;; amdgpu-corpus repo=vllm-project/vllm kind=compiled arch=gfx942 opt=O3
	.text
	.amdgcn_target "amdgcn-amd-amdhsa--gfx942"
	.amdhsa_code_object_version 6
	.section	.text._ZN4vllm3moe22topkGatingSoftplusSqrtILi1ELi1ELi4ELi4ELi64ELb1EifEEvPKT6_PKbPfiPT5_PiiiibdPKfPKS8_SE_,"axG",@progbits,_ZN4vllm3moe22topkGatingSoftplusSqrtILi1ELi1ELi4ELi4ELi64ELb1EifEEvPKT6_PKbPfiPT5_PiiiibdPKfPKS8_SE_,comdat
	.protected	_ZN4vllm3moe22topkGatingSoftplusSqrtILi1ELi1ELi4ELi4ELi64ELb1EifEEvPKT6_PKbPfiPT5_PiiiibdPKfPKS8_SE_ ; -- Begin function _ZN4vllm3moe22topkGatingSoftplusSqrtILi1ELi1ELi4ELi4ELi64ELb1EifEEvPKT6_PKbPfiPT5_PiiiibdPKfPKS8_SE_
	.globl	_ZN4vllm3moe22topkGatingSoftplusSqrtILi1ELi1ELi4ELi4ELi64ELb1EifEEvPKT6_PKbPfiPT5_PiiiibdPKfPKS8_SE_
	.p2align	8
	.type	_ZN4vllm3moe22topkGatingSoftplusSqrtILi1ELi1ELi4ELi4ELi64ELb1EifEEvPKT6_PKbPfiPT5_PiiiibdPKfPKS8_SE_,@function
_ZN4vllm3moe22topkGatingSoftplusSqrtILi1ELi1ELi4ELi4ELi64ELb1EifEEvPKT6_PKbPfiPT5_PiiiibdPKfPKS8_SE_: ; @_ZN4vllm3moe22topkGatingSoftplusSqrtILi1ELi1ELi4ELi4ELi64ELb1EifEEvPKT6_PKbPfiPT5_PiiiibdPKfPKS8_SE_
; %bb.0:
	s_load_dword s3, s[0:1], 0x18
	v_bfe_u32 v1, v0, 10, 10
	s_lshl_b32 s2, s2, 8
	v_lshlrev_b32_e32 v1, 6, v1
	v_and_b32_e32 v0, 0x3ff, v0
	v_add3_u32 v2, v1, v0, s2
	s_waitcnt lgkmcnt(0)
	v_cmp_gt_i32_e32 vcc, s3, v2
	s_and_saveexec_b64 s[2:3], vcc
	s_cbranch_execz .LBB0_54
; %bb.1:
	s_load_dwordx2 s[2:3], s[0:1], 0x0
	s_load_dword s14, s[0:1], 0x30
	v_ashrrev_i32_e32 v3, 31, v2
	v_lshlrev_b64 v[0:1], 2, v[2:3]
	s_load_dwordx4 s[4:7], s[0:1], 0x50
	s_waitcnt lgkmcnt(0)
	v_lshl_add_u64 v[4:5], s[2:3], 0, v[0:1]
	global_load_dword v4, v[4:5], off
	s_mov_b32 s3, 0x800000
	s_mov_b32 s9, 0x3f317217
	v_lshl_add_u64 v[0:1], s[4:5], 0, v[0:1]
	global_load_dword v0, v[0:1], off
	v_mov_b32_e32 v1, 0x4f800000
	s_mov_b32 s10, 0x7f800000
	v_mov_b32_e32 v5, 0x41b17218
	s_mov_b32 s2, 0x41a00000
	s_mov_b32 s11, 0xf800000
	v_mov_b32_e32 v7, 0x260
	s_cmp_gt_i32 s14, 0
	s_mov_b32 s8, 0
	v_mov_b32_e32 v3, 0
	s_cselect_b64 s[4:5], -1, 0
	s_cmp_lt_i32 s14, 1
	v_mul_lo_u32 v2, v2, s14
	s_waitcnt vmcnt(1)
	v_mul_f32_e32 v6, 0x3fb8aa3b, v4
	v_exp_f32_e32 v6, v6
	s_waitcnt vmcnt(0)
	v_mul_lo_u32 v0, v0, s14
	v_add_f32_e32 v6, 1.0, v6
	v_cmp_gt_f32_e32 vcc, s3, v6
	s_nop 1
	v_cndmask_b32_e32 v1, 1.0, v1, vcc
	v_mul_f32_e32 v1, v6, v1
	v_log_f32_e32 v1, v1
	v_cndmask_b32_e32 v5, 0, v5, vcc
	v_mul_f32_e32 v6, 0x3f317217, v1
	v_fma_f32 v6, v1, s9, -v6
	v_fmamk_f32 v6, v1, 0x3377d1cf, v6
	v_fmac_f32_e32 v6, 0x3f317217, v1
	v_cmp_lt_f32_e64 vcc, |v1|, s10
	s_nop 1
	v_cndmask_b32_e32 v1, v1, v6, vcc
	v_sub_f32_e32 v1, v1, v5
	v_cmp_lt_f32_e32 vcc, s2, v4
	s_nop 1
	v_cndmask_b32_e32 v1, v1, v4, vcc
	v_mul_f32_e32 v4, 0x4f800000, v1
	v_cmp_gt_f32_e32 vcc, s11, v1
	s_nop 1
	v_cndmask_b32_e32 v6, v1, v4, vcc
	v_sqrt_f32_e32 v8, v6
	v_ashrrev_i32_e32 v1, 31, v0
	v_lshl_add_u64 v[4:5], v[0:1], 2, s[6:7]
	v_add_u32_e32 v9, -1, v8
	v_add_u32_e32 v10, 1, v8
	v_fma_f32 v11, -v9, v8, v6
	v_fma_f32 v12, -v10, v8, v6
	v_cmp_ge_f32_e64 s[2:3], 0, v11
	s_nop 1
	v_cndmask_b32_e64 v8, v8, v9, s[2:3]
	v_cmp_lt_f32_e64 s[2:3], 0, v12
	s_nop 1
	v_cndmask_b32_e64 v8, v8, v10, s[2:3]
	v_mul_f32_e32 v9, 0x37800000, v8
	v_cndmask_b32_e32 v8, v8, v9, vcc
	v_cmp_class_f32_e32 vcc, v6, v7
	s_nop 1
	v_cndmask_b32_e32 v10, v8, v6, vcc
	s_cbranch_scc1 .LBB0_27
; %bb.2:
	s_load_dwordx2 s[2:3], s[0:1], 0x20
	s_cmp_lt_u32 s14, 8
	s_cbranch_scc1 .LBB0_21
; %bb.3:
	v_ashrrev_i32_e32 v3, 31, v2
	s_and_b32 s8, s14, 0x7ffffff8
	s_waitcnt lgkmcnt(0)
	v_lshl_add_u64 v[6:7], v[2:3], 2, s[2:3]
	s_mov_b32 s9, 0
	s_mov_b64 s[10:11], 0
	v_mov_b32_e32 v11, 0
	v_mov_b32_e32 v3, 0
	s_branch .LBB0_5
.LBB0_4:                                ;   in Loop: Header=BB0_5 Depth=1
	s_or_b64 exec, exec, s[12:13]
	s_add_i32 s9, s9, 8
	s_add_u32 s10, s10, 32
	s_addc_u32 s11, s11, 0
	s_cmp_eq_u32 s8, s9
	s_cbranch_scc1 .LBB0_22
.LBB0_5:                                ; =>This Inner Loop Header: Depth=1
	v_lshl_add_u64 v[8:9], v[4:5], 0, s[10:11]
	global_load_dword v12, v[8:9], off
	s_waitcnt vmcnt(0)
	v_cmp_eq_u32_e32 vcc, 0, v12
	s_and_saveexec_b64 s[12:13], vcc
	s_cbranch_execz .LBB0_7
; %bb.6:                                ;   in Loop: Header=BB0_5 Depth=1
	v_add_u32_e32 v12, s9, v2
	v_ashrrev_i32_e32 v13, 31, v12
	v_lshl_add_u64 v[12:13], v[12:13], 2, s[2:3]
	v_add_f32_e32 v3, v10, v3
	global_store_dword v[12:13], v11, off
.LBB0_7:                                ;   in Loop: Header=BB0_5 Depth=1
	s_or_b64 exec, exec, s[12:13]
	global_load_dword v12, v[8:9], off offset:4
	s_waitcnt vmcnt(0)
	v_cmp_eq_u32_e32 vcc, 0, v12
	s_and_saveexec_b64 s[12:13], vcc
	s_cbranch_execz .LBB0_9
; %bb.8:                                ;   in Loop: Header=BB0_5 Depth=1
	v_lshl_add_u64 v[12:13], v[6:7], 0, s[10:11]
	v_add_f32_e32 v3, v10, v3
	global_store_dword v[12:13], v11, off offset:4
.LBB0_9:                                ;   in Loop: Header=BB0_5 Depth=1
	s_or_b64 exec, exec, s[12:13]
	global_load_dword v12, v[8:9], off offset:8
	s_waitcnt vmcnt(0)
	v_cmp_eq_u32_e32 vcc, 0, v12
	s_and_saveexec_b64 s[12:13], vcc
	s_cbranch_execz .LBB0_11
; %bb.10:                               ;   in Loop: Header=BB0_5 Depth=1
	v_lshl_add_u64 v[12:13], v[6:7], 0, s[10:11]
	v_add_f32_e32 v3, v10, v3
	global_store_dword v[12:13], v11, off offset:8
.LBB0_11:                               ;   in Loop: Header=BB0_5 Depth=1
	s_or_b64 exec, exec, s[12:13]
	global_load_dword v12, v[8:9], off offset:12
	s_waitcnt vmcnt(0)
	v_cmp_eq_u32_e32 vcc, 0, v12
	s_and_saveexec_b64 s[12:13], vcc
	s_cbranch_execz .LBB0_13
; %bb.12:                               ;   in Loop: Header=BB0_5 Depth=1
	v_lshl_add_u64 v[12:13], v[6:7], 0, s[10:11]
	v_add_f32_e32 v3, v10, v3
	global_store_dword v[12:13], v11, off offset:12
.LBB0_13:                               ;   in Loop: Header=BB0_5 Depth=1
	s_or_b64 exec, exec, s[12:13]
	global_load_dword v12, v[8:9], off offset:16
	s_waitcnt vmcnt(0)
	v_cmp_eq_u32_e32 vcc, 0, v12
	s_and_saveexec_b64 s[12:13], vcc
	s_cbranch_execz .LBB0_15
; %bb.14:                               ;   in Loop: Header=BB0_5 Depth=1
	v_lshl_add_u64 v[12:13], v[6:7], 0, s[10:11]
	v_add_f32_e32 v3, v10, v3
	global_store_dword v[12:13], v11, off offset:16
.LBB0_15:                               ;   in Loop: Header=BB0_5 Depth=1
	s_or_b64 exec, exec, s[12:13]
	global_load_dword v12, v[8:9], off offset:20
	s_waitcnt vmcnt(0)
	v_cmp_eq_u32_e32 vcc, 0, v12
	s_and_saveexec_b64 s[12:13], vcc
	s_cbranch_execz .LBB0_17
; %bb.16:                               ;   in Loop: Header=BB0_5 Depth=1
	v_lshl_add_u64 v[12:13], v[6:7], 0, s[10:11]
	v_add_f32_e32 v3, v10, v3
	global_store_dword v[12:13], v11, off offset:20
.LBB0_17:                               ;   in Loop: Header=BB0_5 Depth=1
	s_or_b64 exec, exec, s[12:13]
	global_load_dword v12, v[8:9], off offset:24
	s_waitcnt vmcnt(0)
	v_cmp_eq_u32_e32 vcc, 0, v12
	s_and_saveexec_b64 s[12:13], vcc
	s_cbranch_execz .LBB0_19
; %bb.18:                               ;   in Loop: Header=BB0_5 Depth=1
	v_lshl_add_u64 v[12:13], v[6:7], 0, s[10:11]
	v_add_f32_e32 v3, v10, v3
	global_store_dword v[12:13], v11, off offset:24
.LBB0_19:                               ;   in Loop: Header=BB0_5 Depth=1
	s_or_b64 exec, exec, s[12:13]
	global_load_dword v8, v[8:9], off offset:28
	s_waitcnt vmcnt(0)
	v_cmp_eq_u32_e32 vcc, 0, v8
	s_and_saveexec_b64 s[12:13], vcc
	s_cbranch_execz .LBB0_4
; %bb.20:                               ;   in Loop: Header=BB0_5 Depth=1
	v_lshl_add_u64 v[8:9], v[6:7], 0, s[10:11]
	v_add_f32_e32 v3, v10, v3
	global_store_dword v[8:9], v11, off offset:28
	s_branch .LBB0_4
.LBB0_21:
	v_mov_b32_e32 v3, 0
.LBB0_22:
	s_and_b32 s10, s14, 7
	s_cmp_eq_u32 s10, 0
	s_mov_b32 s9, 0
	s_cbranch_scc1 .LBB0_27
; %bb.23:
	v_add_u32_e32 v6, s8, v2
	s_lshl_b64 s[8:9], s[8:9], 2
	s_add_u32 s8, s6, s8
	s_addc_u32 s9, s7, s9
	v_lshl_add_u64 v[8:9], v[0:1], 2, s[8:9]
	v_mov_b32_e32 v11, 0
	s_branch .LBB0_25
.LBB0_24:                               ;   in Loop: Header=BB0_25 Depth=1
	s_or_b64 exec, exec, s[8:9]
	s_add_i32 s10, s10, -1
	v_add_u32_e32 v6, 1, v6
	s_cmp_lg_u32 s10, 0
	v_lshl_add_u64 v[8:9], v[8:9], 0, 4
	s_cbranch_scc0 .LBB0_27
.LBB0_25:                               ; =>This Inner Loop Header: Depth=1
	global_load_dword v7, v[8:9], off
	s_waitcnt vmcnt(0)
	v_cmp_eq_u32_e32 vcc, 0, v7
	s_and_saveexec_b64 s[8:9], vcc
	s_cbranch_execz .LBB0_24
; %bb.26:                               ;   in Loop: Header=BB0_25 Depth=1
	v_ashrrev_i32_e32 v7, 31, v6
	s_waitcnt lgkmcnt(0)
	v_lshl_add_u64 v[12:13], v[6:7], 2, s[2:3]
	v_add_f32_e32 v3, v10, v3
	global_store_dword v[12:13], v11, off
	s_branch .LBB0_24
.LBB0_27:
	s_load_dword s8, s[0:1], 0x3c
	s_waitcnt lgkmcnt(0)
	s_load_dwordx2 s[2:3], s[0:1], 0x40
	s_bitcmp1_b32 s8, 0
	s_cselect_b64 s[8:9], -1, 0
	s_waitcnt lgkmcnt(0)
	v_cvt_f32_f64_e32 v6, s[2:3]
	s_and_b64 vcc, exec, s[8:9]
	s_cbranch_vccz .LBB0_29
; %bb.28:
	v_cmp_lt_f32_e32 vcc, 0, v3
	s_nop 1
	v_cndmask_b32_e32 v3, 1.0, v3, vcc
	v_div_scale_f32 v7, s[2:3], v3, v3, v6
	v_rcp_f32_e32 v8, v7
	s_nop 0
	v_fma_f32 v9, -v7, v8, 1.0
	v_fmac_f32_e32 v8, v9, v8
	v_div_scale_f32 v9, vcc, v6, v3, v6
	v_mul_f32_e32 v11, v9, v8
	v_fma_f32 v12, -v7, v11, v9
	v_fmac_f32_e32 v11, v12, v8
	v_fma_f32 v7, -v7, v11, v9
	v_div_fmas_f32 v7, v7, v8, v11
	v_div_fixup_f32 v6, v7, v3, v6
.LBB0_29:
	s_andn2_b64 vcc, exec, s[4:5]
	s_cbranch_vccnz .LBB0_54
; %bb.30:
	s_load_dwordx2 s[0:1], s[0:1], 0x10
	v_mul_f32_e32 v10, v10, v6
	s_cmp_lt_u32 s14, 8
	s_mov_b32 s2, 0
	s_cbranch_scc1 .LBB0_49
; %bb.31:
	v_ashrrev_i32_e32 v3, 31, v2
	s_and_b32 s2, s14, 0x7ffffff8
	s_waitcnt lgkmcnt(0)
	v_lshl_add_u64 v[6:7], v[2:3], 2, s[0:1]
	s_mov_b32 s3, 0
	s_mov_b64 s[4:5], 0
	s_branch .LBB0_33
.LBB0_32:                               ;   in Loop: Header=BB0_33 Depth=1
	s_or_b64 exec, exec, s[8:9]
	s_add_i32 s3, s3, 8
	s_add_u32 s4, s4, 32
	s_addc_u32 s5, s5, 0
	s_cmp_lg_u32 s2, s3
	s_cbranch_scc0 .LBB0_49
.LBB0_33:                               ; =>This Inner Loop Header: Depth=1
	v_lshl_add_u64 v[8:9], v[4:5], 0, s[4:5]
	global_load_dword v3, v[8:9], off
	s_waitcnt vmcnt(0)
	v_cmp_eq_u32_e32 vcc, 0, v3
	s_and_saveexec_b64 s[8:9], vcc
	s_cbranch_execz .LBB0_35
; %bb.34:                               ;   in Loop: Header=BB0_33 Depth=1
	v_add_u32_e32 v12, s3, v2
	v_ashrrev_i32_e32 v13, 31, v12
	v_lshl_add_u64 v[12:13], v[12:13], 2, s[0:1]
	global_store_dword v[12:13], v10, off
.LBB0_35:                               ;   in Loop: Header=BB0_33 Depth=1
	s_or_b64 exec, exec, s[8:9]
	global_load_dword v3, v[8:9], off offset:4
	s_waitcnt vmcnt(0)
	v_cmp_eq_u32_e32 vcc, 0, v3
	s_and_saveexec_b64 s[8:9], vcc
	s_cbranch_execz .LBB0_37
; %bb.36:                               ;   in Loop: Header=BB0_33 Depth=1
	v_lshl_add_u64 v[12:13], v[6:7], 0, s[4:5]
	global_store_dword v[12:13], v10, off offset:4
.LBB0_37:                               ;   in Loop: Header=BB0_33 Depth=1
	s_or_b64 exec, exec, s[8:9]
	global_load_dword v3, v[8:9], off offset:8
	s_waitcnt vmcnt(0)
	v_cmp_eq_u32_e32 vcc, 0, v3
	s_and_saveexec_b64 s[8:9], vcc
	s_cbranch_execz .LBB0_39
; %bb.38:                               ;   in Loop: Header=BB0_33 Depth=1
	v_lshl_add_u64 v[12:13], v[6:7], 0, s[4:5]
	global_store_dword v[12:13], v10, off offset:8
.LBB0_39:                               ;   in Loop: Header=BB0_33 Depth=1
	;; [unrolled: 10-line block ×6, first 2 shown]
	s_or_b64 exec, exec, s[8:9]
	global_load_dword v3, v[8:9], off offset:28
	s_waitcnt vmcnt(0)
	v_cmp_eq_u32_e32 vcc, 0, v3
	s_and_saveexec_b64 s[8:9], vcc
	s_cbranch_execz .LBB0_32
; %bb.48:                               ;   in Loop: Header=BB0_33 Depth=1
	v_lshl_add_u64 v[8:9], v[6:7], 0, s[4:5]
	global_store_dword v[8:9], v10, off offset:28
	s_branch .LBB0_32
.LBB0_49:
	s_and_b32 s4, s14, 7
	s_cmp_eq_u32 s4, 0
	s_mov_b32 s3, 0
	s_cbranch_scc1 .LBB0_54
; %bb.50:
	v_add_u32_e32 v2, s2, v2
	s_lshl_b64 s[2:3], s[2:3], 2
	s_add_u32 s2, s6, s2
	s_addc_u32 s3, s7, s3
	v_lshl_add_u64 v[0:1], v[0:1], 2, s[2:3]
	s_branch .LBB0_52
.LBB0_51:                               ;   in Loop: Header=BB0_52 Depth=1
	s_or_b64 exec, exec, s[2:3]
	s_add_i32 s4, s4, -1
	v_add_u32_e32 v2, 1, v2
	s_cmp_lg_u32 s4, 0
	v_lshl_add_u64 v[0:1], v[0:1], 0, 4
	s_cbranch_scc0 .LBB0_54
.LBB0_52:                               ; =>This Inner Loop Header: Depth=1
	global_load_dword v3, v[0:1], off
	s_waitcnt vmcnt(0)
	v_cmp_eq_u32_e32 vcc, 0, v3
	s_and_saveexec_b64 s[2:3], vcc
	s_cbranch_execz .LBB0_51
; %bb.53:                               ;   in Loop: Header=BB0_52 Depth=1
	v_ashrrev_i32_e32 v3, 31, v2
	s_waitcnt lgkmcnt(0)
	v_lshl_add_u64 v[4:5], v[2:3], 2, s[0:1]
	global_store_dword v[4:5], v10, off
	s_branch .LBB0_51
.LBB0_54:
	s_endpgm
	.section	.rodata,"a",@progbits
	.p2align	6, 0x0
	.amdhsa_kernel _ZN4vllm3moe22topkGatingSoftplusSqrtILi1ELi1ELi4ELi4ELi64ELb1EifEEvPKT6_PKbPfiPT5_PiiiibdPKfPKS8_SE_
		.amdhsa_group_segment_fixed_size 0
		.amdhsa_private_segment_fixed_size 0
		.amdhsa_kernarg_size 96
		.amdhsa_user_sgpr_count 2
		.amdhsa_user_sgpr_dispatch_ptr 0
		.amdhsa_user_sgpr_queue_ptr 0
		.amdhsa_user_sgpr_kernarg_segment_ptr 1
		.amdhsa_user_sgpr_dispatch_id 0
		.amdhsa_user_sgpr_kernarg_preload_length 0
		.amdhsa_user_sgpr_kernarg_preload_offset 0
		.amdhsa_user_sgpr_private_segment_size 0
		.amdhsa_uses_dynamic_stack 0
		.amdhsa_enable_private_segment 0
		.amdhsa_system_sgpr_workgroup_id_x 1
		.amdhsa_system_sgpr_workgroup_id_y 0
		.amdhsa_system_sgpr_workgroup_id_z 0
		.amdhsa_system_sgpr_workgroup_info 0
		.amdhsa_system_vgpr_workitem_id 1
		.amdhsa_next_free_vgpr 14
		.amdhsa_next_free_sgpr 15
		.amdhsa_accum_offset 16
		.amdhsa_reserve_vcc 1
		.amdhsa_float_round_mode_32 0
		.amdhsa_float_round_mode_16_64 0
		.amdhsa_float_denorm_mode_32 3
		.amdhsa_float_denorm_mode_16_64 3
		.amdhsa_dx10_clamp 1
		.amdhsa_ieee_mode 1
		.amdhsa_fp16_overflow 0
		.amdhsa_tg_split 0
		.amdhsa_exception_fp_ieee_invalid_op 0
		.amdhsa_exception_fp_denorm_src 0
		.amdhsa_exception_fp_ieee_div_zero 0
		.amdhsa_exception_fp_ieee_overflow 0
		.amdhsa_exception_fp_ieee_underflow 0
		.amdhsa_exception_fp_ieee_inexact 0
		.amdhsa_exception_int_div_zero 0
	.end_amdhsa_kernel
	.section	.text._ZN4vllm3moe22topkGatingSoftplusSqrtILi1ELi1ELi4ELi4ELi64ELb1EifEEvPKT6_PKbPfiPT5_PiiiibdPKfPKS8_SE_,"axG",@progbits,_ZN4vllm3moe22topkGatingSoftplusSqrtILi1ELi1ELi4ELi4ELi64ELb1EifEEvPKT6_PKbPfiPT5_PiiiibdPKfPKS8_SE_,comdat
.Lfunc_end0:
	.size	_ZN4vllm3moe22topkGatingSoftplusSqrtILi1ELi1ELi4ELi4ELi64ELb1EifEEvPKT6_PKbPfiPT5_PiiiibdPKfPKS8_SE_, .Lfunc_end0-_ZN4vllm3moe22topkGatingSoftplusSqrtILi1ELi1ELi4ELi4ELi64ELb1EifEEvPKT6_PKbPfiPT5_PiiiibdPKfPKS8_SE_
                                        ; -- End function
	.section	.AMDGPU.csdata,"",@progbits
; Kernel info:
; codeLenInByte = 1808
; NumSgprs: 21
; NumVgprs: 14
; NumAgprs: 0
; TotalNumVgprs: 14
; ScratchSize: 0
; MemoryBound: 0
; FloatMode: 240
; IeeeMode: 1
; LDSByteSize: 0 bytes/workgroup (compile time only)
; SGPRBlocks: 2
; VGPRBlocks: 1
; NumSGPRsForWavesPerEU: 21
; NumVGPRsForWavesPerEU: 14
; AccumOffset: 16
; Occupancy: 8
; WaveLimiterHint : 1
; COMPUTE_PGM_RSRC2:SCRATCH_EN: 0
; COMPUTE_PGM_RSRC2:USER_SGPR: 2
; COMPUTE_PGM_RSRC2:TRAP_HANDLER: 0
; COMPUTE_PGM_RSRC2:TGID_X_EN: 1
; COMPUTE_PGM_RSRC2:TGID_Y_EN: 0
; COMPUTE_PGM_RSRC2:TGID_Z_EN: 0
; COMPUTE_PGM_RSRC2:TIDIG_COMP_CNT: 1
; COMPUTE_PGM_RSRC3_GFX90A:ACCUM_OFFSET: 3
; COMPUTE_PGM_RSRC3_GFX90A:TG_SPLIT: 0
	.section	.text._ZN4vllm3moe22topkGatingSoftplusSqrtILi1ELi1ELi4ELi4ELi64ELb0EifEEvPKT6_PKbPfiPT5_PiiiibdPKfPKS8_SE_,"axG",@progbits,_ZN4vllm3moe22topkGatingSoftplusSqrtILi1ELi1ELi4ELi4ELi64ELb0EifEEvPKT6_PKbPfiPT5_PiiiibdPKfPKS8_SE_,comdat
	.protected	_ZN4vllm3moe22topkGatingSoftplusSqrtILi1ELi1ELi4ELi4ELi64ELb0EifEEvPKT6_PKbPfiPT5_PiiiibdPKfPKS8_SE_ ; -- Begin function _ZN4vllm3moe22topkGatingSoftplusSqrtILi1ELi1ELi4ELi4ELi64ELb0EifEEvPKT6_PKbPfiPT5_PiiiibdPKfPKS8_SE_
	.globl	_ZN4vllm3moe22topkGatingSoftplusSqrtILi1ELi1ELi4ELi4ELi64ELb0EifEEvPKT6_PKbPfiPT5_PiiiibdPKfPKS8_SE_
	.p2align	8
	.type	_ZN4vllm3moe22topkGatingSoftplusSqrtILi1ELi1ELi4ELi4ELi64ELb0EifEEvPKT6_PKbPfiPT5_PiiiibdPKfPKS8_SE_,@function
_ZN4vllm3moe22topkGatingSoftplusSqrtILi1ELi1ELi4ELi4ELi64ELb0EifEEvPKT6_PKbPfiPT5_PiiiibdPKfPKS8_SE_: ; @_ZN4vllm3moe22topkGatingSoftplusSqrtILi1ELi1ELi4ELi4ELi64ELb0EifEEvPKT6_PKbPfiPT5_PiiiibdPKfPKS8_SE_
; %bb.0:
	s_load_dword s24, s[0:1], 0x18
	v_bfe_u32 v1, v0, 10, 10
	s_lshl_b32 s2, s2, 8
	v_lshlrev_b32_e32 v1, 6, v1
	v_and_b32_e32 v0, 0x3ff, v0
	v_add3_u32 v2, v1, v0, s2
	s_waitcnt lgkmcnt(0)
	v_cmp_gt_i32_e32 vcc, s24, v2
	s_and_saveexec_b64 s[2:3], vcc
	s_cbranch_execz .LBB1_24
; %bb.1:
	s_load_dwordx4 s[4:7], s[0:1], 0x0
	s_load_dwordx2 s[16:17], s[0:1], 0x10
	v_ashrrev_i32_e32 v3, 31, v2
	s_waitcnt lgkmcnt(0)
	s_cmp_eq_u64 s[6:7], 0
	s_cbranch_scc1 .LBB1_3
; %bb.2:
	v_lshl_add_u64 v[0:1], s[6:7], 0, v[2:3]
	global_load_ubyte v0, v[0:1], off
	s_waitcnt vmcnt(0)
	v_and_b32_e32 v0, 1, v0
	v_cmp_eq_u32_e32 vcc, 1, v0
	s_xor_b64 s[2:3], vcc, -1
	s_orn2_b64 s[18:19], s[2:3], exec
	s_branch .LBB1_4
.LBB1_3:
	s_mov_b64 s[18:19], -1
.LBB1_4:
	v_mov_b32_e32 v0, s4
	v_mov_b32_e32 v1, s5
	v_lshl_add_u64 v[0:1], v[2:3], 2, v[0:1]
	global_load_dword v0, v[0:1], off
	s_mov_b32 s3, 0x800000
	v_mov_b32_e32 v1, 0x4f800000
	s_mov_b32 s4, 0x3f317217
	s_mov_b32 s5, 0x7f800000
	v_mov_b32_e32 v4, 0x41b17218
	s_mov_b32 s2, 0x41a00000
	s_load_dwordx4 s[8:11], s[0:1], 0x40
	s_waitcnt lgkmcnt(0)
	s_cmp_lg_u64 s[10:11], 0
	s_cselect_b64 s[22:23], -1, 0
	s_cmp_eq_u64 s[10:11], 0
	s_waitcnt vmcnt(0)
	v_mul_f32_e32 v3, 0x3fb8aa3b, v0
	v_exp_f32_e32 v3, v3
	s_nop 0
	v_add_f32_e32 v3, 1.0, v3
	v_cmp_gt_f32_e32 vcc, s3, v3
	s_mov_b32 s3, 0xf800000
	s_nop 0
	v_cndmask_b32_e32 v1, 1.0, v1, vcc
	v_mul_f32_e32 v1, v3, v1
	v_log_f32_e32 v1, v1
	v_cndmask_b32_e32 v4, 0, v4, vcc
	v_mov_b32_e32 v3, 0x260
	v_mul_f32_e32 v5, 0x3f317217, v1
	v_fma_f32 v5, v1, s4, -v5
	v_fmamk_f32 v5, v1, 0x3377d1cf, v5
	v_fmac_f32_e32 v5, 0x3f317217, v1
	v_cmp_lt_f32_e64 vcc, |v1|, s5
	s_nop 1
	v_cndmask_b32_e32 v1, v1, v5, vcc
	v_sub_f32_e32 v1, v1, v4
	v_cmp_lt_f32_e32 vcc, s2, v0
	s_nop 1
	v_cndmask_b32_e32 v0, v1, v0, vcc
	v_mul_f32_e32 v1, 0x4f800000, v0
	v_cmp_gt_f32_e32 vcc, s3, v0
	s_nop 1
	v_cndmask_b32_e32 v0, v0, v1, vcc
	v_sqrt_f32_e32 v1, v0
	s_nop 0
	v_add_u32_e32 v4, -1, v1
	v_add_u32_e32 v5, 1, v1
	v_fma_f32 v6, -v4, v1, v0
	v_fma_f32 v7, -v5, v1, v0
	v_cmp_ge_f32_e64 s[2:3], 0, v6
	s_nop 1
	v_cndmask_b32_e64 v1, v1, v4, s[2:3]
	v_cmp_lt_f32_e64 s[2:3], 0, v7
	s_nop 1
	v_cndmask_b32_e64 v1, v1, v5, s[2:3]
	v_mul_f32_e32 v4, 0x37800000, v1
	v_cndmask_b32_e32 v1, v1, v4, vcc
	v_cmp_class_f32_e32 vcc, v0, v3
	s_nop 1
	v_cndmask_b32_e32 v1, v1, v0, vcc
	s_cbranch_scc1 .LBB1_6
; %bb.5:
	s_load_dword s2, s[10:11], 0x0
	s_waitcnt lgkmcnt(0)
	v_add_f32_e32 v1, s2, v1
.LBB1_6:
	s_load_dwordx4 s[4:7], s[0:1], 0x30
	s_waitcnt lgkmcnt(0)
	s_bitcmp1_b32 s7, 0
	s_cselect_b64 s[2:3], -1, 0
	s_cmp_gt_i32 s4, 0
	s_cselect_b64 s[20:21], -1, 0
	s_cmp_lt_i32 s4, 1
	v_mul_lo_u32 v0, v2, s4
	s_cbranch_scc1 .LBB1_11
; %bb.7:
	s_cmp_lt_i32 s5, 1
	s_load_dwordx4 s[12:15], s[0:1], 0x20
	s_cselect_b64 s[0:1], -1, 0
	s_cmp_gt_i32 s6, 0
	s_cselect_b64 s[26:27], -1, 0
	s_and_b64 s[0:1], s[0:1], s[26:27]
	s_sub_i32 s5, 0, s5
	v_mov_b32_e32 v3, s5
	s_and_b64 vcc, s[18:19], s[0:1]
	v_cndmask_b32_e32 v4, 1, v3, vcc
	v_cndmask_b32_e64 v3, 0, 1, s[22:23]
	s_mov_b32 s7, 0
	v_mov_b32_e32 v5, 0
	v_cmp_ne_u32_e64 s[0:1], 1, v3
	v_mov_b32_e32 v6, 0xc61c4000
	v_mov_b32_e32 v3, 0
	s_branch .LBB1_9
.LBB1_8:                                ;   in Loop: Header=BB1_9 Depth=1
	v_add_u32_e32 v8, s7, v0
	v_ashrrev_i32_e32 v9, 31, v8
	v_lshlrev_b64 v[8:9], 2, v[8:9]
	s_add_i32 s7, s7, 1
	v_lshl_add_u64 v[10:11], s[16:17], 0, v[8:9]
	s_cmp_ge_i32 s7, s4
	global_store_dword v[10:11], v7, off
	s_waitcnt lgkmcnt(0)
	v_lshl_add_u64 v[10:11], s[12:13], 0, v[8:9]
	v_lshl_add_u64 v[8:9], s[14:15], 0, v[8:9]
	v_add_f32_e32 v7, v3, v7
	s_cselect_b64 vcc, -1, 0
	global_store_dword v[10:11], v4, off
	global_store_dword v[8:9], v2, off
	v_cndmask_b32_e64 v3, v3, v7, s[2:3]
	v_cndmask_b32_e32 v1, v6, v1, vcc
	s_cmp_lg_u32 s4, s7
	v_add_u32_e32 v2, s24, v2
	s_cbranch_scc0 .LBB1_12
.LBB1_9:                                ; =>This Inner Loop Header: Depth=1
	s_and_b64 vcc, exec, s[0:1]
	v_mov_b32_e32 v7, v1
	s_cbranch_vccnz .LBB1_8
; %bb.10:                               ;   in Loop: Header=BB1_9 Depth=1
	global_load_dword v7, v5, s[10:11]
	s_waitcnt vmcnt(0)
	v_sub_f32_e32 v7, v1, v7
	s_branch .LBB1_8
.LBB1_11:
	v_mov_b32_e32 v3, 0
.LBB1_12:
	s_andn2_b64 vcc, exec, s[2:3]
	v_cvt_f32_f64_e32 v2, s[8:9]
	s_cbranch_vccnz .LBB1_14
; %bb.13:
	v_cmp_lt_f32_e32 vcc, 0, v3
	s_nop 1
	v_cndmask_b32_e32 v1, 1.0, v3, vcc
	v_div_scale_f32 v3, s[0:1], v1, v1, v2
	v_rcp_f32_e32 v4, v3
	s_nop 0
	v_fma_f32 v5, -v3, v4, 1.0
	v_fmac_f32_e32 v4, v5, v4
	v_div_scale_f32 v5, vcc, v2, v1, v2
	v_mul_f32_e32 v6, v5, v4
	v_fma_f32 v7, -v3, v6, v5
	v_fmac_f32_e32 v6, v7, v4
	v_fma_f32 v3, -v3, v6, v5
	v_div_fmas_f32 v3, v3, v4, v6
	v_div_fixup_f32 v2, v3, v1, v2
.LBB1_14:
	s_andn2_b64 vcc, exec, s[20:21]
	s_cbranch_vccnz .LBB1_24
; %bb.15:
	s_cmp_gt_u32 s4, 3
	v_ashrrev_i32_e32 v1, 31, v0
	s_cbranch_scc0 .LBB1_19
; %bb.16:
	s_and_b32 s0, s4, 0x7ffffffc
	v_lshl_add_u64 v[4:5], v[0:1], 2, s[16:17]
	v_mov_b32_e32 v3, v2
	v_lshl_add_u64 v[4:5], v[4:5], 0, 8
	s_mov_b32 s1, s0
.LBB1_17:                               ; =>This Inner Loop Header: Depth=1
	global_load_dwordx4 v[6:9], v[4:5], off offset:-8
	s_add_i32 s1, s1, -4
	s_cmp_lg_u32 s1, 0
	s_waitcnt vmcnt(0)
	v_pk_mul_f32 v[6:7], v[2:3], v[6:7]
	v_pk_mul_f32 v[8:9], v[2:3], v[8:9]
	global_store_dwordx4 v[4:5], v[6:9], off offset:-8
	v_lshl_add_u64 v[4:5], v[4:5], 0, 16
	s_cbranch_scc1 .LBB1_17
; %bb.18:
	s_cmp_lg_u32 s0, s4
	s_cselect_b64 s[2:3], -1, 0
	s_branch .LBB1_21
.LBB1_19:
	s_mov_b64 s[2:3], 0
                                        ; implicit-def: $sgpr0
	s_cbranch_execz .LBB1_21
; %bb.20:
	s_mov_b64 s[2:3], -1
	s_mov_b32 s0, 0
.LBB1_21:
	s_andn2_b64 vcc, exec, s[2:3]
	s_cbranch_vccnz .LBB1_24
; %bb.22:
	s_mov_b32 s1, 0
	v_lshl_add_u64 v[0:1], v[0:1], 0, s[0:1]
	s_sub_i32 s2, s4, s0
	v_lshl_add_u64 v[0:1], v[0:1], 2, s[16:17]
.LBB1_23:                               ; =>This Inner Loop Header: Depth=1
	global_load_dword v3, v[0:1], off
	s_add_i32 s2, s2, -1
	s_cmp_lg_u32 s2, 0
	s_waitcnt vmcnt(0)
	v_mul_f32_e32 v3, v2, v3
	global_store_dword v[0:1], v3, off
	v_lshl_add_u64 v[0:1], v[0:1], 0, 4
	s_cbranch_scc1 .LBB1_23
.LBB1_24:
	s_endpgm
	.section	.rodata,"a",@progbits
	.p2align	6, 0x0
	.amdhsa_kernel _ZN4vllm3moe22topkGatingSoftplusSqrtILi1ELi1ELi4ELi4ELi64ELb0EifEEvPKT6_PKbPfiPT5_PiiiibdPKfPKS8_SE_
		.amdhsa_group_segment_fixed_size 0
		.amdhsa_private_segment_fixed_size 0
		.amdhsa_kernarg_size 96
		.amdhsa_user_sgpr_count 2
		.amdhsa_user_sgpr_dispatch_ptr 0
		.amdhsa_user_sgpr_queue_ptr 0
		.amdhsa_user_sgpr_kernarg_segment_ptr 1
		.amdhsa_user_sgpr_dispatch_id 0
		.amdhsa_user_sgpr_kernarg_preload_length 0
		.amdhsa_user_sgpr_kernarg_preload_offset 0
		.amdhsa_user_sgpr_private_segment_size 0
		.amdhsa_uses_dynamic_stack 0
		.amdhsa_enable_private_segment 0
		.amdhsa_system_sgpr_workgroup_id_x 1
		.amdhsa_system_sgpr_workgroup_id_y 0
		.amdhsa_system_sgpr_workgroup_id_z 0
		.amdhsa_system_sgpr_workgroup_info 0
		.amdhsa_system_vgpr_workitem_id 1
		.amdhsa_next_free_vgpr 12
		.amdhsa_next_free_sgpr 28
		.amdhsa_accum_offset 12
		.amdhsa_reserve_vcc 1
		.amdhsa_float_round_mode_32 0
		.amdhsa_float_round_mode_16_64 0
		.amdhsa_float_denorm_mode_32 3
		.amdhsa_float_denorm_mode_16_64 3
		.amdhsa_dx10_clamp 1
		.amdhsa_ieee_mode 1
		.amdhsa_fp16_overflow 0
		.amdhsa_tg_split 0
		.amdhsa_exception_fp_ieee_invalid_op 0
		.amdhsa_exception_fp_denorm_src 0
		.amdhsa_exception_fp_ieee_div_zero 0
		.amdhsa_exception_fp_ieee_overflow 0
		.amdhsa_exception_fp_ieee_underflow 0
		.amdhsa_exception_fp_ieee_inexact 0
		.amdhsa_exception_int_div_zero 0
	.end_amdhsa_kernel
	.section	.text._ZN4vllm3moe22topkGatingSoftplusSqrtILi1ELi1ELi4ELi4ELi64ELb0EifEEvPKT6_PKbPfiPT5_PiiiibdPKfPKS8_SE_,"axG",@progbits,_ZN4vllm3moe22topkGatingSoftplusSqrtILi1ELi1ELi4ELi4ELi64ELb0EifEEvPKT6_PKbPfiPT5_PiiiibdPKfPKS8_SE_,comdat
.Lfunc_end1:
	.size	_ZN4vllm3moe22topkGatingSoftplusSqrtILi1ELi1ELi4ELi4ELi64ELb0EifEEvPKT6_PKbPfiPT5_PiiiibdPKfPKS8_SE_, .Lfunc_end1-_ZN4vllm3moe22topkGatingSoftplusSqrtILi1ELi1ELi4ELi4ELi64ELb0EifEEvPKT6_PKbPfiPT5_PiiiibdPKfPKS8_SE_
                                        ; -- End function
	.section	.AMDGPU.csdata,"",@progbits
; Kernel info:
; codeLenInByte = 1080
; NumSgprs: 34
; NumVgprs: 12
; NumAgprs: 0
; TotalNumVgprs: 12
; ScratchSize: 0
; MemoryBound: 0
; FloatMode: 240
; IeeeMode: 1
; LDSByteSize: 0 bytes/workgroup (compile time only)
; SGPRBlocks: 4
; VGPRBlocks: 1
; NumSGPRsForWavesPerEU: 34
; NumVGPRsForWavesPerEU: 12
; AccumOffset: 12
; Occupancy: 8
; WaveLimiterHint : 0
; COMPUTE_PGM_RSRC2:SCRATCH_EN: 0
; COMPUTE_PGM_RSRC2:USER_SGPR: 2
; COMPUTE_PGM_RSRC2:TRAP_HANDLER: 0
; COMPUTE_PGM_RSRC2:TGID_X_EN: 1
; COMPUTE_PGM_RSRC2:TGID_Y_EN: 0
; COMPUTE_PGM_RSRC2:TGID_Z_EN: 0
; COMPUTE_PGM_RSRC2:TIDIG_COMP_CNT: 1
; COMPUTE_PGM_RSRC3_GFX90A:ACCUM_OFFSET: 2
; COMPUTE_PGM_RSRC3_GFX90A:TG_SPLIT: 0
	.section	.text._ZN4vllm3moe22topkGatingSoftplusSqrtILi1ELi1ELi4ELi4ELi32ELb1EifEEvPKT6_PKbPfiPT5_PiiiibdPKfPKS8_SE_,"axG",@progbits,_ZN4vllm3moe22topkGatingSoftplusSqrtILi1ELi1ELi4ELi4ELi32ELb1EifEEvPKT6_PKbPfiPT5_PiiiibdPKfPKS8_SE_,comdat
	.protected	_ZN4vllm3moe22topkGatingSoftplusSqrtILi1ELi1ELi4ELi4ELi32ELb1EifEEvPKT6_PKbPfiPT5_PiiiibdPKfPKS8_SE_ ; -- Begin function _ZN4vllm3moe22topkGatingSoftplusSqrtILi1ELi1ELi4ELi4ELi32ELb1EifEEvPKT6_PKbPfiPT5_PiiiibdPKfPKS8_SE_
	.globl	_ZN4vllm3moe22topkGatingSoftplusSqrtILi1ELi1ELi4ELi4ELi32ELb1EifEEvPKT6_PKbPfiPT5_PiiiibdPKfPKS8_SE_
	.p2align	8
	.type	_ZN4vllm3moe22topkGatingSoftplusSqrtILi1ELi1ELi4ELi4ELi32ELb1EifEEvPKT6_PKbPfiPT5_PiiiibdPKfPKS8_SE_,@function
_ZN4vllm3moe22topkGatingSoftplusSqrtILi1ELi1ELi4ELi4ELi32ELb1EifEEvPKT6_PKbPfiPT5_PiiiibdPKfPKS8_SE_: ; @_ZN4vllm3moe22topkGatingSoftplusSqrtILi1ELi1ELi4ELi4ELi32ELb1EifEEvPKT6_PKbPfiPT5_PiiiibdPKfPKS8_SE_
; %bb.0:
	s_load_dword s3, s[0:1], 0x18
	v_bfe_u32 v1, v0, 10, 10
	s_lshl_b32 s2, s2, 7
	v_lshlrev_b32_e32 v1, 5, v1
	v_and_b32_e32 v0, 0x3ff, v0
	v_add3_u32 v2, v1, v0, s2
	s_waitcnt lgkmcnt(0)
	v_cmp_gt_i32_e32 vcc, s3, v2
	s_and_saveexec_b64 s[2:3], vcc
	s_cbranch_execz .LBB2_54
; %bb.1:
	s_load_dwordx2 s[2:3], s[0:1], 0x0
	s_load_dword s14, s[0:1], 0x30
	v_ashrrev_i32_e32 v3, 31, v2
	v_lshlrev_b64 v[0:1], 2, v[2:3]
	s_load_dwordx4 s[4:7], s[0:1], 0x50
	s_waitcnt lgkmcnt(0)
	v_lshl_add_u64 v[4:5], s[2:3], 0, v[0:1]
	global_load_dword v4, v[4:5], off
	s_mov_b32 s3, 0x800000
	s_mov_b32 s9, 0x3f317217
	v_lshl_add_u64 v[0:1], s[4:5], 0, v[0:1]
	global_load_dword v0, v[0:1], off
	v_mov_b32_e32 v1, 0x4f800000
	s_mov_b32 s10, 0x7f800000
	v_mov_b32_e32 v5, 0x41b17218
	s_mov_b32 s2, 0x41a00000
	s_mov_b32 s11, 0xf800000
	v_mov_b32_e32 v7, 0x260
	s_cmp_gt_i32 s14, 0
	s_mov_b32 s8, 0
	v_mov_b32_e32 v3, 0
	s_cselect_b64 s[4:5], -1, 0
	s_cmp_lt_i32 s14, 1
	v_mul_lo_u32 v2, v2, s14
	s_waitcnt vmcnt(1)
	v_mul_f32_e32 v6, 0x3fb8aa3b, v4
	v_exp_f32_e32 v6, v6
	s_waitcnt vmcnt(0)
	v_mul_lo_u32 v0, v0, s14
	v_add_f32_e32 v6, 1.0, v6
	v_cmp_gt_f32_e32 vcc, s3, v6
	s_nop 1
	v_cndmask_b32_e32 v1, 1.0, v1, vcc
	v_mul_f32_e32 v1, v6, v1
	v_log_f32_e32 v1, v1
	v_cndmask_b32_e32 v5, 0, v5, vcc
	v_mul_f32_e32 v6, 0x3f317217, v1
	v_fma_f32 v6, v1, s9, -v6
	v_fmamk_f32 v6, v1, 0x3377d1cf, v6
	v_fmac_f32_e32 v6, 0x3f317217, v1
	v_cmp_lt_f32_e64 vcc, |v1|, s10
	s_nop 1
	v_cndmask_b32_e32 v1, v1, v6, vcc
	v_sub_f32_e32 v1, v1, v5
	v_cmp_lt_f32_e32 vcc, s2, v4
	s_nop 1
	v_cndmask_b32_e32 v1, v1, v4, vcc
	v_mul_f32_e32 v4, 0x4f800000, v1
	v_cmp_gt_f32_e32 vcc, s11, v1
	s_nop 1
	v_cndmask_b32_e32 v6, v1, v4, vcc
	v_sqrt_f32_e32 v8, v6
	v_ashrrev_i32_e32 v1, 31, v0
	v_lshl_add_u64 v[4:5], v[0:1], 2, s[6:7]
	v_add_u32_e32 v9, -1, v8
	v_add_u32_e32 v10, 1, v8
	v_fma_f32 v11, -v9, v8, v6
	v_fma_f32 v12, -v10, v8, v6
	v_cmp_ge_f32_e64 s[2:3], 0, v11
	s_nop 1
	v_cndmask_b32_e64 v8, v8, v9, s[2:3]
	v_cmp_lt_f32_e64 s[2:3], 0, v12
	s_nop 1
	v_cndmask_b32_e64 v8, v8, v10, s[2:3]
	v_mul_f32_e32 v9, 0x37800000, v8
	v_cndmask_b32_e32 v8, v8, v9, vcc
	v_cmp_class_f32_e32 vcc, v6, v7
	s_nop 1
	v_cndmask_b32_e32 v10, v8, v6, vcc
	s_cbranch_scc1 .LBB2_27
; %bb.2:
	s_load_dwordx2 s[2:3], s[0:1], 0x20
	s_cmp_lt_u32 s14, 8
	s_cbranch_scc1 .LBB2_21
; %bb.3:
	v_ashrrev_i32_e32 v3, 31, v2
	s_and_b32 s8, s14, 0x7ffffff8
	s_waitcnt lgkmcnt(0)
	v_lshl_add_u64 v[6:7], v[2:3], 2, s[2:3]
	s_mov_b32 s9, 0
	s_mov_b64 s[10:11], 0
	v_mov_b32_e32 v11, 0
	v_mov_b32_e32 v3, 0
	s_branch .LBB2_5
.LBB2_4:                                ;   in Loop: Header=BB2_5 Depth=1
	s_or_b64 exec, exec, s[12:13]
	s_add_i32 s9, s9, 8
	s_add_u32 s10, s10, 32
	s_addc_u32 s11, s11, 0
	s_cmp_eq_u32 s8, s9
	s_cbranch_scc1 .LBB2_22
.LBB2_5:                                ; =>This Inner Loop Header: Depth=1
	v_lshl_add_u64 v[8:9], v[4:5], 0, s[10:11]
	global_load_dword v12, v[8:9], off
	s_waitcnt vmcnt(0)
	v_cmp_eq_u32_e32 vcc, 0, v12
	s_and_saveexec_b64 s[12:13], vcc
	s_cbranch_execz .LBB2_7
; %bb.6:                                ;   in Loop: Header=BB2_5 Depth=1
	v_add_u32_e32 v12, s9, v2
	v_ashrrev_i32_e32 v13, 31, v12
	v_lshl_add_u64 v[12:13], v[12:13], 2, s[2:3]
	v_add_f32_e32 v3, v10, v3
	global_store_dword v[12:13], v11, off
.LBB2_7:                                ;   in Loop: Header=BB2_5 Depth=1
	s_or_b64 exec, exec, s[12:13]
	global_load_dword v12, v[8:9], off offset:4
	s_waitcnt vmcnt(0)
	v_cmp_eq_u32_e32 vcc, 0, v12
	s_and_saveexec_b64 s[12:13], vcc
	s_cbranch_execz .LBB2_9
; %bb.8:                                ;   in Loop: Header=BB2_5 Depth=1
	v_lshl_add_u64 v[12:13], v[6:7], 0, s[10:11]
	v_add_f32_e32 v3, v10, v3
	global_store_dword v[12:13], v11, off offset:4
.LBB2_9:                                ;   in Loop: Header=BB2_5 Depth=1
	s_or_b64 exec, exec, s[12:13]
	global_load_dword v12, v[8:9], off offset:8
	s_waitcnt vmcnt(0)
	v_cmp_eq_u32_e32 vcc, 0, v12
	s_and_saveexec_b64 s[12:13], vcc
	s_cbranch_execz .LBB2_11
; %bb.10:                               ;   in Loop: Header=BB2_5 Depth=1
	v_lshl_add_u64 v[12:13], v[6:7], 0, s[10:11]
	v_add_f32_e32 v3, v10, v3
	global_store_dword v[12:13], v11, off offset:8
.LBB2_11:                               ;   in Loop: Header=BB2_5 Depth=1
	s_or_b64 exec, exec, s[12:13]
	global_load_dword v12, v[8:9], off offset:12
	s_waitcnt vmcnt(0)
	v_cmp_eq_u32_e32 vcc, 0, v12
	s_and_saveexec_b64 s[12:13], vcc
	s_cbranch_execz .LBB2_13
; %bb.12:                               ;   in Loop: Header=BB2_5 Depth=1
	v_lshl_add_u64 v[12:13], v[6:7], 0, s[10:11]
	v_add_f32_e32 v3, v10, v3
	global_store_dword v[12:13], v11, off offset:12
.LBB2_13:                               ;   in Loop: Header=BB2_5 Depth=1
	;; [unrolled: 11-line block ×5, first 2 shown]
	s_or_b64 exec, exec, s[12:13]
	global_load_dword v8, v[8:9], off offset:28
	s_waitcnt vmcnt(0)
	v_cmp_eq_u32_e32 vcc, 0, v8
	s_and_saveexec_b64 s[12:13], vcc
	s_cbranch_execz .LBB2_4
; %bb.20:                               ;   in Loop: Header=BB2_5 Depth=1
	v_lshl_add_u64 v[8:9], v[6:7], 0, s[10:11]
	v_add_f32_e32 v3, v10, v3
	global_store_dword v[8:9], v11, off offset:28
	s_branch .LBB2_4
.LBB2_21:
	v_mov_b32_e32 v3, 0
.LBB2_22:
	s_and_b32 s10, s14, 7
	s_cmp_eq_u32 s10, 0
	s_mov_b32 s9, 0
	s_cbranch_scc1 .LBB2_27
; %bb.23:
	v_add_u32_e32 v6, s8, v2
	s_lshl_b64 s[8:9], s[8:9], 2
	s_add_u32 s8, s6, s8
	s_addc_u32 s9, s7, s9
	v_lshl_add_u64 v[8:9], v[0:1], 2, s[8:9]
	v_mov_b32_e32 v11, 0
	s_branch .LBB2_25
.LBB2_24:                               ;   in Loop: Header=BB2_25 Depth=1
	s_or_b64 exec, exec, s[8:9]
	s_add_i32 s10, s10, -1
	v_add_u32_e32 v6, 1, v6
	s_cmp_lg_u32 s10, 0
	v_lshl_add_u64 v[8:9], v[8:9], 0, 4
	s_cbranch_scc0 .LBB2_27
.LBB2_25:                               ; =>This Inner Loop Header: Depth=1
	global_load_dword v7, v[8:9], off
	s_waitcnt vmcnt(0)
	v_cmp_eq_u32_e32 vcc, 0, v7
	s_and_saveexec_b64 s[8:9], vcc
	s_cbranch_execz .LBB2_24
; %bb.26:                               ;   in Loop: Header=BB2_25 Depth=1
	v_ashrrev_i32_e32 v7, 31, v6
	s_waitcnt lgkmcnt(0)
	v_lshl_add_u64 v[12:13], v[6:7], 2, s[2:3]
	v_add_f32_e32 v3, v10, v3
	global_store_dword v[12:13], v11, off
	s_branch .LBB2_24
.LBB2_27:
	s_load_dword s8, s[0:1], 0x3c
	s_waitcnt lgkmcnt(0)
	s_load_dwordx2 s[2:3], s[0:1], 0x40
	s_bitcmp1_b32 s8, 0
	s_cselect_b64 s[8:9], -1, 0
	s_waitcnt lgkmcnt(0)
	v_cvt_f32_f64_e32 v6, s[2:3]
	s_and_b64 vcc, exec, s[8:9]
	s_cbranch_vccz .LBB2_29
; %bb.28:
	v_cmp_lt_f32_e32 vcc, 0, v3
	s_nop 1
	v_cndmask_b32_e32 v3, 1.0, v3, vcc
	v_div_scale_f32 v7, s[2:3], v3, v3, v6
	v_rcp_f32_e32 v8, v7
	s_nop 0
	v_fma_f32 v9, -v7, v8, 1.0
	v_fmac_f32_e32 v8, v9, v8
	v_div_scale_f32 v9, vcc, v6, v3, v6
	v_mul_f32_e32 v11, v9, v8
	v_fma_f32 v12, -v7, v11, v9
	v_fmac_f32_e32 v11, v12, v8
	v_fma_f32 v7, -v7, v11, v9
	v_div_fmas_f32 v7, v7, v8, v11
	v_div_fixup_f32 v6, v7, v3, v6
.LBB2_29:
	s_andn2_b64 vcc, exec, s[4:5]
	s_cbranch_vccnz .LBB2_54
; %bb.30:
	s_load_dwordx2 s[0:1], s[0:1], 0x10
	v_mul_f32_e32 v10, v10, v6
	s_cmp_lt_u32 s14, 8
	s_mov_b32 s2, 0
	s_cbranch_scc1 .LBB2_49
; %bb.31:
	v_ashrrev_i32_e32 v3, 31, v2
	s_and_b32 s2, s14, 0x7ffffff8
	s_waitcnt lgkmcnt(0)
	v_lshl_add_u64 v[6:7], v[2:3], 2, s[0:1]
	s_mov_b32 s3, 0
	s_mov_b64 s[4:5], 0
	s_branch .LBB2_33
.LBB2_32:                               ;   in Loop: Header=BB2_33 Depth=1
	s_or_b64 exec, exec, s[8:9]
	s_add_i32 s3, s3, 8
	s_add_u32 s4, s4, 32
	s_addc_u32 s5, s5, 0
	s_cmp_lg_u32 s2, s3
	s_cbranch_scc0 .LBB2_49
.LBB2_33:                               ; =>This Inner Loop Header: Depth=1
	v_lshl_add_u64 v[8:9], v[4:5], 0, s[4:5]
	global_load_dword v3, v[8:9], off
	s_waitcnt vmcnt(0)
	v_cmp_eq_u32_e32 vcc, 0, v3
	s_and_saveexec_b64 s[8:9], vcc
	s_cbranch_execz .LBB2_35
; %bb.34:                               ;   in Loop: Header=BB2_33 Depth=1
	v_add_u32_e32 v12, s3, v2
	v_ashrrev_i32_e32 v13, 31, v12
	v_lshl_add_u64 v[12:13], v[12:13], 2, s[0:1]
	global_store_dword v[12:13], v10, off
.LBB2_35:                               ;   in Loop: Header=BB2_33 Depth=1
	s_or_b64 exec, exec, s[8:9]
	global_load_dword v3, v[8:9], off offset:4
	s_waitcnt vmcnt(0)
	v_cmp_eq_u32_e32 vcc, 0, v3
	s_and_saveexec_b64 s[8:9], vcc
	s_cbranch_execz .LBB2_37
; %bb.36:                               ;   in Loop: Header=BB2_33 Depth=1
	v_lshl_add_u64 v[12:13], v[6:7], 0, s[4:5]
	global_store_dword v[12:13], v10, off offset:4
.LBB2_37:                               ;   in Loop: Header=BB2_33 Depth=1
	s_or_b64 exec, exec, s[8:9]
	global_load_dword v3, v[8:9], off offset:8
	s_waitcnt vmcnt(0)
	v_cmp_eq_u32_e32 vcc, 0, v3
	s_and_saveexec_b64 s[8:9], vcc
	s_cbranch_execz .LBB2_39
; %bb.38:                               ;   in Loop: Header=BB2_33 Depth=1
	v_lshl_add_u64 v[12:13], v[6:7], 0, s[4:5]
	global_store_dword v[12:13], v10, off offset:8
.LBB2_39:                               ;   in Loop: Header=BB2_33 Depth=1
	;; [unrolled: 10-line block ×6, first 2 shown]
	s_or_b64 exec, exec, s[8:9]
	global_load_dword v3, v[8:9], off offset:28
	s_waitcnt vmcnt(0)
	v_cmp_eq_u32_e32 vcc, 0, v3
	s_and_saveexec_b64 s[8:9], vcc
	s_cbranch_execz .LBB2_32
; %bb.48:                               ;   in Loop: Header=BB2_33 Depth=1
	v_lshl_add_u64 v[8:9], v[6:7], 0, s[4:5]
	global_store_dword v[8:9], v10, off offset:28
	s_branch .LBB2_32
.LBB2_49:
	s_and_b32 s4, s14, 7
	s_cmp_eq_u32 s4, 0
	s_mov_b32 s3, 0
	s_cbranch_scc1 .LBB2_54
; %bb.50:
	v_add_u32_e32 v2, s2, v2
	s_lshl_b64 s[2:3], s[2:3], 2
	s_add_u32 s2, s6, s2
	s_addc_u32 s3, s7, s3
	v_lshl_add_u64 v[0:1], v[0:1], 2, s[2:3]
	s_branch .LBB2_52
.LBB2_51:                               ;   in Loop: Header=BB2_52 Depth=1
	s_or_b64 exec, exec, s[2:3]
	s_add_i32 s4, s4, -1
	v_add_u32_e32 v2, 1, v2
	s_cmp_lg_u32 s4, 0
	v_lshl_add_u64 v[0:1], v[0:1], 0, 4
	s_cbranch_scc0 .LBB2_54
.LBB2_52:                               ; =>This Inner Loop Header: Depth=1
	global_load_dword v3, v[0:1], off
	s_waitcnt vmcnt(0)
	v_cmp_eq_u32_e32 vcc, 0, v3
	s_and_saveexec_b64 s[2:3], vcc
	s_cbranch_execz .LBB2_51
; %bb.53:                               ;   in Loop: Header=BB2_52 Depth=1
	v_ashrrev_i32_e32 v3, 31, v2
	s_waitcnt lgkmcnt(0)
	v_lshl_add_u64 v[4:5], v[2:3], 2, s[0:1]
	global_store_dword v[4:5], v10, off
	s_branch .LBB2_51
.LBB2_54:
	s_endpgm
	.section	.rodata,"a",@progbits
	.p2align	6, 0x0
	.amdhsa_kernel _ZN4vllm3moe22topkGatingSoftplusSqrtILi1ELi1ELi4ELi4ELi32ELb1EifEEvPKT6_PKbPfiPT5_PiiiibdPKfPKS8_SE_
		.amdhsa_group_segment_fixed_size 0
		.amdhsa_private_segment_fixed_size 0
		.amdhsa_kernarg_size 96
		.amdhsa_user_sgpr_count 2
		.amdhsa_user_sgpr_dispatch_ptr 0
		.amdhsa_user_sgpr_queue_ptr 0
		.amdhsa_user_sgpr_kernarg_segment_ptr 1
		.amdhsa_user_sgpr_dispatch_id 0
		.amdhsa_user_sgpr_kernarg_preload_length 0
		.amdhsa_user_sgpr_kernarg_preload_offset 0
		.amdhsa_user_sgpr_private_segment_size 0
		.amdhsa_uses_dynamic_stack 0
		.amdhsa_enable_private_segment 0
		.amdhsa_system_sgpr_workgroup_id_x 1
		.amdhsa_system_sgpr_workgroup_id_y 0
		.amdhsa_system_sgpr_workgroup_id_z 0
		.amdhsa_system_sgpr_workgroup_info 0
		.amdhsa_system_vgpr_workitem_id 1
		.amdhsa_next_free_vgpr 14
		.amdhsa_next_free_sgpr 15
		.amdhsa_accum_offset 16
		.amdhsa_reserve_vcc 1
		.amdhsa_float_round_mode_32 0
		.amdhsa_float_round_mode_16_64 0
		.amdhsa_float_denorm_mode_32 3
		.amdhsa_float_denorm_mode_16_64 3
		.amdhsa_dx10_clamp 1
		.amdhsa_ieee_mode 1
		.amdhsa_fp16_overflow 0
		.amdhsa_tg_split 0
		.amdhsa_exception_fp_ieee_invalid_op 0
		.amdhsa_exception_fp_denorm_src 0
		.amdhsa_exception_fp_ieee_div_zero 0
		.amdhsa_exception_fp_ieee_overflow 0
		.amdhsa_exception_fp_ieee_underflow 0
		.amdhsa_exception_fp_ieee_inexact 0
		.amdhsa_exception_int_div_zero 0
	.end_amdhsa_kernel
	.section	.text._ZN4vllm3moe22topkGatingSoftplusSqrtILi1ELi1ELi4ELi4ELi32ELb1EifEEvPKT6_PKbPfiPT5_PiiiibdPKfPKS8_SE_,"axG",@progbits,_ZN4vllm3moe22topkGatingSoftplusSqrtILi1ELi1ELi4ELi4ELi32ELb1EifEEvPKT6_PKbPfiPT5_PiiiibdPKfPKS8_SE_,comdat
.Lfunc_end2:
	.size	_ZN4vllm3moe22topkGatingSoftplusSqrtILi1ELi1ELi4ELi4ELi32ELb1EifEEvPKT6_PKbPfiPT5_PiiiibdPKfPKS8_SE_, .Lfunc_end2-_ZN4vllm3moe22topkGatingSoftplusSqrtILi1ELi1ELi4ELi4ELi32ELb1EifEEvPKT6_PKbPfiPT5_PiiiibdPKfPKS8_SE_
                                        ; -- End function
	.section	.AMDGPU.csdata,"",@progbits
; Kernel info:
; codeLenInByte = 1808
; NumSgprs: 21
; NumVgprs: 14
; NumAgprs: 0
; TotalNumVgprs: 14
; ScratchSize: 0
; MemoryBound: 0
; FloatMode: 240
; IeeeMode: 1
; LDSByteSize: 0 bytes/workgroup (compile time only)
; SGPRBlocks: 2
; VGPRBlocks: 1
; NumSGPRsForWavesPerEU: 21
; NumVGPRsForWavesPerEU: 14
; AccumOffset: 16
; Occupancy: 8
; WaveLimiterHint : 1
; COMPUTE_PGM_RSRC2:SCRATCH_EN: 0
; COMPUTE_PGM_RSRC2:USER_SGPR: 2
; COMPUTE_PGM_RSRC2:TRAP_HANDLER: 0
; COMPUTE_PGM_RSRC2:TGID_X_EN: 1
; COMPUTE_PGM_RSRC2:TGID_Y_EN: 0
; COMPUTE_PGM_RSRC2:TGID_Z_EN: 0
; COMPUTE_PGM_RSRC2:TIDIG_COMP_CNT: 1
; COMPUTE_PGM_RSRC3_GFX90A:ACCUM_OFFSET: 3
; COMPUTE_PGM_RSRC3_GFX90A:TG_SPLIT: 0
	.section	.text._ZN4vllm3moe22topkGatingSoftplusSqrtILi1ELi1ELi4ELi4ELi32ELb0EifEEvPKT6_PKbPfiPT5_PiiiibdPKfPKS8_SE_,"axG",@progbits,_ZN4vllm3moe22topkGatingSoftplusSqrtILi1ELi1ELi4ELi4ELi32ELb0EifEEvPKT6_PKbPfiPT5_PiiiibdPKfPKS8_SE_,comdat
	.protected	_ZN4vllm3moe22topkGatingSoftplusSqrtILi1ELi1ELi4ELi4ELi32ELb0EifEEvPKT6_PKbPfiPT5_PiiiibdPKfPKS8_SE_ ; -- Begin function _ZN4vllm3moe22topkGatingSoftplusSqrtILi1ELi1ELi4ELi4ELi32ELb0EifEEvPKT6_PKbPfiPT5_PiiiibdPKfPKS8_SE_
	.globl	_ZN4vllm3moe22topkGatingSoftplusSqrtILi1ELi1ELi4ELi4ELi32ELb0EifEEvPKT6_PKbPfiPT5_PiiiibdPKfPKS8_SE_
	.p2align	8
	.type	_ZN4vllm3moe22topkGatingSoftplusSqrtILi1ELi1ELi4ELi4ELi32ELb0EifEEvPKT6_PKbPfiPT5_PiiiibdPKfPKS8_SE_,@function
_ZN4vllm3moe22topkGatingSoftplusSqrtILi1ELi1ELi4ELi4ELi32ELb0EifEEvPKT6_PKbPfiPT5_PiiiibdPKfPKS8_SE_: ; @_ZN4vllm3moe22topkGatingSoftplusSqrtILi1ELi1ELi4ELi4ELi32ELb0EifEEvPKT6_PKbPfiPT5_PiiiibdPKfPKS8_SE_
; %bb.0:
	s_load_dword s24, s[0:1], 0x18
	v_bfe_u32 v1, v0, 10, 10
	s_lshl_b32 s2, s2, 7
	v_lshlrev_b32_e32 v1, 5, v1
	v_and_b32_e32 v0, 0x3ff, v0
	v_add3_u32 v2, v1, v0, s2
	s_waitcnt lgkmcnt(0)
	v_cmp_gt_i32_e32 vcc, s24, v2
	s_and_saveexec_b64 s[2:3], vcc
	s_cbranch_execz .LBB3_24
; %bb.1:
	s_load_dwordx4 s[4:7], s[0:1], 0x0
	s_load_dwordx2 s[16:17], s[0:1], 0x10
	v_ashrrev_i32_e32 v3, 31, v2
	s_waitcnt lgkmcnt(0)
	s_cmp_eq_u64 s[6:7], 0
	s_cbranch_scc1 .LBB3_3
; %bb.2:
	v_lshl_add_u64 v[0:1], s[6:7], 0, v[2:3]
	global_load_ubyte v0, v[0:1], off
	s_waitcnt vmcnt(0)
	v_and_b32_e32 v0, 1, v0
	v_cmp_eq_u32_e32 vcc, 1, v0
	s_xor_b64 s[2:3], vcc, -1
	s_orn2_b64 s[18:19], s[2:3], exec
	s_branch .LBB3_4
.LBB3_3:
	s_mov_b64 s[18:19], -1
.LBB3_4:
	v_mov_b32_e32 v0, s4
	v_mov_b32_e32 v1, s5
	v_lshl_add_u64 v[0:1], v[2:3], 2, v[0:1]
	global_load_dword v0, v[0:1], off
	s_mov_b32 s3, 0x800000
	v_mov_b32_e32 v1, 0x4f800000
	s_mov_b32 s4, 0x3f317217
	s_mov_b32 s5, 0x7f800000
	v_mov_b32_e32 v4, 0x41b17218
	s_mov_b32 s2, 0x41a00000
	s_load_dwordx4 s[8:11], s[0:1], 0x40
	s_waitcnt lgkmcnt(0)
	s_cmp_lg_u64 s[10:11], 0
	s_cselect_b64 s[22:23], -1, 0
	s_cmp_eq_u64 s[10:11], 0
	s_waitcnt vmcnt(0)
	v_mul_f32_e32 v3, 0x3fb8aa3b, v0
	v_exp_f32_e32 v3, v3
	s_nop 0
	v_add_f32_e32 v3, 1.0, v3
	v_cmp_gt_f32_e32 vcc, s3, v3
	s_mov_b32 s3, 0xf800000
	s_nop 0
	v_cndmask_b32_e32 v1, 1.0, v1, vcc
	v_mul_f32_e32 v1, v3, v1
	v_log_f32_e32 v1, v1
	v_cndmask_b32_e32 v4, 0, v4, vcc
	v_mov_b32_e32 v3, 0x260
	v_mul_f32_e32 v5, 0x3f317217, v1
	v_fma_f32 v5, v1, s4, -v5
	v_fmamk_f32 v5, v1, 0x3377d1cf, v5
	v_fmac_f32_e32 v5, 0x3f317217, v1
	v_cmp_lt_f32_e64 vcc, |v1|, s5
	s_nop 1
	v_cndmask_b32_e32 v1, v1, v5, vcc
	v_sub_f32_e32 v1, v1, v4
	v_cmp_lt_f32_e32 vcc, s2, v0
	s_nop 1
	v_cndmask_b32_e32 v0, v1, v0, vcc
	v_mul_f32_e32 v1, 0x4f800000, v0
	v_cmp_gt_f32_e32 vcc, s3, v0
	s_nop 1
	v_cndmask_b32_e32 v0, v0, v1, vcc
	v_sqrt_f32_e32 v1, v0
	s_nop 0
	v_add_u32_e32 v4, -1, v1
	v_add_u32_e32 v5, 1, v1
	v_fma_f32 v6, -v4, v1, v0
	v_fma_f32 v7, -v5, v1, v0
	v_cmp_ge_f32_e64 s[2:3], 0, v6
	s_nop 1
	v_cndmask_b32_e64 v1, v1, v4, s[2:3]
	v_cmp_lt_f32_e64 s[2:3], 0, v7
	s_nop 1
	v_cndmask_b32_e64 v1, v1, v5, s[2:3]
	v_mul_f32_e32 v4, 0x37800000, v1
	v_cndmask_b32_e32 v1, v1, v4, vcc
	v_cmp_class_f32_e32 vcc, v0, v3
	s_nop 1
	v_cndmask_b32_e32 v1, v1, v0, vcc
	s_cbranch_scc1 .LBB3_6
; %bb.5:
	s_load_dword s2, s[10:11], 0x0
	s_waitcnt lgkmcnt(0)
	v_add_f32_e32 v1, s2, v1
.LBB3_6:
	s_load_dwordx4 s[4:7], s[0:1], 0x30
	s_waitcnt lgkmcnt(0)
	s_bitcmp1_b32 s7, 0
	s_cselect_b64 s[2:3], -1, 0
	s_cmp_gt_i32 s4, 0
	s_cselect_b64 s[20:21], -1, 0
	s_cmp_lt_i32 s4, 1
	v_mul_lo_u32 v0, v2, s4
	s_cbranch_scc1 .LBB3_11
; %bb.7:
	s_cmp_lt_i32 s5, 1
	s_load_dwordx4 s[12:15], s[0:1], 0x20
	s_cselect_b64 s[0:1], -1, 0
	s_cmp_gt_i32 s6, 0
	s_cselect_b64 s[26:27], -1, 0
	s_and_b64 s[0:1], s[0:1], s[26:27]
	s_sub_i32 s5, 0, s5
	v_mov_b32_e32 v3, s5
	s_and_b64 vcc, s[18:19], s[0:1]
	v_cndmask_b32_e32 v4, 1, v3, vcc
	v_cndmask_b32_e64 v3, 0, 1, s[22:23]
	s_mov_b32 s7, 0
	v_mov_b32_e32 v5, 0
	v_cmp_ne_u32_e64 s[0:1], 1, v3
	v_mov_b32_e32 v6, 0xc61c4000
	v_mov_b32_e32 v3, 0
	s_branch .LBB3_9
.LBB3_8:                                ;   in Loop: Header=BB3_9 Depth=1
	v_add_u32_e32 v8, s7, v0
	v_ashrrev_i32_e32 v9, 31, v8
	v_lshlrev_b64 v[8:9], 2, v[8:9]
	s_add_i32 s7, s7, 1
	v_lshl_add_u64 v[10:11], s[16:17], 0, v[8:9]
	s_cmp_ge_i32 s7, s4
	global_store_dword v[10:11], v7, off
	s_waitcnt lgkmcnt(0)
	v_lshl_add_u64 v[10:11], s[12:13], 0, v[8:9]
	v_lshl_add_u64 v[8:9], s[14:15], 0, v[8:9]
	v_add_f32_e32 v7, v3, v7
	s_cselect_b64 vcc, -1, 0
	global_store_dword v[10:11], v4, off
	global_store_dword v[8:9], v2, off
	v_cndmask_b32_e64 v3, v3, v7, s[2:3]
	v_cndmask_b32_e32 v1, v6, v1, vcc
	s_cmp_lg_u32 s4, s7
	v_add_u32_e32 v2, s24, v2
	s_cbranch_scc0 .LBB3_12
.LBB3_9:                                ; =>This Inner Loop Header: Depth=1
	s_and_b64 vcc, exec, s[0:1]
	v_mov_b32_e32 v7, v1
	s_cbranch_vccnz .LBB3_8
; %bb.10:                               ;   in Loop: Header=BB3_9 Depth=1
	global_load_dword v7, v5, s[10:11]
	s_waitcnt vmcnt(0)
	v_sub_f32_e32 v7, v1, v7
	s_branch .LBB3_8
.LBB3_11:
	v_mov_b32_e32 v3, 0
.LBB3_12:
	s_andn2_b64 vcc, exec, s[2:3]
	v_cvt_f32_f64_e32 v2, s[8:9]
	s_cbranch_vccnz .LBB3_14
; %bb.13:
	v_cmp_lt_f32_e32 vcc, 0, v3
	s_nop 1
	v_cndmask_b32_e32 v1, 1.0, v3, vcc
	v_div_scale_f32 v3, s[0:1], v1, v1, v2
	v_rcp_f32_e32 v4, v3
	s_nop 0
	v_fma_f32 v5, -v3, v4, 1.0
	v_fmac_f32_e32 v4, v5, v4
	v_div_scale_f32 v5, vcc, v2, v1, v2
	v_mul_f32_e32 v6, v5, v4
	v_fma_f32 v7, -v3, v6, v5
	v_fmac_f32_e32 v6, v7, v4
	v_fma_f32 v3, -v3, v6, v5
	v_div_fmas_f32 v3, v3, v4, v6
	v_div_fixup_f32 v2, v3, v1, v2
.LBB3_14:
	s_andn2_b64 vcc, exec, s[20:21]
	s_cbranch_vccnz .LBB3_24
; %bb.15:
	s_cmp_gt_u32 s4, 3
	v_ashrrev_i32_e32 v1, 31, v0
	s_cbranch_scc0 .LBB3_19
; %bb.16:
	s_and_b32 s0, s4, 0x7ffffffc
	v_lshl_add_u64 v[4:5], v[0:1], 2, s[16:17]
	v_mov_b32_e32 v3, v2
	v_lshl_add_u64 v[4:5], v[4:5], 0, 8
	s_mov_b32 s1, s0
.LBB3_17:                               ; =>This Inner Loop Header: Depth=1
	global_load_dwordx4 v[6:9], v[4:5], off offset:-8
	s_add_i32 s1, s1, -4
	s_cmp_lg_u32 s1, 0
	s_waitcnt vmcnt(0)
	v_pk_mul_f32 v[6:7], v[2:3], v[6:7]
	v_pk_mul_f32 v[8:9], v[2:3], v[8:9]
	global_store_dwordx4 v[4:5], v[6:9], off offset:-8
	v_lshl_add_u64 v[4:5], v[4:5], 0, 16
	s_cbranch_scc1 .LBB3_17
; %bb.18:
	s_cmp_lg_u32 s0, s4
	s_cselect_b64 s[2:3], -1, 0
	s_branch .LBB3_21
.LBB3_19:
	s_mov_b64 s[2:3], 0
                                        ; implicit-def: $sgpr0
	s_cbranch_execz .LBB3_21
; %bb.20:
	s_mov_b64 s[2:3], -1
	s_mov_b32 s0, 0
.LBB3_21:
	s_andn2_b64 vcc, exec, s[2:3]
	s_cbranch_vccnz .LBB3_24
; %bb.22:
	s_mov_b32 s1, 0
	v_lshl_add_u64 v[0:1], v[0:1], 0, s[0:1]
	s_sub_i32 s2, s4, s0
	v_lshl_add_u64 v[0:1], v[0:1], 2, s[16:17]
.LBB3_23:                               ; =>This Inner Loop Header: Depth=1
	global_load_dword v3, v[0:1], off
	s_add_i32 s2, s2, -1
	s_cmp_lg_u32 s2, 0
	s_waitcnt vmcnt(0)
	v_mul_f32_e32 v3, v2, v3
	global_store_dword v[0:1], v3, off
	v_lshl_add_u64 v[0:1], v[0:1], 0, 4
	s_cbranch_scc1 .LBB3_23
.LBB3_24:
	s_endpgm
	.section	.rodata,"a",@progbits
	.p2align	6, 0x0
	.amdhsa_kernel _ZN4vllm3moe22topkGatingSoftplusSqrtILi1ELi1ELi4ELi4ELi32ELb0EifEEvPKT6_PKbPfiPT5_PiiiibdPKfPKS8_SE_
		.amdhsa_group_segment_fixed_size 0
		.amdhsa_private_segment_fixed_size 0
		.amdhsa_kernarg_size 96
		.amdhsa_user_sgpr_count 2
		.amdhsa_user_sgpr_dispatch_ptr 0
		.amdhsa_user_sgpr_queue_ptr 0
		.amdhsa_user_sgpr_kernarg_segment_ptr 1
		.amdhsa_user_sgpr_dispatch_id 0
		.amdhsa_user_sgpr_kernarg_preload_length 0
		.amdhsa_user_sgpr_kernarg_preload_offset 0
		.amdhsa_user_sgpr_private_segment_size 0
		.amdhsa_uses_dynamic_stack 0
		.amdhsa_enable_private_segment 0
		.amdhsa_system_sgpr_workgroup_id_x 1
		.amdhsa_system_sgpr_workgroup_id_y 0
		.amdhsa_system_sgpr_workgroup_id_z 0
		.amdhsa_system_sgpr_workgroup_info 0
		.amdhsa_system_vgpr_workitem_id 1
		.amdhsa_next_free_vgpr 12
		.amdhsa_next_free_sgpr 28
		.amdhsa_accum_offset 12
		.amdhsa_reserve_vcc 1
		.amdhsa_float_round_mode_32 0
		.amdhsa_float_round_mode_16_64 0
		.amdhsa_float_denorm_mode_32 3
		.amdhsa_float_denorm_mode_16_64 3
		.amdhsa_dx10_clamp 1
		.amdhsa_ieee_mode 1
		.amdhsa_fp16_overflow 0
		.amdhsa_tg_split 0
		.amdhsa_exception_fp_ieee_invalid_op 0
		.amdhsa_exception_fp_denorm_src 0
		.amdhsa_exception_fp_ieee_div_zero 0
		.amdhsa_exception_fp_ieee_overflow 0
		.amdhsa_exception_fp_ieee_underflow 0
		.amdhsa_exception_fp_ieee_inexact 0
		.amdhsa_exception_int_div_zero 0
	.end_amdhsa_kernel
	.section	.text._ZN4vllm3moe22topkGatingSoftplusSqrtILi1ELi1ELi4ELi4ELi32ELb0EifEEvPKT6_PKbPfiPT5_PiiiibdPKfPKS8_SE_,"axG",@progbits,_ZN4vllm3moe22topkGatingSoftplusSqrtILi1ELi1ELi4ELi4ELi32ELb0EifEEvPKT6_PKbPfiPT5_PiiiibdPKfPKS8_SE_,comdat
.Lfunc_end3:
	.size	_ZN4vllm3moe22topkGatingSoftplusSqrtILi1ELi1ELi4ELi4ELi32ELb0EifEEvPKT6_PKbPfiPT5_PiiiibdPKfPKS8_SE_, .Lfunc_end3-_ZN4vllm3moe22topkGatingSoftplusSqrtILi1ELi1ELi4ELi4ELi32ELb0EifEEvPKT6_PKbPfiPT5_PiiiibdPKfPKS8_SE_
                                        ; -- End function
	.section	.AMDGPU.csdata,"",@progbits
; Kernel info:
; codeLenInByte = 1080
; NumSgprs: 34
; NumVgprs: 12
; NumAgprs: 0
; TotalNumVgprs: 12
; ScratchSize: 0
; MemoryBound: 0
; FloatMode: 240
; IeeeMode: 1
; LDSByteSize: 0 bytes/workgroup (compile time only)
; SGPRBlocks: 4
; VGPRBlocks: 1
; NumSGPRsForWavesPerEU: 34
; NumVGPRsForWavesPerEU: 12
; AccumOffset: 12
; Occupancy: 8
; WaveLimiterHint : 0
; COMPUTE_PGM_RSRC2:SCRATCH_EN: 0
; COMPUTE_PGM_RSRC2:USER_SGPR: 2
; COMPUTE_PGM_RSRC2:TRAP_HANDLER: 0
; COMPUTE_PGM_RSRC2:TGID_X_EN: 1
; COMPUTE_PGM_RSRC2:TGID_Y_EN: 0
; COMPUTE_PGM_RSRC2:TGID_Z_EN: 0
; COMPUTE_PGM_RSRC2:TIDIG_COMP_CNT: 1
; COMPUTE_PGM_RSRC3_GFX90A:ACCUM_OFFSET: 2
; COMPUTE_PGM_RSRC3_GFX90A:TG_SPLIT: 0
	.section	.text._ZN4vllm3moe22topkGatingSoftplusSqrtILi2ELi2ELi4ELi8ELi64ELb1EifEEvPKT6_PKbPfiPT5_PiiiibdPKfPKS8_SE_,"axG",@progbits,_ZN4vllm3moe22topkGatingSoftplusSqrtILi2ELi2ELi4ELi8ELi64ELb1EifEEvPKT6_PKbPfiPT5_PiiiibdPKfPKS8_SE_,comdat
	.protected	_ZN4vllm3moe22topkGatingSoftplusSqrtILi2ELi2ELi4ELi8ELi64ELb1EifEEvPKT6_PKbPfiPT5_PiiiibdPKfPKS8_SE_ ; -- Begin function _ZN4vllm3moe22topkGatingSoftplusSqrtILi2ELi2ELi4ELi8ELi64ELb1EifEEvPKT6_PKbPfiPT5_PiiiibdPKfPKS8_SE_
	.globl	_ZN4vllm3moe22topkGatingSoftplusSqrtILi2ELi2ELi4ELi8ELi64ELb1EifEEvPKT6_PKbPfiPT5_PiiiibdPKfPKS8_SE_
	.p2align	8
	.type	_ZN4vllm3moe22topkGatingSoftplusSqrtILi2ELi2ELi4ELi8ELi64ELb1EifEEvPKT6_PKbPfiPT5_PiiiibdPKfPKS8_SE_,@function
_ZN4vllm3moe22topkGatingSoftplusSqrtILi2ELi2ELi4ELi8ELi64ELb1EifEEvPKT6_PKbPfiPT5_PiiiibdPKfPKS8_SE_: ; @_ZN4vllm3moe22topkGatingSoftplusSqrtILi2ELi2ELi4ELi8ELi64ELb1EifEEvPKT6_PKbPfiPT5_PiiiibdPKfPKS8_SE_
; %bb.0:
	s_load_dword s3, s[0:1], 0x18
	v_bfe_u32 v1, v0, 10, 10
	s_lshl_b32 s2, s2, 8
	v_lshlrev_b32_e32 v1, 6, v1
	v_and_b32_e32 v0, 0x3ff, v0
	v_add3_u32 v4, v1, v0, s2
	s_waitcnt lgkmcnt(0)
	v_cmp_gt_i32_e32 vcc, s3, v4
	s_and_saveexec_b64 s[2:3], vcc
	s_cbranch_execz .LBB4_56
; %bb.1:
	s_load_dwordx2 s[2:3], s[0:1], 0x0
	s_load_dword s16, s[0:1], 0x30
	s_load_dwordx4 s[4:7], s[0:1], 0x50
	v_lshlrev_b32_e32 v0, 1, v4
	v_ashrrev_i32_e32 v1, 31, v0
	s_waitcnt lgkmcnt(0)
	v_lshl_add_u64 v[0:1], v[0:1], 2, s[2:3]
	global_load_dwordx2 v[2:3], v[0:1], off
	v_ashrrev_i32_e32 v5, 31, v4
	v_mov_b32_e32 v0, s4
	v_mov_b32_e32 v1, s5
	v_lshl_add_u64 v[0:1], v[4:5], 2, v[0:1]
	global_load_dword v0, v[0:1], off
	s_mov_b32 s2, 0x800000
	v_mov_b32_e32 v5, 0x4f800000
	s_mov_b32 s5, 0x3f317217
	s_mov_b32 s9, 0x7f800000
	v_mov_b32_e32 v8, 0x41b17218
	s_mov_b32 s4, 0x41a00000
	s_mov_b32 s12, 0xf800000
	v_mov_b32_e32 v9, 0x260
	s_cmp_gt_i32 s16, 0
	s_mov_b32 s8, 0
	v_mov_b32_e32 v12, 0
	s_cselect_b64 s[10:11], -1, 0
	s_cmp_lt_i32 s16, 1
	v_mul_lo_u32 v4, v4, s16
	s_waitcnt vmcnt(1)
	v_mul_f32_e32 v1, 0x3fb8aa3b, v2
	v_mul_f32_e32 v7, 0x3fb8aa3b, v3
	v_exp_f32_e32 v6, v1
	v_exp_f32_e32 v7, v7
	s_waitcnt vmcnt(0)
	v_mul_lo_u32 v0, v0, s16
	v_ashrrev_i32_e32 v1, 31, v0
	v_pk_add_f32 v[6:7], v[6:7], 1.0 op_sel_hi:[1,0]
	s_nop 0
	v_cmp_gt_f32_e32 vcc, s2, v7
	v_cmp_gt_f32_e64 s[2:3], s2, v6
	s_nop 0
	v_cndmask_b32_e32 v10, 1.0, v5, vcc
	v_cndmask_b32_e64 v5, 1.0, v5, s[2:3]
	v_mul_f32_e32 v7, v7, v10
	v_mul_f32_e32 v5, v6, v5
	v_log_f32_e32 v6, v7
	v_log_f32_e32 v5, v5
	v_cndmask_b32_e32 v7, 0, v8, vcc
	v_cndmask_b32_e64 v8, 0, v8, s[2:3]
	v_mul_f32_e32 v10, 0x3f317217, v6
	v_mul_f32_e32 v11, 0x3f317217, v5
	v_fma_f32 v10, v6, s5, -v10
	v_fma_f32 v11, v5, s5, -v11
	v_fmac_f32_e32 v10, 0x3377d1cf, v6
	v_fmac_f32_e32 v11, 0x3377d1cf, v5
	;; [unrolled: 1-line block ×3, first 2 shown]
	v_cmp_lt_f32_e64 vcc, |v6|, s9
	v_fmac_f32_e32 v11, 0x3f317217, v5
	s_nop 0
	v_cndmask_b32_e32 v6, v6, v10, vcc
	v_cmp_lt_f32_e64 vcc, |v5|, s9
	v_sub_f32_e32 v6, v6, v7
	s_nop 0
	v_cndmask_b32_e32 v5, v5, v11, vcc
	v_sub_f32_e32 v5, v5, v8
	v_cmp_lt_f32_e32 vcc, s4, v2
	s_nop 1
	v_cndmask_b32_e32 v2, v5, v2, vcc
	v_cmp_lt_f32_e32 vcc, s4, v3
	v_cmp_gt_f32_e64 s[2:3], s12, v2
	s_nop 0
	v_cndmask_b32_e32 v3, v6, v3, vcc
	v_mul_f32_e32 v5, 0x4f800000, v3
	v_cmp_gt_f32_e32 vcc, s12, v3
	v_mul_f32_e32 v6, 0x4f800000, v2
	v_cndmask_b32_e64 v6, v2, v6, s[2:3]
	v_cndmask_b32_e32 v5, v3, v5, vcc
	v_sqrt_f32_e32 v7, v5
	v_sqrt_f32_e32 v8, v6
	v_lshl_add_u64 v[2:3], v[0:1], 2, s[6:7]
	v_add_u32_e32 v10, -1, v7
	v_add_u32_e32 v13, -1, v8
	v_fma_f32 v15, -v10, v7, v5
	v_add_u32_e32 v11, 1, v7
	v_fma_f32 v17, -v13, v8, v6
	v_cmp_ge_f32_e64 s[4:5], 0, v15
	v_add_u32_e32 v14, 1, v8
	v_fma_f32 v16, -v11, v7, v5
	v_cndmask_b32_e64 v7, v7, v10, s[4:5]
	v_cmp_ge_f32_e64 s[4:5], 0, v17
	v_fma_f32 v18, -v14, v8, v6
	s_nop 0
	v_cndmask_b32_e64 v8, v8, v13, s[4:5]
	v_cmp_lt_f32_e64 s[4:5], 0, v16
	s_nop 1
	v_cndmask_b32_e64 v7, v7, v11, s[4:5]
	v_cmp_lt_f32_e64 s[4:5], 0, v18
	v_mul_f32_e32 v10, 0x37800000, v7
	v_cndmask_b32_e32 v7, v7, v10, vcc
	v_cndmask_b32_e64 v8, v8, v14, s[4:5]
	v_mul_f32_e32 v11, 0x37800000, v8
	v_cmp_class_f32_e32 vcc, v5, v9
	v_cndmask_b32_e64 v8, v8, v11, s[2:3]
	s_nop 0
	v_cndmask_b32_e32 v10, v7, v5, vcc
	v_cmp_class_f32_e32 vcc, v6, v9
	s_nop 1
	v_cndmask_b32_e32 v11, v8, v6, vcc
	s_cbranch_scc1 .LBB4_29
; %bb.2:
	s_load_dwordx2 s[2:3], s[0:1], 0x20
	s_cmp_lt_u32 s16, 4
	s_cbranch_scc1 .LBB4_21
; %bb.3:
	s_mov_b32 s5, 0
	s_and_b32 s8, s16, 0x7ffffffc
	v_ashrrev_i32_e32 v5, 31, v4
	v_mov_b32_e32 v12, 0
	s_mov_b32 s4, s5
	s_branch .LBB4_5
.LBB4_4:                                ;   in Loop: Header=BB4_5 Depth=1
	s_or_b64 exec, exec, s[12:13]
	s_add_i32 s4, s4, 4
	s_cmp_eq_u32 s4, s8
	s_cbranch_scc1 .LBB4_22
.LBB4_5:                                ; =>This Loop Header: Depth=1
                                        ;     Child Loop BB4_7 Depth 2
                                        ;     Child Loop BB4_11 Depth 2
	;; [unrolled: 1-line block ×4, first 2 shown]
	v_lshl_add_u64 v[6:7], s[4:5], 2, v[2:3]
	global_load_dword v13, v[6:7], off
	v_add_u32_e32 v8, s4, v4
	v_ashrrev_i32_e32 v9, 31, v8
	s_mov_b64 s[12:13], 0
	s_waitcnt lgkmcnt(0)
	v_lshl_add_u64 v[8:9], v[8:9], 2, s[2:3]
	s_mov_b32 s9, 0
	s_waitcnt vmcnt(0)
	v_cmp_eq_u32_e32 vcc, 0, v13
	s_nop 1
	v_cndmask_b32_e64 v14, 2, 1, vcc
	v_cmp_eq_u32_e32 vcc, 1, v13
	s_nop 1
	v_cndmask_b32_e32 v15, v11, v10, vcc
	s_branch .LBB4_7
.LBB4_6:                                ;   in Loop: Header=BB4_7 Depth=2
	s_or_b64 exec, exec, s[14:15]
	s_add_i32 s9, s9, 1
	v_cmp_eq_u32_e32 vcc, s9, v14
	s_or_b64 s[12:13], vcc, s[12:13]
	s_andn2_b64 exec, exec, s[12:13]
	s_cbranch_execz .LBB4_9
.LBB4_7:                                ;   Parent Loop BB4_5 Depth=1
                                        ; =>  This Inner Loop Header: Depth=2
	v_cmp_eq_u32_e32 vcc, s9, v13
	s_and_saveexec_b64 s[14:15], vcc
	s_cbranch_execz .LBB4_6
; %bb.8:                                ;   in Loop: Header=BB4_7 Depth=2
	v_add_f32_e32 v12, v12, v15
	global_store_dword v[8:9], v13, off
	s_branch .LBB4_6
.LBB4_9:                                ;   in Loop: Header=BB4_5 Depth=1
	s_or_b64 exec, exec, s[12:13]
	global_load_dword v13, v[6:7], off offset:4
	s_ashr_i32 s13, s4, 31
	s_mov_b32 s12, s4
	v_lshl_add_u64 v[8:9], s[12:13], 0, v[4:5]
	s_mov_b32 s9, 0
	v_lshl_add_u64 v[8:9], v[8:9], 2, s[2:3]
	s_mov_b64 s[12:13], 0
	s_waitcnt vmcnt(0)
	v_cmp_eq_u32_e32 vcc, 0, v13
	s_nop 1
	v_cndmask_b32_e64 v14, 2, 1, vcc
	v_cmp_eq_u32_e32 vcc, 1, v13
	s_nop 1
	v_cndmask_b32_e32 v15, v11, v10, vcc
	s_branch .LBB4_11
.LBB4_10:                               ;   in Loop: Header=BB4_11 Depth=2
	s_or_b64 exec, exec, s[14:15]
	s_add_i32 s9, s9, 1
	v_cmp_eq_u32_e32 vcc, s9, v14
	s_or_b64 s[12:13], vcc, s[12:13]
	s_andn2_b64 exec, exec, s[12:13]
	s_cbranch_execz .LBB4_13
.LBB4_11:                               ;   Parent Loop BB4_5 Depth=1
                                        ; =>  This Inner Loop Header: Depth=2
	v_cmp_eq_u32_e32 vcc, s9, v13
	s_and_saveexec_b64 s[14:15], vcc
	s_cbranch_execz .LBB4_10
; %bb.12:                               ;   in Loop: Header=BB4_11 Depth=2
	v_add_f32_e32 v12, v12, v15
	global_store_dword v[8:9], v13, off offset:4
	s_branch .LBB4_10
.LBB4_13:                               ;   in Loop: Header=BB4_5 Depth=1
	s_or_b64 exec, exec, s[12:13]
	global_load_dword v13, v[6:7], off offset:8
	s_mov_b32 s9, 0
	s_mov_b64 s[12:13], 0
	s_waitcnt vmcnt(0)
	v_cmp_eq_u32_e32 vcc, 0, v13
	s_nop 1
	v_cndmask_b32_e64 v14, 2, 1, vcc
	v_cmp_eq_u32_e32 vcc, 1, v13
	s_nop 1
	v_cndmask_b32_e32 v15, v11, v10, vcc
	s_branch .LBB4_15
.LBB4_14:                               ;   in Loop: Header=BB4_15 Depth=2
	s_or_b64 exec, exec, s[14:15]
	s_add_i32 s9, s9, 1
	v_cmp_eq_u32_e32 vcc, s9, v14
	s_or_b64 s[12:13], vcc, s[12:13]
	s_andn2_b64 exec, exec, s[12:13]
	s_cbranch_execz .LBB4_17
.LBB4_15:                               ;   Parent Loop BB4_5 Depth=1
                                        ; =>  This Inner Loop Header: Depth=2
	v_cmp_eq_u32_e32 vcc, s9, v13
	s_and_saveexec_b64 s[14:15], vcc
	s_cbranch_execz .LBB4_14
; %bb.16:                               ;   in Loop: Header=BB4_15 Depth=2
	v_add_f32_e32 v12, v12, v15
	global_store_dword v[8:9], v13, off offset:8
	s_branch .LBB4_14
.LBB4_17:                               ;   in Loop: Header=BB4_5 Depth=1
	s_or_b64 exec, exec, s[12:13]
	global_load_dword v6, v[6:7], off offset:12
	s_mov_b32 s9, 0
	s_mov_b64 s[12:13], 0
	s_waitcnt vmcnt(0)
	v_cmp_eq_u32_e32 vcc, 0, v6
	s_nop 1
	v_cndmask_b32_e64 v7, 2, 1, vcc
	v_cmp_eq_u32_e32 vcc, 1, v6
	s_nop 1
	v_cndmask_b32_e32 v13, v11, v10, vcc
	s_branch .LBB4_19
.LBB4_18:                               ;   in Loop: Header=BB4_19 Depth=2
	s_or_b64 exec, exec, s[14:15]
	s_add_i32 s9, s9, 1
	v_cmp_eq_u32_e32 vcc, s9, v7
	s_or_b64 s[12:13], vcc, s[12:13]
	s_andn2_b64 exec, exec, s[12:13]
	s_cbranch_execz .LBB4_4
.LBB4_19:                               ;   Parent Loop BB4_5 Depth=1
                                        ; =>  This Inner Loop Header: Depth=2
	v_cmp_eq_u32_e32 vcc, s9, v6
	s_and_saveexec_b64 s[14:15], vcc
	s_cbranch_execz .LBB4_18
; %bb.20:                               ;   in Loop: Header=BB4_19 Depth=2
	v_add_f32_e32 v12, v12, v13
	global_store_dword v[8:9], v6, off offset:12
	s_branch .LBB4_18
.LBB4_21:
	v_mov_b32_e32 v12, 0
.LBB4_22:
	s_and_b32 s14, s16, 3
	s_cmp_eq_u32 s14, 0
	s_mov_b32 s9, 0
	s_cbranch_scc1 .LBB4_29
; %bb.23:
	s_mov_b32 s15, s9
	s_branch .LBB4_25
.LBB4_24:                               ;   in Loop: Header=BB4_25 Depth=1
	s_or_b64 exec, exec, s[4:5]
	s_add_i32 s8, s8, 1
	s_add_i32 s15, s15, 1
	s_cmp_lg_u32 s15, s14
	s_cbranch_scc0 .LBB4_29
.LBB4_25:                               ; =>This Loop Header: Depth=1
                                        ;     Child Loop BB4_27 Depth 2
	v_lshl_add_u64 v[6:7], s[8:9], 2, v[2:3]
	global_load_dword v5, v[6:7], off
	v_add_u32_e32 v6, s8, v4
	v_ashrrev_i32_e32 v7, 31, v6
	s_mov_b32 s17, 0
	s_waitcnt lgkmcnt(0)
	v_lshl_add_u64 v[6:7], v[6:7], 2, s[2:3]
	s_mov_b64 s[4:5], 0
	s_waitcnt vmcnt(0)
	v_cmp_eq_u32_e32 vcc, 0, v5
	s_nop 1
	v_cndmask_b32_e64 v8, 2, 1, vcc
	v_cmp_eq_u32_e32 vcc, 1, v5
	s_nop 1
	v_cndmask_b32_e32 v9, v11, v10, vcc
	s_branch .LBB4_27
.LBB4_26:                               ;   in Loop: Header=BB4_27 Depth=2
	s_or_b64 exec, exec, s[12:13]
	s_add_i32 s17, s17, 1
	v_cmp_eq_u32_e32 vcc, s17, v8
	s_or_b64 s[4:5], vcc, s[4:5]
	s_andn2_b64 exec, exec, s[4:5]
	s_cbranch_execz .LBB4_24
.LBB4_27:                               ;   Parent Loop BB4_25 Depth=1
                                        ; =>  This Inner Loop Header: Depth=2
	v_cmp_eq_u32_e32 vcc, s17, v5
	s_and_saveexec_b64 s[12:13], vcc
	s_cbranch_execz .LBB4_26
; %bb.28:                               ;   in Loop: Header=BB4_27 Depth=2
	v_add_f32_e32 v12, v12, v9
	global_store_dword v[6:7], v5, off
	s_branch .LBB4_26
.LBB4_29:
	s_load_dword s4, s[0:1], 0x3c
	s_waitcnt lgkmcnt(0)
	s_load_dwordx2 s[2:3], s[0:1], 0x40
	s_bitcmp1_b32 s4, 0
	s_cselect_b64 s[4:5], -1, 0
	s_waitcnt lgkmcnt(0)
	v_cvt_f32_f64_e32 v13, s[2:3]
	s_and_b64 vcc, exec, s[4:5]
	s_cbranch_vccz .LBB4_31
; %bb.30:
	v_cmp_lt_f32_e32 vcc, 0, v12
	s_nop 1
	v_cndmask_b32_e32 v5, 1.0, v12, vcc
	v_div_scale_f32 v6, s[2:3], v5, v5, v13
	v_rcp_f32_e32 v7, v6
	s_nop 0
	v_fma_f32 v8, -v6, v7, 1.0
	v_fmac_f32_e32 v7, v8, v7
	v_div_scale_f32 v8, vcc, v13, v5, v13
	v_mul_f32_e32 v9, v8, v7
	v_fma_f32 v12, -v6, v9, v8
	v_fmac_f32_e32 v9, v12, v7
	v_fma_f32 v6, -v6, v9, v8
	v_div_fmas_f32 v6, v6, v7, v9
	v_div_fixup_f32 v13, v6, v5, v13
.LBB4_31:
	s_andn2_b64 vcc, exec, s[10:11]
	s_cbranch_vccnz .LBB4_56
; %bb.32:
	s_load_dwordx2 s[0:1], s[0:1], 0x10
	s_cmp_lt_u32 s16, 8
	s_mov_b32 s2, 0
	s_cbranch_scc1 .LBB4_51
; %bb.33:
	v_ashrrev_i32_e32 v5, 31, v4
	s_and_b32 s2, s16, 0x7ffffff8
	s_waitcnt lgkmcnt(0)
	v_lshl_add_u64 v[6:7], v[4:5], 2, s[0:1]
	s_mov_b32 s3, 0
	s_mov_b64 s[4:5], 0
	s_branch .LBB4_35
.LBB4_34:                               ;   in Loop: Header=BB4_35 Depth=1
	s_or_b64 exec, exec, s[8:9]
	s_add_i32 s3, s3, 8
	s_add_u32 s4, s4, 32
	s_addc_u32 s5, s5, 0
	s_cmp_lg_u32 s2, s3
	s_cbranch_scc0 .LBB4_51
.LBB4_35:                               ; =>This Inner Loop Header: Depth=1
	v_lshl_add_u64 v[8:9], v[2:3], 0, s[4:5]
	global_load_dword v5, v[8:9], off
	s_waitcnt vmcnt(0)
	v_cmp_gt_u32_e32 vcc, 2, v5
	s_and_saveexec_b64 s[8:9], vcc
	s_cbranch_execz .LBB4_37
; %bb.36:                               ;   in Loop: Header=BB4_35 Depth=1
	v_add_u32_e32 v14, s3, v4
	v_cmp_eq_u32_e32 vcc, 1, v5
	v_ashrrev_i32_e32 v15, 31, v14
	v_lshl_add_u64 v[14:15], v[14:15], 2, s[0:1]
	v_cndmask_b32_e32 v5, v11, v10, vcc
	v_mul_f32_e32 v5, v13, v5
	global_store_dword v[14:15], v5, off
.LBB4_37:                               ;   in Loop: Header=BB4_35 Depth=1
	s_or_b64 exec, exec, s[8:9]
	global_load_dword v5, v[8:9], off offset:4
	s_waitcnt vmcnt(0)
	v_cmp_gt_u32_e32 vcc, 2, v5
	s_and_saveexec_b64 s[8:9], vcc
	s_cbranch_execz .LBB4_39
; %bb.38:                               ;   in Loop: Header=BB4_35 Depth=1
	v_cmp_eq_u32_e32 vcc, 1, v5
	v_lshl_add_u64 v[14:15], v[6:7], 0, s[4:5]
	s_nop 0
	v_cndmask_b32_e32 v5, v11, v10, vcc
	v_mul_f32_e32 v5, v13, v5
	global_store_dword v[14:15], v5, off offset:4
.LBB4_39:                               ;   in Loop: Header=BB4_35 Depth=1
	s_or_b64 exec, exec, s[8:9]
	global_load_dword v5, v[8:9], off offset:8
	s_waitcnt vmcnt(0)
	v_cmp_gt_u32_e32 vcc, 2, v5
	s_and_saveexec_b64 s[8:9], vcc
	s_cbranch_execz .LBB4_41
; %bb.40:                               ;   in Loop: Header=BB4_35 Depth=1
	v_cmp_eq_u32_e32 vcc, 1, v5
	v_lshl_add_u64 v[14:15], v[6:7], 0, s[4:5]
	s_nop 0
	v_cndmask_b32_e32 v5, v11, v10, vcc
	v_mul_f32_e32 v5, v13, v5
	global_store_dword v[14:15], v5, off offset:8
.LBB4_41:                               ;   in Loop: Header=BB4_35 Depth=1
	;; [unrolled: 14-line block ×6, first 2 shown]
	s_or_b64 exec, exec, s[8:9]
	global_load_dword v5, v[8:9], off offset:28
	s_waitcnt vmcnt(0)
	v_cmp_gt_u32_e32 vcc, 2, v5
	s_and_saveexec_b64 s[8:9], vcc
	s_cbranch_execz .LBB4_34
; %bb.50:                               ;   in Loop: Header=BB4_35 Depth=1
	v_cmp_eq_u32_e32 vcc, 1, v5
	v_lshl_add_u64 v[8:9], v[6:7], 0, s[4:5]
	s_nop 0
	v_cndmask_b32_e32 v5, v11, v10, vcc
	v_mul_f32_e32 v5, v13, v5
	global_store_dword v[8:9], v5, off offset:28
	s_branch .LBB4_34
.LBB4_51:
	s_and_b32 s4, s16, 7
	s_cmp_eq_u32 s4, 0
	s_mov_b32 s3, 0
	s_cbranch_scc1 .LBB4_56
; %bb.52:
	v_add_u32_e32 v2, s2, v4
	s_lshl_b64 s[2:3], s[2:3], 2
	s_add_u32 s2, s6, s2
	s_addc_u32 s3, s7, s3
	v_lshl_add_u64 v[0:1], v[0:1], 2, s[2:3]
	s_branch .LBB4_54
.LBB4_53:                               ;   in Loop: Header=BB4_54 Depth=1
	s_or_b64 exec, exec, s[2:3]
	s_add_i32 s4, s4, -1
	v_add_u32_e32 v2, 1, v2
	s_cmp_lg_u32 s4, 0
	v_lshl_add_u64 v[0:1], v[0:1], 0, 4
	s_cbranch_scc0 .LBB4_56
.LBB4_54:                               ; =>This Inner Loop Header: Depth=1
	global_load_dword v3, v[0:1], off
	s_waitcnt vmcnt(0)
	v_cmp_gt_u32_e32 vcc, 2, v3
	s_and_saveexec_b64 s[2:3], vcc
	s_cbranch_execz .LBB4_53
; %bb.55:                               ;   in Loop: Header=BB4_54 Depth=1
	v_cmp_eq_u32_e32 vcc, 1, v3
	s_nop 1
	v_cndmask_b32_e32 v3, v11, v10, vcc
	v_mul_f32_e32 v6, v13, v3
	v_ashrrev_i32_e32 v3, 31, v2
	s_waitcnt lgkmcnt(0)
	v_lshl_add_u64 v[4:5], v[2:3], 2, s[0:1]
	global_store_dword v[4:5], v6, off
	s_branch .LBB4_53
.LBB4_56:
	s_endpgm
	.section	.rodata,"a",@progbits
	.p2align	6, 0x0
	.amdhsa_kernel _ZN4vllm3moe22topkGatingSoftplusSqrtILi2ELi2ELi4ELi8ELi64ELb1EifEEvPKT6_PKbPfiPT5_PiiiibdPKfPKS8_SE_
		.amdhsa_group_segment_fixed_size 0
		.amdhsa_private_segment_fixed_size 0
		.amdhsa_kernarg_size 96
		.amdhsa_user_sgpr_count 2
		.amdhsa_user_sgpr_dispatch_ptr 0
		.amdhsa_user_sgpr_queue_ptr 0
		.amdhsa_user_sgpr_kernarg_segment_ptr 1
		.amdhsa_user_sgpr_dispatch_id 0
		.amdhsa_user_sgpr_kernarg_preload_length 0
		.amdhsa_user_sgpr_kernarg_preload_offset 0
		.amdhsa_user_sgpr_private_segment_size 0
		.amdhsa_uses_dynamic_stack 0
		.amdhsa_enable_private_segment 0
		.amdhsa_system_sgpr_workgroup_id_x 1
		.amdhsa_system_sgpr_workgroup_id_y 0
		.amdhsa_system_sgpr_workgroup_id_z 0
		.amdhsa_system_sgpr_workgroup_info 0
		.amdhsa_system_vgpr_workitem_id 1
		.amdhsa_next_free_vgpr 19
		.amdhsa_next_free_sgpr 18
		.amdhsa_accum_offset 20
		.amdhsa_reserve_vcc 1
		.amdhsa_float_round_mode_32 0
		.amdhsa_float_round_mode_16_64 0
		.amdhsa_float_denorm_mode_32 3
		.amdhsa_float_denorm_mode_16_64 3
		.amdhsa_dx10_clamp 1
		.amdhsa_ieee_mode 1
		.amdhsa_fp16_overflow 0
		.amdhsa_tg_split 0
		.amdhsa_exception_fp_ieee_invalid_op 0
		.amdhsa_exception_fp_denorm_src 0
		.amdhsa_exception_fp_ieee_div_zero 0
		.amdhsa_exception_fp_ieee_overflow 0
		.amdhsa_exception_fp_ieee_underflow 0
		.amdhsa_exception_fp_ieee_inexact 0
		.amdhsa_exception_int_div_zero 0
	.end_amdhsa_kernel
	.section	.text._ZN4vllm3moe22topkGatingSoftplusSqrtILi2ELi2ELi4ELi8ELi64ELb1EifEEvPKT6_PKbPfiPT5_PiiiibdPKfPKS8_SE_,"axG",@progbits,_ZN4vllm3moe22topkGatingSoftplusSqrtILi2ELi2ELi4ELi8ELi64ELb1EifEEvPKT6_PKbPfiPT5_PiiiibdPKfPKS8_SE_,comdat
.Lfunc_end4:
	.size	_ZN4vllm3moe22topkGatingSoftplusSqrtILi2ELi2ELi4ELi8ELi64ELb1EifEEvPKT6_PKbPfiPT5_PiiiibdPKfPKS8_SE_, .Lfunc_end4-_ZN4vllm3moe22topkGatingSoftplusSqrtILi2ELi2ELi4ELi8ELi64ELb1EifEEvPKT6_PKbPfiPT5_PiiiibdPKfPKS8_SE_
                                        ; -- End function
	.section	.AMDGPU.csdata,"",@progbits
; Kernel info:
; codeLenInByte = 2276
; NumSgprs: 24
; NumVgprs: 19
; NumAgprs: 0
; TotalNumVgprs: 19
; ScratchSize: 0
; MemoryBound: 0
; FloatMode: 240
; IeeeMode: 1
; LDSByteSize: 0 bytes/workgroup (compile time only)
; SGPRBlocks: 2
; VGPRBlocks: 2
; NumSGPRsForWavesPerEU: 24
; NumVGPRsForWavesPerEU: 19
; AccumOffset: 20
; Occupancy: 8
; WaveLimiterHint : 1
; COMPUTE_PGM_RSRC2:SCRATCH_EN: 0
; COMPUTE_PGM_RSRC2:USER_SGPR: 2
; COMPUTE_PGM_RSRC2:TRAP_HANDLER: 0
; COMPUTE_PGM_RSRC2:TGID_X_EN: 1
; COMPUTE_PGM_RSRC2:TGID_Y_EN: 0
; COMPUTE_PGM_RSRC2:TGID_Z_EN: 0
; COMPUTE_PGM_RSRC2:TIDIG_COMP_CNT: 1
; COMPUTE_PGM_RSRC3_GFX90A:ACCUM_OFFSET: 4
; COMPUTE_PGM_RSRC3_GFX90A:TG_SPLIT: 0
	.section	.text._ZN4vllm3moe22topkGatingSoftplusSqrtILi2ELi2ELi4ELi8ELi64ELb0EifEEvPKT6_PKbPfiPT5_PiiiibdPKfPKS8_SE_,"axG",@progbits,_ZN4vllm3moe22topkGatingSoftplusSqrtILi2ELi2ELi4ELi8ELi64ELb0EifEEvPKT6_PKbPfiPT5_PiiiibdPKfPKS8_SE_,comdat
	.protected	_ZN4vllm3moe22topkGatingSoftplusSqrtILi2ELi2ELi4ELi8ELi64ELb0EifEEvPKT6_PKbPfiPT5_PiiiibdPKfPKS8_SE_ ; -- Begin function _ZN4vllm3moe22topkGatingSoftplusSqrtILi2ELi2ELi4ELi8ELi64ELb0EifEEvPKT6_PKbPfiPT5_PiiiibdPKfPKS8_SE_
	.globl	_ZN4vllm3moe22topkGatingSoftplusSqrtILi2ELi2ELi4ELi8ELi64ELb0EifEEvPKT6_PKbPfiPT5_PiiiibdPKfPKS8_SE_
	.p2align	8
	.type	_ZN4vllm3moe22topkGatingSoftplusSqrtILi2ELi2ELi4ELi8ELi64ELb0EifEEvPKT6_PKbPfiPT5_PiiiibdPKfPKS8_SE_,@function
_ZN4vllm3moe22topkGatingSoftplusSqrtILi2ELi2ELi4ELi8ELi64ELb0EifEEvPKT6_PKbPfiPT5_PiiiibdPKfPKS8_SE_: ; @_ZN4vllm3moe22topkGatingSoftplusSqrtILi2ELi2ELi4ELi8ELi64ELb0EifEEvPKT6_PKbPfiPT5_PiiiibdPKfPKS8_SE_
; %bb.0:
	s_load_dword s24, s[0:1], 0x18
	v_bfe_u32 v1, v0, 10, 10
	s_lshl_b32 s2, s2, 8
	v_lshlrev_b32_e32 v1, 6, v1
	v_and_b32_e32 v0, 0x3ff, v0
	v_add3_u32 v0, v1, v0, s2
	s_waitcnt lgkmcnt(0)
	v_cmp_gt_i32_e32 vcc, s24, v0
	s_and_saveexec_b64 s[2:3], vcc
	s_cbranch_execz .LBB5_28
; %bb.1:
	s_load_dwordx4 s[4:7], s[0:1], 0x0
	s_load_dwordx2 s[16:17], s[0:1], 0x10
	s_waitcnt lgkmcnt(0)
	s_cmp_eq_u64 s[6:7], 0
	s_cbranch_scc1 .LBB5_3
; %bb.2:
	v_ashrrev_i32_e32 v1, 31, v0
	v_lshl_add_u64 v[2:3], s[6:7], 0, v[0:1]
	global_load_ubyte v1, v[2:3], off
	s_waitcnt vmcnt(0)
	v_and_b32_e32 v1, 1, v1
	v_cmp_eq_u32_e32 vcc, 1, v1
	s_xor_b64 s[2:3], vcc, -1
	s_orn2_b64 s[18:19], s[2:3], exec
	s_branch .LBB5_4
.LBB5_3:
	s_mov_b64 s[18:19], -1
.LBB5_4:
	v_lshlrev_b32_e32 v4, 1, v0
	v_mov_b32_e32 v2, s4
	v_mov_b32_e32 v3, s5
	v_ashrrev_i32_e32 v5, 31, v4
	v_lshl_add_u64 v[2:3], v[4:5], 2, v[2:3]
	global_load_dwordx2 v[2:3], v[2:3], off
	s_mov_b32 s14, 0x800000
	v_mov_b32_e32 v6, 0x4f800000
	s_mov_b32 s7, 0x3f317217
	s_mov_b32 s12, 0x7f800000
	v_mov_b32_e32 v5, 0x41b17218
	s_mov_b32 s6, 0x41a00000
	s_mov_b32 s13, 0xf800000
	s_load_dwordx4 s[8:11], s[0:1], 0x40
	s_waitcnt lgkmcnt(0)
	s_cmp_lg_u64 s[10:11], 0
	s_cselect_b64 s[20:21], -1, 0
	s_and_b64 s[2:3], exec, s[20:21]
	s_waitcnt vmcnt(0)
	v_mul_f32_e32 v1, 0x3fb8aa3b, v2
	v_exp_f32_e32 v1, v1
	s_nop 0
	v_add_f32_e32 v1, 1.0, v1
	v_cmp_gt_f32_e32 vcc, s14, v1
	s_nop 1
	v_cndmask_b32_e32 v4, 1.0, v6, vcc
	v_mul_f32_e32 v1, v1, v4
	v_log_f32_e32 v4, v1
	v_cndmask_b32_e32 v7, 0, v5, vcc
	v_mov_b32_e32 v1, 0x260
	v_mul_f32_e32 v8, 0x3f317217, v4
	v_fma_f32 v8, v4, s7, -v8
	v_fmac_f32_e32 v8, 0x3377d1cf, v4
	v_fmac_f32_e32 v8, 0x3f317217, v4
	v_cmp_lt_f32_e64 vcc, |v4|, s12
	s_nop 1
	v_cndmask_b32_e32 v4, v4, v8, vcc
	v_sub_f32_e32 v4, v4, v7
	v_cmp_lt_f32_e32 vcc, s6, v2
	s_nop 1
	v_cndmask_b32_e32 v2, v4, v2, vcc
	v_mul_f32_e32 v4, 0x4f800000, v2
	v_cmp_gt_f32_e32 vcc, s13, v2
	s_nop 1
	v_cndmask_b32_e32 v2, v2, v4, vcc
	v_sqrt_f32_e32 v4, v2
	s_nop 0
	v_add_u32_e32 v7, -1, v4
	v_add_u32_e32 v8, 1, v4
	v_fma_f32 v9, -v7, v4, v2
	v_fma_f32 v10, -v8, v4, v2
	v_cmp_ge_f32_e64 s[4:5], 0, v9
	s_nop 1
	v_cndmask_b32_e64 v4, v4, v7, s[4:5]
	v_cmp_lt_f32_e64 s[4:5], 0, v10
	s_nop 1
	v_cndmask_b32_e64 v4, v4, v8, s[4:5]
	v_mul_f32_e32 v7, 0x37800000, v4
	v_cndmask_b32_e32 v4, v4, v7, vcc
	v_cmp_class_f32_e32 vcc, v2, v1
	s_nop 1
	v_cndmask_b32_e32 v4, v4, v2, vcc
	s_mov_b64 vcc, s[2:3]
	s_cbranch_vccz .LBB5_6
; %bb.5:
	s_load_dword s2, s[10:11], 0x0
	s_waitcnt lgkmcnt(0)
	v_add_f32_e32 v4, s2, v4
.LBB5_6:
	v_mul_f32_e32 v2, 0x3fb8aa3b, v3
	v_exp_f32_e32 v2, v2
	s_nop 0
	v_add_f32_e32 v2, 1.0, v2
	v_cmp_gt_f32_e32 vcc, s14, v2
	s_nop 1
	v_cndmask_b32_e32 v6, 1.0, v6, vcc
	v_mul_f32_e32 v2, v2, v6
	v_log_f32_e32 v2, v2
	v_cndmask_b32_e32 v5, 0, v5, vcc
	v_mul_f32_e32 v6, 0x3f317217, v2
	v_fma_f32 v6, v2, s7, -v6
	v_fmac_f32_e32 v6, 0x3377d1cf, v2
	v_fmac_f32_e32 v6, 0x3f317217, v2
	v_cmp_lt_f32_e64 vcc, |v2|, s12
	s_nop 1
	v_cndmask_b32_e32 v2, v2, v6, vcc
	v_sub_f32_e32 v2, v2, v5
	v_cmp_lt_f32_e32 vcc, s6, v3
	s_nop 1
	v_cndmask_b32_e32 v2, v2, v3, vcc
	v_mul_f32_e32 v3, 0x4f800000, v2
	v_cmp_gt_f32_e32 vcc, s13, v2
	s_nop 1
	v_cndmask_b32_e32 v2, v2, v3, vcc
	v_sqrt_f32_e32 v3, v2
	s_nop 0
	v_add_u32_e32 v5, -1, v3
	v_add_u32_e32 v6, 1, v3
	v_fma_f32 v7, -v5, v3, v2
	v_fma_f32 v8, -v6, v3, v2
	v_cmp_ge_f32_e64 s[2:3], 0, v7
	s_nop 1
	v_cndmask_b32_e64 v3, v3, v5, s[2:3]
	v_cmp_lt_f32_e64 s[2:3], 0, v8
	s_nop 1
	v_cndmask_b32_e64 v3, v3, v6, s[2:3]
	v_mul_f32_e32 v5, 0x37800000, v3
	v_cndmask_b32_e32 v3, v3, v5, vcc
	v_cmp_class_f32_e64 s[2:3], v2, v1
	s_andn2_b64 vcc, exec, s[20:21]
	s_nop 0
	v_cndmask_b32_e64 v1, v3, v2, s[2:3]
	s_cbranch_vccnz .LBB5_8
; %bb.7:
	s_load_dword s2, s[10:11], 0x4
	s_waitcnt lgkmcnt(0)
	v_add_f32_e32 v1, s2, v1
.LBB5_8:
	s_load_dwordx4 s[4:7], s[0:1], 0x30
	s_mov_b32 s25, 0
	s_waitcnt lgkmcnt(0)
	s_bitcmp1_b32 s7, 0
	s_cselect_b64 s[2:3], -1, 0
	s_cmp_gt_i32 s4, 0
	s_cselect_b64 s[22:23], -1, 0
	s_and_b64 vcc, exec, s[22:23]
	v_mul_lo_u32 v2, v0, s4
	s_cbranch_vccz .LBB5_15
; %bb.9:
	s_load_dwordx4 s[12:15], s[0:1], 0x20
	v_mov_b32_e32 v3, 0
	v_mov_b32_e32 v5, 0xc61c4000
	s_branch .LBB5_11
.LBB5_10:                               ;   in Loop: Header=BB5_11 Depth=1
	v_add_u32_e32 v8, s25, v2
	v_ashrrev_i32_e32 v9, 31, v8
	v_cmp_le_i32_e32 vcc, s5, v6
	v_cmp_gt_i32_e64 s[0:1], s6, v6
	v_lshlrev_b64 v[8:9], 2, v[8:9]
	s_and_b64 s[0:1], vcc, s[0:1]
	v_lshl_add_u64 v[10:11], s[16:17], 0, v[8:9]
	global_store_dword v[10:11], v7, off
	v_subrev_u32_e32 v10, s5, v6
	s_and_b64 vcc, s[18:19], s[0:1]
	v_cndmask_b32_e32 v12, 2, v10, vcc
	v_add_f32_e32 v7, v3, v7
	s_add_i32 s25, s25, 1
	v_cmp_ne_u32_e32 vcc, 0, v6
	v_cndmask_b32_e64 v3, v3, v7, s[2:3]
	s_cmp_lt_i32 s25, s4
	v_cndmask_b32_e32 v7, v5, v4, vcc
	v_cmp_ne_u32_e32 vcc, 1, v6
	s_waitcnt lgkmcnt(0)
	v_lshl_add_u64 v[10:11], s[12:13], 0, v[8:9]
	v_lshl_add_u64 v[8:9], s[14:15], 0, v[8:9]
	v_cndmask_b32_e32 v6, v5, v1, vcc
	s_cselect_b64 vcc, -1, 0
	global_store_dword v[10:11], v12, off
	global_store_dword v[8:9], v0, off
	v_cndmask_b32_e32 v1, v1, v6, vcc
	v_cndmask_b32_e32 v4, v4, v7, vcc
	s_cmp_lg_u32 s4, s25
	v_add_u32_e32 v0, s24, v0
	s_cbranch_scc0 .LBB5_16
.LBB5_11:                               ; =>This Inner Loop Header: Depth=1
	v_cmp_gt_f32_e32 vcc, v1, v4
	s_and_b64 s[0:1], exec, s[20:21]
	s_nop 0
	v_cndmask_b32_e32 v8, v4, v1, vcc
	v_cndmask_b32_e64 v6, 0, 1, vcc
	s_mov_b64 vcc, s[0:1]
	s_cbranch_vccz .LBB5_13
; %bb.12:                               ;   in Loop: Header=BB5_11 Depth=1
	v_lshlrev_b32_e32 v7, 2, v6
	global_load_dword v7, v7, s[10:11]
	s_waitcnt vmcnt(0)
	v_sub_f32_e32 v7, v8, v7
	s_cbranch_execnz .LBB5_10
	s_branch .LBB5_14
.LBB5_13:                               ;   in Loop: Header=BB5_11 Depth=1
                                        ; implicit-def: $vgpr7
.LBB5_14:                               ;   in Loop: Header=BB5_11 Depth=1
	v_mov_b32_e32 v7, v8
	s_branch .LBB5_10
.LBB5_15:
	v_mov_b32_e32 v3, 0
.LBB5_16:
	s_andn2_b64 vcc, exec, s[2:3]
	v_cvt_f32_f64_e32 v0, s[8:9]
	s_cbranch_vccnz .LBB5_18
; %bb.17:
	v_cmp_lt_f32_e32 vcc, 0, v3
	s_nop 1
	v_cndmask_b32_e32 v1, 1.0, v3, vcc
	v_div_scale_f32 v3, s[0:1], v1, v1, v0
	v_rcp_f32_e32 v4, v3
	s_nop 0
	v_fma_f32 v5, -v3, v4, 1.0
	v_fmac_f32_e32 v4, v5, v4
	v_div_scale_f32 v5, vcc, v0, v1, v0
	v_mul_f32_e32 v6, v5, v4
	v_fma_f32 v7, -v3, v6, v5
	v_fmac_f32_e32 v6, v7, v4
	v_fma_f32 v3, -v3, v6, v5
	v_div_fmas_f32 v3, v3, v4, v6
	v_div_fixup_f32 v0, v3, v1, v0
.LBB5_18:
	s_andn2_b64 vcc, exec, s[22:23]
	s_cbranch_vccnz .LBB5_28
; %bb.19:
	s_cmp_gt_u32 s4, 3
	v_ashrrev_i32_e32 v3, 31, v2
	s_cbranch_scc0 .LBB5_23
; %bb.20:
	s_and_b32 s0, s4, 0x7ffffffc
	v_lshl_add_u64 v[4:5], v[2:3], 2, s[16:17]
	v_mov_b32_e32 v1, v0
	v_lshl_add_u64 v[4:5], v[4:5], 0, 8
	s_mov_b32 s1, s0
.LBB5_21:                               ; =>This Inner Loop Header: Depth=1
	global_load_dwordx4 v[6:9], v[4:5], off offset:-8
	s_add_i32 s1, s1, -4
	s_cmp_lg_u32 s1, 0
	s_waitcnt vmcnt(0)
	v_pk_mul_f32 v[6:7], v[0:1], v[6:7]
	v_pk_mul_f32 v[8:9], v[0:1], v[8:9]
	global_store_dwordx4 v[4:5], v[6:9], off offset:-8
	v_lshl_add_u64 v[4:5], v[4:5], 0, 16
	s_cbranch_scc1 .LBB5_21
; %bb.22:
	s_cmp_lg_u32 s0, s4
	s_cselect_b64 s[2:3], -1, 0
	s_branch .LBB5_25
.LBB5_23:
	s_mov_b64 s[2:3], 0
                                        ; implicit-def: $sgpr0
	s_cbranch_execz .LBB5_25
; %bb.24:
	s_mov_b64 s[2:3], -1
	s_mov_b32 s0, 0
.LBB5_25:
	s_andn2_b64 vcc, exec, s[2:3]
	s_cbranch_vccnz .LBB5_28
; %bb.26:
	s_mov_b32 s1, 0
	v_lshl_add_u64 v[2:3], v[2:3], 0, s[0:1]
	s_sub_i32 s2, s4, s0
	v_lshl_add_u64 v[2:3], v[2:3], 2, s[16:17]
.LBB5_27:                               ; =>This Inner Loop Header: Depth=1
	global_load_dword v1, v[2:3], off
	s_add_i32 s2, s2, -1
	s_cmp_lg_u32 s2, 0
	s_waitcnt vmcnt(0)
	v_mul_f32_e32 v1, v0, v1
	global_store_dword v[2:3], v1, off
	v_lshl_add_u64 v[2:3], v[2:3], 0, 4
	s_cbranch_scc1 .LBB5_27
.LBB5_28:
	s_endpgm
	.section	.rodata,"a",@progbits
	.p2align	6, 0x0
	.amdhsa_kernel _ZN4vllm3moe22topkGatingSoftplusSqrtILi2ELi2ELi4ELi8ELi64ELb0EifEEvPKT6_PKbPfiPT5_PiiiibdPKfPKS8_SE_
		.amdhsa_group_segment_fixed_size 0
		.amdhsa_private_segment_fixed_size 0
		.amdhsa_kernarg_size 96
		.amdhsa_user_sgpr_count 2
		.amdhsa_user_sgpr_dispatch_ptr 0
		.amdhsa_user_sgpr_queue_ptr 0
		.amdhsa_user_sgpr_kernarg_segment_ptr 1
		.amdhsa_user_sgpr_dispatch_id 0
		.amdhsa_user_sgpr_kernarg_preload_length 0
		.amdhsa_user_sgpr_kernarg_preload_offset 0
		.amdhsa_user_sgpr_private_segment_size 0
		.amdhsa_uses_dynamic_stack 0
		.amdhsa_enable_private_segment 0
		.amdhsa_system_sgpr_workgroup_id_x 1
		.amdhsa_system_sgpr_workgroup_id_y 0
		.amdhsa_system_sgpr_workgroup_id_z 0
		.amdhsa_system_sgpr_workgroup_info 0
		.amdhsa_system_vgpr_workitem_id 1
		.amdhsa_next_free_vgpr 13
		.amdhsa_next_free_sgpr 26
		.amdhsa_accum_offset 16
		.amdhsa_reserve_vcc 1
		.amdhsa_float_round_mode_32 0
		.amdhsa_float_round_mode_16_64 0
		.amdhsa_float_denorm_mode_32 3
		.amdhsa_float_denorm_mode_16_64 3
		.amdhsa_dx10_clamp 1
		.amdhsa_ieee_mode 1
		.amdhsa_fp16_overflow 0
		.amdhsa_tg_split 0
		.amdhsa_exception_fp_ieee_invalid_op 0
		.amdhsa_exception_fp_denorm_src 0
		.amdhsa_exception_fp_ieee_div_zero 0
		.amdhsa_exception_fp_ieee_overflow 0
		.amdhsa_exception_fp_ieee_underflow 0
		.amdhsa_exception_fp_ieee_inexact 0
		.amdhsa_exception_int_div_zero 0
	.end_amdhsa_kernel
	.section	.text._ZN4vllm3moe22topkGatingSoftplusSqrtILi2ELi2ELi4ELi8ELi64ELb0EifEEvPKT6_PKbPfiPT5_PiiiibdPKfPKS8_SE_,"axG",@progbits,_ZN4vllm3moe22topkGatingSoftplusSqrtILi2ELi2ELi4ELi8ELi64ELb0EifEEvPKT6_PKbPfiPT5_PiiiibdPKfPKS8_SE_,comdat
.Lfunc_end5:
	.size	_ZN4vllm3moe22topkGatingSoftplusSqrtILi2ELi2ELi4ELi8ELi64ELb0EifEEvPKT6_PKbPfiPT5_PiiiibdPKfPKS8_SE_, .Lfunc_end5-_ZN4vllm3moe22topkGatingSoftplusSqrtILi2ELi2ELi4ELi8ELi64ELb0EifEEvPKT6_PKbPfiPT5_PiiiibdPKfPKS8_SE_
                                        ; -- End function
	.section	.AMDGPU.csdata,"",@progbits
; Kernel info:
; codeLenInByte = 1376
; NumSgprs: 32
; NumVgprs: 13
; NumAgprs: 0
; TotalNumVgprs: 13
; ScratchSize: 0
; MemoryBound: 0
; FloatMode: 240
; IeeeMode: 1
; LDSByteSize: 0 bytes/workgroup (compile time only)
; SGPRBlocks: 3
; VGPRBlocks: 1
; NumSGPRsForWavesPerEU: 32
; NumVGPRsForWavesPerEU: 13
; AccumOffset: 16
; Occupancy: 8
; WaveLimiterHint : 0
; COMPUTE_PGM_RSRC2:SCRATCH_EN: 0
; COMPUTE_PGM_RSRC2:USER_SGPR: 2
; COMPUTE_PGM_RSRC2:TRAP_HANDLER: 0
; COMPUTE_PGM_RSRC2:TGID_X_EN: 1
; COMPUTE_PGM_RSRC2:TGID_Y_EN: 0
; COMPUTE_PGM_RSRC2:TGID_Z_EN: 0
; COMPUTE_PGM_RSRC2:TIDIG_COMP_CNT: 1
; COMPUTE_PGM_RSRC3_GFX90A:ACCUM_OFFSET: 3
; COMPUTE_PGM_RSRC3_GFX90A:TG_SPLIT: 0
	.section	.text._ZN4vllm3moe22topkGatingSoftplusSqrtILi2ELi2ELi4ELi8ELi32ELb1EifEEvPKT6_PKbPfiPT5_PiiiibdPKfPKS8_SE_,"axG",@progbits,_ZN4vllm3moe22topkGatingSoftplusSqrtILi2ELi2ELi4ELi8ELi32ELb1EifEEvPKT6_PKbPfiPT5_PiiiibdPKfPKS8_SE_,comdat
	.protected	_ZN4vllm3moe22topkGatingSoftplusSqrtILi2ELi2ELi4ELi8ELi32ELb1EifEEvPKT6_PKbPfiPT5_PiiiibdPKfPKS8_SE_ ; -- Begin function _ZN4vllm3moe22topkGatingSoftplusSqrtILi2ELi2ELi4ELi8ELi32ELb1EifEEvPKT6_PKbPfiPT5_PiiiibdPKfPKS8_SE_
	.globl	_ZN4vllm3moe22topkGatingSoftplusSqrtILi2ELi2ELi4ELi8ELi32ELb1EifEEvPKT6_PKbPfiPT5_PiiiibdPKfPKS8_SE_
	.p2align	8
	.type	_ZN4vllm3moe22topkGatingSoftplusSqrtILi2ELi2ELi4ELi8ELi32ELb1EifEEvPKT6_PKbPfiPT5_PiiiibdPKfPKS8_SE_,@function
_ZN4vllm3moe22topkGatingSoftplusSqrtILi2ELi2ELi4ELi8ELi32ELb1EifEEvPKT6_PKbPfiPT5_PiiiibdPKfPKS8_SE_: ; @_ZN4vllm3moe22topkGatingSoftplusSqrtILi2ELi2ELi4ELi8ELi32ELb1EifEEvPKT6_PKbPfiPT5_PiiiibdPKfPKS8_SE_
; %bb.0:
	s_load_dword s3, s[0:1], 0x18
	v_bfe_u32 v1, v0, 10, 10
	s_lshl_b32 s2, s2, 7
	v_lshlrev_b32_e32 v1, 5, v1
	v_and_b32_e32 v0, 0x3ff, v0
	v_add3_u32 v4, v1, v0, s2
	s_waitcnt lgkmcnt(0)
	v_cmp_gt_i32_e32 vcc, s3, v4
	s_and_saveexec_b64 s[2:3], vcc
	s_cbranch_execz .LBB6_56
; %bb.1:
	s_load_dwordx2 s[2:3], s[0:1], 0x0
	s_load_dword s16, s[0:1], 0x30
	s_load_dwordx4 s[4:7], s[0:1], 0x50
	v_lshlrev_b32_e32 v0, 1, v4
	v_ashrrev_i32_e32 v1, 31, v0
	s_waitcnt lgkmcnt(0)
	v_lshl_add_u64 v[0:1], v[0:1], 2, s[2:3]
	global_load_dwordx2 v[2:3], v[0:1], off
	v_ashrrev_i32_e32 v5, 31, v4
	v_mov_b32_e32 v0, s4
	v_mov_b32_e32 v1, s5
	v_lshl_add_u64 v[0:1], v[4:5], 2, v[0:1]
	global_load_dword v0, v[0:1], off
	s_mov_b32 s2, 0x800000
	v_mov_b32_e32 v5, 0x4f800000
	s_mov_b32 s5, 0x3f317217
	s_mov_b32 s9, 0x7f800000
	v_mov_b32_e32 v8, 0x41b17218
	s_mov_b32 s4, 0x41a00000
	s_mov_b32 s12, 0xf800000
	v_mov_b32_e32 v9, 0x260
	s_cmp_gt_i32 s16, 0
	s_mov_b32 s8, 0
	v_mov_b32_e32 v12, 0
	s_cselect_b64 s[10:11], -1, 0
	s_cmp_lt_i32 s16, 1
	v_mul_lo_u32 v4, v4, s16
	s_waitcnt vmcnt(1)
	v_mul_f32_e32 v1, 0x3fb8aa3b, v2
	v_mul_f32_e32 v7, 0x3fb8aa3b, v3
	v_exp_f32_e32 v6, v1
	v_exp_f32_e32 v7, v7
	s_waitcnt vmcnt(0)
	v_mul_lo_u32 v0, v0, s16
	v_ashrrev_i32_e32 v1, 31, v0
	v_pk_add_f32 v[6:7], v[6:7], 1.0 op_sel_hi:[1,0]
	s_nop 0
	v_cmp_gt_f32_e32 vcc, s2, v7
	v_cmp_gt_f32_e64 s[2:3], s2, v6
	s_nop 0
	v_cndmask_b32_e32 v10, 1.0, v5, vcc
	v_cndmask_b32_e64 v5, 1.0, v5, s[2:3]
	v_mul_f32_e32 v7, v7, v10
	v_mul_f32_e32 v5, v6, v5
	v_log_f32_e32 v6, v7
	v_log_f32_e32 v5, v5
	v_cndmask_b32_e32 v7, 0, v8, vcc
	v_cndmask_b32_e64 v8, 0, v8, s[2:3]
	v_mul_f32_e32 v10, 0x3f317217, v6
	v_mul_f32_e32 v11, 0x3f317217, v5
	v_fma_f32 v10, v6, s5, -v10
	v_fma_f32 v11, v5, s5, -v11
	v_fmac_f32_e32 v10, 0x3377d1cf, v6
	v_fmac_f32_e32 v11, 0x3377d1cf, v5
	v_fmac_f32_e32 v10, 0x3f317217, v6
	v_cmp_lt_f32_e64 vcc, |v6|, s9
	v_fmac_f32_e32 v11, 0x3f317217, v5
	s_nop 0
	v_cndmask_b32_e32 v6, v6, v10, vcc
	v_cmp_lt_f32_e64 vcc, |v5|, s9
	v_sub_f32_e32 v6, v6, v7
	s_nop 0
	v_cndmask_b32_e32 v5, v5, v11, vcc
	v_sub_f32_e32 v5, v5, v8
	v_cmp_lt_f32_e32 vcc, s4, v2
	s_nop 1
	v_cndmask_b32_e32 v2, v5, v2, vcc
	v_cmp_lt_f32_e32 vcc, s4, v3
	v_cmp_gt_f32_e64 s[2:3], s12, v2
	s_nop 0
	v_cndmask_b32_e32 v3, v6, v3, vcc
	v_mul_f32_e32 v5, 0x4f800000, v3
	v_cmp_gt_f32_e32 vcc, s12, v3
	v_mul_f32_e32 v6, 0x4f800000, v2
	v_cndmask_b32_e64 v6, v2, v6, s[2:3]
	v_cndmask_b32_e32 v5, v3, v5, vcc
	v_sqrt_f32_e32 v7, v5
	v_sqrt_f32_e32 v8, v6
	v_lshl_add_u64 v[2:3], v[0:1], 2, s[6:7]
	v_add_u32_e32 v10, -1, v7
	v_add_u32_e32 v13, -1, v8
	v_fma_f32 v15, -v10, v7, v5
	v_add_u32_e32 v11, 1, v7
	v_fma_f32 v17, -v13, v8, v6
	v_cmp_ge_f32_e64 s[4:5], 0, v15
	v_add_u32_e32 v14, 1, v8
	v_fma_f32 v16, -v11, v7, v5
	v_cndmask_b32_e64 v7, v7, v10, s[4:5]
	v_cmp_ge_f32_e64 s[4:5], 0, v17
	v_fma_f32 v18, -v14, v8, v6
	s_nop 0
	v_cndmask_b32_e64 v8, v8, v13, s[4:5]
	v_cmp_lt_f32_e64 s[4:5], 0, v16
	s_nop 1
	v_cndmask_b32_e64 v7, v7, v11, s[4:5]
	v_cmp_lt_f32_e64 s[4:5], 0, v18
	v_mul_f32_e32 v10, 0x37800000, v7
	v_cndmask_b32_e32 v7, v7, v10, vcc
	v_cndmask_b32_e64 v8, v8, v14, s[4:5]
	v_mul_f32_e32 v11, 0x37800000, v8
	v_cmp_class_f32_e32 vcc, v5, v9
	v_cndmask_b32_e64 v8, v8, v11, s[2:3]
	s_nop 0
	v_cndmask_b32_e32 v10, v7, v5, vcc
	v_cmp_class_f32_e32 vcc, v6, v9
	s_nop 1
	v_cndmask_b32_e32 v11, v8, v6, vcc
	s_cbranch_scc1 .LBB6_29
; %bb.2:
	s_load_dwordx2 s[2:3], s[0:1], 0x20
	s_cmp_lt_u32 s16, 4
	s_cbranch_scc1 .LBB6_21
; %bb.3:
	s_mov_b32 s5, 0
	s_and_b32 s8, s16, 0x7ffffffc
	v_ashrrev_i32_e32 v5, 31, v4
	v_mov_b32_e32 v12, 0
	s_mov_b32 s4, s5
	s_branch .LBB6_5
.LBB6_4:                                ;   in Loop: Header=BB6_5 Depth=1
	s_or_b64 exec, exec, s[12:13]
	s_add_i32 s4, s4, 4
	s_cmp_eq_u32 s4, s8
	s_cbranch_scc1 .LBB6_22
.LBB6_5:                                ; =>This Loop Header: Depth=1
                                        ;     Child Loop BB6_7 Depth 2
                                        ;     Child Loop BB6_11 Depth 2
	;; [unrolled: 1-line block ×4, first 2 shown]
	v_lshl_add_u64 v[6:7], s[4:5], 2, v[2:3]
	global_load_dword v13, v[6:7], off
	v_add_u32_e32 v8, s4, v4
	v_ashrrev_i32_e32 v9, 31, v8
	s_mov_b64 s[12:13], 0
	s_waitcnt lgkmcnt(0)
	v_lshl_add_u64 v[8:9], v[8:9], 2, s[2:3]
	s_mov_b32 s9, 0
	s_waitcnt vmcnt(0)
	v_cmp_eq_u32_e32 vcc, 0, v13
	s_nop 1
	v_cndmask_b32_e64 v14, 2, 1, vcc
	v_cmp_eq_u32_e32 vcc, 1, v13
	s_nop 1
	v_cndmask_b32_e32 v15, v11, v10, vcc
	s_branch .LBB6_7
.LBB6_6:                                ;   in Loop: Header=BB6_7 Depth=2
	s_or_b64 exec, exec, s[14:15]
	s_add_i32 s9, s9, 1
	v_cmp_eq_u32_e32 vcc, s9, v14
	s_or_b64 s[12:13], vcc, s[12:13]
	s_andn2_b64 exec, exec, s[12:13]
	s_cbranch_execz .LBB6_9
.LBB6_7:                                ;   Parent Loop BB6_5 Depth=1
                                        ; =>  This Inner Loop Header: Depth=2
	v_cmp_eq_u32_e32 vcc, s9, v13
	s_and_saveexec_b64 s[14:15], vcc
	s_cbranch_execz .LBB6_6
; %bb.8:                                ;   in Loop: Header=BB6_7 Depth=2
	v_add_f32_e32 v12, v12, v15
	global_store_dword v[8:9], v13, off
	s_branch .LBB6_6
.LBB6_9:                                ;   in Loop: Header=BB6_5 Depth=1
	s_or_b64 exec, exec, s[12:13]
	global_load_dword v13, v[6:7], off offset:4
	s_ashr_i32 s13, s4, 31
	s_mov_b32 s12, s4
	v_lshl_add_u64 v[8:9], s[12:13], 0, v[4:5]
	s_mov_b32 s9, 0
	v_lshl_add_u64 v[8:9], v[8:9], 2, s[2:3]
	s_mov_b64 s[12:13], 0
	s_waitcnt vmcnt(0)
	v_cmp_eq_u32_e32 vcc, 0, v13
	s_nop 1
	v_cndmask_b32_e64 v14, 2, 1, vcc
	v_cmp_eq_u32_e32 vcc, 1, v13
	s_nop 1
	v_cndmask_b32_e32 v15, v11, v10, vcc
	s_branch .LBB6_11
.LBB6_10:                               ;   in Loop: Header=BB6_11 Depth=2
	s_or_b64 exec, exec, s[14:15]
	s_add_i32 s9, s9, 1
	v_cmp_eq_u32_e32 vcc, s9, v14
	s_or_b64 s[12:13], vcc, s[12:13]
	s_andn2_b64 exec, exec, s[12:13]
	s_cbranch_execz .LBB6_13
.LBB6_11:                               ;   Parent Loop BB6_5 Depth=1
                                        ; =>  This Inner Loop Header: Depth=2
	v_cmp_eq_u32_e32 vcc, s9, v13
	s_and_saveexec_b64 s[14:15], vcc
	s_cbranch_execz .LBB6_10
; %bb.12:                               ;   in Loop: Header=BB6_11 Depth=2
	v_add_f32_e32 v12, v12, v15
	global_store_dword v[8:9], v13, off offset:4
	s_branch .LBB6_10
.LBB6_13:                               ;   in Loop: Header=BB6_5 Depth=1
	s_or_b64 exec, exec, s[12:13]
	global_load_dword v13, v[6:7], off offset:8
	s_mov_b32 s9, 0
	s_mov_b64 s[12:13], 0
	s_waitcnt vmcnt(0)
	v_cmp_eq_u32_e32 vcc, 0, v13
	s_nop 1
	v_cndmask_b32_e64 v14, 2, 1, vcc
	v_cmp_eq_u32_e32 vcc, 1, v13
	s_nop 1
	v_cndmask_b32_e32 v15, v11, v10, vcc
	s_branch .LBB6_15
.LBB6_14:                               ;   in Loop: Header=BB6_15 Depth=2
	s_or_b64 exec, exec, s[14:15]
	s_add_i32 s9, s9, 1
	v_cmp_eq_u32_e32 vcc, s9, v14
	s_or_b64 s[12:13], vcc, s[12:13]
	s_andn2_b64 exec, exec, s[12:13]
	s_cbranch_execz .LBB6_17
.LBB6_15:                               ;   Parent Loop BB6_5 Depth=1
                                        ; =>  This Inner Loop Header: Depth=2
	v_cmp_eq_u32_e32 vcc, s9, v13
	s_and_saveexec_b64 s[14:15], vcc
	s_cbranch_execz .LBB6_14
; %bb.16:                               ;   in Loop: Header=BB6_15 Depth=2
	v_add_f32_e32 v12, v12, v15
	global_store_dword v[8:9], v13, off offset:8
	s_branch .LBB6_14
.LBB6_17:                               ;   in Loop: Header=BB6_5 Depth=1
	s_or_b64 exec, exec, s[12:13]
	global_load_dword v6, v[6:7], off offset:12
	s_mov_b32 s9, 0
	s_mov_b64 s[12:13], 0
	s_waitcnt vmcnt(0)
	v_cmp_eq_u32_e32 vcc, 0, v6
	s_nop 1
	v_cndmask_b32_e64 v7, 2, 1, vcc
	v_cmp_eq_u32_e32 vcc, 1, v6
	s_nop 1
	v_cndmask_b32_e32 v13, v11, v10, vcc
	s_branch .LBB6_19
.LBB6_18:                               ;   in Loop: Header=BB6_19 Depth=2
	s_or_b64 exec, exec, s[14:15]
	s_add_i32 s9, s9, 1
	v_cmp_eq_u32_e32 vcc, s9, v7
	s_or_b64 s[12:13], vcc, s[12:13]
	s_andn2_b64 exec, exec, s[12:13]
	s_cbranch_execz .LBB6_4
.LBB6_19:                               ;   Parent Loop BB6_5 Depth=1
                                        ; =>  This Inner Loop Header: Depth=2
	v_cmp_eq_u32_e32 vcc, s9, v6
	s_and_saveexec_b64 s[14:15], vcc
	s_cbranch_execz .LBB6_18
; %bb.20:                               ;   in Loop: Header=BB6_19 Depth=2
	v_add_f32_e32 v12, v12, v13
	global_store_dword v[8:9], v6, off offset:12
	s_branch .LBB6_18
.LBB6_21:
	v_mov_b32_e32 v12, 0
.LBB6_22:
	s_and_b32 s14, s16, 3
	s_cmp_eq_u32 s14, 0
	s_mov_b32 s9, 0
	s_cbranch_scc1 .LBB6_29
; %bb.23:
	s_mov_b32 s15, s9
	s_branch .LBB6_25
.LBB6_24:                               ;   in Loop: Header=BB6_25 Depth=1
	s_or_b64 exec, exec, s[4:5]
	s_add_i32 s8, s8, 1
	s_add_i32 s15, s15, 1
	s_cmp_lg_u32 s15, s14
	s_cbranch_scc0 .LBB6_29
.LBB6_25:                               ; =>This Loop Header: Depth=1
                                        ;     Child Loop BB6_27 Depth 2
	v_lshl_add_u64 v[6:7], s[8:9], 2, v[2:3]
	global_load_dword v5, v[6:7], off
	v_add_u32_e32 v6, s8, v4
	v_ashrrev_i32_e32 v7, 31, v6
	s_mov_b32 s17, 0
	s_waitcnt lgkmcnt(0)
	v_lshl_add_u64 v[6:7], v[6:7], 2, s[2:3]
	s_mov_b64 s[4:5], 0
	s_waitcnt vmcnt(0)
	v_cmp_eq_u32_e32 vcc, 0, v5
	s_nop 1
	v_cndmask_b32_e64 v8, 2, 1, vcc
	v_cmp_eq_u32_e32 vcc, 1, v5
	s_nop 1
	v_cndmask_b32_e32 v9, v11, v10, vcc
	s_branch .LBB6_27
.LBB6_26:                               ;   in Loop: Header=BB6_27 Depth=2
	s_or_b64 exec, exec, s[12:13]
	s_add_i32 s17, s17, 1
	v_cmp_eq_u32_e32 vcc, s17, v8
	s_or_b64 s[4:5], vcc, s[4:5]
	s_andn2_b64 exec, exec, s[4:5]
	s_cbranch_execz .LBB6_24
.LBB6_27:                               ;   Parent Loop BB6_25 Depth=1
                                        ; =>  This Inner Loop Header: Depth=2
	v_cmp_eq_u32_e32 vcc, s17, v5
	s_and_saveexec_b64 s[12:13], vcc
	s_cbranch_execz .LBB6_26
; %bb.28:                               ;   in Loop: Header=BB6_27 Depth=2
	v_add_f32_e32 v12, v12, v9
	global_store_dword v[6:7], v5, off
	s_branch .LBB6_26
.LBB6_29:
	s_load_dword s4, s[0:1], 0x3c
	s_waitcnt lgkmcnt(0)
	s_load_dwordx2 s[2:3], s[0:1], 0x40
	s_bitcmp1_b32 s4, 0
	s_cselect_b64 s[4:5], -1, 0
	s_waitcnt lgkmcnt(0)
	v_cvt_f32_f64_e32 v13, s[2:3]
	s_and_b64 vcc, exec, s[4:5]
	s_cbranch_vccz .LBB6_31
; %bb.30:
	v_cmp_lt_f32_e32 vcc, 0, v12
	s_nop 1
	v_cndmask_b32_e32 v5, 1.0, v12, vcc
	v_div_scale_f32 v6, s[2:3], v5, v5, v13
	v_rcp_f32_e32 v7, v6
	s_nop 0
	v_fma_f32 v8, -v6, v7, 1.0
	v_fmac_f32_e32 v7, v8, v7
	v_div_scale_f32 v8, vcc, v13, v5, v13
	v_mul_f32_e32 v9, v8, v7
	v_fma_f32 v12, -v6, v9, v8
	v_fmac_f32_e32 v9, v12, v7
	v_fma_f32 v6, -v6, v9, v8
	v_div_fmas_f32 v6, v6, v7, v9
	v_div_fixup_f32 v13, v6, v5, v13
.LBB6_31:
	s_andn2_b64 vcc, exec, s[10:11]
	s_cbranch_vccnz .LBB6_56
; %bb.32:
	s_load_dwordx2 s[0:1], s[0:1], 0x10
	s_cmp_lt_u32 s16, 8
	s_mov_b32 s2, 0
	s_cbranch_scc1 .LBB6_51
; %bb.33:
	v_ashrrev_i32_e32 v5, 31, v4
	s_and_b32 s2, s16, 0x7ffffff8
	s_waitcnt lgkmcnt(0)
	v_lshl_add_u64 v[6:7], v[4:5], 2, s[0:1]
	s_mov_b32 s3, 0
	s_mov_b64 s[4:5], 0
	s_branch .LBB6_35
.LBB6_34:                               ;   in Loop: Header=BB6_35 Depth=1
	s_or_b64 exec, exec, s[8:9]
	s_add_i32 s3, s3, 8
	s_add_u32 s4, s4, 32
	s_addc_u32 s5, s5, 0
	s_cmp_lg_u32 s2, s3
	s_cbranch_scc0 .LBB6_51
.LBB6_35:                               ; =>This Inner Loop Header: Depth=1
	v_lshl_add_u64 v[8:9], v[2:3], 0, s[4:5]
	global_load_dword v5, v[8:9], off
	s_waitcnt vmcnt(0)
	v_cmp_gt_u32_e32 vcc, 2, v5
	s_and_saveexec_b64 s[8:9], vcc
	s_cbranch_execz .LBB6_37
; %bb.36:                               ;   in Loop: Header=BB6_35 Depth=1
	v_add_u32_e32 v14, s3, v4
	v_cmp_eq_u32_e32 vcc, 1, v5
	v_ashrrev_i32_e32 v15, 31, v14
	v_lshl_add_u64 v[14:15], v[14:15], 2, s[0:1]
	v_cndmask_b32_e32 v5, v11, v10, vcc
	v_mul_f32_e32 v5, v13, v5
	global_store_dword v[14:15], v5, off
.LBB6_37:                               ;   in Loop: Header=BB6_35 Depth=1
	s_or_b64 exec, exec, s[8:9]
	global_load_dword v5, v[8:9], off offset:4
	s_waitcnt vmcnt(0)
	v_cmp_gt_u32_e32 vcc, 2, v5
	s_and_saveexec_b64 s[8:9], vcc
	s_cbranch_execz .LBB6_39
; %bb.38:                               ;   in Loop: Header=BB6_35 Depth=1
	v_cmp_eq_u32_e32 vcc, 1, v5
	v_lshl_add_u64 v[14:15], v[6:7], 0, s[4:5]
	s_nop 0
	v_cndmask_b32_e32 v5, v11, v10, vcc
	v_mul_f32_e32 v5, v13, v5
	global_store_dword v[14:15], v5, off offset:4
.LBB6_39:                               ;   in Loop: Header=BB6_35 Depth=1
	s_or_b64 exec, exec, s[8:9]
	global_load_dword v5, v[8:9], off offset:8
	s_waitcnt vmcnt(0)
	v_cmp_gt_u32_e32 vcc, 2, v5
	s_and_saveexec_b64 s[8:9], vcc
	s_cbranch_execz .LBB6_41
; %bb.40:                               ;   in Loop: Header=BB6_35 Depth=1
	v_cmp_eq_u32_e32 vcc, 1, v5
	v_lshl_add_u64 v[14:15], v[6:7], 0, s[4:5]
	s_nop 0
	v_cndmask_b32_e32 v5, v11, v10, vcc
	v_mul_f32_e32 v5, v13, v5
	global_store_dword v[14:15], v5, off offset:8
.LBB6_41:                               ;   in Loop: Header=BB6_35 Depth=1
	;; [unrolled: 14-line block ×6, first 2 shown]
	s_or_b64 exec, exec, s[8:9]
	global_load_dword v5, v[8:9], off offset:28
	s_waitcnt vmcnt(0)
	v_cmp_gt_u32_e32 vcc, 2, v5
	s_and_saveexec_b64 s[8:9], vcc
	s_cbranch_execz .LBB6_34
; %bb.50:                               ;   in Loop: Header=BB6_35 Depth=1
	v_cmp_eq_u32_e32 vcc, 1, v5
	v_lshl_add_u64 v[8:9], v[6:7], 0, s[4:5]
	s_nop 0
	v_cndmask_b32_e32 v5, v11, v10, vcc
	v_mul_f32_e32 v5, v13, v5
	global_store_dword v[8:9], v5, off offset:28
	s_branch .LBB6_34
.LBB6_51:
	s_and_b32 s4, s16, 7
	s_cmp_eq_u32 s4, 0
	s_mov_b32 s3, 0
	s_cbranch_scc1 .LBB6_56
; %bb.52:
	v_add_u32_e32 v2, s2, v4
	s_lshl_b64 s[2:3], s[2:3], 2
	s_add_u32 s2, s6, s2
	s_addc_u32 s3, s7, s3
	v_lshl_add_u64 v[0:1], v[0:1], 2, s[2:3]
	s_branch .LBB6_54
.LBB6_53:                               ;   in Loop: Header=BB6_54 Depth=1
	s_or_b64 exec, exec, s[2:3]
	s_add_i32 s4, s4, -1
	v_add_u32_e32 v2, 1, v2
	s_cmp_lg_u32 s4, 0
	v_lshl_add_u64 v[0:1], v[0:1], 0, 4
	s_cbranch_scc0 .LBB6_56
.LBB6_54:                               ; =>This Inner Loop Header: Depth=1
	global_load_dword v3, v[0:1], off
	s_waitcnt vmcnt(0)
	v_cmp_gt_u32_e32 vcc, 2, v3
	s_and_saveexec_b64 s[2:3], vcc
	s_cbranch_execz .LBB6_53
; %bb.55:                               ;   in Loop: Header=BB6_54 Depth=1
	v_cmp_eq_u32_e32 vcc, 1, v3
	s_nop 1
	v_cndmask_b32_e32 v3, v11, v10, vcc
	v_mul_f32_e32 v6, v13, v3
	v_ashrrev_i32_e32 v3, 31, v2
	s_waitcnt lgkmcnt(0)
	v_lshl_add_u64 v[4:5], v[2:3], 2, s[0:1]
	global_store_dword v[4:5], v6, off
	s_branch .LBB6_53
.LBB6_56:
	s_endpgm
	.section	.rodata,"a",@progbits
	.p2align	6, 0x0
	.amdhsa_kernel _ZN4vllm3moe22topkGatingSoftplusSqrtILi2ELi2ELi4ELi8ELi32ELb1EifEEvPKT6_PKbPfiPT5_PiiiibdPKfPKS8_SE_
		.amdhsa_group_segment_fixed_size 0
		.amdhsa_private_segment_fixed_size 0
		.amdhsa_kernarg_size 96
		.amdhsa_user_sgpr_count 2
		.amdhsa_user_sgpr_dispatch_ptr 0
		.amdhsa_user_sgpr_queue_ptr 0
		.amdhsa_user_sgpr_kernarg_segment_ptr 1
		.amdhsa_user_sgpr_dispatch_id 0
		.amdhsa_user_sgpr_kernarg_preload_length 0
		.amdhsa_user_sgpr_kernarg_preload_offset 0
		.amdhsa_user_sgpr_private_segment_size 0
		.amdhsa_uses_dynamic_stack 0
		.amdhsa_enable_private_segment 0
		.amdhsa_system_sgpr_workgroup_id_x 1
		.amdhsa_system_sgpr_workgroup_id_y 0
		.amdhsa_system_sgpr_workgroup_id_z 0
		.amdhsa_system_sgpr_workgroup_info 0
		.amdhsa_system_vgpr_workitem_id 1
		.amdhsa_next_free_vgpr 19
		.amdhsa_next_free_sgpr 18
		.amdhsa_accum_offset 20
		.amdhsa_reserve_vcc 1
		.amdhsa_float_round_mode_32 0
		.amdhsa_float_round_mode_16_64 0
		.amdhsa_float_denorm_mode_32 3
		.amdhsa_float_denorm_mode_16_64 3
		.amdhsa_dx10_clamp 1
		.amdhsa_ieee_mode 1
		.amdhsa_fp16_overflow 0
		.amdhsa_tg_split 0
		.amdhsa_exception_fp_ieee_invalid_op 0
		.amdhsa_exception_fp_denorm_src 0
		.amdhsa_exception_fp_ieee_div_zero 0
		.amdhsa_exception_fp_ieee_overflow 0
		.amdhsa_exception_fp_ieee_underflow 0
		.amdhsa_exception_fp_ieee_inexact 0
		.amdhsa_exception_int_div_zero 0
	.end_amdhsa_kernel
	.section	.text._ZN4vllm3moe22topkGatingSoftplusSqrtILi2ELi2ELi4ELi8ELi32ELb1EifEEvPKT6_PKbPfiPT5_PiiiibdPKfPKS8_SE_,"axG",@progbits,_ZN4vllm3moe22topkGatingSoftplusSqrtILi2ELi2ELi4ELi8ELi32ELb1EifEEvPKT6_PKbPfiPT5_PiiiibdPKfPKS8_SE_,comdat
.Lfunc_end6:
	.size	_ZN4vllm3moe22topkGatingSoftplusSqrtILi2ELi2ELi4ELi8ELi32ELb1EifEEvPKT6_PKbPfiPT5_PiiiibdPKfPKS8_SE_, .Lfunc_end6-_ZN4vllm3moe22topkGatingSoftplusSqrtILi2ELi2ELi4ELi8ELi32ELb1EifEEvPKT6_PKbPfiPT5_PiiiibdPKfPKS8_SE_
                                        ; -- End function
	.section	.AMDGPU.csdata,"",@progbits
; Kernel info:
; codeLenInByte = 2276
; NumSgprs: 24
; NumVgprs: 19
; NumAgprs: 0
; TotalNumVgprs: 19
; ScratchSize: 0
; MemoryBound: 0
; FloatMode: 240
; IeeeMode: 1
; LDSByteSize: 0 bytes/workgroup (compile time only)
; SGPRBlocks: 2
; VGPRBlocks: 2
; NumSGPRsForWavesPerEU: 24
; NumVGPRsForWavesPerEU: 19
; AccumOffset: 20
; Occupancy: 8
; WaveLimiterHint : 1
; COMPUTE_PGM_RSRC2:SCRATCH_EN: 0
; COMPUTE_PGM_RSRC2:USER_SGPR: 2
; COMPUTE_PGM_RSRC2:TRAP_HANDLER: 0
; COMPUTE_PGM_RSRC2:TGID_X_EN: 1
; COMPUTE_PGM_RSRC2:TGID_Y_EN: 0
; COMPUTE_PGM_RSRC2:TGID_Z_EN: 0
; COMPUTE_PGM_RSRC2:TIDIG_COMP_CNT: 1
; COMPUTE_PGM_RSRC3_GFX90A:ACCUM_OFFSET: 4
; COMPUTE_PGM_RSRC3_GFX90A:TG_SPLIT: 0
	.section	.text._ZN4vllm3moe22topkGatingSoftplusSqrtILi2ELi2ELi4ELi8ELi32ELb0EifEEvPKT6_PKbPfiPT5_PiiiibdPKfPKS8_SE_,"axG",@progbits,_ZN4vllm3moe22topkGatingSoftplusSqrtILi2ELi2ELi4ELi8ELi32ELb0EifEEvPKT6_PKbPfiPT5_PiiiibdPKfPKS8_SE_,comdat
	.protected	_ZN4vllm3moe22topkGatingSoftplusSqrtILi2ELi2ELi4ELi8ELi32ELb0EifEEvPKT6_PKbPfiPT5_PiiiibdPKfPKS8_SE_ ; -- Begin function _ZN4vllm3moe22topkGatingSoftplusSqrtILi2ELi2ELi4ELi8ELi32ELb0EifEEvPKT6_PKbPfiPT5_PiiiibdPKfPKS8_SE_
	.globl	_ZN4vllm3moe22topkGatingSoftplusSqrtILi2ELi2ELi4ELi8ELi32ELb0EifEEvPKT6_PKbPfiPT5_PiiiibdPKfPKS8_SE_
	.p2align	8
	.type	_ZN4vllm3moe22topkGatingSoftplusSqrtILi2ELi2ELi4ELi8ELi32ELb0EifEEvPKT6_PKbPfiPT5_PiiiibdPKfPKS8_SE_,@function
_ZN4vllm3moe22topkGatingSoftplusSqrtILi2ELi2ELi4ELi8ELi32ELb0EifEEvPKT6_PKbPfiPT5_PiiiibdPKfPKS8_SE_: ; @_ZN4vllm3moe22topkGatingSoftplusSqrtILi2ELi2ELi4ELi8ELi32ELb0EifEEvPKT6_PKbPfiPT5_PiiiibdPKfPKS8_SE_
; %bb.0:
	s_load_dword s24, s[0:1], 0x18
	v_bfe_u32 v1, v0, 10, 10
	s_lshl_b32 s2, s2, 7
	v_lshlrev_b32_e32 v1, 5, v1
	v_and_b32_e32 v0, 0x3ff, v0
	v_add3_u32 v0, v1, v0, s2
	s_waitcnt lgkmcnt(0)
	v_cmp_gt_i32_e32 vcc, s24, v0
	s_and_saveexec_b64 s[2:3], vcc
	s_cbranch_execz .LBB7_28
; %bb.1:
	s_load_dwordx4 s[4:7], s[0:1], 0x0
	s_load_dwordx2 s[16:17], s[0:1], 0x10
	s_waitcnt lgkmcnt(0)
	s_cmp_eq_u64 s[6:7], 0
	s_cbranch_scc1 .LBB7_3
; %bb.2:
	v_ashrrev_i32_e32 v1, 31, v0
	v_lshl_add_u64 v[2:3], s[6:7], 0, v[0:1]
	global_load_ubyte v1, v[2:3], off
	s_waitcnt vmcnt(0)
	v_and_b32_e32 v1, 1, v1
	v_cmp_eq_u32_e32 vcc, 1, v1
	s_xor_b64 s[2:3], vcc, -1
	s_orn2_b64 s[18:19], s[2:3], exec
	s_branch .LBB7_4
.LBB7_3:
	s_mov_b64 s[18:19], -1
.LBB7_4:
	v_lshlrev_b32_e32 v4, 1, v0
	v_mov_b32_e32 v2, s4
	v_mov_b32_e32 v3, s5
	v_ashrrev_i32_e32 v5, 31, v4
	v_lshl_add_u64 v[2:3], v[4:5], 2, v[2:3]
	global_load_dwordx2 v[2:3], v[2:3], off
	s_mov_b32 s14, 0x800000
	v_mov_b32_e32 v6, 0x4f800000
	s_mov_b32 s7, 0x3f317217
	s_mov_b32 s12, 0x7f800000
	v_mov_b32_e32 v5, 0x41b17218
	s_mov_b32 s6, 0x41a00000
	s_mov_b32 s13, 0xf800000
	s_load_dwordx4 s[8:11], s[0:1], 0x40
	s_waitcnt lgkmcnt(0)
	s_cmp_lg_u64 s[10:11], 0
	s_cselect_b64 s[20:21], -1, 0
	s_and_b64 s[2:3], exec, s[20:21]
	s_waitcnt vmcnt(0)
	v_mul_f32_e32 v1, 0x3fb8aa3b, v2
	v_exp_f32_e32 v1, v1
	s_nop 0
	v_add_f32_e32 v1, 1.0, v1
	v_cmp_gt_f32_e32 vcc, s14, v1
	s_nop 1
	v_cndmask_b32_e32 v4, 1.0, v6, vcc
	v_mul_f32_e32 v1, v1, v4
	v_log_f32_e32 v4, v1
	v_cndmask_b32_e32 v7, 0, v5, vcc
	v_mov_b32_e32 v1, 0x260
	v_mul_f32_e32 v8, 0x3f317217, v4
	v_fma_f32 v8, v4, s7, -v8
	v_fmac_f32_e32 v8, 0x3377d1cf, v4
	v_fmac_f32_e32 v8, 0x3f317217, v4
	v_cmp_lt_f32_e64 vcc, |v4|, s12
	s_nop 1
	v_cndmask_b32_e32 v4, v4, v8, vcc
	v_sub_f32_e32 v4, v4, v7
	v_cmp_lt_f32_e32 vcc, s6, v2
	s_nop 1
	v_cndmask_b32_e32 v2, v4, v2, vcc
	v_mul_f32_e32 v4, 0x4f800000, v2
	v_cmp_gt_f32_e32 vcc, s13, v2
	s_nop 1
	v_cndmask_b32_e32 v2, v2, v4, vcc
	v_sqrt_f32_e32 v4, v2
	s_nop 0
	v_add_u32_e32 v7, -1, v4
	v_add_u32_e32 v8, 1, v4
	v_fma_f32 v9, -v7, v4, v2
	v_fma_f32 v10, -v8, v4, v2
	v_cmp_ge_f32_e64 s[4:5], 0, v9
	s_nop 1
	v_cndmask_b32_e64 v4, v4, v7, s[4:5]
	v_cmp_lt_f32_e64 s[4:5], 0, v10
	s_nop 1
	v_cndmask_b32_e64 v4, v4, v8, s[4:5]
	v_mul_f32_e32 v7, 0x37800000, v4
	v_cndmask_b32_e32 v4, v4, v7, vcc
	v_cmp_class_f32_e32 vcc, v2, v1
	s_nop 1
	v_cndmask_b32_e32 v4, v4, v2, vcc
	s_mov_b64 vcc, s[2:3]
	s_cbranch_vccz .LBB7_6
; %bb.5:
	s_load_dword s2, s[10:11], 0x0
	s_waitcnt lgkmcnt(0)
	v_add_f32_e32 v4, s2, v4
.LBB7_6:
	v_mul_f32_e32 v2, 0x3fb8aa3b, v3
	v_exp_f32_e32 v2, v2
	s_nop 0
	v_add_f32_e32 v2, 1.0, v2
	v_cmp_gt_f32_e32 vcc, s14, v2
	s_nop 1
	v_cndmask_b32_e32 v6, 1.0, v6, vcc
	v_mul_f32_e32 v2, v2, v6
	v_log_f32_e32 v2, v2
	v_cndmask_b32_e32 v5, 0, v5, vcc
	v_mul_f32_e32 v6, 0x3f317217, v2
	v_fma_f32 v6, v2, s7, -v6
	v_fmac_f32_e32 v6, 0x3377d1cf, v2
	v_fmac_f32_e32 v6, 0x3f317217, v2
	v_cmp_lt_f32_e64 vcc, |v2|, s12
	s_nop 1
	v_cndmask_b32_e32 v2, v2, v6, vcc
	v_sub_f32_e32 v2, v2, v5
	v_cmp_lt_f32_e32 vcc, s6, v3
	s_nop 1
	v_cndmask_b32_e32 v2, v2, v3, vcc
	v_mul_f32_e32 v3, 0x4f800000, v2
	v_cmp_gt_f32_e32 vcc, s13, v2
	s_nop 1
	v_cndmask_b32_e32 v2, v2, v3, vcc
	v_sqrt_f32_e32 v3, v2
	s_nop 0
	v_add_u32_e32 v5, -1, v3
	v_add_u32_e32 v6, 1, v3
	v_fma_f32 v7, -v5, v3, v2
	v_fma_f32 v8, -v6, v3, v2
	v_cmp_ge_f32_e64 s[2:3], 0, v7
	s_nop 1
	v_cndmask_b32_e64 v3, v3, v5, s[2:3]
	v_cmp_lt_f32_e64 s[2:3], 0, v8
	s_nop 1
	v_cndmask_b32_e64 v3, v3, v6, s[2:3]
	v_mul_f32_e32 v5, 0x37800000, v3
	v_cndmask_b32_e32 v3, v3, v5, vcc
	v_cmp_class_f32_e64 s[2:3], v2, v1
	s_andn2_b64 vcc, exec, s[20:21]
	s_nop 0
	v_cndmask_b32_e64 v1, v3, v2, s[2:3]
	s_cbranch_vccnz .LBB7_8
; %bb.7:
	s_load_dword s2, s[10:11], 0x4
	s_waitcnt lgkmcnt(0)
	v_add_f32_e32 v1, s2, v1
.LBB7_8:
	s_load_dwordx4 s[4:7], s[0:1], 0x30
	s_mov_b32 s25, 0
	s_waitcnt lgkmcnt(0)
	s_bitcmp1_b32 s7, 0
	s_cselect_b64 s[2:3], -1, 0
	s_cmp_gt_i32 s4, 0
	s_cselect_b64 s[22:23], -1, 0
	s_and_b64 vcc, exec, s[22:23]
	v_mul_lo_u32 v2, v0, s4
	s_cbranch_vccz .LBB7_15
; %bb.9:
	s_load_dwordx4 s[12:15], s[0:1], 0x20
	v_mov_b32_e32 v3, 0
	v_mov_b32_e32 v5, 0xc61c4000
	s_branch .LBB7_11
.LBB7_10:                               ;   in Loop: Header=BB7_11 Depth=1
	v_add_u32_e32 v8, s25, v2
	v_ashrrev_i32_e32 v9, 31, v8
	v_cmp_le_i32_e32 vcc, s5, v6
	v_cmp_gt_i32_e64 s[0:1], s6, v6
	v_lshlrev_b64 v[8:9], 2, v[8:9]
	s_and_b64 s[0:1], vcc, s[0:1]
	v_lshl_add_u64 v[10:11], s[16:17], 0, v[8:9]
	global_store_dword v[10:11], v7, off
	v_subrev_u32_e32 v10, s5, v6
	s_and_b64 vcc, s[18:19], s[0:1]
	v_cndmask_b32_e32 v12, 2, v10, vcc
	v_add_f32_e32 v7, v3, v7
	s_add_i32 s25, s25, 1
	v_cmp_ne_u32_e32 vcc, 0, v6
	v_cndmask_b32_e64 v3, v3, v7, s[2:3]
	s_cmp_lt_i32 s25, s4
	v_cndmask_b32_e32 v7, v5, v4, vcc
	v_cmp_ne_u32_e32 vcc, 1, v6
	s_waitcnt lgkmcnt(0)
	v_lshl_add_u64 v[10:11], s[12:13], 0, v[8:9]
	v_lshl_add_u64 v[8:9], s[14:15], 0, v[8:9]
	v_cndmask_b32_e32 v6, v5, v1, vcc
	s_cselect_b64 vcc, -1, 0
	global_store_dword v[10:11], v12, off
	global_store_dword v[8:9], v0, off
	v_cndmask_b32_e32 v1, v1, v6, vcc
	v_cndmask_b32_e32 v4, v4, v7, vcc
	s_cmp_lg_u32 s4, s25
	v_add_u32_e32 v0, s24, v0
	s_cbranch_scc0 .LBB7_16
.LBB7_11:                               ; =>This Inner Loop Header: Depth=1
	v_cmp_gt_f32_e32 vcc, v1, v4
	s_and_b64 s[0:1], exec, s[20:21]
	s_nop 0
	v_cndmask_b32_e32 v8, v4, v1, vcc
	v_cndmask_b32_e64 v6, 0, 1, vcc
	s_mov_b64 vcc, s[0:1]
	s_cbranch_vccz .LBB7_13
; %bb.12:                               ;   in Loop: Header=BB7_11 Depth=1
	v_lshlrev_b32_e32 v7, 2, v6
	global_load_dword v7, v7, s[10:11]
	s_waitcnt vmcnt(0)
	v_sub_f32_e32 v7, v8, v7
	s_cbranch_execnz .LBB7_10
	s_branch .LBB7_14
.LBB7_13:                               ;   in Loop: Header=BB7_11 Depth=1
                                        ; implicit-def: $vgpr7
.LBB7_14:                               ;   in Loop: Header=BB7_11 Depth=1
	v_mov_b32_e32 v7, v8
	s_branch .LBB7_10
.LBB7_15:
	v_mov_b32_e32 v3, 0
.LBB7_16:
	s_andn2_b64 vcc, exec, s[2:3]
	v_cvt_f32_f64_e32 v0, s[8:9]
	s_cbranch_vccnz .LBB7_18
; %bb.17:
	v_cmp_lt_f32_e32 vcc, 0, v3
	s_nop 1
	v_cndmask_b32_e32 v1, 1.0, v3, vcc
	v_div_scale_f32 v3, s[0:1], v1, v1, v0
	v_rcp_f32_e32 v4, v3
	s_nop 0
	v_fma_f32 v5, -v3, v4, 1.0
	v_fmac_f32_e32 v4, v5, v4
	v_div_scale_f32 v5, vcc, v0, v1, v0
	v_mul_f32_e32 v6, v5, v4
	v_fma_f32 v7, -v3, v6, v5
	v_fmac_f32_e32 v6, v7, v4
	v_fma_f32 v3, -v3, v6, v5
	v_div_fmas_f32 v3, v3, v4, v6
	v_div_fixup_f32 v0, v3, v1, v0
.LBB7_18:
	s_andn2_b64 vcc, exec, s[22:23]
	s_cbranch_vccnz .LBB7_28
; %bb.19:
	s_cmp_gt_u32 s4, 3
	v_ashrrev_i32_e32 v3, 31, v2
	s_cbranch_scc0 .LBB7_23
; %bb.20:
	s_and_b32 s0, s4, 0x7ffffffc
	v_lshl_add_u64 v[4:5], v[2:3], 2, s[16:17]
	v_mov_b32_e32 v1, v0
	v_lshl_add_u64 v[4:5], v[4:5], 0, 8
	s_mov_b32 s1, s0
.LBB7_21:                               ; =>This Inner Loop Header: Depth=1
	global_load_dwordx4 v[6:9], v[4:5], off offset:-8
	s_add_i32 s1, s1, -4
	s_cmp_lg_u32 s1, 0
	s_waitcnt vmcnt(0)
	v_pk_mul_f32 v[6:7], v[0:1], v[6:7]
	v_pk_mul_f32 v[8:9], v[0:1], v[8:9]
	global_store_dwordx4 v[4:5], v[6:9], off offset:-8
	v_lshl_add_u64 v[4:5], v[4:5], 0, 16
	s_cbranch_scc1 .LBB7_21
; %bb.22:
	s_cmp_lg_u32 s0, s4
	s_cselect_b64 s[2:3], -1, 0
	s_branch .LBB7_25
.LBB7_23:
	s_mov_b64 s[2:3], 0
                                        ; implicit-def: $sgpr0
	s_cbranch_execz .LBB7_25
; %bb.24:
	s_mov_b64 s[2:3], -1
	s_mov_b32 s0, 0
.LBB7_25:
	s_andn2_b64 vcc, exec, s[2:3]
	s_cbranch_vccnz .LBB7_28
; %bb.26:
	s_mov_b32 s1, 0
	v_lshl_add_u64 v[2:3], v[2:3], 0, s[0:1]
	s_sub_i32 s2, s4, s0
	v_lshl_add_u64 v[2:3], v[2:3], 2, s[16:17]
.LBB7_27:                               ; =>This Inner Loop Header: Depth=1
	global_load_dword v1, v[2:3], off
	s_add_i32 s2, s2, -1
	s_cmp_lg_u32 s2, 0
	s_waitcnt vmcnt(0)
	v_mul_f32_e32 v1, v0, v1
	global_store_dword v[2:3], v1, off
	v_lshl_add_u64 v[2:3], v[2:3], 0, 4
	s_cbranch_scc1 .LBB7_27
.LBB7_28:
	s_endpgm
	.section	.rodata,"a",@progbits
	.p2align	6, 0x0
	.amdhsa_kernel _ZN4vllm3moe22topkGatingSoftplusSqrtILi2ELi2ELi4ELi8ELi32ELb0EifEEvPKT6_PKbPfiPT5_PiiiibdPKfPKS8_SE_
		.amdhsa_group_segment_fixed_size 0
		.amdhsa_private_segment_fixed_size 0
		.amdhsa_kernarg_size 96
		.amdhsa_user_sgpr_count 2
		.amdhsa_user_sgpr_dispatch_ptr 0
		.amdhsa_user_sgpr_queue_ptr 0
		.amdhsa_user_sgpr_kernarg_segment_ptr 1
		.amdhsa_user_sgpr_dispatch_id 0
		.amdhsa_user_sgpr_kernarg_preload_length 0
		.amdhsa_user_sgpr_kernarg_preload_offset 0
		.amdhsa_user_sgpr_private_segment_size 0
		.amdhsa_uses_dynamic_stack 0
		.amdhsa_enable_private_segment 0
		.amdhsa_system_sgpr_workgroup_id_x 1
		.amdhsa_system_sgpr_workgroup_id_y 0
		.amdhsa_system_sgpr_workgroup_id_z 0
		.amdhsa_system_sgpr_workgroup_info 0
		.amdhsa_system_vgpr_workitem_id 1
		.amdhsa_next_free_vgpr 13
		.amdhsa_next_free_sgpr 26
		.amdhsa_accum_offset 16
		.amdhsa_reserve_vcc 1
		.amdhsa_float_round_mode_32 0
		.amdhsa_float_round_mode_16_64 0
		.amdhsa_float_denorm_mode_32 3
		.amdhsa_float_denorm_mode_16_64 3
		.amdhsa_dx10_clamp 1
		.amdhsa_ieee_mode 1
		.amdhsa_fp16_overflow 0
		.amdhsa_tg_split 0
		.amdhsa_exception_fp_ieee_invalid_op 0
		.amdhsa_exception_fp_denorm_src 0
		.amdhsa_exception_fp_ieee_div_zero 0
		.amdhsa_exception_fp_ieee_overflow 0
		.amdhsa_exception_fp_ieee_underflow 0
		.amdhsa_exception_fp_ieee_inexact 0
		.amdhsa_exception_int_div_zero 0
	.end_amdhsa_kernel
	.section	.text._ZN4vllm3moe22topkGatingSoftplusSqrtILi2ELi2ELi4ELi8ELi32ELb0EifEEvPKT6_PKbPfiPT5_PiiiibdPKfPKS8_SE_,"axG",@progbits,_ZN4vllm3moe22topkGatingSoftplusSqrtILi2ELi2ELi4ELi8ELi32ELb0EifEEvPKT6_PKbPfiPT5_PiiiibdPKfPKS8_SE_,comdat
.Lfunc_end7:
	.size	_ZN4vllm3moe22topkGatingSoftplusSqrtILi2ELi2ELi4ELi8ELi32ELb0EifEEvPKT6_PKbPfiPT5_PiiiibdPKfPKS8_SE_, .Lfunc_end7-_ZN4vllm3moe22topkGatingSoftplusSqrtILi2ELi2ELi4ELi8ELi32ELb0EifEEvPKT6_PKbPfiPT5_PiiiibdPKfPKS8_SE_
                                        ; -- End function
	.section	.AMDGPU.csdata,"",@progbits
; Kernel info:
; codeLenInByte = 1376
; NumSgprs: 32
; NumVgprs: 13
; NumAgprs: 0
; TotalNumVgprs: 13
; ScratchSize: 0
; MemoryBound: 0
; FloatMode: 240
; IeeeMode: 1
; LDSByteSize: 0 bytes/workgroup (compile time only)
; SGPRBlocks: 3
; VGPRBlocks: 1
; NumSGPRsForWavesPerEU: 32
; NumVGPRsForWavesPerEU: 13
; AccumOffset: 16
; Occupancy: 8
; WaveLimiterHint : 0
; COMPUTE_PGM_RSRC2:SCRATCH_EN: 0
; COMPUTE_PGM_RSRC2:USER_SGPR: 2
; COMPUTE_PGM_RSRC2:TRAP_HANDLER: 0
; COMPUTE_PGM_RSRC2:TGID_X_EN: 1
; COMPUTE_PGM_RSRC2:TGID_Y_EN: 0
; COMPUTE_PGM_RSRC2:TGID_Z_EN: 0
; COMPUTE_PGM_RSRC2:TIDIG_COMP_CNT: 1
; COMPUTE_PGM_RSRC3_GFX90A:ACCUM_OFFSET: 3
; COMPUTE_PGM_RSRC3_GFX90A:TG_SPLIT: 0
	.section	.text._ZN4vllm3moe22topkGatingSoftplusSqrtILi4ELi4ELi4ELi16ELi64ELb1EifEEvPKT6_PKbPfiPT5_PiiiibdPKfPKS8_SE_,"axG",@progbits,_ZN4vllm3moe22topkGatingSoftplusSqrtILi4ELi4ELi4ELi16ELi64ELb1EifEEvPKT6_PKbPfiPT5_PiiiibdPKfPKS8_SE_,comdat
	.protected	_ZN4vllm3moe22topkGatingSoftplusSqrtILi4ELi4ELi4ELi16ELi64ELb1EifEEvPKT6_PKbPfiPT5_PiiiibdPKfPKS8_SE_ ; -- Begin function _ZN4vllm3moe22topkGatingSoftplusSqrtILi4ELi4ELi4ELi16ELi64ELb1EifEEvPKT6_PKbPfiPT5_PiiiibdPKfPKS8_SE_
	.globl	_ZN4vllm3moe22topkGatingSoftplusSqrtILi4ELi4ELi4ELi16ELi64ELb1EifEEvPKT6_PKbPfiPT5_PiiiibdPKfPKS8_SE_
	.p2align	8
	.type	_ZN4vllm3moe22topkGatingSoftplusSqrtILi4ELi4ELi4ELi16ELi64ELb1EifEEvPKT6_PKbPfiPT5_PiiiibdPKfPKS8_SE_,@function
_ZN4vllm3moe22topkGatingSoftplusSqrtILi4ELi4ELi4ELi16ELi64ELb1EifEEvPKT6_PKbPfiPT5_PiiiibdPKfPKS8_SE_: ; @_ZN4vllm3moe22topkGatingSoftplusSqrtILi4ELi4ELi4ELi16ELi64ELb1EifEEvPKT6_PKbPfiPT5_PiiiibdPKfPKS8_SE_
; %bb.0:
	s_load_dword s5, s[2:3], 0x18
	v_bfe_u32 v4, v0, 10, 10
	v_and_b32_e32 v1, 0x3ff, v0
	s_lshl_b32 s4, s4, 8
	v_lshlrev_b32_e32 v2, 6, v4
	v_add3_u32 v2, v2, v1, s4
	s_waitcnt lgkmcnt(0)
	v_cmp_gt_i32_e32 vcc, s5, v2
	s_and_saveexec_b64 s[4:5], vcc
	s_cbranch_execz .LBB8_56
; %bb.1:
	s_load_dwordx2 s[4:5], s[2:3], 0x0
	s_load_dword s16, s[2:3], 0x30
	s_load_dwordx4 s[8:11], s[2:3], 0x50
	v_lshlrev_b32_e32 v6, 2, v2
	v_ashrrev_i32_e32 v7, 31, v6
	s_waitcnt lgkmcnt(0)
	v_lshl_add_u64 v[6:7], v[6:7], 2, s[4:5]
	global_load_dwordx4 v[6:9], v[6:7], off
	v_ashrrev_i32_e32 v3, 31, v2
	v_mov_b32_e32 v10, s8
	v_mov_b32_e32 v11, s9
	v_lshl_add_u64 v[10:11], v[2:3], 2, v[10:11]
	global_load_dword v3, v[10:11], off
	s_load_dwordx2 s[0:1], s[0:1], 0x4
	v_bfe_u32 v0, v0, 20, 10
	s_mov_b32 s6, 0x800000
	v_mov_b32_e32 v14, 0x4f800000
	s_mov_b32 s12, 0x3f317217
	s_waitcnt lgkmcnt(0)
	s_lshr_b32 s0, s0, 16
	s_mul_i32 s0, s0, s1
	v_mul_lo_u32 v1, s0, v1
	v_mad_u32_u24 v1, v4, s1, v1
	v_add_lshl_u32 v10, v1, v0, 4
	s_mov_b32 s13, 0x7f800000
	v_mov_b32_e32 v15, 0x41b17218
	s_mov_b32 s9, 0x41a00000
	s_mov_b32 s14, 0xf800000
	v_mov_b32_e32 v16, 0x260
	s_cmp_gt_i32 s16, 0
	s_mov_b32 s8, 0
	v_mov_b32_e32 v11, 0
	v_mul_lo_u32 v2, v2, s16
	s_waitcnt vmcnt(1)
	v_mul_f32_e32 v0, 0x3fb8aa3b, v6
	v_mul_f32_e32 v1, 0x3fb8aa3b, v7
	v_exp_f32_e32 v4, v0
	v_exp_f32_e32 v5, v1
	v_mul_f32_e32 v12, 0x3fb8aa3b, v8
	v_mul_f32_e32 v13, 0x3fb8aa3b, v9
	v_exp_f32_e32 v12, v12
	v_exp_f32_e32 v13, v13
	v_pk_add_f32 v[4:5], v[4:5], 1.0 op_sel_hi:[1,0]
	s_waitcnt vmcnt(0)
	v_mul_lo_u32 v0, v3, s16
	v_cmp_gt_f32_e32 vcc, s6, v5
	v_pk_add_f32 v[12:13], v[12:13], 1.0 op_sel_hi:[1,0]
	v_cmp_gt_f32_e64 s[0:1], s6, v4
	v_cndmask_b32_e32 v3, 1.0, v14, vcc
	v_cmp_gt_f32_e64 s[4:5], s6, v13
	v_cndmask_b32_e64 v17, 1.0, v14, s[0:1]
	v_mul_f32_e32 v3, v5, v3
	v_cndmask_b32_e64 v18, 1.0, v14, s[4:5]
	v_mul_f32_e32 v4, v4, v17
	v_log_f32_e32 v3, v3
	v_mul_f32_e32 v13, v13, v18
	v_log_f32_e32 v4, v4
	v_cmp_gt_f32_e64 s[6:7], s6, v12
	v_log_f32_e32 v13, v13
	v_cndmask_b32_e32 v5, 0, v15, vcc
	v_cndmask_b32_e64 v14, 1.0, v14, s[6:7]
	v_mul_f32_e32 v12, v12, v14
	v_mul_f32_e32 v14, 0x3f317217, v3
	;; [unrolled: 1-line block ×3, first 2 shown]
	v_fma_f32 v14, v3, s12, -v14
	v_mul_f32_e32 v20, 0x3f317217, v13
	v_fma_f32 v19, v4, s12, -v19
	v_fmac_f32_e32 v14, 0x3377d1cf, v3
	v_fma_f32 v20, v13, s12, -v20
	v_fmac_f32_e32 v19, 0x3377d1cf, v4
	v_fmac_f32_e32 v14, 0x3f317217, v3
	v_cmp_lt_f32_e64 vcc, |v3|, s13
	v_fmac_f32_e32 v20, 0x3377d1cf, v13
	v_fmac_f32_e32 v19, 0x3f317217, v4
	v_cndmask_b32_e32 v3, v3, v14, vcc
	v_cmp_lt_f32_e64 vcc, |v4|, s13
	v_cndmask_b32_e64 v17, 0, v15, s[0:1]
	v_fmac_f32_e32 v20, 0x3f317217, v13
	v_cndmask_b32_e32 v4, v4, v19, vcc
	v_cmp_lt_f32_e64 vcc, |v13|, s13
	v_sub_f32_e32 v4, v4, v17
	v_sub_f32_e32 v3, v3, v5
	v_cndmask_b32_e32 v13, v13, v20, vcc
	v_cmp_lt_f32_e32 vcc, s9, v6
	v_cndmask_b32_e64 v18, 0, v15, s[4:5]
	v_log_f32_e32 v12, v12
	v_cndmask_b32_e32 v4, v4, v6, vcc
	v_cmp_lt_f32_e32 vcc, s9, v7
	v_mul_f32_e32 v6, 0x4f800000, v4
	v_cmp_gt_f32_e64 s[0:1], s14, v4
	v_cndmask_b32_e32 v3, v3, v7, vcc
	v_mul_f32_e32 v5, 0x4f800000, v3
	v_cmp_gt_f32_e32 vcc, s14, v3
	v_cndmask_b32_e64 v4, v4, v6, s[0:1]
	v_sqrt_f32_e32 v6, v4
	v_cndmask_b32_e32 v3, v3, v5, vcc
	v_sqrt_f32_e32 v5, v3
	v_sub_f32_e32 v7, v13, v18
	v_add_u32_e32 v17, -1, v6
	v_fma_f32 v22, -v17, v6, v4
	v_add_u32_e32 v13, -1, v5
	v_fma_f32 v19, -v13, v5, v3
	v_add_u32_e32 v14, 1, v5
	v_cmp_ge_f32_e64 s[4:5], 0, v19
	v_add_u32_e32 v18, 1, v6
	v_fma_f32 v20, -v14, v5, v3
	v_cndmask_b32_e64 v5, v5, v13, s[4:5]
	v_cmp_ge_f32_e64 s[4:5], 0, v22
	v_fma_f32 v23, -v18, v6, v4
	v_mul_f32_e32 v21, 0x3f317217, v12
	v_cndmask_b32_e64 v6, v6, v17, s[4:5]
	v_cmp_lt_f32_e64 s[4:5], 0, v20
	v_ashrrev_i32_e32 v1, 31, v0
	s_nop 0
	v_cndmask_b32_e64 v5, v5, v14, s[4:5]
	v_cmp_lt_f32_e64 s[4:5], 0, v23
	v_mul_f32_e32 v13, 0x37800000, v5
	v_cndmask_b32_e32 v5, v5, v13, vcc
	v_cndmask_b32_e64 v6, v6, v18, s[4:5]
	v_cmp_class_f32_e32 vcc, v3, v16
	v_mul_f32_e32 v14, 0x37800000, v6
	v_cndmask_b32_e64 v6, v6, v14, s[0:1]
	v_cndmask_b32_e32 v5, v5, v3, vcc
	v_fma_f32 v3, v12, s12, -v21
	v_cmp_class_f32_e32 vcc, v4, v16
	v_fmac_f32_e32 v3, 0x3377d1cf, v12
	v_fmac_f32_e32 v3, 0x3f317217, v12
	v_cndmask_b32_e32 v4, v6, v4, vcc
	v_cmp_lt_f32_e64 vcc, |v12|, s13
	v_cndmask_b32_e64 v6, 0, v15, s[6:7]
	v_cmp_lt_f32_e64 s[0:1], s9, v8
	v_cndmask_b32_e32 v3, v12, v3, vcc
	v_cmp_lt_f32_e32 vcc, s9, v9
	v_sub_f32_e32 v3, v3, v6
	v_cndmask_b32_e64 v3, v3, v8, s[0:1]
	v_cndmask_b32_e32 v7, v7, v9, vcc
	v_mul_f32_e32 v9, 0x4f800000, v7
	v_cmp_gt_f32_e32 vcc, s14, v7
	s_nop 1
	v_cndmask_b32_e32 v7, v7, v9, vcc
	v_sqrt_f32_e32 v9, v7
	s_nop 0
	v_add_u32_e32 v6, -1, v9
	v_fma_f32 v8, -v6, v9, v7
	v_cmp_ge_f32_e64 s[0:1], 0, v8
	v_add_u32_e32 v8, 1, v9
	s_nop 0
	v_cndmask_b32_e64 v6, v9, v6, s[0:1]
	v_fma_f32 v9, -v8, v9, v7
	v_cmp_lt_f32_e64 s[0:1], 0, v9
	v_mul_f32_e32 v9, 0x4f800000, v3
	s_nop 0
	v_cndmask_b32_e64 v6, v6, v8, s[0:1]
	v_cmp_gt_f32_e64 s[0:1], s14, v3
	v_mul_f32_e32 v8, 0x37800000, v6
	v_cndmask_b32_e32 v6, v6, v8, vcc
	v_cndmask_b32_e64 v3, v3, v9, s[0:1]
	v_sqrt_f32_e32 v9, v3
	v_cmp_class_f32_e32 vcc, v7, v16
	s_nop 1
	v_cndmask_b32_e32 v7, v6, v7, vcc
	v_add_u32_e32 v6, -1, v9
	v_fma_f32 v8, -v6, v9, v3
	v_cmp_ge_f32_e32 vcc, 0, v8
	v_add_u32_e32 v8, 1, v9
	s_nop 0
	v_cndmask_b32_e32 v6, v9, v6, vcc
	v_fma_f32 v9, -v8, v9, v3
	v_cmp_lt_f32_e32 vcc, 0, v9
	s_nop 1
	v_cndmask_b32_e32 v6, v6, v8, vcc
	v_mul_f32_e32 v8, 0x37800000, v6
	v_cndmask_b32_e64 v6, v6, v8, s[0:1]
	v_cmp_class_f32_e32 vcc, v3, v16
	s_cselect_b64 s[0:1], -1, 0
	s_cmp_lt_i32 s16, 1
	v_cndmask_b32_e32 v6, v6, v3, vcc
	ds_write_b128 v10, v[4:7]
	v_lshl_add_u64 v[4:5], v[0:1], 2, s[10:11]
	s_cbranch_scc1 .LBB8_29
; %bb.2:
	s_load_dwordx2 s[4:5], s[2:3], 0x20
	s_cmp_lt_u32 s16, 4
	s_cbranch_scc1 .LBB8_21
; %bb.3:
	s_mov_b32 s7, 0
	s_and_b32 s8, s16, 0x7ffffffc
	v_ashrrev_i32_e32 v3, 31, v2
	v_mov_b32_e32 v11, 0
	s_mov_b32 s6, s7
	s_branch .LBB8_5
.LBB8_4:                                ;   in Loop: Header=BB8_5 Depth=1
	s_or_b64 exec, exec, s[12:13]
	s_add_i32 s6, s6, 4
	s_cmp_eq_u32 s6, s8
	s_cbranch_scc1 .LBB8_22
.LBB8_5:                                ; =>This Loop Header: Depth=1
                                        ;     Child Loop BB8_7 Depth 2
                                        ;     Child Loop BB8_11 Depth 2
	;; [unrolled: 1-line block ×4, first 2 shown]
	v_lshl_add_u64 v[6:7], s[6:7], 2, v[4:5]
	global_load_dword v12, v[6:7], off
	v_add_u32_e32 v8, s6, v2
	v_ashrrev_i32_e32 v9, 31, v8
	s_mov_b64 s[12:13], 0
	s_waitcnt lgkmcnt(0)
	v_lshl_add_u64 v[8:9], v[8:9], 2, s[4:5]
	s_mov_b32 s9, 0
	s_waitcnt vmcnt(0)
	v_min_u32_e32 v14, 3, v12
	v_lshl_add_u32 v13, v12, 2, v10
	v_add_u32_e32 v14, 1, v14
	s_branch .LBB8_7
.LBB8_6:                                ;   in Loop: Header=BB8_7 Depth=2
	s_or_b64 exec, exec, s[14:15]
	s_add_i32 s9, s9, 1
	v_cmp_eq_u32_e32 vcc, s9, v14
	s_or_b64 s[12:13], vcc, s[12:13]
	s_andn2_b64 exec, exec, s[12:13]
	s_cbranch_execz .LBB8_9
.LBB8_7:                                ;   Parent Loop BB8_5 Depth=1
                                        ; =>  This Inner Loop Header: Depth=2
	v_cmp_eq_u32_e32 vcc, s9, v12
	s_and_saveexec_b64 s[14:15], vcc
	s_cbranch_execz .LBB8_6
; %bb.8:                                ;   in Loop: Header=BB8_7 Depth=2
	ds_read_b32 v15, v13
	global_store_dword v[8:9], v12, off
	s_waitcnt lgkmcnt(0)
	v_add_f32_e32 v11, v11, v15
	s_branch .LBB8_6
.LBB8_9:                                ;   in Loop: Header=BB8_5 Depth=1
	s_or_b64 exec, exec, s[12:13]
	global_load_dword v12, v[6:7], off offset:4
	s_ashr_i32 s13, s6, 31
	s_mov_b32 s12, s6
	v_lshl_add_u64 v[8:9], s[12:13], 0, v[2:3]
	s_mov_b32 s9, 0
	v_lshl_add_u64 v[8:9], v[8:9], 2, s[4:5]
	s_mov_b64 s[12:13], 0
	s_waitcnt vmcnt(0)
	v_min_u32_e32 v14, 3, v12
	v_lshl_add_u32 v13, v12, 2, v10
	v_add_u32_e32 v14, 1, v14
	s_branch .LBB8_11
.LBB8_10:                               ;   in Loop: Header=BB8_11 Depth=2
	s_or_b64 exec, exec, s[14:15]
	s_add_i32 s9, s9, 1
	v_cmp_eq_u32_e32 vcc, s9, v14
	s_or_b64 s[12:13], vcc, s[12:13]
	s_andn2_b64 exec, exec, s[12:13]
	s_cbranch_execz .LBB8_13
.LBB8_11:                               ;   Parent Loop BB8_5 Depth=1
                                        ; =>  This Inner Loop Header: Depth=2
	v_cmp_eq_u32_e32 vcc, s9, v12
	s_and_saveexec_b64 s[14:15], vcc
	s_cbranch_execz .LBB8_10
; %bb.12:                               ;   in Loop: Header=BB8_11 Depth=2
	ds_read_b32 v15, v13
	global_store_dword v[8:9], v12, off offset:4
	s_waitcnt lgkmcnt(0)
	v_add_f32_e32 v11, v11, v15
	s_branch .LBB8_10
.LBB8_13:                               ;   in Loop: Header=BB8_5 Depth=1
	s_or_b64 exec, exec, s[12:13]
	global_load_dword v12, v[6:7], off offset:8
	s_mov_b32 s9, 0
	s_mov_b64 s[12:13], 0
	s_waitcnt vmcnt(0)
	v_min_u32_e32 v14, 3, v12
	v_lshl_add_u32 v13, v12, 2, v10
	v_add_u32_e32 v14, 1, v14
	s_branch .LBB8_15
.LBB8_14:                               ;   in Loop: Header=BB8_15 Depth=2
	s_or_b64 exec, exec, s[14:15]
	s_add_i32 s9, s9, 1
	v_cmp_eq_u32_e32 vcc, s9, v14
	s_or_b64 s[12:13], vcc, s[12:13]
	s_andn2_b64 exec, exec, s[12:13]
	s_cbranch_execz .LBB8_17
.LBB8_15:                               ;   Parent Loop BB8_5 Depth=1
                                        ; =>  This Inner Loop Header: Depth=2
	v_cmp_eq_u32_e32 vcc, s9, v12
	s_and_saveexec_b64 s[14:15], vcc
	s_cbranch_execz .LBB8_14
; %bb.16:                               ;   in Loop: Header=BB8_15 Depth=2
	ds_read_b32 v15, v13
	global_store_dword v[8:9], v12, off offset:8
	s_waitcnt lgkmcnt(0)
	v_add_f32_e32 v11, v11, v15
	s_branch .LBB8_14
.LBB8_17:                               ;   in Loop: Header=BB8_5 Depth=1
	s_or_b64 exec, exec, s[12:13]
	global_load_dword v6, v[6:7], off offset:12
	s_mov_b32 s9, 0
	s_mov_b64 s[12:13], 0
	s_waitcnt vmcnt(0)
	v_min_u32_e32 v12, 3, v6
	v_lshl_add_u32 v7, v6, 2, v10
	v_add_u32_e32 v12, 1, v12
	s_branch .LBB8_19
.LBB8_18:                               ;   in Loop: Header=BB8_19 Depth=2
	s_or_b64 exec, exec, s[14:15]
	s_add_i32 s9, s9, 1
	v_cmp_eq_u32_e32 vcc, s9, v12
	s_or_b64 s[12:13], vcc, s[12:13]
	s_andn2_b64 exec, exec, s[12:13]
	s_cbranch_execz .LBB8_4
.LBB8_19:                               ;   Parent Loop BB8_5 Depth=1
                                        ; =>  This Inner Loop Header: Depth=2
	v_cmp_eq_u32_e32 vcc, s9, v6
	s_and_saveexec_b64 s[14:15], vcc
	s_cbranch_execz .LBB8_18
; %bb.20:                               ;   in Loop: Header=BB8_19 Depth=2
	ds_read_b32 v13, v7
	global_store_dword v[8:9], v6, off offset:12
	s_waitcnt lgkmcnt(0)
	v_add_f32_e32 v11, v11, v13
	s_branch .LBB8_18
.LBB8_21:
	v_mov_b32_e32 v11, 0
.LBB8_22:
	s_and_b32 s14, s16, 3
	s_cmp_eq_u32 s14, 0
	s_mov_b32 s9, 0
	s_cbranch_scc1 .LBB8_29
; %bb.23:
	s_mov_b32 s15, s9
	s_branch .LBB8_25
.LBB8_24:                               ;   in Loop: Header=BB8_25 Depth=1
	s_or_b64 exec, exec, s[6:7]
	s_add_i32 s8, s8, 1
	s_add_i32 s15, s15, 1
	s_cmp_lg_u32 s15, s14
	s_cbranch_scc0 .LBB8_29
.LBB8_25:                               ; =>This Loop Header: Depth=1
                                        ;     Child Loop BB8_27 Depth 2
	v_lshl_add_u64 v[6:7], s[8:9], 2, v[4:5]
	global_load_dword v3, v[6:7], off
	v_add_u32_e32 v6, s8, v2
	v_ashrrev_i32_e32 v7, 31, v6
	s_mov_b32 s17, 0
	s_waitcnt lgkmcnt(0)
	v_lshl_add_u64 v[6:7], v[6:7], 2, s[4:5]
	s_mov_b64 s[6:7], 0
	s_waitcnt vmcnt(0)
	v_min_u32_e32 v9, 3, v3
	v_lshl_add_u32 v8, v3, 2, v10
	v_add_u32_e32 v9, 1, v9
	s_branch .LBB8_27
.LBB8_26:                               ;   in Loop: Header=BB8_27 Depth=2
	s_or_b64 exec, exec, s[12:13]
	s_add_i32 s17, s17, 1
	v_cmp_eq_u32_e32 vcc, s17, v9
	s_or_b64 s[6:7], vcc, s[6:7]
	s_andn2_b64 exec, exec, s[6:7]
	s_cbranch_execz .LBB8_24
.LBB8_27:                               ;   Parent Loop BB8_25 Depth=1
                                        ; =>  This Inner Loop Header: Depth=2
	v_cmp_eq_u32_e32 vcc, s17, v3
	s_and_saveexec_b64 s[12:13], vcc
	s_cbranch_execz .LBB8_26
; %bb.28:                               ;   in Loop: Header=BB8_27 Depth=2
	ds_read_b32 v12, v8
	global_store_dword v[6:7], v3, off
	s_waitcnt lgkmcnt(0)
	v_add_f32_e32 v11, v11, v12
	s_branch .LBB8_26
.LBB8_29:
	s_load_dword s6, s[2:3], 0x3c
	s_waitcnt lgkmcnt(0)
	s_load_dwordx2 s[4:5], s[2:3], 0x40
	s_bitcmp1_b32 s6, 0
	s_cselect_b64 s[6:7], -1, 0
	s_waitcnt lgkmcnt(0)
	v_cvt_f32_f64_e32 v12, s[4:5]
	s_and_b64 vcc, exec, s[6:7]
	s_cbranch_vccz .LBB8_31
; %bb.30:
	v_cmp_lt_f32_e32 vcc, 0, v11
	s_nop 1
	v_cndmask_b32_e32 v3, 1.0, v11, vcc
	v_div_scale_f32 v6, s[4:5], v3, v3, v12
	v_rcp_f32_e32 v7, v6
	s_nop 0
	v_fma_f32 v8, -v6, v7, 1.0
	v_fmac_f32_e32 v7, v8, v7
	v_div_scale_f32 v8, vcc, v12, v3, v12
	v_mul_f32_e32 v9, v8, v7
	v_fma_f32 v11, -v6, v9, v8
	v_fmac_f32_e32 v9, v11, v7
	v_fma_f32 v6, -v6, v9, v8
	v_div_fmas_f32 v6, v6, v7, v9
	v_div_fixup_f32 v12, v6, v3, v12
.LBB8_31:
	s_andn2_b64 vcc, exec, s[0:1]
	s_cbranch_vccnz .LBB8_56
; %bb.32:
	s_load_dwordx2 s[0:1], s[2:3], 0x10
	s_cmp_lt_u32 s16, 8
	s_mov_b32 s2, 0
	s_cbranch_scc1 .LBB8_51
; %bb.33:
	v_ashrrev_i32_e32 v3, 31, v2
	s_and_b32 s2, s16, 0x7ffffff8
	s_waitcnt lgkmcnt(0)
	v_lshl_add_u64 v[6:7], v[2:3], 2, s[0:1]
	s_mov_b32 s3, 0
	s_mov_b64 s[4:5], 0
	s_branch .LBB8_35
.LBB8_34:                               ;   in Loop: Header=BB8_35 Depth=1
	s_or_b64 exec, exec, s[6:7]
	s_add_i32 s3, s3, 8
	s_add_u32 s4, s4, 32
	s_addc_u32 s5, s5, 0
	s_cmp_eq_u32 s2, s3
	s_cbranch_scc1 .LBB8_51
.LBB8_35:                               ; =>This Inner Loop Header: Depth=1
	v_lshl_add_u64 v[8:9], v[4:5], 0, s[4:5]
	global_load_dword v3, v[8:9], off
	s_waitcnt vmcnt(0)
	v_cmp_gt_u32_e32 vcc, 4, v3
	s_and_saveexec_b64 s[6:7], vcc
	s_cbranch_execz .LBB8_37
; %bb.36:                               ;   in Loop: Header=BB8_35 Depth=1
	v_lshl_add_u32 v3, v3, 2, v10
	ds_read_b32 v3, v3
	v_add_u32_e32 v14, s3, v2
	v_ashrrev_i32_e32 v15, 31, v14
	v_lshl_add_u64 v[14:15], v[14:15], 2, s[0:1]
	s_waitcnt lgkmcnt(0)
	v_mul_f32_e32 v3, v12, v3
	global_store_dword v[14:15], v3, off
.LBB8_37:                               ;   in Loop: Header=BB8_35 Depth=1
	s_or_b64 exec, exec, s[6:7]
	global_load_dword v3, v[8:9], off offset:4
	s_waitcnt vmcnt(0)
	v_cmp_gt_u32_e32 vcc, 4, v3
	s_and_saveexec_b64 s[6:7], vcc
	s_cbranch_execz .LBB8_39
; %bb.38:                               ;   in Loop: Header=BB8_35 Depth=1
	v_lshl_add_u32 v3, v3, 2, v10
	ds_read_b32 v3, v3
	v_lshl_add_u64 v[14:15], v[6:7], 0, s[4:5]
	s_waitcnt lgkmcnt(0)
	v_mul_f32_e32 v3, v12, v3
	global_store_dword v[14:15], v3, off offset:4
.LBB8_39:                               ;   in Loop: Header=BB8_35 Depth=1
	s_or_b64 exec, exec, s[6:7]
	global_load_dword v3, v[8:9], off offset:8
	s_waitcnt vmcnt(0)
	v_cmp_gt_u32_e32 vcc, 4, v3
	s_and_saveexec_b64 s[6:7], vcc
	s_cbranch_execz .LBB8_41
; %bb.40:                               ;   in Loop: Header=BB8_35 Depth=1
	v_lshl_add_u32 v3, v3, 2, v10
	ds_read_b32 v3, v3
	v_lshl_add_u64 v[14:15], v[6:7], 0, s[4:5]
	s_waitcnt lgkmcnt(0)
	v_mul_f32_e32 v3, v12, v3
	global_store_dword v[14:15], v3, off offset:8
.LBB8_41:                               ;   in Loop: Header=BB8_35 Depth=1
	s_or_b64 exec, exec, s[6:7]
	global_load_dword v3, v[8:9], off offset:12
	s_waitcnt vmcnt(0)
	v_cmp_gt_u32_e32 vcc, 4, v3
	s_and_saveexec_b64 s[6:7], vcc
	s_cbranch_execz .LBB8_43
; %bb.42:                               ;   in Loop: Header=BB8_35 Depth=1
	v_lshl_add_u32 v3, v3, 2, v10
	ds_read_b32 v3, v3
	v_lshl_add_u64 v[14:15], v[6:7], 0, s[4:5]
	s_waitcnt lgkmcnt(0)
	v_mul_f32_e32 v3, v12, v3
	global_store_dword v[14:15], v3, off offset:12
.LBB8_43:                               ;   in Loop: Header=BB8_35 Depth=1
	s_or_b64 exec, exec, s[6:7]
	global_load_dword v3, v[8:9], off offset:16
	s_waitcnt vmcnt(0)
	v_cmp_gt_u32_e32 vcc, 4, v3
	s_and_saveexec_b64 s[6:7], vcc
	s_cbranch_execz .LBB8_45
; %bb.44:                               ;   in Loop: Header=BB8_35 Depth=1
	v_lshl_add_u32 v3, v3, 2, v10
	ds_read_b32 v3, v3
	v_lshl_add_u64 v[14:15], v[6:7], 0, s[4:5]
	s_waitcnt lgkmcnt(0)
	v_mul_f32_e32 v3, v12, v3
	global_store_dword v[14:15], v3, off offset:16
.LBB8_45:                               ;   in Loop: Header=BB8_35 Depth=1
	s_or_b64 exec, exec, s[6:7]
	global_load_dword v3, v[8:9], off offset:20
	s_waitcnt vmcnt(0)
	v_cmp_gt_u32_e32 vcc, 4, v3
	s_and_saveexec_b64 s[6:7], vcc
	s_cbranch_execz .LBB8_47
; %bb.46:                               ;   in Loop: Header=BB8_35 Depth=1
	v_lshl_add_u32 v3, v3, 2, v10
	ds_read_b32 v3, v3
	v_lshl_add_u64 v[14:15], v[6:7], 0, s[4:5]
	s_waitcnt lgkmcnt(0)
	v_mul_f32_e32 v3, v12, v3
	global_store_dword v[14:15], v3, off offset:20
.LBB8_47:                               ;   in Loop: Header=BB8_35 Depth=1
	s_or_b64 exec, exec, s[6:7]
	global_load_dword v3, v[8:9], off offset:24
	s_waitcnt vmcnt(0)
	v_cmp_gt_u32_e32 vcc, 4, v3
	s_and_saveexec_b64 s[6:7], vcc
	s_cbranch_execz .LBB8_49
; %bb.48:                               ;   in Loop: Header=BB8_35 Depth=1
	v_lshl_add_u32 v3, v3, 2, v10
	ds_read_b32 v3, v3
	v_lshl_add_u64 v[14:15], v[6:7], 0, s[4:5]
	s_waitcnt lgkmcnt(0)
	v_mul_f32_e32 v3, v12, v3
	global_store_dword v[14:15], v3, off offset:24
.LBB8_49:                               ;   in Loop: Header=BB8_35 Depth=1
	s_or_b64 exec, exec, s[6:7]
	global_load_dword v3, v[8:9], off offset:28
	s_waitcnt vmcnt(0)
	v_cmp_gt_u32_e32 vcc, 4, v3
	s_and_saveexec_b64 s[6:7], vcc
	s_cbranch_execz .LBB8_34
; %bb.50:                               ;   in Loop: Header=BB8_35 Depth=1
	v_lshl_add_u32 v3, v3, 2, v10
	ds_read_b32 v3, v3
	v_lshl_add_u64 v[8:9], v[6:7], 0, s[4:5]
	s_waitcnt lgkmcnt(0)
	v_mul_f32_e32 v3, v12, v3
	global_store_dword v[8:9], v3, off offset:28
	s_branch .LBB8_34
.LBB8_51:
	s_and_b32 s4, s16, 7
	s_cmp_eq_u32 s4, 0
	s_mov_b32 s3, 0
	s_cbranch_scc1 .LBB8_56
; %bb.52:
	v_add_u32_e32 v2, s2, v2
	s_lshl_b64 s[2:3], s[2:3], 2
	s_add_u32 s2, s10, s2
	s_addc_u32 s3, s11, s3
	v_lshl_add_u64 v[0:1], v[0:1], 2, s[2:3]
	s_branch .LBB8_54
.LBB8_53:                               ;   in Loop: Header=BB8_54 Depth=1
	s_or_b64 exec, exec, s[2:3]
	s_add_i32 s4, s4, -1
	v_add_u32_e32 v2, 1, v2
	s_cmp_eq_u32 s4, 0
	v_lshl_add_u64 v[0:1], v[0:1], 0, 4
	s_cbranch_scc1 .LBB8_56
.LBB8_54:                               ; =>This Inner Loop Header: Depth=1
	global_load_dword v3, v[0:1], off
	s_waitcnt vmcnt(0)
	v_cmp_gt_u32_e32 vcc, 4, v3
	s_and_saveexec_b64 s[2:3], vcc
	s_cbranch_execz .LBB8_53
; %bb.55:                               ;   in Loop: Header=BB8_54 Depth=1
	v_lshl_add_u32 v3, v3, 2, v10
	ds_read_b32 v4, v3
	v_ashrrev_i32_e32 v3, 31, v2
	s_waitcnt lgkmcnt(0)
	v_mul_f32_e32 v6, v12, v4
	v_lshl_add_u64 v[4:5], v[2:3], 2, s[0:1]
	global_store_dword v[4:5], v6, off
	s_branch .LBB8_53
.LBB8_56:
	s_endpgm
	.section	.rodata,"a",@progbits
	.p2align	6, 0x0
	.amdhsa_kernel _ZN4vllm3moe22topkGatingSoftplusSqrtILi4ELi4ELi4ELi16ELi64ELb1EifEEvPKT6_PKbPfiPT5_PiiiibdPKfPKS8_SE_
		.amdhsa_group_segment_fixed_size 4096
		.amdhsa_private_segment_fixed_size 0
		.amdhsa_kernarg_size 96
		.amdhsa_user_sgpr_count 4
		.amdhsa_user_sgpr_dispatch_ptr 1
		.amdhsa_user_sgpr_queue_ptr 0
		.amdhsa_user_sgpr_kernarg_segment_ptr 1
		.amdhsa_user_sgpr_dispatch_id 0
		.amdhsa_user_sgpr_kernarg_preload_length 0
		.amdhsa_user_sgpr_kernarg_preload_offset 0
		.amdhsa_user_sgpr_private_segment_size 0
		.amdhsa_uses_dynamic_stack 0
		.amdhsa_enable_private_segment 0
		.amdhsa_system_sgpr_workgroup_id_x 1
		.amdhsa_system_sgpr_workgroup_id_y 0
		.amdhsa_system_sgpr_workgroup_id_z 0
		.amdhsa_system_sgpr_workgroup_info 0
		.amdhsa_system_vgpr_workitem_id 2
		.amdhsa_next_free_vgpr 24
		.amdhsa_next_free_sgpr 18
		.amdhsa_accum_offset 24
		.amdhsa_reserve_vcc 1
		.amdhsa_float_round_mode_32 0
		.amdhsa_float_round_mode_16_64 0
		.amdhsa_float_denorm_mode_32 3
		.amdhsa_float_denorm_mode_16_64 3
		.amdhsa_dx10_clamp 1
		.amdhsa_ieee_mode 1
		.amdhsa_fp16_overflow 0
		.amdhsa_tg_split 0
		.amdhsa_exception_fp_ieee_invalid_op 0
		.amdhsa_exception_fp_denorm_src 0
		.amdhsa_exception_fp_ieee_div_zero 0
		.amdhsa_exception_fp_ieee_overflow 0
		.amdhsa_exception_fp_ieee_underflow 0
		.amdhsa_exception_fp_ieee_inexact 0
		.amdhsa_exception_int_div_zero 0
	.end_amdhsa_kernel
	.section	.text._ZN4vllm3moe22topkGatingSoftplusSqrtILi4ELi4ELi4ELi16ELi64ELb1EifEEvPKT6_PKbPfiPT5_PiiiibdPKfPKS8_SE_,"axG",@progbits,_ZN4vllm3moe22topkGatingSoftplusSqrtILi4ELi4ELi4ELi16ELi64ELb1EifEEvPKT6_PKbPfiPT5_PiiiibdPKfPKS8_SE_,comdat
.Lfunc_end8:
	.size	_ZN4vllm3moe22topkGatingSoftplusSqrtILi4ELi4ELi4ELi16ELi64ELb1EifEEvPKT6_PKbPfiPT5_PiiiibdPKfPKS8_SE_, .Lfunc_end8-_ZN4vllm3moe22topkGatingSoftplusSqrtILi4ELi4ELi4ELi16ELi64ELb1EifEEvPKT6_PKbPfiPT5_PiiiibdPKfPKS8_SE_
                                        ; -- End function
	.section	.AMDGPU.csdata,"",@progbits
; Kernel info:
; codeLenInByte = 2804
; NumSgprs: 24
; NumVgprs: 24
; NumAgprs: 0
; TotalNumVgprs: 24
; ScratchSize: 0
; MemoryBound: 0
; FloatMode: 240
; IeeeMode: 1
; LDSByteSize: 4096 bytes/workgroup (compile time only)
; SGPRBlocks: 2
; VGPRBlocks: 2
; NumSGPRsForWavesPerEU: 24
; NumVGPRsForWavesPerEU: 24
; AccumOffset: 24
; Occupancy: 8
; WaveLimiterHint : 1
; COMPUTE_PGM_RSRC2:SCRATCH_EN: 0
; COMPUTE_PGM_RSRC2:USER_SGPR: 4
; COMPUTE_PGM_RSRC2:TRAP_HANDLER: 0
; COMPUTE_PGM_RSRC2:TGID_X_EN: 1
; COMPUTE_PGM_RSRC2:TGID_Y_EN: 0
; COMPUTE_PGM_RSRC2:TGID_Z_EN: 0
; COMPUTE_PGM_RSRC2:TIDIG_COMP_CNT: 2
; COMPUTE_PGM_RSRC3_GFX90A:ACCUM_OFFSET: 5
; COMPUTE_PGM_RSRC3_GFX90A:TG_SPLIT: 0
	.section	.text._ZN4vllm3moe22topkGatingSoftplusSqrtILi4ELi4ELi4ELi16ELi64ELb0EifEEvPKT6_PKbPfiPT5_PiiiibdPKfPKS8_SE_,"axG",@progbits,_ZN4vllm3moe22topkGatingSoftplusSqrtILi4ELi4ELi4ELi16ELi64ELb0EifEEvPKT6_PKbPfiPT5_PiiiibdPKfPKS8_SE_,comdat
	.protected	_ZN4vllm3moe22topkGatingSoftplusSqrtILi4ELi4ELi4ELi16ELi64ELb0EifEEvPKT6_PKbPfiPT5_PiiiibdPKfPKS8_SE_ ; -- Begin function _ZN4vllm3moe22topkGatingSoftplusSqrtILi4ELi4ELi4ELi16ELi64ELb0EifEEvPKT6_PKbPfiPT5_PiiiibdPKfPKS8_SE_
	.globl	_ZN4vllm3moe22topkGatingSoftplusSqrtILi4ELi4ELi4ELi16ELi64ELb0EifEEvPKT6_PKbPfiPT5_PiiiibdPKfPKS8_SE_
	.p2align	8
	.type	_ZN4vllm3moe22topkGatingSoftplusSqrtILi4ELi4ELi4ELi16ELi64ELb0EifEEvPKT6_PKbPfiPT5_PiiiibdPKfPKS8_SE_,@function
_ZN4vllm3moe22topkGatingSoftplusSqrtILi4ELi4ELi4ELi16ELi64ELb0EifEEvPKT6_PKbPfiPT5_PiiiibdPKfPKS8_SE_: ; @_ZN4vllm3moe22topkGatingSoftplusSqrtILi4ELi4ELi4ELi16ELi64ELb0EifEEvPKT6_PKbPfiPT5_PiiiibdPKfPKS8_SE_
; %bb.0:
	s_load_dword s24, s[2:3], 0x18
	v_bfe_u32 v4, v0, 10, 10
	v_and_b32_e32 v1, 0x3ff, v0
	s_lshl_b32 s4, s4, 8
	v_lshlrev_b32_e32 v2, 6, v4
	v_add3_u32 v2, v2, v1, s4
	s_waitcnt lgkmcnt(0)
	v_cmp_gt_i32_e32 vcc, s24, v2
	s_and_saveexec_b64 s[4:5], vcc
	s_cbranch_execz .LBB9_32
; %bb.1:
	s_load_dwordx4 s[4:7], s[2:3], 0x0
	s_load_dwordx2 s[20:21], s[2:3], 0x10
	s_waitcnt lgkmcnt(0)
	s_cmp_eq_u64 s[6:7], 0
	s_cbranch_scc1 .LBB9_3
; %bb.2:
	v_ashrrev_i32_e32 v3, 31, v2
	v_lshl_add_u64 v[6:7], s[6:7], 0, v[2:3]
	global_load_ubyte v3, v[6:7], off
	s_waitcnt vmcnt(0)
	v_and_b32_e32 v3, 1, v3
	v_cmp_eq_u32_e32 vcc, 1, v3
	s_xor_b64 s[6:7], vcc, -1
	s_orn2_b64 s[22:23], s[6:7], exec
	s_branch .LBB9_4
.LBB9_3:
	s_mov_b64 s[22:23], -1
.LBB9_4:
	v_lshlrev_b32_e32 v8, 2, v2
	v_mov_b32_e32 v6, s4
	v_mov_b32_e32 v7, s5
	v_ashrrev_i32_e32 v9, 31, v8
	v_lshl_add_u64 v[6:7], v[8:9], 2, v[6:7]
	global_load_dwordx4 v[6:9], v[6:7], off
	s_load_dwordx2 s[0:1], s[0:1], 0x4
	v_bfe_u32 v0, v0, 20, 10
	s_mov_b32 s15, 0x800000
	v_mov_b32_e32 v3, 0x4f800000
	s_mov_b32 s13, 0x3f317217
	s_waitcnt lgkmcnt(0)
	s_lshr_b32 s0, s0, 16
	s_mul_i32 s0, s0, s1
	v_mul_lo_u32 v1, s0, v1
	v_mad_u32_u24 v1, v4, s1, v1
	v_add_lshl_u32 v1, v1, v0, 4
	s_mov_b32 s14, 0x7f800000
	v_mov_b32_e32 v4, 0x41b17218
	s_mov_b32 s12, 0x41a00000
	s_mov_b32 s16, 0xf800000
	s_load_dwordx4 s[8:11], s[2:3], 0x40
	s_waitcnt lgkmcnt(0)
	s_cmp_lg_u64 s[10:11], 0
	s_cselect_b64 s[6:7], -1, 0
	s_and_b64 s[0:1], exec, s[6:7]
	s_waitcnt vmcnt(0)
	ds_write_b128 v1, v[6:9]
	ds_read_b32 v5, v1
	s_waitcnt lgkmcnt(0)
	v_mul_f32_e32 v0, 0x3fb8aa3b, v5
	v_exp_f32_e32 v0, v0
	s_nop 0
	v_add_f32_e32 v0, 1.0, v0
	v_cmp_gt_f32_e32 vcc, s15, v0
	s_nop 1
	v_cndmask_b32_e32 v6, 1.0, v3, vcc
	v_mul_f32_e32 v0, v0, v6
	v_log_f32_e32 v6, v0
	v_cndmask_b32_e32 v7, 0, v4, vcc
	v_mov_b32_e32 v0, 0x260
	v_mul_f32_e32 v8, 0x3f317217, v6
	v_fma_f32 v8, v6, s13, -v8
	v_fmac_f32_e32 v8, 0x3377d1cf, v6
	v_fmac_f32_e32 v8, 0x3f317217, v6
	v_cmp_lt_f32_e64 vcc, |v6|, s14
	s_nop 1
	v_cndmask_b32_e32 v6, v6, v8, vcc
	v_sub_f32_e32 v6, v6, v7
	v_cmp_lt_f32_e32 vcc, s12, v5
	s_nop 1
	v_cndmask_b32_e32 v5, v6, v5, vcc
	v_mul_f32_e32 v6, 0x4f800000, v5
	v_cmp_gt_f32_e32 vcc, s16, v5
	s_nop 1
	v_cndmask_b32_e32 v5, v5, v6, vcc
	v_sqrt_f32_e32 v6, v5
	s_nop 0
	v_add_u32_e32 v7, -1, v6
	v_add_u32_e32 v8, 1, v6
	v_fma_f32 v9, -v7, v6, v5
	v_fma_f32 v10, -v8, v6, v5
	v_cmp_ge_f32_e64 s[4:5], 0, v9
	s_nop 1
	v_cndmask_b32_e64 v6, v6, v7, s[4:5]
	v_cmp_lt_f32_e64 s[4:5], 0, v10
	s_nop 1
	v_cndmask_b32_e64 v6, v6, v8, s[4:5]
	v_mul_f32_e32 v7, 0x37800000, v6
	v_cndmask_b32_e32 v6, v6, v7, vcc
	v_cmp_class_f32_e32 vcc, v5, v0
	s_nop 1
	v_cndmask_b32_e32 v5, v6, v5, vcc
	s_mov_b64 vcc, s[0:1]
	s_cbranch_vccz .LBB9_6
; %bb.5:
	s_load_dword s0, s[10:11], 0x0
	s_waitcnt lgkmcnt(0)
	v_add_f32_e32 v5, s0, v5
.LBB9_6:
	ds_read_b32 v6, v1 offset:4
	ds_write_b32 v1, v5
	s_waitcnt lgkmcnt(1)
	v_mul_f32_e32 v7, 0x3fb8aa3b, v6
	v_exp_f32_e32 v7, v7
	s_nop 0
	v_add_f32_e32 v7, 1.0, v7
	v_cmp_gt_f32_e32 vcc, s15, v7
	s_nop 1
	v_cndmask_b32_e32 v3, 1.0, v3, vcc
	v_mul_f32_e32 v3, v7, v3
	v_log_f32_e32 v3, v3
	v_cndmask_b32_e32 v4, 0, v4, vcc
	v_mul_f32_e32 v5, 0x3f317217, v3
	v_fma_f32 v5, v3, s13, -v5
	v_fmac_f32_e32 v5, 0x3377d1cf, v3
	v_fmac_f32_e32 v5, 0x3f317217, v3
	v_cmp_lt_f32_e64 vcc, |v3|, s14
	s_nop 1
	v_cndmask_b32_e32 v3, v3, v5, vcc
	v_sub_f32_e32 v3, v3, v4
	v_cmp_lt_f32_e32 vcc, s12, v6
	v_cndmask_b32_e64 v5, 0, 1, s[6:7]
	v_cmp_ne_u32_e64 s[0:1], 1, v5
	v_cndmask_b32_e32 v3, v3, v6, vcc
	v_mul_f32_e32 v4, 0x4f800000, v3
	v_cmp_gt_f32_e64 s[4:5], s16, v3
	s_andn2_b64 vcc, exec, s[6:7]
	s_nop 0
	v_cndmask_b32_e64 v3, v3, v4, s[4:5]
	v_sqrt_f32_e32 v4, v3
	s_nop 0
	v_add_u32_e32 v5, -1, v4
	v_add_u32_e32 v6, 1, v4
	v_fma_f32 v7, -v5, v4, v3
	v_fma_f32 v8, -v6, v4, v3
	v_cmp_ge_f32_e64 s[6:7], 0, v7
	s_nop 1
	v_cndmask_b32_e64 v4, v4, v5, s[6:7]
	v_cmp_lt_f32_e64 s[6:7], 0, v8
	s_nop 1
	v_cndmask_b32_e64 v4, v4, v6, s[6:7]
	v_mul_f32_e32 v5, 0x37800000, v4
	v_cndmask_b32_e64 v4, v4, v5, s[4:5]
	v_cmp_class_f32_e64 s[4:5], v3, v0
	s_nop 1
	v_cndmask_b32_e64 v0, v4, v3, s[4:5]
	s_cbranch_vccnz .LBB9_8
; %bb.7:
	s_load_dword s4, s[10:11], 0x4
	s_waitcnt lgkmcnt(0)
	v_add_f32_e32 v0, s4, v0
.LBB9_8:
	ds_read_b32 v5, v1 offset:8
	s_mov_b32 s12, 0x800000
	s_mov_b32 s7, 0x3f317217
	;; [unrolled: 1-line block ×4, first 2 shown]
	s_waitcnt lgkmcnt(0)
	v_mul_f32_e32 v3, 0x3fb8aa3b, v5
	v_exp_f32_e32 v4, v3
	v_mov_b32_e32 v3, 0x4f800000
	s_mov_b32 s14, 0xf800000
	ds_write_b32 v1, v0 offset:4
	v_add_f32_e32 v4, 1.0, v4
	v_cmp_gt_f32_e32 vcc, s12, v4
	s_nop 1
	v_cndmask_b32_e32 v6, 1.0, v3, vcc
	v_mul_f32_e32 v4, v4, v6
	v_log_f32_e32 v6, v4
	v_mov_b32_e32 v4, 0x41b17218
	v_cndmask_b32_e32 v7, 0, v4, vcc
	v_mul_f32_e32 v8, 0x3f317217, v6
	v_fma_f32 v8, v6, s7, -v8
	v_fmac_f32_e32 v8, 0x3377d1cf, v6
	v_fmac_f32_e32 v8, 0x3f317217, v6
	v_cmp_lt_f32_e64 vcc, |v6|, s13
	s_nop 1
	v_cndmask_b32_e32 v6, v6, v8, vcc
	v_sub_f32_e32 v6, v6, v7
	v_cmp_lt_f32_e32 vcc, s6, v5
	s_nop 1
	v_cndmask_b32_e32 v5, v6, v5, vcc
	v_mul_f32_e32 v6, 0x4f800000, v5
	v_cmp_gt_f32_e32 vcc, s14, v5
	s_nop 1
	v_cndmask_b32_e32 v5, v5, v6, vcc
	v_sqrt_f32_e32 v6, v5
	s_nop 0
	v_add_u32_e32 v0, -1, v6
	v_fma_f32 v7, -v0, v6, v5
	v_cmp_ge_f32_e64 s[4:5], 0, v7
	v_add_u32_e32 v7, 1, v6
	s_nop 0
	v_cndmask_b32_e64 v0, v6, v0, s[4:5]
	v_fma_f32 v6, -v7, v6, v5
	v_cmp_lt_f32_e64 s[4:5], 0, v6
	s_nop 1
	v_cndmask_b32_e64 v0, v0, v7, s[4:5]
	v_mul_f32_e32 v6, 0x37800000, v0
	v_cndmask_b32_e32 v6, v0, v6, vcc
	v_mov_b32_e32 v0, 0x260
	v_cmp_class_f32_e64 s[4:5], v5, v0
	s_and_b64 vcc, exec, s[0:1]
	s_nop 0
	v_cndmask_b32_e64 v5, v6, v5, s[4:5]
	s_cbranch_vccnz .LBB9_10
; %bb.9:
	s_load_dword s4, s[10:11], 0x8
	s_waitcnt lgkmcnt(0)
	v_add_f32_e32 v5, s4, v5
.LBB9_10:
	ds_read_b32 v6, v1 offset:12
	ds_write_b32 v1, v5 offset:8
	s_waitcnt lgkmcnt(1)
	v_mul_f32_e32 v7, 0x3fb8aa3b, v6
	v_exp_f32_e32 v7, v7
	s_nop 0
	v_add_f32_e32 v7, 1.0, v7
	v_cmp_gt_f32_e32 vcc, s12, v7
	s_nop 1
	v_cndmask_b32_e32 v3, 1.0, v3, vcc
	v_mul_f32_e32 v3, v7, v3
	v_log_f32_e32 v3, v3
	v_cndmask_b32_e32 v4, 0, v4, vcc
	v_mul_f32_e32 v7, 0x3f317217, v3
	v_fma_f32 v7, v3, s7, -v7
	v_fmac_f32_e32 v7, 0x3377d1cf, v3
	v_fmac_f32_e32 v7, 0x3f317217, v3
	v_cmp_lt_f32_e64 vcc, |v3|, s13
	s_nop 1
	v_cndmask_b32_e32 v3, v3, v7, vcc
	v_sub_f32_e32 v3, v3, v4
	v_cmp_lt_f32_e32 vcc, s6, v6
	s_nop 1
	v_cndmask_b32_e32 v3, v3, v6, vcc
	v_mul_f32_e32 v4, 0x4f800000, v3
	v_cmp_gt_f32_e64 s[4:5], s14, v3
	s_and_b64 vcc, exec, s[0:1]
	s_nop 0
	v_cndmask_b32_e64 v3, v3, v4, s[4:5]
	v_sqrt_f32_e32 v4, v3
	s_nop 0
	v_add_u32_e32 v5, -1, v4
	v_add_u32_e32 v6, 1, v4
	v_fma_f32 v7, -v5, v4, v3
	v_fma_f32 v8, -v6, v4, v3
	v_cmp_ge_f32_e64 s[6:7], 0, v7
	s_nop 1
	v_cndmask_b32_e64 v4, v4, v5, s[6:7]
	v_cmp_lt_f32_e64 s[6:7], 0, v8
	s_nop 1
	v_cndmask_b32_e64 v4, v4, v6, s[6:7]
	v_mul_f32_e32 v5, 0x37800000, v4
	v_cndmask_b32_e64 v4, v4, v5, s[4:5]
	v_cmp_class_f32_e64 s[4:5], v3, v0
	s_nop 1
	v_cndmask_b32_e64 v0, v4, v3, s[4:5]
	s_cbranch_vccnz .LBB9_12
; %bb.11:
	s_load_dword s4, s[10:11], 0xc
	s_waitcnt lgkmcnt(0)
	v_add_f32_e32 v0, s4, v0
.LBB9_12:
	s_load_dwordx4 s[12:15], s[2:3], 0x30
	ds_write_b32 v1, v0 offset:12
	s_mov_b32 s25, 0
	s_waitcnt lgkmcnt(0)
	s_bitcmp1_b32 s15, 0
	s_cselect_b64 s[4:5], -1, 0
	s_cmp_gt_i32 s12, 0
	s_cselect_b64 s[6:7], -1, 0
	s_and_b64 vcc, exec, s[6:7]
	v_mul_lo_u32 v0, v2, s12
	s_cbranch_vccz .LBB9_19
; %bb.13:
	s_load_dwordx4 s[16:19], s[2:3], 0x20
	v_mov_b32_e32 v3, 0
	v_mov_b32_e32 v4, 0xc61c4000
	s_branch .LBB9_15
.LBB9_14:                               ;   in Loop: Header=BB9_15 Depth=1
	v_add_f32_e32 v5, v3, v6
	v_cndmask_b32_e64 v3, v3, v5, s[4:5]
	s_cmp_lg_u32 s12, s25
	v_add_u32_e32 v2, s24, v2
	s_cbranch_scc0 .LBB9_20
.LBB9_15:                               ; =>This Inner Loop Header: Depth=1
	ds_read_b128 v[6:9], v1
	s_waitcnt lgkmcnt(0)
	v_cmp_gt_f32_e32 vcc, v7, v6
	s_nop 1
	v_cndmask_b32_e32 v6, v6, v7, vcc
	v_cndmask_b32_e64 v5, 0, 1, vcc
	v_cmp_gt_f32_e32 vcc, v8, v6
	s_nop 1
	v_cndmask_b32_e32 v6, v6, v8, vcc
	v_cndmask_b32_e64 v5, v5, 2, vcc
	v_cmp_gt_f32_e64 s[2:3], v9, v6
	s_and_b64 vcc, exec, s[0:1]
	s_nop 0
	v_cndmask_b32_e64 v5, v5, 3, s[2:3]
	v_cndmask_b32_e64 v6, v6, v9, s[2:3]
	s_cbranch_vccnz .LBB9_17
; %bb.16:                               ;   in Loop: Header=BB9_15 Depth=1
	v_lshlrev_b32_e32 v7, 2, v5
	global_load_dword v7, v7, s[10:11]
	s_waitcnt vmcnt(0)
	v_sub_f32_e32 v6, v6, v7
.LBB9_17:                               ;   in Loop: Header=BB9_15 Depth=1
	v_add_u32_e32 v8, s25, v0
	v_cmp_le_i32_e32 vcc, s13, v5
	v_cmp_gt_i32_e64 s[2:3], s14, v5
	v_ashrrev_i32_e32 v9, 31, v8
	s_and_b64 s[2:3], vcc, s[2:3]
	v_lshlrev_b64 v[8:9], 2, v[8:9]
	v_lshl_add_u64 v[10:11], s[20:21], 0, v[8:9]
	v_subrev_u32_e32 v7, s13, v5
	s_and_b64 vcc, s[22:23], s[2:3]
	s_add_i32 s25, s25, 1
	global_store_dword v[10:11], v6, off
	v_cndmask_b32_e32 v7, 4, v7, vcc
	v_lshl_add_u64 v[10:11], s[16:17], 0, v[8:9]
	v_lshl_add_u64 v[8:9], s[18:19], 0, v[8:9]
	s_cmp_ge_i32 s25, s12
	global_store_dword v[10:11], v7, off
	global_store_dword v[8:9], v2, off
	s_cbranch_scc1 .LBB9_14
; %bb.18:                               ;   in Loop: Header=BB9_15 Depth=1
	v_lshl_add_u32 v5, v5, 2, v1
	ds_write_b32 v5, v4
	s_branch .LBB9_14
.LBB9_19:
	v_mov_b32_e32 v3, 0
.LBB9_20:
	s_andn2_b64 vcc, exec, s[4:5]
	v_cvt_f32_f64_e32 v2, s[8:9]
	s_cbranch_vccnz .LBB9_22
; %bb.21:
	v_cmp_lt_f32_e32 vcc, 0, v3
	s_nop 1
	v_cndmask_b32_e32 v1, 1.0, v3, vcc
	v_div_scale_f32 v3, s[0:1], v1, v1, v2
	v_rcp_f32_e32 v4, v3
	s_nop 0
	v_fma_f32 v5, -v3, v4, 1.0
	v_fmac_f32_e32 v4, v5, v4
	v_div_scale_f32 v5, vcc, v2, v1, v2
	v_mul_f32_e32 v6, v5, v4
	v_fma_f32 v7, -v3, v6, v5
	v_fmac_f32_e32 v6, v7, v4
	v_fma_f32 v3, -v3, v6, v5
	v_div_fmas_f32 v3, v3, v4, v6
	v_div_fixup_f32 v2, v3, v1, v2
.LBB9_22:
	s_andn2_b64 vcc, exec, s[6:7]
	s_cbranch_vccnz .LBB9_32
; %bb.23:
	s_cmp_gt_u32 s12, 3
	v_ashrrev_i32_e32 v1, 31, v0
	s_cbranch_scc0 .LBB9_27
; %bb.24:
	s_and_b32 s0, s12, 0x7ffffffc
	v_lshl_add_u64 v[4:5], v[0:1], 2, s[20:21]
	v_mov_b32_e32 v3, v2
	v_lshl_add_u64 v[4:5], v[4:5], 0, 8
	s_mov_b32 s1, s0
.LBB9_25:                               ; =>This Inner Loop Header: Depth=1
	global_load_dwordx4 v[6:9], v[4:5], off offset:-8
	s_add_i32 s1, s1, -4
	s_cmp_lg_u32 s1, 0
	s_waitcnt vmcnt(0)
	v_pk_mul_f32 v[6:7], v[2:3], v[6:7]
	v_pk_mul_f32 v[8:9], v[2:3], v[8:9]
	global_store_dwordx4 v[4:5], v[6:9], off offset:-8
	v_lshl_add_u64 v[4:5], v[4:5], 0, 16
	s_cbranch_scc1 .LBB9_25
; %bb.26:
	s_cmp_lg_u32 s0, s12
	s_cselect_b64 s[2:3], -1, 0
	s_branch .LBB9_29
.LBB9_27:
	s_mov_b64 s[2:3], 0
                                        ; implicit-def: $sgpr0
	s_cbranch_execz .LBB9_29
; %bb.28:
	s_mov_b64 s[2:3], -1
	s_mov_b32 s0, 0
.LBB9_29:
	s_andn2_b64 vcc, exec, s[2:3]
	s_cbranch_vccnz .LBB9_32
; %bb.30:
	s_mov_b32 s1, 0
	v_lshl_add_u64 v[0:1], v[0:1], 0, s[0:1]
	s_sub_i32 s2, s12, s0
	v_lshl_add_u64 v[0:1], v[0:1], 2, s[20:21]
.LBB9_31:                               ; =>This Inner Loop Header: Depth=1
	global_load_dword v3, v[0:1], off
	s_add_i32 s2, s2, -1
	s_cmp_lg_u32 s2, 0
	s_waitcnt vmcnt(0)
	v_mul_f32_e32 v3, v2, v3
	global_store_dword v[0:1], v3, off
	v_lshl_add_u64 v[0:1], v[0:1], 0, 4
	s_cbranch_scc1 .LBB9_31
.LBB9_32:
	s_endpgm
	.section	.rodata,"a",@progbits
	.p2align	6, 0x0
	.amdhsa_kernel _ZN4vllm3moe22topkGatingSoftplusSqrtILi4ELi4ELi4ELi16ELi64ELb0EifEEvPKT6_PKbPfiPT5_PiiiibdPKfPKS8_SE_
		.amdhsa_group_segment_fixed_size 4096
		.amdhsa_private_segment_fixed_size 0
		.amdhsa_kernarg_size 96
		.amdhsa_user_sgpr_count 4
		.amdhsa_user_sgpr_dispatch_ptr 1
		.amdhsa_user_sgpr_queue_ptr 0
		.amdhsa_user_sgpr_kernarg_segment_ptr 1
		.amdhsa_user_sgpr_dispatch_id 0
		.amdhsa_user_sgpr_kernarg_preload_length 0
		.amdhsa_user_sgpr_kernarg_preload_offset 0
		.amdhsa_user_sgpr_private_segment_size 0
		.amdhsa_uses_dynamic_stack 0
		.amdhsa_enable_private_segment 0
		.amdhsa_system_sgpr_workgroup_id_x 1
		.amdhsa_system_sgpr_workgroup_id_y 0
		.amdhsa_system_sgpr_workgroup_id_z 0
		.amdhsa_system_sgpr_workgroup_info 0
		.amdhsa_system_vgpr_workitem_id 2
		.amdhsa_next_free_vgpr 12
		.amdhsa_next_free_sgpr 26
		.amdhsa_accum_offset 12
		.amdhsa_reserve_vcc 1
		.amdhsa_float_round_mode_32 0
		.amdhsa_float_round_mode_16_64 0
		.amdhsa_float_denorm_mode_32 3
		.amdhsa_float_denorm_mode_16_64 3
		.amdhsa_dx10_clamp 1
		.amdhsa_ieee_mode 1
		.amdhsa_fp16_overflow 0
		.amdhsa_tg_split 0
		.amdhsa_exception_fp_ieee_invalid_op 0
		.amdhsa_exception_fp_denorm_src 0
		.amdhsa_exception_fp_ieee_div_zero 0
		.amdhsa_exception_fp_ieee_overflow 0
		.amdhsa_exception_fp_ieee_underflow 0
		.amdhsa_exception_fp_ieee_inexact 0
		.amdhsa_exception_int_div_zero 0
	.end_amdhsa_kernel
	.section	.text._ZN4vllm3moe22topkGatingSoftplusSqrtILi4ELi4ELi4ELi16ELi64ELb0EifEEvPKT6_PKbPfiPT5_PiiiibdPKfPKS8_SE_,"axG",@progbits,_ZN4vllm3moe22topkGatingSoftplusSqrtILi4ELi4ELi4ELi16ELi64ELb0EifEEvPKT6_PKbPfiPT5_PiiiibdPKfPKS8_SE_,comdat
.Lfunc_end9:
	.size	_ZN4vllm3moe22topkGatingSoftplusSqrtILi4ELi4ELi4ELi16ELi64ELb0EifEEvPKT6_PKbPfiPT5_PiiiibdPKfPKS8_SE_, .Lfunc_end9-_ZN4vllm3moe22topkGatingSoftplusSqrtILi4ELi4ELi4ELi16ELi64ELb0EifEEvPKT6_PKbPfiPT5_PiiiibdPKfPKS8_SE_
                                        ; -- End function
	.section	.AMDGPU.csdata,"",@progbits
; Kernel info:
; codeLenInByte = 2156
; NumSgprs: 32
; NumVgprs: 12
; NumAgprs: 0
; TotalNumVgprs: 12
; ScratchSize: 0
; MemoryBound: 0
; FloatMode: 240
; IeeeMode: 1
; LDSByteSize: 4096 bytes/workgroup (compile time only)
; SGPRBlocks: 3
; VGPRBlocks: 1
; NumSGPRsForWavesPerEU: 32
; NumVGPRsForWavesPerEU: 12
; AccumOffset: 12
; Occupancy: 8
; WaveLimiterHint : 0
; COMPUTE_PGM_RSRC2:SCRATCH_EN: 0
; COMPUTE_PGM_RSRC2:USER_SGPR: 4
; COMPUTE_PGM_RSRC2:TRAP_HANDLER: 0
; COMPUTE_PGM_RSRC2:TGID_X_EN: 1
; COMPUTE_PGM_RSRC2:TGID_Y_EN: 0
; COMPUTE_PGM_RSRC2:TGID_Z_EN: 0
; COMPUTE_PGM_RSRC2:TIDIG_COMP_CNT: 2
; COMPUTE_PGM_RSRC3_GFX90A:ACCUM_OFFSET: 2
; COMPUTE_PGM_RSRC3_GFX90A:TG_SPLIT: 0
	.section	.text._ZN4vllm3moe22topkGatingSoftplusSqrtILi4ELi4ELi4ELi16ELi32ELb1EifEEvPKT6_PKbPfiPT5_PiiiibdPKfPKS8_SE_,"axG",@progbits,_ZN4vllm3moe22topkGatingSoftplusSqrtILi4ELi4ELi4ELi16ELi32ELb1EifEEvPKT6_PKbPfiPT5_PiiiibdPKfPKS8_SE_,comdat
	.protected	_ZN4vllm3moe22topkGatingSoftplusSqrtILi4ELi4ELi4ELi16ELi32ELb1EifEEvPKT6_PKbPfiPT5_PiiiibdPKfPKS8_SE_ ; -- Begin function _ZN4vllm3moe22topkGatingSoftplusSqrtILi4ELi4ELi4ELi16ELi32ELb1EifEEvPKT6_PKbPfiPT5_PiiiibdPKfPKS8_SE_
	.globl	_ZN4vllm3moe22topkGatingSoftplusSqrtILi4ELi4ELi4ELi16ELi32ELb1EifEEvPKT6_PKbPfiPT5_PiiiibdPKfPKS8_SE_
	.p2align	8
	.type	_ZN4vllm3moe22topkGatingSoftplusSqrtILi4ELi4ELi4ELi16ELi32ELb1EifEEvPKT6_PKbPfiPT5_PiiiibdPKfPKS8_SE_,@function
_ZN4vllm3moe22topkGatingSoftplusSqrtILi4ELi4ELi4ELi16ELi32ELb1EifEEvPKT6_PKbPfiPT5_PiiiibdPKfPKS8_SE_: ; @_ZN4vllm3moe22topkGatingSoftplusSqrtILi4ELi4ELi4ELi16ELi32ELb1EifEEvPKT6_PKbPfiPT5_PiiiibdPKfPKS8_SE_
; %bb.0:
	s_load_dword s5, s[2:3], 0x18
	v_bfe_u32 v4, v0, 10, 10
	v_and_b32_e32 v1, 0x3ff, v0
	s_lshl_b32 s4, s4, 7
	v_lshlrev_b32_e32 v2, 5, v4
	v_add3_u32 v2, v2, v1, s4
	s_waitcnt lgkmcnt(0)
	v_cmp_gt_i32_e32 vcc, s5, v2
	s_and_saveexec_b64 s[4:5], vcc
	s_cbranch_execz .LBB10_56
; %bb.1:
	s_load_dwordx2 s[4:5], s[2:3], 0x0
	s_load_dword s16, s[2:3], 0x30
	s_load_dwordx4 s[8:11], s[2:3], 0x50
	v_lshlrev_b32_e32 v6, 2, v2
	v_ashrrev_i32_e32 v7, 31, v6
	s_waitcnt lgkmcnt(0)
	v_lshl_add_u64 v[6:7], v[6:7], 2, s[4:5]
	global_load_dwordx4 v[6:9], v[6:7], off
	v_ashrrev_i32_e32 v3, 31, v2
	v_mov_b32_e32 v10, s8
	v_mov_b32_e32 v11, s9
	v_lshl_add_u64 v[10:11], v[2:3], 2, v[10:11]
	global_load_dword v3, v[10:11], off
	s_load_dwordx2 s[0:1], s[0:1], 0x4
	v_bfe_u32 v0, v0, 20, 10
	s_mov_b32 s6, 0x800000
	v_mov_b32_e32 v14, 0x4f800000
	s_mov_b32 s12, 0x3f317217
	s_waitcnt lgkmcnt(0)
	s_lshr_b32 s0, s0, 16
	v_mul_u32_u24_e32 v4, s1, v4
	s_mul_i32 s0, s0, s1
	v_mad_u32_u24 v1, s0, v1, v4
	v_add_lshl_u32 v10, v1, v0, 4
	s_mov_b32 s13, 0x7f800000
	v_mov_b32_e32 v15, 0x41b17218
	s_mov_b32 s9, 0x41a00000
	s_mov_b32 s14, 0xf800000
	v_mov_b32_e32 v16, 0x260
	s_cmp_gt_i32 s16, 0
	s_mov_b32 s8, 0
	v_mov_b32_e32 v11, 0
	v_mul_lo_u32 v2, v2, s16
	s_waitcnt vmcnt(1)
	v_mul_f32_e32 v0, 0x3fb8aa3b, v6
	v_mul_f32_e32 v1, 0x3fb8aa3b, v7
	v_exp_f32_e32 v4, v0
	v_exp_f32_e32 v5, v1
	v_mul_f32_e32 v12, 0x3fb8aa3b, v8
	v_mul_f32_e32 v13, 0x3fb8aa3b, v9
	v_exp_f32_e32 v12, v12
	v_exp_f32_e32 v13, v13
	v_pk_add_f32 v[4:5], v[4:5], 1.0 op_sel_hi:[1,0]
	s_waitcnt vmcnt(0)
	v_mul_lo_u32 v0, v3, s16
	v_cmp_gt_f32_e32 vcc, s6, v5
	v_pk_add_f32 v[12:13], v[12:13], 1.0 op_sel_hi:[1,0]
	v_cmp_gt_f32_e64 s[0:1], s6, v4
	v_cndmask_b32_e32 v3, 1.0, v14, vcc
	v_cmp_gt_f32_e64 s[4:5], s6, v13
	v_cndmask_b32_e64 v17, 1.0, v14, s[0:1]
	v_mul_f32_e32 v3, v5, v3
	v_cndmask_b32_e64 v18, 1.0, v14, s[4:5]
	v_mul_f32_e32 v4, v4, v17
	v_log_f32_e32 v3, v3
	v_mul_f32_e32 v13, v13, v18
	v_log_f32_e32 v4, v4
	v_cmp_gt_f32_e64 s[6:7], s6, v12
	v_log_f32_e32 v13, v13
	v_cndmask_b32_e32 v5, 0, v15, vcc
	v_cndmask_b32_e64 v14, 1.0, v14, s[6:7]
	v_mul_f32_e32 v12, v12, v14
	v_mul_f32_e32 v14, 0x3f317217, v3
	;; [unrolled: 1-line block ×3, first 2 shown]
	v_fma_f32 v14, v3, s12, -v14
	v_mul_f32_e32 v20, 0x3f317217, v13
	v_fma_f32 v19, v4, s12, -v19
	v_fmac_f32_e32 v14, 0x3377d1cf, v3
	v_fma_f32 v20, v13, s12, -v20
	v_fmac_f32_e32 v19, 0x3377d1cf, v4
	v_fmac_f32_e32 v14, 0x3f317217, v3
	v_cmp_lt_f32_e64 vcc, |v3|, s13
	v_fmac_f32_e32 v20, 0x3377d1cf, v13
	v_fmac_f32_e32 v19, 0x3f317217, v4
	v_cndmask_b32_e32 v3, v3, v14, vcc
	v_cmp_lt_f32_e64 vcc, |v4|, s13
	v_cndmask_b32_e64 v17, 0, v15, s[0:1]
	v_fmac_f32_e32 v20, 0x3f317217, v13
	v_cndmask_b32_e32 v4, v4, v19, vcc
	v_cmp_lt_f32_e64 vcc, |v13|, s13
	v_sub_f32_e32 v4, v4, v17
	v_sub_f32_e32 v3, v3, v5
	v_cndmask_b32_e32 v13, v13, v20, vcc
	v_cmp_lt_f32_e32 vcc, s9, v6
	v_cndmask_b32_e64 v18, 0, v15, s[4:5]
	v_log_f32_e32 v12, v12
	v_cndmask_b32_e32 v4, v4, v6, vcc
	v_cmp_lt_f32_e32 vcc, s9, v7
	v_mul_f32_e32 v6, 0x4f800000, v4
	v_cmp_gt_f32_e64 s[0:1], s14, v4
	v_cndmask_b32_e32 v3, v3, v7, vcc
	v_mul_f32_e32 v5, 0x4f800000, v3
	v_cmp_gt_f32_e32 vcc, s14, v3
	v_cndmask_b32_e64 v4, v4, v6, s[0:1]
	v_sqrt_f32_e32 v6, v4
	v_cndmask_b32_e32 v3, v3, v5, vcc
	v_sqrt_f32_e32 v5, v3
	v_sub_f32_e32 v7, v13, v18
	v_add_u32_e32 v17, -1, v6
	v_fma_f32 v22, -v17, v6, v4
	v_add_u32_e32 v13, -1, v5
	v_fma_f32 v19, -v13, v5, v3
	v_add_u32_e32 v14, 1, v5
	v_cmp_ge_f32_e64 s[4:5], 0, v19
	v_add_u32_e32 v18, 1, v6
	v_fma_f32 v20, -v14, v5, v3
	v_cndmask_b32_e64 v5, v5, v13, s[4:5]
	v_cmp_ge_f32_e64 s[4:5], 0, v22
	v_fma_f32 v23, -v18, v6, v4
	v_mul_f32_e32 v21, 0x3f317217, v12
	v_cndmask_b32_e64 v6, v6, v17, s[4:5]
	v_cmp_lt_f32_e64 s[4:5], 0, v20
	v_ashrrev_i32_e32 v1, 31, v0
	s_nop 0
	v_cndmask_b32_e64 v5, v5, v14, s[4:5]
	v_cmp_lt_f32_e64 s[4:5], 0, v23
	v_mul_f32_e32 v13, 0x37800000, v5
	v_cndmask_b32_e32 v5, v5, v13, vcc
	v_cndmask_b32_e64 v6, v6, v18, s[4:5]
	v_cmp_class_f32_e32 vcc, v3, v16
	v_mul_f32_e32 v14, 0x37800000, v6
	v_cndmask_b32_e64 v6, v6, v14, s[0:1]
	v_cndmask_b32_e32 v5, v5, v3, vcc
	v_fma_f32 v3, v12, s12, -v21
	v_cmp_class_f32_e32 vcc, v4, v16
	v_fmac_f32_e32 v3, 0x3377d1cf, v12
	v_fmac_f32_e32 v3, 0x3f317217, v12
	v_cndmask_b32_e32 v4, v6, v4, vcc
	v_cmp_lt_f32_e64 vcc, |v12|, s13
	v_cndmask_b32_e64 v6, 0, v15, s[6:7]
	v_cmp_lt_f32_e64 s[0:1], s9, v8
	v_cndmask_b32_e32 v3, v12, v3, vcc
	v_cmp_lt_f32_e32 vcc, s9, v9
	v_sub_f32_e32 v3, v3, v6
	v_cndmask_b32_e64 v3, v3, v8, s[0:1]
	v_cndmask_b32_e32 v7, v7, v9, vcc
	v_mul_f32_e32 v9, 0x4f800000, v7
	v_cmp_gt_f32_e32 vcc, s14, v7
	s_nop 1
	v_cndmask_b32_e32 v7, v7, v9, vcc
	v_sqrt_f32_e32 v9, v7
	s_nop 0
	v_add_u32_e32 v6, -1, v9
	v_fma_f32 v8, -v6, v9, v7
	v_cmp_ge_f32_e64 s[0:1], 0, v8
	v_add_u32_e32 v8, 1, v9
	s_nop 0
	v_cndmask_b32_e64 v6, v9, v6, s[0:1]
	v_fma_f32 v9, -v8, v9, v7
	v_cmp_lt_f32_e64 s[0:1], 0, v9
	v_mul_f32_e32 v9, 0x4f800000, v3
	s_nop 0
	v_cndmask_b32_e64 v6, v6, v8, s[0:1]
	v_cmp_gt_f32_e64 s[0:1], s14, v3
	v_mul_f32_e32 v8, 0x37800000, v6
	v_cndmask_b32_e32 v6, v6, v8, vcc
	v_cndmask_b32_e64 v3, v3, v9, s[0:1]
	v_sqrt_f32_e32 v9, v3
	v_cmp_class_f32_e32 vcc, v7, v16
	s_nop 1
	v_cndmask_b32_e32 v7, v6, v7, vcc
	v_add_u32_e32 v6, -1, v9
	v_fma_f32 v8, -v6, v9, v3
	v_cmp_ge_f32_e32 vcc, 0, v8
	v_add_u32_e32 v8, 1, v9
	s_nop 0
	v_cndmask_b32_e32 v6, v9, v6, vcc
	v_fma_f32 v9, -v8, v9, v3
	v_cmp_lt_f32_e32 vcc, 0, v9
	s_nop 1
	v_cndmask_b32_e32 v6, v6, v8, vcc
	v_mul_f32_e32 v8, 0x37800000, v6
	v_cndmask_b32_e64 v6, v6, v8, s[0:1]
	v_cmp_class_f32_e32 vcc, v3, v16
	s_cselect_b64 s[0:1], -1, 0
	s_cmp_lt_i32 s16, 1
	v_cndmask_b32_e32 v6, v6, v3, vcc
	ds_write_b128 v10, v[4:7]
	v_lshl_add_u64 v[4:5], v[0:1], 2, s[10:11]
	s_cbranch_scc1 .LBB10_29
; %bb.2:
	s_load_dwordx2 s[4:5], s[2:3], 0x20
	s_cmp_lt_u32 s16, 4
	s_cbranch_scc1 .LBB10_21
; %bb.3:
	s_mov_b32 s7, 0
	s_and_b32 s8, s16, 0x7ffffffc
	v_ashrrev_i32_e32 v3, 31, v2
	v_mov_b32_e32 v11, 0
	s_mov_b32 s6, s7
	s_branch .LBB10_5
.LBB10_4:                               ;   in Loop: Header=BB10_5 Depth=1
	s_or_b64 exec, exec, s[12:13]
	s_add_i32 s6, s6, 4
	s_cmp_eq_u32 s6, s8
	s_cbranch_scc1 .LBB10_22
.LBB10_5:                               ; =>This Loop Header: Depth=1
                                        ;     Child Loop BB10_7 Depth 2
                                        ;     Child Loop BB10_11 Depth 2
	;; [unrolled: 1-line block ×4, first 2 shown]
	v_lshl_add_u64 v[6:7], s[6:7], 2, v[4:5]
	global_load_dword v12, v[6:7], off
	v_add_u32_e32 v8, s6, v2
	v_ashrrev_i32_e32 v9, 31, v8
	s_mov_b64 s[12:13], 0
	s_waitcnt lgkmcnt(0)
	v_lshl_add_u64 v[8:9], v[8:9], 2, s[4:5]
	s_mov_b32 s9, 0
	s_waitcnt vmcnt(0)
	v_min_u32_e32 v14, 3, v12
	v_lshl_add_u32 v13, v12, 2, v10
	v_add_u32_e32 v14, 1, v14
	s_branch .LBB10_7
.LBB10_6:                               ;   in Loop: Header=BB10_7 Depth=2
	s_or_b64 exec, exec, s[14:15]
	s_add_i32 s9, s9, 1
	v_cmp_eq_u32_e32 vcc, s9, v14
	s_or_b64 s[12:13], vcc, s[12:13]
	s_andn2_b64 exec, exec, s[12:13]
	s_cbranch_execz .LBB10_9
.LBB10_7:                               ;   Parent Loop BB10_5 Depth=1
                                        ; =>  This Inner Loop Header: Depth=2
	v_cmp_eq_u32_e32 vcc, s9, v12
	s_and_saveexec_b64 s[14:15], vcc
	s_cbranch_execz .LBB10_6
; %bb.8:                                ;   in Loop: Header=BB10_7 Depth=2
	ds_read_b32 v15, v13
	global_store_dword v[8:9], v12, off
	s_waitcnt lgkmcnt(0)
	v_add_f32_e32 v11, v11, v15
	s_branch .LBB10_6
.LBB10_9:                               ;   in Loop: Header=BB10_5 Depth=1
	s_or_b64 exec, exec, s[12:13]
	global_load_dword v12, v[6:7], off offset:4
	s_ashr_i32 s13, s6, 31
	s_mov_b32 s12, s6
	v_lshl_add_u64 v[8:9], s[12:13], 0, v[2:3]
	s_mov_b32 s9, 0
	v_lshl_add_u64 v[8:9], v[8:9], 2, s[4:5]
	s_mov_b64 s[12:13], 0
	s_waitcnt vmcnt(0)
	v_min_u32_e32 v14, 3, v12
	v_lshl_add_u32 v13, v12, 2, v10
	v_add_u32_e32 v14, 1, v14
	s_branch .LBB10_11
.LBB10_10:                              ;   in Loop: Header=BB10_11 Depth=2
	s_or_b64 exec, exec, s[14:15]
	s_add_i32 s9, s9, 1
	v_cmp_eq_u32_e32 vcc, s9, v14
	s_or_b64 s[12:13], vcc, s[12:13]
	s_andn2_b64 exec, exec, s[12:13]
	s_cbranch_execz .LBB10_13
.LBB10_11:                              ;   Parent Loop BB10_5 Depth=1
                                        ; =>  This Inner Loop Header: Depth=2
	v_cmp_eq_u32_e32 vcc, s9, v12
	s_and_saveexec_b64 s[14:15], vcc
	s_cbranch_execz .LBB10_10
; %bb.12:                               ;   in Loop: Header=BB10_11 Depth=2
	ds_read_b32 v15, v13
	global_store_dword v[8:9], v12, off offset:4
	s_waitcnt lgkmcnt(0)
	v_add_f32_e32 v11, v11, v15
	s_branch .LBB10_10
.LBB10_13:                              ;   in Loop: Header=BB10_5 Depth=1
	s_or_b64 exec, exec, s[12:13]
	global_load_dword v12, v[6:7], off offset:8
	s_mov_b32 s9, 0
	s_mov_b64 s[12:13], 0
	s_waitcnt vmcnt(0)
	v_min_u32_e32 v14, 3, v12
	v_lshl_add_u32 v13, v12, 2, v10
	v_add_u32_e32 v14, 1, v14
	s_branch .LBB10_15
.LBB10_14:                              ;   in Loop: Header=BB10_15 Depth=2
	s_or_b64 exec, exec, s[14:15]
	s_add_i32 s9, s9, 1
	v_cmp_eq_u32_e32 vcc, s9, v14
	s_or_b64 s[12:13], vcc, s[12:13]
	s_andn2_b64 exec, exec, s[12:13]
	s_cbranch_execz .LBB10_17
.LBB10_15:                              ;   Parent Loop BB10_5 Depth=1
                                        ; =>  This Inner Loop Header: Depth=2
	v_cmp_eq_u32_e32 vcc, s9, v12
	s_and_saveexec_b64 s[14:15], vcc
	s_cbranch_execz .LBB10_14
; %bb.16:                               ;   in Loop: Header=BB10_15 Depth=2
	ds_read_b32 v15, v13
	global_store_dword v[8:9], v12, off offset:8
	s_waitcnt lgkmcnt(0)
	v_add_f32_e32 v11, v11, v15
	s_branch .LBB10_14
.LBB10_17:                              ;   in Loop: Header=BB10_5 Depth=1
	s_or_b64 exec, exec, s[12:13]
	global_load_dword v6, v[6:7], off offset:12
	s_mov_b32 s9, 0
	s_mov_b64 s[12:13], 0
	s_waitcnt vmcnt(0)
	v_min_u32_e32 v12, 3, v6
	v_lshl_add_u32 v7, v6, 2, v10
	v_add_u32_e32 v12, 1, v12
	s_branch .LBB10_19
.LBB10_18:                              ;   in Loop: Header=BB10_19 Depth=2
	s_or_b64 exec, exec, s[14:15]
	s_add_i32 s9, s9, 1
	v_cmp_eq_u32_e32 vcc, s9, v12
	s_or_b64 s[12:13], vcc, s[12:13]
	s_andn2_b64 exec, exec, s[12:13]
	s_cbranch_execz .LBB10_4
.LBB10_19:                              ;   Parent Loop BB10_5 Depth=1
                                        ; =>  This Inner Loop Header: Depth=2
	v_cmp_eq_u32_e32 vcc, s9, v6
	s_and_saveexec_b64 s[14:15], vcc
	s_cbranch_execz .LBB10_18
; %bb.20:                               ;   in Loop: Header=BB10_19 Depth=2
	ds_read_b32 v13, v7
	global_store_dword v[8:9], v6, off offset:12
	s_waitcnt lgkmcnt(0)
	v_add_f32_e32 v11, v11, v13
	s_branch .LBB10_18
.LBB10_21:
	v_mov_b32_e32 v11, 0
.LBB10_22:
	s_and_b32 s14, s16, 3
	s_cmp_eq_u32 s14, 0
	s_mov_b32 s9, 0
	s_cbranch_scc1 .LBB10_29
; %bb.23:
	s_mov_b32 s15, s9
	s_branch .LBB10_25
.LBB10_24:                              ;   in Loop: Header=BB10_25 Depth=1
	s_or_b64 exec, exec, s[6:7]
	s_add_i32 s8, s8, 1
	s_add_i32 s15, s15, 1
	s_cmp_lg_u32 s15, s14
	s_cbranch_scc0 .LBB10_29
.LBB10_25:                              ; =>This Loop Header: Depth=1
                                        ;     Child Loop BB10_27 Depth 2
	v_lshl_add_u64 v[6:7], s[8:9], 2, v[4:5]
	global_load_dword v3, v[6:7], off
	v_add_u32_e32 v6, s8, v2
	v_ashrrev_i32_e32 v7, 31, v6
	s_mov_b32 s17, 0
	s_waitcnt lgkmcnt(0)
	v_lshl_add_u64 v[6:7], v[6:7], 2, s[4:5]
	s_mov_b64 s[6:7], 0
	s_waitcnt vmcnt(0)
	v_min_u32_e32 v9, 3, v3
	v_lshl_add_u32 v8, v3, 2, v10
	v_add_u32_e32 v9, 1, v9
	s_branch .LBB10_27
.LBB10_26:                              ;   in Loop: Header=BB10_27 Depth=2
	s_or_b64 exec, exec, s[12:13]
	s_add_i32 s17, s17, 1
	v_cmp_eq_u32_e32 vcc, s17, v9
	s_or_b64 s[6:7], vcc, s[6:7]
	s_andn2_b64 exec, exec, s[6:7]
	s_cbranch_execz .LBB10_24
.LBB10_27:                              ;   Parent Loop BB10_25 Depth=1
                                        ; =>  This Inner Loop Header: Depth=2
	v_cmp_eq_u32_e32 vcc, s17, v3
	s_and_saveexec_b64 s[12:13], vcc
	s_cbranch_execz .LBB10_26
; %bb.28:                               ;   in Loop: Header=BB10_27 Depth=2
	ds_read_b32 v12, v8
	global_store_dword v[6:7], v3, off
	s_waitcnt lgkmcnt(0)
	v_add_f32_e32 v11, v11, v12
	s_branch .LBB10_26
.LBB10_29:
	s_load_dword s6, s[2:3], 0x3c
	s_waitcnt lgkmcnt(0)
	s_load_dwordx2 s[4:5], s[2:3], 0x40
	s_bitcmp1_b32 s6, 0
	s_cselect_b64 s[6:7], -1, 0
	s_waitcnt lgkmcnt(0)
	v_cvt_f32_f64_e32 v12, s[4:5]
	s_and_b64 vcc, exec, s[6:7]
	s_cbranch_vccz .LBB10_31
; %bb.30:
	v_cmp_lt_f32_e32 vcc, 0, v11
	s_nop 1
	v_cndmask_b32_e32 v3, 1.0, v11, vcc
	v_div_scale_f32 v6, s[4:5], v3, v3, v12
	v_rcp_f32_e32 v7, v6
	s_nop 0
	v_fma_f32 v8, -v6, v7, 1.0
	v_fmac_f32_e32 v7, v8, v7
	v_div_scale_f32 v8, vcc, v12, v3, v12
	v_mul_f32_e32 v9, v8, v7
	v_fma_f32 v11, -v6, v9, v8
	v_fmac_f32_e32 v9, v11, v7
	v_fma_f32 v6, -v6, v9, v8
	v_div_fmas_f32 v6, v6, v7, v9
	v_div_fixup_f32 v12, v6, v3, v12
.LBB10_31:
	s_andn2_b64 vcc, exec, s[0:1]
	s_cbranch_vccnz .LBB10_56
; %bb.32:
	s_load_dwordx2 s[0:1], s[2:3], 0x10
	s_cmp_lt_u32 s16, 8
	s_mov_b32 s2, 0
	s_cbranch_scc1 .LBB10_51
; %bb.33:
	v_ashrrev_i32_e32 v3, 31, v2
	s_and_b32 s2, s16, 0x7ffffff8
	s_waitcnt lgkmcnt(0)
	v_lshl_add_u64 v[6:7], v[2:3], 2, s[0:1]
	s_mov_b32 s3, 0
	s_mov_b64 s[4:5], 0
	s_branch .LBB10_35
.LBB10_34:                              ;   in Loop: Header=BB10_35 Depth=1
	s_or_b64 exec, exec, s[6:7]
	s_add_i32 s3, s3, 8
	s_add_u32 s4, s4, 32
	s_addc_u32 s5, s5, 0
	s_cmp_eq_u32 s2, s3
	s_cbranch_scc1 .LBB10_51
.LBB10_35:                              ; =>This Inner Loop Header: Depth=1
	v_lshl_add_u64 v[8:9], v[4:5], 0, s[4:5]
	global_load_dword v3, v[8:9], off
	s_waitcnt vmcnt(0)
	v_cmp_gt_u32_e32 vcc, 4, v3
	s_and_saveexec_b64 s[6:7], vcc
	s_cbranch_execz .LBB10_37
; %bb.36:                               ;   in Loop: Header=BB10_35 Depth=1
	v_lshl_add_u32 v3, v3, 2, v10
	ds_read_b32 v3, v3
	v_add_u32_e32 v14, s3, v2
	v_ashrrev_i32_e32 v15, 31, v14
	v_lshl_add_u64 v[14:15], v[14:15], 2, s[0:1]
	s_waitcnt lgkmcnt(0)
	v_mul_f32_e32 v3, v12, v3
	global_store_dword v[14:15], v3, off
.LBB10_37:                              ;   in Loop: Header=BB10_35 Depth=1
	s_or_b64 exec, exec, s[6:7]
	global_load_dword v3, v[8:9], off offset:4
	s_waitcnt vmcnt(0)
	v_cmp_gt_u32_e32 vcc, 4, v3
	s_and_saveexec_b64 s[6:7], vcc
	s_cbranch_execz .LBB10_39
; %bb.38:                               ;   in Loop: Header=BB10_35 Depth=1
	v_lshl_add_u32 v3, v3, 2, v10
	ds_read_b32 v3, v3
	v_lshl_add_u64 v[14:15], v[6:7], 0, s[4:5]
	s_waitcnt lgkmcnt(0)
	v_mul_f32_e32 v3, v12, v3
	global_store_dword v[14:15], v3, off offset:4
.LBB10_39:                              ;   in Loop: Header=BB10_35 Depth=1
	s_or_b64 exec, exec, s[6:7]
	global_load_dword v3, v[8:9], off offset:8
	s_waitcnt vmcnt(0)
	v_cmp_gt_u32_e32 vcc, 4, v3
	s_and_saveexec_b64 s[6:7], vcc
	s_cbranch_execz .LBB10_41
; %bb.40:                               ;   in Loop: Header=BB10_35 Depth=1
	v_lshl_add_u32 v3, v3, 2, v10
	ds_read_b32 v3, v3
	v_lshl_add_u64 v[14:15], v[6:7], 0, s[4:5]
	s_waitcnt lgkmcnt(0)
	v_mul_f32_e32 v3, v12, v3
	global_store_dword v[14:15], v3, off offset:8
.LBB10_41:                              ;   in Loop: Header=BB10_35 Depth=1
	;; [unrolled: 14-line block ×6, first 2 shown]
	s_or_b64 exec, exec, s[6:7]
	global_load_dword v3, v[8:9], off offset:28
	s_waitcnt vmcnt(0)
	v_cmp_gt_u32_e32 vcc, 4, v3
	s_and_saveexec_b64 s[6:7], vcc
	s_cbranch_execz .LBB10_34
; %bb.50:                               ;   in Loop: Header=BB10_35 Depth=1
	v_lshl_add_u32 v3, v3, 2, v10
	ds_read_b32 v3, v3
	v_lshl_add_u64 v[8:9], v[6:7], 0, s[4:5]
	s_waitcnt lgkmcnt(0)
	v_mul_f32_e32 v3, v12, v3
	global_store_dword v[8:9], v3, off offset:28
	s_branch .LBB10_34
.LBB10_51:
	s_and_b32 s4, s16, 7
	s_cmp_eq_u32 s4, 0
	s_mov_b32 s3, 0
	s_cbranch_scc1 .LBB10_56
; %bb.52:
	v_add_u32_e32 v2, s2, v2
	s_lshl_b64 s[2:3], s[2:3], 2
	s_add_u32 s2, s10, s2
	s_addc_u32 s3, s11, s3
	v_lshl_add_u64 v[0:1], v[0:1], 2, s[2:3]
	s_branch .LBB10_54
.LBB10_53:                              ;   in Loop: Header=BB10_54 Depth=1
	s_or_b64 exec, exec, s[2:3]
	s_add_i32 s4, s4, -1
	v_add_u32_e32 v2, 1, v2
	s_cmp_eq_u32 s4, 0
	v_lshl_add_u64 v[0:1], v[0:1], 0, 4
	s_cbranch_scc1 .LBB10_56
.LBB10_54:                              ; =>This Inner Loop Header: Depth=1
	global_load_dword v3, v[0:1], off
	s_waitcnt vmcnt(0)
	v_cmp_gt_u32_e32 vcc, 4, v3
	s_and_saveexec_b64 s[2:3], vcc
	s_cbranch_execz .LBB10_53
; %bb.55:                               ;   in Loop: Header=BB10_54 Depth=1
	v_lshl_add_u32 v3, v3, 2, v10
	ds_read_b32 v4, v3
	v_ashrrev_i32_e32 v3, 31, v2
	s_waitcnt lgkmcnt(0)
	v_mul_f32_e32 v6, v12, v4
	v_lshl_add_u64 v[4:5], v[2:3], 2, s[0:1]
	global_store_dword v[4:5], v6, off
	s_branch .LBB10_53
.LBB10_56:
	s_endpgm
	.section	.rodata,"a",@progbits
	.p2align	6, 0x0
	.amdhsa_kernel _ZN4vllm3moe22topkGatingSoftplusSqrtILi4ELi4ELi4ELi16ELi32ELb1EifEEvPKT6_PKbPfiPT5_PiiiibdPKfPKS8_SE_
		.amdhsa_group_segment_fixed_size 2048
		.amdhsa_private_segment_fixed_size 0
		.amdhsa_kernarg_size 96
		.amdhsa_user_sgpr_count 4
		.amdhsa_user_sgpr_dispatch_ptr 1
		.amdhsa_user_sgpr_queue_ptr 0
		.amdhsa_user_sgpr_kernarg_segment_ptr 1
		.amdhsa_user_sgpr_dispatch_id 0
		.amdhsa_user_sgpr_kernarg_preload_length 0
		.amdhsa_user_sgpr_kernarg_preload_offset 0
		.amdhsa_user_sgpr_private_segment_size 0
		.amdhsa_uses_dynamic_stack 0
		.amdhsa_enable_private_segment 0
		.amdhsa_system_sgpr_workgroup_id_x 1
		.amdhsa_system_sgpr_workgroup_id_y 0
		.amdhsa_system_sgpr_workgroup_id_z 0
		.amdhsa_system_sgpr_workgroup_info 0
		.amdhsa_system_vgpr_workitem_id 2
		.amdhsa_next_free_vgpr 24
		.amdhsa_next_free_sgpr 18
		.amdhsa_accum_offset 24
		.amdhsa_reserve_vcc 1
		.amdhsa_float_round_mode_32 0
		.amdhsa_float_round_mode_16_64 0
		.amdhsa_float_denorm_mode_32 3
		.amdhsa_float_denorm_mode_16_64 3
		.amdhsa_dx10_clamp 1
		.amdhsa_ieee_mode 1
		.amdhsa_fp16_overflow 0
		.amdhsa_tg_split 0
		.amdhsa_exception_fp_ieee_invalid_op 0
		.amdhsa_exception_fp_denorm_src 0
		.amdhsa_exception_fp_ieee_div_zero 0
		.amdhsa_exception_fp_ieee_overflow 0
		.amdhsa_exception_fp_ieee_underflow 0
		.amdhsa_exception_fp_ieee_inexact 0
		.amdhsa_exception_int_div_zero 0
	.end_amdhsa_kernel
	.section	.text._ZN4vllm3moe22topkGatingSoftplusSqrtILi4ELi4ELi4ELi16ELi32ELb1EifEEvPKT6_PKbPfiPT5_PiiiibdPKfPKS8_SE_,"axG",@progbits,_ZN4vllm3moe22topkGatingSoftplusSqrtILi4ELi4ELi4ELi16ELi32ELb1EifEEvPKT6_PKbPfiPT5_PiiiibdPKfPKS8_SE_,comdat
.Lfunc_end10:
	.size	_ZN4vllm3moe22topkGatingSoftplusSqrtILi4ELi4ELi4ELi16ELi32ELb1EifEEvPKT6_PKbPfiPT5_PiiiibdPKfPKS8_SE_, .Lfunc_end10-_ZN4vllm3moe22topkGatingSoftplusSqrtILi4ELi4ELi4ELi16ELi32ELb1EifEEvPKT6_PKbPfiPT5_PiiiibdPKfPKS8_SE_
                                        ; -- End function
	.section	.AMDGPU.csdata,"",@progbits
; Kernel info:
; codeLenInByte = 2800
; NumSgprs: 24
; NumVgprs: 24
; NumAgprs: 0
; TotalNumVgprs: 24
; ScratchSize: 0
; MemoryBound: 0
; FloatMode: 240
; IeeeMode: 1
; LDSByteSize: 2048 bytes/workgroup (compile time only)
; SGPRBlocks: 2
; VGPRBlocks: 2
; NumSGPRsForWavesPerEU: 24
; NumVGPRsForWavesPerEU: 24
; AccumOffset: 24
; Occupancy: 8
; WaveLimiterHint : 1
; COMPUTE_PGM_RSRC2:SCRATCH_EN: 0
; COMPUTE_PGM_RSRC2:USER_SGPR: 4
; COMPUTE_PGM_RSRC2:TRAP_HANDLER: 0
; COMPUTE_PGM_RSRC2:TGID_X_EN: 1
; COMPUTE_PGM_RSRC2:TGID_Y_EN: 0
; COMPUTE_PGM_RSRC2:TGID_Z_EN: 0
; COMPUTE_PGM_RSRC2:TIDIG_COMP_CNT: 2
; COMPUTE_PGM_RSRC3_GFX90A:ACCUM_OFFSET: 5
; COMPUTE_PGM_RSRC3_GFX90A:TG_SPLIT: 0
	.section	.text._ZN4vllm3moe22topkGatingSoftplusSqrtILi4ELi4ELi4ELi16ELi32ELb0EifEEvPKT6_PKbPfiPT5_PiiiibdPKfPKS8_SE_,"axG",@progbits,_ZN4vllm3moe22topkGatingSoftplusSqrtILi4ELi4ELi4ELi16ELi32ELb0EifEEvPKT6_PKbPfiPT5_PiiiibdPKfPKS8_SE_,comdat
	.protected	_ZN4vllm3moe22topkGatingSoftplusSqrtILi4ELi4ELi4ELi16ELi32ELb0EifEEvPKT6_PKbPfiPT5_PiiiibdPKfPKS8_SE_ ; -- Begin function _ZN4vllm3moe22topkGatingSoftplusSqrtILi4ELi4ELi4ELi16ELi32ELb0EifEEvPKT6_PKbPfiPT5_PiiiibdPKfPKS8_SE_
	.globl	_ZN4vllm3moe22topkGatingSoftplusSqrtILi4ELi4ELi4ELi16ELi32ELb0EifEEvPKT6_PKbPfiPT5_PiiiibdPKfPKS8_SE_
	.p2align	8
	.type	_ZN4vllm3moe22topkGatingSoftplusSqrtILi4ELi4ELi4ELi16ELi32ELb0EifEEvPKT6_PKbPfiPT5_PiiiibdPKfPKS8_SE_,@function
_ZN4vllm3moe22topkGatingSoftplusSqrtILi4ELi4ELi4ELi16ELi32ELb0EifEEvPKT6_PKbPfiPT5_PiiiibdPKfPKS8_SE_: ; @_ZN4vllm3moe22topkGatingSoftplusSqrtILi4ELi4ELi4ELi16ELi32ELb0EifEEvPKT6_PKbPfiPT5_PiiiibdPKfPKS8_SE_
; %bb.0:
	s_load_dword s24, s[2:3], 0x18
	v_bfe_u32 v4, v0, 10, 10
	v_and_b32_e32 v1, 0x3ff, v0
	s_lshl_b32 s4, s4, 7
	v_lshlrev_b32_e32 v2, 5, v4
	v_add3_u32 v2, v2, v1, s4
	s_waitcnt lgkmcnt(0)
	v_cmp_gt_i32_e32 vcc, s24, v2
	s_and_saveexec_b64 s[4:5], vcc
	s_cbranch_execz .LBB11_32
; %bb.1:
	s_load_dwordx4 s[4:7], s[2:3], 0x0
	s_load_dwordx2 s[20:21], s[2:3], 0x10
	s_waitcnt lgkmcnt(0)
	s_cmp_eq_u64 s[6:7], 0
	s_cbranch_scc1 .LBB11_3
; %bb.2:
	v_ashrrev_i32_e32 v3, 31, v2
	v_lshl_add_u64 v[6:7], s[6:7], 0, v[2:3]
	global_load_ubyte v3, v[6:7], off
	s_waitcnt vmcnt(0)
	v_and_b32_e32 v3, 1, v3
	v_cmp_eq_u32_e32 vcc, 1, v3
	s_xor_b64 s[6:7], vcc, -1
	s_orn2_b64 s[22:23], s[6:7], exec
	s_branch .LBB11_4
.LBB11_3:
	s_mov_b64 s[22:23], -1
.LBB11_4:
	v_lshlrev_b32_e32 v8, 2, v2
	v_mov_b32_e32 v6, s4
	v_mov_b32_e32 v7, s5
	v_ashrrev_i32_e32 v9, 31, v8
	v_lshl_add_u64 v[6:7], v[8:9], 2, v[6:7]
	global_load_dwordx4 v[6:9], v[6:7], off
	s_load_dwordx2 s[0:1], s[0:1], 0x4
	v_bfe_u32 v0, v0, 20, 10
	s_mov_b32 s15, 0x800000
	s_mov_b32 s13, 0x3f317217
	;; [unrolled: 1-line block ×3, first 2 shown]
	s_waitcnt lgkmcnt(0)
	s_lshr_b32 s0, s0, 16
	v_mul_u32_u24_e32 v3, s1, v4
	s_mul_i32 s0, s0, s1
	v_mad_u32_u24 v1, s0, v1, v3
	v_add_lshl_u32 v1, v1, v0, 4
	v_mov_b32_e32 v3, 0x4f800000
	v_mov_b32_e32 v4, 0x41b17218
	s_mov_b32 s12, 0x41a00000
	s_mov_b32 s16, 0xf800000
	s_load_dwordx4 s[8:11], s[2:3], 0x40
	s_waitcnt lgkmcnt(0)
	s_cmp_lg_u64 s[10:11], 0
	s_cselect_b64 s[6:7], -1, 0
	s_and_b64 s[0:1], exec, s[6:7]
	s_waitcnt vmcnt(0)
	ds_write_b128 v1, v[6:9]
	ds_read_b32 v5, v1
	s_waitcnt lgkmcnt(0)
	v_mul_f32_e32 v0, 0x3fb8aa3b, v5
	v_exp_f32_e32 v0, v0
	s_nop 0
	v_add_f32_e32 v0, 1.0, v0
	v_cmp_gt_f32_e32 vcc, s15, v0
	s_nop 1
	v_cndmask_b32_e32 v6, 1.0, v3, vcc
	v_mul_f32_e32 v0, v0, v6
	v_log_f32_e32 v6, v0
	v_cndmask_b32_e32 v7, 0, v4, vcc
	v_mov_b32_e32 v0, 0x260
	v_mul_f32_e32 v8, 0x3f317217, v6
	v_fma_f32 v8, v6, s13, -v8
	v_fmac_f32_e32 v8, 0x3377d1cf, v6
	v_fmac_f32_e32 v8, 0x3f317217, v6
	v_cmp_lt_f32_e64 vcc, |v6|, s14
	s_nop 1
	v_cndmask_b32_e32 v6, v6, v8, vcc
	v_sub_f32_e32 v6, v6, v7
	v_cmp_lt_f32_e32 vcc, s12, v5
	s_nop 1
	v_cndmask_b32_e32 v5, v6, v5, vcc
	v_mul_f32_e32 v6, 0x4f800000, v5
	v_cmp_gt_f32_e32 vcc, s16, v5
	s_nop 1
	v_cndmask_b32_e32 v5, v5, v6, vcc
	v_sqrt_f32_e32 v6, v5
	s_nop 0
	v_add_u32_e32 v7, -1, v6
	v_add_u32_e32 v8, 1, v6
	v_fma_f32 v9, -v7, v6, v5
	v_fma_f32 v10, -v8, v6, v5
	v_cmp_ge_f32_e64 s[4:5], 0, v9
	s_nop 1
	v_cndmask_b32_e64 v6, v6, v7, s[4:5]
	v_cmp_lt_f32_e64 s[4:5], 0, v10
	s_nop 1
	v_cndmask_b32_e64 v6, v6, v8, s[4:5]
	v_mul_f32_e32 v7, 0x37800000, v6
	v_cndmask_b32_e32 v6, v6, v7, vcc
	v_cmp_class_f32_e32 vcc, v5, v0
	s_nop 1
	v_cndmask_b32_e32 v5, v6, v5, vcc
	s_mov_b64 vcc, s[0:1]
	s_cbranch_vccz .LBB11_6
; %bb.5:
	s_load_dword s0, s[10:11], 0x0
	s_waitcnt lgkmcnt(0)
	v_add_f32_e32 v5, s0, v5
.LBB11_6:
	ds_read_b32 v6, v1 offset:4
	ds_write_b32 v1, v5
	s_waitcnt lgkmcnt(1)
	v_mul_f32_e32 v7, 0x3fb8aa3b, v6
	v_exp_f32_e32 v7, v7
	s_nop 0
	v_add_f32_e32 v7, 1.0, v7
	v_cmp_gt_f32_e32 vcc, s15, v7
	s_nop 1
	v_cndmask_b32_e32 v3, 1.0, v3, vcc
	v_mul_f32_e32 v3, v7, v3
	v_log_f32_e32 v3, v3
	v_cndmask_b32_e32 v4, 0, v4, vcc
	v_mul_f32_e32 v5, 0x3f317217, v3
	v_fma_f32 v5, v3, s13, -v5
	v_fmac_f32_e32 v5, 0x3377d1cf, v3
	v_fmac_f32_e32 v5, 0x3f317217, v3
	v_cmp_lt_f32_e64 vcc, |v3|, s14
	s_nop 1
	v_cndmask_b32_e32 v3, v3, v5, vcc
	v_sub_f32_e32 v3, v3, v4
	v_cmp_lt_f32_e32 vcc, s12, v6
	v_cndmask_b32_e64 v5, 0, 1, s[6:7]
	v_cmp_ne_u32_e64 s[0:1], 1, v5
	v_cndmask_b32_e32 v3, v3, v6, vcc
	v_mul_f32_e32 v4, 0x4f800000, v3
	v_cmp_gt_f32_e64 s[4:5], s16, v3
	s_andn2_b64 vcc, exec, s[6:7]
	s_nop 0
	v_cndmask_b32_e64 v3, v3, v4, s[4:5]
	v_sqrt_f32_e32 v4, v3
	s_nop 0
	v_add_u32_e32 v5, -1, v4
	v_add_u32_e32 v6, 1, v4
	v_fma_f32 v7, -v5, v4, v3
	v_fma_f32 v8, -v6, v4, v3
	v_cmp_ge_f32_e64 s[6:7], 0, v7
	s_nop 1
	v_cndmask_b32_e64 v4, v4, v5, s[6:7]
	v_cmp_lt_f32_e64 s[6:7], 0, v8
	s_nop 1
	v_cndmask_b32_e64 v4, v4, v6, s[6:7]
	v_mul_f32_e32 v5, 0x37800000, v4
	v_cndmask_b32_e64 v4, v4, v5, s[4:5]
	v_cmp_class_f32_e64 s[4:5], v3, v0
	s_nop 1
	v_cndmask_b32_e64 v0, v4, v3, s[4:5]
	s_cbranch_vccnz .LBB11_8
; %bb.7:
	s_load_dword s4, s[10:11], 0x4
	s_waitcnt lgkmcnt(0)
	v_add_f32_e32 v0, s4, v0
.LBB11_8:
	ds_read_b32 v5, v1 offset:8
	s_mov_b32 s12, 0x800000
	s_mov_b32 s7, 0x3f317217
	;; [unrolled: 1-line block ×4, first 2 shown]
	s_waitcnt lgkmcnt(0)
	v_mul_f32_e32 v3, 0x3fb8aa3b, v5
	v_exp_f32_e32 v4, v3
	v_mov_b32_e32 v3, 0x4f800000
	s_mov_b32 s14, 0xf800000
	ds_write_b32 v1, v0 offset:4
	v_add_f32_e32 v4, 1.0, v4
	v_cmp_gt_f32_e32 vcc, s12, v4
	s_nop 1
	v_cndmask_b32_e32 v6, 1.0, v3, vcc
	v_mul_f32_e32 v4, v4, v6
	v_log_f32_e32 v6, v4
	v_mov_b32_e32 v4, 0x41b17218
	v_cndmask_b32_e32 v7, 0, v4, vcc
	v_mul_f32_e32 v8, 0x3f317217, v6
	v_fma_f32 v8, v6, s7, -v8
	v_fmac_f32_e32 v8, 0x3377d1cf, v6
	v_fmac_f32_e32 v8, 0x3f317217, v6
	v_cmp_lt_f32_e64 vcc, |v6|, s13
	s_nop 1
	v_cndmask_b32_e32 v6, v6, v8, vcc
	v_sub_f32_e32 v6, v6, v7
	v_cmp_lt_f32_e32 vcc, s6, v5
	s_nop 1
	v_cndmask_b32_e32 v5, v6, v5, vcc
	v_mul_f32_e32 v6, 0x4f800000, v5
	v_cmp_gt_f32_e32 vcc, s14, v5
	s_nop 1
	v_cndmask_b32_e32 v5, v5, v6, vcc
	v_sqrt_f32_e32 v6, v5
	s_nop 0
	v_add_u32_e32 v0, -1, v6
	v_fma_f32 v7, -v0, v6, v5
	v_cmp_ge_f32_e64 s[4:5], 0, v7
	v_add_u32_e32 v7, 1, v6
	s_nop 0
	v_cndmask_b32_e64 v0, v6, v0, s[4:5]
	v_fma_f32 v6, -v7, v6, v5
	v_cmp_lt_f32_e64 s[4:5], 0, v6
	s_nop 1
	v_cndmask_b32_e64 v0, v0, v7, s[4:5]
	v_mul_f32_e32 v6, 0x37800000, v0
	v_cndmask_b32_e32 v6, v0, v6, vcc
	v_mov_b32_e32 v0, 0x260
	v_cmp_class_f32_e64 s[4:5], v5, v0
	s_and_b64 vcc, exec, s[0:1]
	s_nop 0
	v_cndmask_b32_e64 v5, v6, v5, s[4:5]
	s_cbranch_vccnz .LBB11_10
; %bb.9:
	s_load_dword s4, s[10:11], 0x8
	s_waitcnt lgkmcnt(0)
	v_add_f32_e32 v5, s4, v5
.LBB11_10:
	ds_read_b32 v6, v1 offset:12
	ds_write_b32 v1, v5 offset:8
	s_waitcnt lgkmcnt(1)
	v_mul_f32_e32 v7, 0x3fb8aa3b, v6
	v_exp_f32_e32 v7, v7
	s_nop 0
	v_add_f32_e32 v7, 1.0, v7
	v_cmp_gt_f32_e32 vcc, s12, v7
	s_nop 1
	v_cndmask_b32_e32 v3, 1.0, v3, vcc
	v_mul_f32_e32 v3, v7, v3
	v_log_f32_e32 v3, v3
	v_cndmask_b32_e32 v4, 0, v4, vcc
	v_mul_f32_e32 v7, 0x3f317217, v3
	v_fma_f32 v7, v3, s7, -v7
	v_fmac_f32_e32 v7, 0x3377d1cf, v3
	v_fmac_f32_e32 v7, 0x3f317217, v3
	v_cmp_lt_f32_e64 vcc, |v3|, s13
	s_nop 1
	v_cndmask_b32_e32 v3, v3, v7, vcc
	v_sub_f32_e32 v3, v3, v4
	v_cmp_lt_f32_e32 vcc, s6, v6
	s_nop 1
	v_cndmask_b32_e32 v3, v3, v6, vcc
	v_mul_f32_e32 v4, 0x4f800000, v3
	v_cmp_gt_f32_e64 s[4:5], s14, v3
	s_and_b64 vcc, exec, s[0:1]
	s_nop 0
	v_cndmask_b32_e64 v3, v3, v4, s[4:5]
	v_sqrt_f32_e32 v4, v3
	s_nop 0
	v_add_u32_e32 v5, -1, v4
	v_add_u32_e32 v6, 1, v4
	v_fma_f32 v7, -v5, v4, v3
	v_fma_f32 v8, -v6, v4, v3
	v_cmp_ge_f32_e64 s[6:7], 0, v7
	s_nop 1
	v_cndmask_b32_e64 v4, v4, v5, s[6:7]
	v_cmp_lt_f32_e64 s[6:7], 0, v8
	s_nop 1
	v_cndmask_b32_e64 v4, v4, v6, s[6:7]
	v_mul_f32_e32 v5, 0x37800000, v4
	v_cndmask_b32_e64 v4, v4, v5, s[4:5]
	v_cmp_class_f32_e64 s[4:5], v3, v0
	s_nop 1
	v_cndmask_b32_e64 v0, v4, v3, s[4:5]
	s_cbranch_vccnz .LBB11_12
; %bb.11:
	s_load_dword s4, s[10:11], 0xc
	s_waitcnt lgkmcnt(0)
	v_add_f32_e32 v0, s4, v0
.LBB11_12:
	s_load_dwordx4 s[12:15], s[2:3], 0x30
	ds_write_b32 v1, v0 offset:12
	s_mov_b32 s25, 0
	s_waitcnt lgkmcnt(0)
	s_bitcmp1_b32 s15, 0
	s_cselect_b64 s[4:5], -1, 0
	s_cmp_gt_i32 s12, 0
	s_cselect_b64 s[6:7], -1, 0
	s_and_b64 vcc, exec, s[6:7]
	v_mul_lo_u32 v0, v2, s12
	s_cbranch_vccz .LBB11_19
; %bb.13:
	s_load_dwordx4 s[16:19], s[2:3], 0x20
	v_mov_b32_e32 v3, 0
	v_mov_b32_e32 v4, 0xc61c4000
	s_branch .LBB11_15
.LBB11_14:                              ;   in Loop: Header=BB11_15 Depth=1
	v_add_f32_e32 v5, v3, v6
	v_cndmask_b32_e64 v3, v3, v5, s[4:5]
	s_cmp_lg_u32 s12, s25
	v_add_u32_e32 v2, s24, v2
	s_cbranch_scc0 .LBB11_20
.LBB11_15:                              ; =>This Inner Loop Header: Depth=1
	ds_read_b128 v[6:9], v1
	s_waitcnt lgkmcnt(0)
	v_cmp_gt_f32_e32 vcc, v7, v6
	s_nop 1
	v_cndmask_b32_e32 v6, v6, v7, vcc
	v_cndmask_b32_e64 v5, 0, 1, vcc
	v_cmp_gt_f32_e32 vcc, v8, v6
	s_nop 1
	v_cndmask_b32_e32 v6, v6, v8, vcc
	v_cndmask_b32_e64 v5, v5, 2, vcc
	v_cmp_gt_f32_e64 s[2:3], v9, v6
	s_and_b64 vcc, exec, s[0:1]
	s_nop 0
	v_cndmask_b32_e64 v5, v5, 3, s[2:3]
	v_cndmask_b32_e64 v6, v6, v9, s[2:3]
	s_cbranch_vccnz .LBB11_17
; %bb.16:                               ;   in Loop: Header=BB11_15 Depth=1
	v_lshlrev_b32_e32 v7, 2, v5
	global_load_dword v7, v7, s[10:11]
	s_waitcnt vmcnt(0)
	v_sub_f32_e32 v6, v6, v7
.LBB11_17:                              ;   in Loop: Header=BB11_15 Depth=1
	v_add_u32_e32 v8, s25, v0
	v_cmp_le_i32_e32 vcc, s13, v5
	v_cmp_gt_i32_e64 s[2:3], s14, v5
	v_ashrrev_i32_e32 v9, 31, v8
	s_and_b64 s[2:3], vcc, s[2:3]
	v_lshlrev_b64 v[8:9], 2, v[8:9]
	v_lshl_add_u64 v[10:11], s[20:21], 0, v[8:9]
	v_subrev_u32_e32 v7, s13, v5
	s_and_b64 vcc, s[22:23], s[2:3]
	s_add_i32 s25, s25, 1
	global_store_dword v[10:11], v6, off
	v_cndmask_b32_e32 v7, 4, v7, vcc
	v_lshl_add_u64 v[10:11], s[16:17], 0, v[8:9]
	v_lshl_add_u64 v[8:9], s[18:19], 0, v[8:9]
	s_cmp_ge_i32 s25, s12
	global_store_dword v[10:11], v7, off
	global_store_dword v[8:9], v2, off
	s_cbranch_scc1 .LBB11_14
; %bb.18:                               ;   in Loop: Header=BB11_15 Depth=1
	v_lshl_add_u32 v5, v5, 2, v1
	ds_write_b32 v5, v4
	s_branch .LBB11_14
.LBB11_19:
	v_mov_b32_e32 v3, 0
.LBB11_20:
	s_andn2_b64 vcc, exec, s[4:5]
	v_cvt_f32_f64_e32 v2, s[8:9]
	s_cbranch_vccnz .LBB11_22
; %bb.21:
	v_cmp_lt_f32_e32 vcc, 0, v3
	s_nop 1
	v_cndmask_b32_e32 v1, 1.0, v3, vcc
	v_div_scale_f32 v3, s[0:1], v1, v1, v2
	v_rcp_f32_e32 v4, v3
	s_nop 0
	v_fma_f32 v5, -v3, v4, 1.0
	v_fmac_f32_e32 v4, v5, v4
	v_div_scale_f32 v5, vcc, v2, v1, v2
	v_mul_f32_e32 v6, v5, v4
	v_fma_f32 v7, -v3, v6, v5
	v_fmac_f32_e32 v6, v7, v4
	v_fma_f32 v3, -v3, v6, v5
	v_div_fmas_f32 v3, v3, v4, v6
	v_div_fixup_f32 v2, v3, v1, v2
.LBB11_22:
	s_andn2_b64 vcc, exec, s[6:7]
	s_cbranch_vccnz .LBB11_32
; %bb.23:
	s_cmp_gt_u32 s12, 3
	v_ashrrev_i32_e32 v1, 31, v0
	s_cbranch_scc0 .LBB11_27
; %bb.24:
	s_and_b32 s0, s12, 0x7ffffffc
	v_lshl_add_u64 v[4:5], v[0:1], 2, s[20:21]
	v_mov_b32_e32 v3, v2
	v_lshl_add_u64 v[4:5], v[4:5], 0, 8
	s_mov_b32 s1, s0
.LBB11_25:                              ; =>This Inner Loop Header: Depth=1
	global_load_dwordx4 v[6:9], v[4:5], off offset:-8
	s_add_i32 s1, s1, -4
	s_cmp_lg_u32 s1, 0
	s_waitcnt vmcnt(0)
	v_pk_mul_f32 v[6:7], v[2:3], v[6:7]
	v_pk_mul_f32 v[8:9], v[2:3], v[8:9]
	global_store_dwordx4 v[4:5], v[6:9], off offset:-8
	v_lshl_add_u64 v[4:5], v[4:5], 0, 16
	s_cbranch_scc1 .LBB11_25
; %bb.26:
	s_cmp_lg_u32 s0, s12
	s_cselect_b64 s[2:3], -1, 0
	s_branch .LBB11_29
.LBB11_27:
	s_mov_b64 s[2:3], 0
                                        ; implicit-def: $sgpr0
	s_cbranch_execz .LBB11_29
; %bb.28:
	s_mov_b64 s[2:3], -1
	s_mov_b32 s0, 0
.LBB11_29:
	s_andn2_b64 vcc, exec, s[2:3]
	s_cbranch_vccnz .LBB11_32
; %bb.30:
	s_mov_b32 s1, 0
	v_lshl_add_u64 v[0:1], v[0:1], 0, s[0:1]
	s_sub_i32 s2, s12, s0
	v_lshl_add_u64 v[0:1], v[0:1], 2, s[20:21]
.LBB11_31:                              ; =>This Inner Loop Header: Depth=1
	global_load_dword v3, v[0:1], off
	s_add_i32 s2, s2, -1
	s_cmp_lg_u32 s2, 0
	s_waitcnt vmcnt(0)
	v_mul_f32_e32 v3, v2, v3
	global_store_dword v[0:1], v3, off
	v_lshl_add_u64 v[0:1], v[0:1], 0, 4
	s_cbranch_scc1 .LBB11_31
.LBB11_32:
	s_endpgm
	.section	.rodata,"a",@progbits
	.p2align	6, 0x0
	.amdhsa_kernel _ZN4vllm3moe22topkGatingSoftplusSqrtILi4ELi4ELi4ELi16ELi32ELb0EifEEvPKT6_PKbPfiPT5_PiiiibdPKfPKS8_SE_
		.amdhsa_group_segment_fixed_size 2048
		.amdhsa_private_segment_fixed_size 0
		.amdhsa_kernarg_size 96
		.amdhsa_user_sgpr_count 4
		.amdhsa_user_sgpr_dispatch_ptr 1
		.amdhsa_user_sgpr_queue_ptr 0
		.amdhsa_user_sgpr_kernarg_segment_ptr 1
		.amdhsa_user_sgpr_dispatch_id 0
		.amdhsa_user_sgpr_kernarg_preload_length 0
		.amdhsa_user_sgpr_kernarg_preload_offset 0
		.amdhsa_user_sgpr_private_segment_size 0
		.amdhsa_uses_dynamic_stack 0
		.amdhsa_enable_private_segment 0
		.amdhsa_system_sgpr_workgroup_id_x 1
		.amdhsa_system_sgpr_workgroup_id_y 0
		.amdhsa_system_sgpr_workgroup_id_z 0
		.amdhsa_system_sgpr_workgroup_info 0
		.amdhsa_system_vgpr_workitem_id 2
		.amdhsa_next_free_vgpr 12
		.amdhsa_next_free_sgpr 26
		.amdhsa_accum_offset 12
		.amdhsa_reserve_vcc 1
		.amdhsa_float_round_mode_32 0
		.amdhsa_float_round_mode_16_64 0
		.amdhsa_float_denorm_mode_32 3
		.amdhsa_float_denorm_mode_16_64 3
		.amdhsa_dx10_clamp 1
		.amdhsa_ieee_mode 1
		.amdhsa_fp16_overflow 0
		.amdhsa_tg_split 0
		.amdhsa_exception_fp_ieee_invalid_op 0
		.amdhsa_exception_fp_denorm_src 0
		.amdhsa_exception_fp_ieee_div_zero 0
		.amdhsa_exception_fp_ieee_overflow 0
		.amdhsa_exception_fp_ieee_underflow 0
		.amdhsa_exception_fp_ieee_inexact 0
		.amdhsa_exception_int_div_zero 0
	.end_amdhsa_kernel
	.section	.text._ZN4vllm3moe22topkGatingSoftplusSqrtILi4ELi4ELi4ELi16ELi32ELb0EifEEvPKT6_PKbPfiPT5_PiiiibdPKfPKS8_SE_,"axG",@progbits,_ZN4vllm3moe22topkGatingSoftplusSqrtILi4ELi4ELi4ELi16ELi32ELb0EifEEvPKT6_PKbPfiPT5_PiiiibdPKfPKS8_SE_,comdat
.Lfunc_end11:
	.size	_ZN4vllm3moe22topkGatingSoftplusSqrtILi4ELi4ELi4ELi16ELi32ELb0EifEEvPKT6_PKbPfiPT5_PiiiibdPKfPKS8_SE_, .Lfunc_end11-_ZN4vllm3moe22topkGatingSoftplusSqrtILi4ELi4ELi4ELi16ELi32ELb0EifEEvPKT6_PKbPfiPT5_PiiiibdPKfPKS8_SE_
                                        ; -- End function
	.section	.AMDGPU.csdata,"",@progbits
; Kernel info:
; codeLenInByte = 2152
; NumSgprs: 32
; NumVgprs: 12
; NumAgprs: 0
; TotalNumVgprs: 12
; ScratchSize: 0
; MemoryBound: 0
; FloatMode: 240
; IeeeMode: 1
; LDSByteSize: 2048 bytes/workgroup (compile time only)
; SGPRBlocks: 3
; VGPRBlocks: 1
; NumSGPRsForWavesPerEU: 32
; NumVGPRsForWavesPerEU: 12
; AccumOffset: 12
; Occupancy: 8
; WaveLimiterHint : 0
; COMPUTE_PGM_RSRC2:SCRATCH_EN: 0
; COMPUTE_PGM_RSRC2:USER_SGPR: 4
; COMPUTE_PGM_RSRC2:TRAP_HANDLER: 0
; COMPUTE_PGM_RSRC2:TGID_X_EN: 1
; COMPUTE_PGM_RSRC2:TGID_Y_EN: 0
; COMPUTE_PGM_RSRC2:TGID_Z_EN: 0
; COMPUTE_PGM_RSRC2:TIDIG_COMP_CNT: 2
; COMPUTE_PGM_RSRC3_GFX90A:ACCUM_OFFSET: 2
; COMPUTE_PGM_RSRC3_GFX90A:TG_SPLIT: 0
	.section	.text._ZN4vllm3moe22topkGatingSoftplusSqrtILi4ELi8ELi4ELi16ELi64ELb1EifEEvPKT6_PKbPfiPT5_PiiiibdPKfPKS8_SE_,"axG",@progbits,_ZN4vllm3moe22topkGatingSoftplusSqrtILi4ELi8ELi4ELi16ELi64ELb1EifEEvPKT6_PKbPfiPT5_PiiiibdPKfPKS8_SE_,comdat
	.protected	_ZN4vllm3moe22topkGatingSoftplusSqrtILi4ELi8ELi4ELi16ELi64ELb1EifEEvPKT6_PKbPfiPT5_PiiiibdPKfPKS8_SE_ ; -- Begin function _ZN4vllm3moe22topkGatingSoftplusSqrtILi4ELi8ELi4ELi16ELi64ELb1EifEEvPKT6_PKbPfiPT5_PiiiibdPKfPKS8_SE_
	.globl	_ZN4vllm3moe22topkGatingSoftplusSqrtILi4ELi8ELi4ELi16ELi64ELb1EifEEvPKT6_PKbPfiPT5_PiiiibdPKfPKS8_SE_
	.p2align	8
	.type	_ZN4vllm3moe22topkGatingSoftplusSqrtILi4ELi8ELi4ELi16ELi64ELb1EifEEvPKT6_PKbPfiPT5_PiiiibdPKfPKS8_SE_,@function
_ZN4vllm3moe22topkGatingSoftplusSqrtILi4ELi8ELi4ELi16ELi64ELb1EifEEvPKT6_PKbPfiPT5_PiiiibdPKfPKS8_SE_: ; @_ZN4vllm3moe22topkGatingSoftplusSqrtILi4ELi8ELi4ELi16ELi64ELb1EifEEvPKT6_PKbPfiPT5_PiiiibdPKfPKS8_SE_
; %bb.0:
	s_load_dword s3, s[0:1], 0x18
	v_bfe_u32 v1, v0, 10, 10
	v_and_b32_e32 v8, 0x3ff, v0
	s_lshl_b32 s2, s2, 7
	v_lshlrev_b32_e32 v1, 5, v1
	v_lshrrev_b32_e32 v0, 1, v8
	v_add3_u32 v2, s2, v1, v0
	s_waitcnt lgkmcnt(0)
	v_cmp_gt_i32_e32 vcc, s3, v2
	s_and_saveexec_b64 s[2:3], vcc
	s_cbranch_execz .LBB12_79
; %bb.1:
	s_load_dwordx2 s[2:3], s[0:1], 0x0
	s_load_dword s20, s[0:1], 0x30
	s_load_dwordx4 s[8:11], s[0:1], 0x50
	v_lshlrev_b32_e32 v0, 3, v2
	v_lshlrev_b32_e32 v3, 2, v8
	v_ashrrev_i32_e32 v1, 31, v0
	v_and_b32_e32 v12, 4, v3
	s_waitcnt lgkmcnt(0)
	v_lshl_add_u64 v[0:1], v[0:1], 2, s[2:3]
	v_lshlrev_b32_e32 v6, 2, v12
	v_mov_b32_e32 v7, 0
	v_lshl_add_u64 v[0:1], v[0:1], 0, v[6:7]
	global_load_dwordx4 v[14:17], v[0:1], off
	v_mov_b32_e32 v0, s8
	v_mov_b32_e32 v1, s9
	v_ashrrev_i32_e32 v3, 31, v2
	v_lshl_add_u64 v[0:1], v[2:3], 2, v[0:1]
	global_load_dword v0, v[0:1], off
	s_mov_b32 s6, 0x800000
	v_mov_b32_e32 v3, 0x4f800000
	s_mov_b32 s12, 0x3f317217
	s_mov_b32 s13, 0x7f800000
	v_mov_b32_e32 v6, 0x41b17218
	s_mov_b32 s9, 0x41a00000
	s_mov_b32 s14, 0xf800000
	v_mov_b32_e32 v9, 0x260
	s_cmp_gt_i32 s20, 0
	s_mov_b32 s8, 0
	v_mul_lo_u32 v2, v2, s20
	s_waitcnt vmcnt(1)
	v_mul_f32_e32 v1, 0x3fb8aa3b, v14
	v_mul_f32_e32 v5, 0x3fb8aa3b, v15
	v_exp_f32_e32 v4, v1
	v_exp_f32_e32 v5, v5
	v_mul_f32_e32 v10, 0x3fb8aa3b, v16
	v_mul_f32_e32 v11, 0x3fb8aa3b, v17
	v_exp_f32_e32 v10, v10
	v_exp_f32_e32 v11, v11
	v_pk_add_f32 v[4:5], v[4:5], 1.0 op_sel_hi:[1,0]
	s_waitcnt vmcnt(0)
	v_mul_lo_u32 v0, v0, s20
	v_cmp_gt_f32_e32 vcc, s6, v5
	v_pk_add_f32 v[10:11], v[10:11], 1.0 op_sel_hi:[1,0]
	v_cmp_gt_f32_e64 s[2:3], s6, v4
	v_cndmask_b32_e32 v13, 1.0, v3, vcc
	v_cmp_gt_f32_e64 s[4:5], s6, v11
	v_cndmask_b32_e64 v18, 1.0, v3, s[2:3]
	v_mul_f32_e32 v5, v5, v13
	v_cndmask_b32_e64 v19, 1.0, v3, s[4:5]
	v_cmp_gt_f32_e64 s[6:7], s6, v10
	v_mul_f32_e32 v4, v4, v18
	v_log_f32_e32 v5, v5
	v_cndmask_b32_e64 v3, 1.0, v3, s[6:7]
	v_mul_f32_e32 v11, v11, v19
	v_log_f32_e32 v4, v4
	v_mul_f32_e32 v3, v10, v3
	v_log_f32_e32 v10, v11
	v_mul_f32_e32 v11, 0x3f317217, v5
	v_mul_f32_e32 v20, 0x3f317217, v4
	v_fma_f32 v11, v5, s12, -v11
	v_mul_f32_e32 v21, 0x3f317217, v10
	v_fma_f32 v20, v4, s12, -v20
	v_fmac_f32_e32 v11, 0x3377d1cf, v5
	v_cndmask_b32_e32 v13, 0, v6, vcc
	v_fma_f32 v21, v10, s12, -v21
	v_fmac_f32_e32 v20, 0x3377d1cf, v4
	v_fmac_f32_e32 v11, 0x3f317217, v5
	v_cmp_lt_f32_e64 vcc, |v5|, s13
	v_fmac_f32_e32 v21, 0x3377d1cf, v10
	v_fmac_f32_e32 v20, 0x3f317217, v4
	v_cndmask_b32_e32 v5, v5, v11, vcc
	v_cmp_lt_f32_e64 vcc, |v4|, s13
	v_cndmask_b32_e64 v18, 0, v6, s[2:3]
	v_fmac_f32_e32 v21, 0x3f317217, v10
	v_cndmask_b32_e32 v4, v4, v20, vcc
	v_cmp_lt_f32_e64 vcc, |v10|, s13
	v_sub_f32_e32 v4, v4, v18
	v_sub_f32_e32 v5, v5, v13
	v_cndmask_b32_e32 v10, v10, v21, vcc
	v_cmp_lt_f32_e32 vcc, s9, v14
	v_cndmask_b32_e64 v19, 0, v6, s[4:5]
	v_log_f32_e32 v3, v3
	v_cndmask_b32_e32 v4, v4, v14, vcc
	v_cmp_lt_f32_e32 vcc, s9, v15
	v_mul_f32_e32 v13, 0x4f800000, v4
	v_cmp_gt_f32_e64 s[2:3], s14, v4
	v_cndmask_b32_e32 v5, v5, v15, vcc
	v_mul_f32_e32 v11, 0x4f800000, v5
	v_cmp_gt_f32_e32 vcc, s14, v5
	v_cndmask_b32_e64 v4, v4, v13, s[2:3]
	v_sqrt_f32_e32 v13, v4
	v_cndmask_b32_e32 v5, v5, v11, vcc
	v_sqrt_f32_e32 v11, v5
	v_sub_f32_e32 v10, v10, v19
	v_add_u32_e32 v18, -1, v13
	v_fma_f32 v23, -v18, v13, v4
	v_add_u32_e32 v14, -1, v11
	v_fma_f32 v20, -v14, v11, v5
	v_add_u32_e32 v15, 1, v11
	v_cmp_ge_f32_e64 s[4:5], 0, v20
	v_add_u32_e32 v19, 1, v13
	v_fma_f32 v21, -v15, v11, v5
	v_cndmask_b32_e64 v11, v11, v14, s[4:5]
	v_cmp_ge_f32_e64 s[4:5], 0, v23
	v_fma_f32 v24, -v19, v13, v4
	v_mul_f32_e32 v22, 0x3f317217, v3
	v_cndmask_b32_e64 v13, v13, v18, s[4:5]
	v_cmp_lt_f32_e64 s[4:5], 0, v21
	v_fma_f32 v22, v3, s12, -v22
	v_fmac_f32_e32 v22, 0x3377d1cf, v3
	v_cndmask_b32_e64 v11, v11, v15, s[4:5]
	v_cmp_lt_f32_e64 s[4:5], 0, v24
	v_mul_f32_e32 v14, 0x37800000, v11
	v_cndmask_b32_e32 v11, v11, v14, vcc
	v_cndmask_b32_e64 v13, v13, v19, s[4:5]
	v_mul_f32_e32 v15, 0x37800000, v13
	v_cmp_class_f32_e32 vcc, v5, v9
	v_cndmask_b32_e64 v13, v13, v15, s[2:3]
	v_fmac_f32_e32 v22, 0x3f317217, v3
	v_cndmask_b32_e32 v15, v11, v5, vcc
	v_cmp_class_f32_e32 vcc, v4, v9
	v_cmp_lt_f32_e64 s[2:3], s9, v16
	v_ashrrev_i32_e32 v1, 31, v0
	v_cndmask_b32_e32 v14, v13, v4, vcc
	v_cmp_lt_f32_e64 vcc, |v3|, s13
	v_cndmask_b32_e64 v4, 0, v6, s[6:7]
	s_cselect_b64 s[4:5], -1, 0
	v_cndmask_b32_e32 v3, v3, v22, vcc
	v_cmp_lt_f32_e32 vcc, s9, v17
	v_sub_f32_e32 v3, v3, v4
	v_cndmask_b32_e64 v3, v3, v16, s[2:3]
	v_cndmask_b32_e32 v5, v10, v17, vcc
	v_mul_f32_e32 v6, 0x4f800000, v5
	v_cmp_gt_f32_e32 vcc, s14, v5
	s_cmp_lt_i32 s20, 1
	s_nop 0
	v_cndmask_b32_e32 v5, v5, v6, vcc
	v_sqrt_f32_e32 v6, v5
	s_nop 0
	v_add_u32_e32 v4, -1, v6
	v_fma_f32 v10, -v4, v6, v5
	v_cmp_ge_f32_e64 s[2:3], 0, v10
	v_add_u32_e32 v10, 1, v6
	s_nop 0
	v_cndmask_b32_e64 v4, v6, v4, s[2:3]
	v_fma_f32 v6, -v10, v6, v5
	v_cmp_lt_f32_e64 s[2:3], 0, v6
	s_nop 1
	v_cndmask_b32_e64 v4, v4, v10, s[2:3]
	v_mul_f32_e32 v10, 0x4f800000, v3
	v_cmp_gt_f32_e64 s[2:3], s14, v3
	v_mul_f32_e32 v6, 0x37800000, v4
	v_cndmask_b32_e32 v4, v4, v6, vcc
	v_cndmask_b32_e64 v3, v3, v10, s[2:3]
	v_sqrt_f32_e32 v10, v3
	v_cmp_class_f32_e32 vcc, v5, v9
	s_nop 1
	v_cndmask_b32_e32 v17, v4, v5, vcc
	v_add_u32_e32 v4, -1, v10
	v_fma_f32 v5, -v4, v10, v3
	v_cmp_ge_f32_e32 vcc, 0, v5
	v_add_u32_e32 v5, 1, v10
	v_fma_f32 v6, -v5, v10, v3
	v_cndmask_b32_e32 v4, v10, v4, vcc
	v_cmp_lt_f32_e32 vcc, 0, v6
	s_nop 1
	v_cndmask_b32_e32 v4, v4, v5, vcc
	v_mul_f32_e32 v5, 0x37800000, v4
	v_cndmask_b32_e64 v4, v4, v5, s[2:3]
	v_cmp_class_f32_e32 vcc, v3, v9
	s_nop 1
	v_cndmask_b32_e32 v16, v4, v3, vcc
	v_lshl_add_u64 v[4:5], v[0:1], 2, s[10:11]
	scratch_store_dwordx4 off, v[14:17], off
	s_cbranch_scc1 .LBB12_28
; %bb.2:
	s_load_dwordx2 s[6:7], s[0:1], 0x20
	s_cmp_lt_u32 s20, 4
	v_and_b32_e32 v6, 1, v8
	s_cbranch_scc1 .LBB12_21
; %bb.3:
	v_lshlrev_b32_e32 v7, 2, v6
	s_mov_b32 s13, 0
	s_and_b32 s8, s20, 0x7ffffffc
	v_ashrrev_i32_e32 v3, 31, v2
	v_sub_u32_e32 v13, 0, v7
	v_mov_b32_e32 v7, 0
	s_mov_b32 s12, s13
	s_branch .LBB12_5
.LBB12_4:                               ;   in Loop: Header=BB12_5 Depth=1
	s_or_b64 exec, exec, s[14:15]
	s_add_i32 s12, s12, 4
	s_cmp_eq_u32 s12, s8
	s_cbranch_scc1 .LBB12_21
.LBB12_5:                               ; =>This Loop Header: Depth=1
                                        ;     Child Loop BB12_7 Depth 2
                                        ;     Child Loop BB12_11 Depth 2
	;; [unrolled: 1-line block ×4, first 2 shown]
	v_lshl_add_u64 v[8:9], s[12:13], 2, v[4:5]
	global_load_dword v14, v[8:9], off
	v_add_u32_e32 v10, s12, v2
	v_ashrrev_i32_e32 v11, 31, v10
	v_mov_b32_e32 v15, 0
	s_mov_b64 s[14:15], 0
	s_waitcnt lgkmcnt(0)
	v_lshl_add_u64 v[10:11], v[10:11], 2, s[6:7]
	s_mov_b32 s9, 0
	s_waitcnt vmcnt(0)
	v_add_u32_e32 v16, v13, v14
	s_branch .LBB12_7
.LBB12_6:                               ;   in Loop: Header=BB12_7 Depth=2
	s_or_b64 exec, exec, s[16:17]
	s_add_i32 s18, s9, 1
	s_cmp_gt_u32 s9, 2
	s_cselect_b64 s[2:3], -1, 0
	s_xor_b64 s[16:17], vcc, -1
	s_or_b64 s[2:3], s[16:17], s[2:3]
	s_and_b64 s[2:3], exec, s[2:3]
	v_add_u32_e32 v15, 4, v15
	s_or_b64 s[14:15], s[2:3], s[14:15]
	s_mov_b32 s9, s18
	s_andn2_b64 exec, exec, s[14:15]
	s_cbranch_execz .LBB12_9
.LBB12_7:                               ;   Parent Loop BB12_5 Depth=1
                                        ; =>  This Inner Loop Header: Depth=2
	v_cmp_ne_u32_e32 vcc, s9, v16
	v_cmp_eq_u32_e64 s[2:3], s9, v16
	s_and_saveexec_b64 s[16:17], s[2:3]
	s_cbranch_execz .LBB12_6
; %bb.8:                                ;   in Loop: Header=BB12_7 Depth=2
	scratch_load_dword v17, v15, off
	s_waitcnt vmcnt(0)
	v_add_f32_e32 v7, v7, v17
	global_store_dword v[10:11], v14, off
	s_branch .LBB12_6
.LBB12_9:                               ;   in Loop: Header=BB12_5 Depth=1
	s_or_b64 exec, exec, s[14:15]
	global_load_dword v14, v[8:9], off offset:4
	s_ashr_i32 s3, s12, 31
	s_mov_b32 s2, s12
	v_lshl_add_u64 v[10:11], s[2:3], 0, v[2:3]
	v_mov_b32_e32 v15, 0
	s_mov_b32 s9, 0
	v_lshl_add_u64 v[10:11], v[10:11], 2, s[6:7]
	s_mov_b64 s[14:15], 0
	s_waitcnt vmcnt(0)
	v_add_u32_e32 v16, v13, v14
	s_branch .LBB12_11
.LBB12_10:                              ;   in Loop: Header=BB12_11 Depth=2
	s_or_b64 exec, exec, s[16:17]
	s_add_i32 s18, s9, 1
	s_cmp_gt_u32 s9, 2
	s_cselect_b64 s[2:3], -1, 0
	s_xor_b64 s[16:17], vcc, -1
	s_or_b64 s[2:3], s[16:17], s[2:3]
	s_and_b64 s[2:3], exec, s[2:3]
	v_add_u32_e32 v15, 4, v15
	s_or_b64 s[14:15], s[2:3], s[14:15]
	s_mov_b32 s9, s18
	s_andn2_b64 exec, exec, s[14:15]
	s_cbranch_execz .LBB12_13
.LBB12_11:                              ;   Parent Loop BB12_5 Depth=1
                                        ; =>  This Inner Loop Header: Depth=2
	v_cmp_ne_u32_e32 vcc, s9, v16
	v_cmp_eq_u32_e64 s[2:3], s9, v16
	s_and_saveexec_b64 s[16:17], s[2:3]
	s_cbranch_execz .LBB12_10
; %bb.12:                               ;   in Loop: Header=BB12_11 Depth=2
	scratch_load_dword v17, v15, off
	s_waitcnt vmcnt(0)
	v_add_f32_e32 v7, v7, v17
	global_store_dword v[10:11], v14, off offset:4
	s_branch .LBB12_10
.LBB12_13:                              ;   in Loop: Header=BB12_5 Depth=1
	s_or_b64 exec, exec, s[14:15]
	global_load_dword v14, v[8:9], off offset:8
	v_mov_b32_e32 v15, 0
	s_mov_b32 s9, 0
	s_mov_b64 s[14:15], 0
	s_waitcnt vmcnt(0)
	v_add_u32_e32 v16, v13, v14
	s_branch .LBB12_15
.LBB12_14:                              ;   in Loop: Header=BB12_15 Depth=2
	s_or_b64 exec, exec, s[16:17]
	s_add_i32 s18, s9, 1
	s_cmp_gt_u32 s9, 2
	s_cselect_b64 s[2:3], -1, 0
	s_xor_b64 s[16:17], vcc, -1
	s_or_b64 s[2:3], s[16:17], s[2:3]
	s_and_b64 s[2:3], exec, s[2:3]
	v_add_u32_e32 v15, 4, v15
	s_or_b64 s[14:15], s[2:3], s[14:15]
	s_mov_b32 s9, s18
	s_andn2_b64 exec, exec, s[14:15]
	s_cbranch_execz .LBB12_17
.LBB12_15:                              ;   Parent Loop BB12_5 Depth=1
                                        ; =>  This Inner Loop Header: Depth=2
	v_cmp_ne_u32_e32 vcc, s9, v16
	v_cmp_eq_u32_e64 s[2:3], s9, v16
	s_and_saveexec_b64 s[16:17], s[2:3]
	s_cbranch_execz .LBB12_14
; %bb.16:                               ;   in Loop: Header=BB12_15 Depth=2
	scratch_load_dword v17, v15, off
	s_waitcnt vmcnt(0)
	v_add_f32_e32 v7, v7, v17
	global_store_dword v[10:11], v14, off offset:8
	s_branch .LBB12_14
.LBB12_17:                              ;   in Loop: Header=BB12_5 Depth=1
	s_or_b64 exec, exec, s[14:15]
	global_load_dword v8, v[8:9], off offset:12
	v_mov_b32_e32 v9, 0
	s_mov_b32 s9, 0
	s_mov_b64 s[14:15], 0
	s_waitcnt vmcnt(0)
	v_add_u32_e32 v14, v13, v8
	s_branch .LBB12_19
.LBB12_18:                              ;   in Loop: Header=BB12_19 Depth=2
	s_or_b64 exec, exec, s[16:17]
	s_add_i32 s18, s9, 1
	s_cmp_gt_u32 s9, 2
	s_cselect_b64 s[2:3], -1, 0
	s_xor_b64 s[16:17], vcc, -1
	s_or_b64 s[2:3], s[16:17], s[2:3]
	s_and_b64 s[2:3], exec, s[2:3]
	v_add_u32_e32 v9, 4, v9
	s_or_b64 s[14:15], s[2:3], s[14:15]
	s_mov_b32 s9, s18
	s_andn2_b64 exec, exec, s[14:15]
	s_cbranch_execz .LBB12_4
.LBB12_19:                              ;   Parent Loop BB12_5 Depth=1
                                        ; =>  This Inner Loop Header: Depth=2
	v_cmp_ne_u32_e32 vcc, s9, v14
	v_cmp_eq_u32_e64 s[2:3], s9, v14
	s_and_saveexec_b64 s[16:17], s[2:3]
	s_cbranch_execz .LBB12_18
; %bb.20:                               ;   in Loop: Header=BB12_19 Depth=2
	scratch_load_dword v15, v9, off
	s_waitcnt vmcnt(0)
	v_add_f32_e32 v7, v7, v15
	global_store_dword v[10:11], v8, off offset:12
	s_branch .LBB12_18
.LBB12_21:
	s_and_b32 s16, s20, 3
	s_cmp_eq_u32 s16, 0
	s_mov_b32 s9, 0
	s_cbranch_scc1 .LBB12_28
; %bb.22:
	v_lshlrev_b32_e32 v3, 2, v6
	v_sub_u32_e32 v3, 0, v3
	s_mov_b32 s17, s9
	s_branch .LBB12_24
.LBB12_23:                              ;   in Loop: Header=BB12_24 Depth=1
	s_or_b64 exec, exec, s[12:13]
	s_add_i32 s8, s8, 1
	s_add_i32 s17, s17, 1
	s_cmp_lg_u32 s17, s16
	s_cbranch_scc0 .LBB12_28
.LBB12_24:                              ; =>This Loop Header: Depth=1
                                        ;     Child Loop BB12_26 Depth 2
	v_lshl_add_u64 v[8:9], s[8:9], 2, v[4:5]
	global_load_dword v6, v[8:9], off
	v_add_u32_e32 v8, s8, v2
	v_ashrrev_i32_e32 v9, 31, v8
	v_mov_b32_e32 v10, 0
	s_mov_b32 s18, 0
	s_waitcnt lgkmcnt(0)
	v_lshl_add_u64 v[8:9], v[8:9], 2, s[6:7]
	s_mov_b64 s[12:13], 0
	s_waitcnt vmcnt(0)
	v_add_u32_e32 v11, v3, v6
	s_branch .LBB12_26
.LBB12_25:                              ;   in Loop: Header=BB12_26 Depth=2
	s_or_b64 exec, exec, s[14:15]
	s_add_i32 s19, s18, 1
	s_cmp_gt_u32 s18, 2
	s_cselect_b64 s[2:3], -1, 0
	s_xor_b64 s[14:15], vcc, -1
	s_or_b64 s[2:3], s[14:15], s[2:3]
	s_and_b64 s[2:3], exec, s[2:3]
	v_add_u32_e32 v10, 4, v10
	s_or_b64 s[12:13], s[2:3], s[12:13]
	s_mov_b32 s18, s19
	s_andn2_b64 exec, exec, s[12:13]
	s_cbranch_execz .LBB12_23
.LBB12_26:                              ;   Parent Loop BB12_24 Depth=1
                                        ; =>  This Inner Loop Header: Depth=2
	v_cmp_ne_u32_e32 vcc, s18, v11
	v_cmp_eq_u32_e64 s[2:3], s18, v11
	s_and_saveexec_b64 s[14:15], s[2:3]
	s_cbranch_execz .LBB12_25
; %bb.27:                               ;   in Loop: Header=BB12_26 Depth=2
	scratch_load_dword v13, v10, off
	s_waitcnt vmcnt(0)
	v_add_f32_e32 v7, v7, v13
	global_store_dword v[8:9], v6, off
	s_branch .LBB12_25
.LBB12_28:
	s_waitcnt lgkmcnt(0)
	s_load_dword s6, s[0:1], 0x3c
	s_waitcnt lgkmcnt(0)
	s_bitcmp1_b32 s6, 0
	s_cselect_b64 s[2:3], -1, 0
	s_bitcmp0_b32 s6, 0
	s_cbranch_scc0 .LBB12_31
; %bb.29:
	s_load_dwordx2 s[6:7], s[0:1], 0x40
	s_andn2_b64 vcc, exec, s[2:3]
	s_waitcnt lgkmcnt(0)
	v_cvt_f32_f64_e32 v10, s[6:7]
	s_cbranch_vccz .LBB12_32
.LBB12_30:
	s_andn2_b64 vcc, exec, s[4:5]
	s_cbranch_vccz .LBB12_33
	s_branch .LBB12_79
.LBB12_31:
	v_mbcnt_lo_u32_b32 v3, -1, 0
	v_mbcnt_hi_u32_b32 v3, -1, v3
	v_and_b32_e32 v8, 0x7e, v3
	v_xor_b32_e32 v6, 1, v3
	v_add_u32_e32 v8, 2, v8
	v_cmp_lt_i32_e32 vcc, v6, v8
	s_nop 1
	v_cndmask_b32_e32 v3, v3, v6, vcc
	v_lshlrev_b32_e32 v3, 2, v3
	ds_bpermute_b32 v3, v3, v7
	s_waitcnt lgkmcnt(0)
	v_add_f32_e32 v7, v7, v3
	s_load_dwordx2 s[6:7], s[0:1], 0x40
	s_andn2_b64 vcc, exec, s[2:3]
	s_waitcnt lgkmcnt(0)
	v_cvt_f32_f64_e32 v10, s[6:7]
	s_cbranch_vccnz .LBB12_30
.LBB12_32:
	v_cmp_lt_f32_e32 vcc, 0, v7
	s_nop 1
	v_cndmask_b32_e32 v3, 1.0, v7, vcc
	v_div_scale_f32 v6, s[2:3], v3, v3, v10
	v_rcp_f32_e32 v7, v6
	s_nop 0
	v_fma_f32 v8, -v6, v7, 1.0
	v_fmac_f32_e32 v7, v8, v7
	v_div_scale_f32 v8, vcc, v10, v3, v10
	v_mul_f32_e32 v9, v8, v7
	v_fma_f32 v11, -v6, v9, v8
	v_fmac_f32_e32 v9, v11, v7
	v_fma_f32 v6, -v6, v9, v8
	v_div_fmas_f32 v6, v6, v7, v9
	v_div_fixup_f32 v10, v6, v3, v10
	s_andn2_b64 vcc, exec, s[4:5]
	s_cbranch_vccnz .LBB12_79
.LBB12_33:
	s_load_dwordx2 s[4:5], s[0:1], 0x10
	v_mov_b32_e32 v3, 0
	v_or_b32_e32 v11, 4, v3
	v_or_b32_e32 v13, 8, v3
	;; [unrolled: 1-line block ×6, first 2 shown]
	s_cmp_lt_u32 s20, 4
	s_mov_b32 s6, 0
	s_cbranch_scc1 .LBB12_68
; %bb.34:
	v_ashrrev_i32_e32 v3, 31, v2
	s_and_b32 s6, s20, 0x7ffffffc
	s_waitcnt lgkmcnt(0)
	v_lshl_add_u64 v[6:7], v[2:3], 2, s[4:5]
	s_mov_b32 s7, 0
	s_mov_b64 s[8:9], 0
	s_branch .LBB12_36
.LBB12_35:                              ;   in Loop: Header=BB12_36 Depth=1
	s_or_b64 exec, exec, s[2:3]
	s_add_i32 s7, s7, 4
	s_add_u32 s8, s8, 16
	s_addc_u32 s9, s9, 0
	s_cmp_eq_u32 s6, s7
	s_cbranch_scc1 .LBB12_68
.LBB12_36:                              ; =>This Inner Loop Header: Depth=1
	v_lshl_add_u64 v[8:9], v[4:5], 0, s[8:9]
	global_load_dword v18, v[8:9], off
	v_mov_b32_e32 v3, 0
	s_waitcnt vmcnt(0)
	v_cmp_eq_u32_e32 vcc, v18, v12
	v_cmp_ne_u32_e64 s[0:1], v18, v12
	s_and_saveexec_b64 s[12:13], s[0:1]
	s_cbranch_execz .LBB12_42
; %bb.37:                               ;   in Loop: Header=BB12_36 Depth=1
	v_cmp_eq_u32_e64 s[0:1], v18, v15
	v_cmp_ne_u32_e64 s[2:3], v18, v15
	v_mov_b32_e32 v3, v11
	s_and_saveexec_b64 s[14:15], s[2:3]
	s_cbranch_execz .LBB12_41
; %bb.38:                               ;   in Loop: Header=BB12_36 Depth=1
	v_cmp_eq_u32_e64 s[16:17], v18, v16
	v_cmp_ne_u32_e64 s[2:3], v18, v16
	v_mov_b32_e32 v3, v13
	s_and_saveexec_b64 s[18:19], s[2:3]
	s_xor_b64 s[18:19], exec, s[18:19]
; %bb.39:                               ;   in Loop: Header=BB12_36 Depth=1
	v_cmp_eq_u32_e64 s[2:3], v18, v17
	s_andn2_b64 s[16:17], s[16:17], exec
	s_and_b64 s[2:3], s[2:3], exec
	s_or_b64 s[16:17], s[16:17], s[2:3]
	v_mov_b32_e32 v3, v14
; %bb.40:                               ;   in Loop: Header=BB12_36 Depth=1
	s_or_b64 exec, exec, s[18:19]
	s_andn2_b64 s[0:1], s[0:1], exec
	s_and_b64 s[2:3], s[16:17], exec
	s_or_b64 s[0:1], s[0:1], s[2:3]
.LBB12_41:                              ;   in Loop: Header=BB12_36 Depth=1
	s_or_b64 exec, exec, s[14:15]
	s_andn2_b64 s[2:3], vcc, exec
	s_and_b64 s[0:1], s[0:1], exec
	s_or_b64 vcc, s[2:3], s[0:1]
.LBB12_42:                              ;   in Loop: Header=BB12_36 Depth=1
	s_or_b64 exec, exec, s[12:13]
	s_and_saveexec_b64 s[0:1], vcc
	s_cbranch_execz .LBB12_44
; %bb.43:                               ;   in Loop: Header=BB12_36 Depth=1
	scratch_load_dword v3, v3, off
	v_add_u32_e32 v18, s7, v2
	v_ashrrev_i32_e32 v19, 31, v18
	v_lshl_add_u64 v[18:19], v[18:19], 2, s[4:5]
	s_waitcnt vmcnt(0)
	v_mul_f32_e32 v3, v10, v3
	global_store_dword v[18:19], v3, off
.LBB12_44:                              ;   in Loop: Header=BB12_36 Depth=1
	s_or_b64 exec, exec, s[0:1]
	global_load_dword v18, v[8:9], off offset:4
	v_mov_b32_e32 v3, 0
	s_waitcnt vmcnt(0)
	v_cmp_eq_u32_e64 s[0:1], v18, v12
	v_cmp_ne_u32_e32 vcc, v18, v12
	s_and_saveexec_b64 s[2:3], vcc
	s_cbranch_execz .LBB12_50
; %bb.45:                               ;   in Loop: Header=BB12_36 Depth=1
	v_cmp_eq_u32_e64 s[12:13], v18, v15
	v_cmp_ne_u32_e32 vcc, v18, v15
	v_mov_b32_e32 v3, v11
	s_and_saveexec_b64 s[14:15], vcc
	s_cbranch_execz .LBB12_49
; %bb.46:                               ;   in Loop: Header=BB12_36 Depth=1
	v_cmp_eq_u32_e64 s[16:17], v18, v16
	v_cmp_ne_u32_e32 vcc, v18, v16
	v_mov_b32_e32 v3, v13
	s_and_saveexec_b64 s[18:19], vcc
; %bb.47:                               ;   in Loop: Header=BB12_36 Depth=1
	v_cmp_eq_u32_e32 vcc, v18, v17
	s_andn2_b64 s[16:17], s[16:17], exec
	s_and_b64 s[22:23], vcc, exec
	s_or_b64 s[16:17], s[16:17], s[22:23]
	v_mov_b32_e32 v3, v14
; %bb.48:                               ;   in Loop: Header=BB12_36 Depth=1
	s_or_b64 exec, exec, s[18:19]
	s_andn2_b64 s[12:13], s[12:13], exec
	s_and_b64 s[16:17], s[16:17], exec
	s_or_b64 s[12:13], s[12:13], s[16:17]
.LBB12_49:                              ;   in Loop: Header=BB12_36 Depth=1
	s_or_b64 exec, exec, s[14:15]
	s_andn2_b64 s[0:1], s[0:1], exec
	s_and_b64 s[12:13], s[12:13], exec
	s_or_b64 s[0:1], s[0:1], s[12:13]
.LBB12_50:                              ;   in Loop: Header=BB12_36 Depth=1
	s_or_b64 exec, exec, s[2:3]
	s_and_saveexec_b64 s[2:3], s[0:1]
	s_cbranch_execz .LBB12_52
; %bb.51:                               ;   in Loop: Header=BB12_36 Depth=1
	scratch_load_dword v3, v3, off
	v_lshl_add_u64 v[18:19], v[6:7], 0, s[8:9]
	s_waitcnt vmcnt(0)
	v_mul_f32_e32 v3, v10, v3
	global_store_dword v[18:19], v3, off offset:4
.LBB12_52:                              ;   in Loop: Header=BB12_36 Depth=1
	s_or_b64 exec, exec, s[2:3]
	global_load_dword v18, v[8:9], off offset:8
	v_mov_b32_e32 v3, 0
	s_waitcnt vmcnt(0)
	v_cmp_eq_u32_e64 s[0:1], v18, v12
	v_cmp_ne_u32_e32 vcc, v18, v12
	s_and_saveexec_b64 s[2:3], vcc
	s_cbranch_execz .LBB12_58
; %bb.53:                               ;   in Loop: Header=BB12_36 Depth=1
	v_cmp_eq_u32_e64 s[12:13], v18, v15
	v_cmp_ne_u32_e32 vcc, v18, v15
	v_mov_b32_e32 v3, v11
	s_and_saveexec_b64 s[14:15], vcc
	s_cbranch_execz .LBB12_57
; %bb.54:                               ;   in Loop: Header=BB12_36 Depth=1
	v_cmp_eq_u32_e64 s[16:17], v18, v16
	v_cmp_ne_u32_e32 vcc, v18, v16
	v_mov_b32_e32 v3, v13
	s_and_saveexec_b64 s[18:19], vcc
; %bb.55:                               ;   in Loop: Header=BB12_36 Depth=1
	v_cmp_eq_u32_e32 vcc, v18, v17
	s_andn2_b64 s[16:17], s[16:17], exec
	s_and_b64 s[22:23], vcc, exec
	s_or_b64 s[16:17], s[16:17], s[22:23]
	v_mov_b32_e32 v3, v14
; %bb.56:                               ;   in Loop: Header=BB12_36 Depth=1
	s_or_b64 exec, exec, s[18:19]
	s_andn2_b64 s[12:13], s[12:13], exec
	s_and_b64 s[16:17], s[16:17], exec
	s_or_b64 s[12:13], s[12:13], s[16:17]
.LBB12_57:                              ;   in Loop: Header=BB12_36 Depth=1
	s_or_b64 exec, exec, s[14:15]
	s_andn2_b64 s[0:1], s[0:1], exec
	s_and_b64 s[12:13], s[12:13], exec
	s_or_b64 s[0:1], s[0:1], s[12:13]
.LBB12_58:                              ;   in Loop: Header=BB12_36 Depth=1
	s_or_b64 exec, exec, s[2:3]
	s_and_saveexec_b64 s[2:3], s[0:1]
	s_cbranch_execz .LBB12_60
; %bb.59:                               ;   in Loop: Header=BB12_36 Depth=1
	scratch_load_dword v3, v3, off
	v_lshl_add_u64 v[18:19], v[6:7], 0, s[8:9]
	s_waitcnt vmcnt(0)
	v_mul_f32_e32 v3, v10, v3
	global_store_dword v[18:19], v3, off offset:8
.LBB12_60:                              ;   in Loop: Header=BB12_36 Depth=1
	s_or_b64 exec, exec, s[2:3]
	global_load_dword v8, v[8:9], off offset:12
	v_mov_b32_e32 v3, 0
	s_waitcnt vmcnt(0)
	v_cmp_eq_u32_e64 s[0:1], v8, v12
	v_cmp_ne_u32_e32 vcc, v8, v12
	s_and_saveexec_b64 s[2:3], vcc
	s_cbranch_execz .LBB12_66
; %bb.61:                               ;   in Loop: Header=BB12_36 Depth=1
	v_cmp_eq_u32_e64 s[12:13], v8, v15
	v_cmp_ne_u32_e32 vcc, v8, v15
	v_mov_b32_e32 v3, v11
	s_and_saveexec_b64 s[14:15], vcc
	s_cbranch_execz .LBB12_65
; %bb.62:                               ;   in Loop: Header=BB12_36 Depth=1
	v_cmp_eq_u32_e64 s[16:17], v8, v16
	v_cmp_ne_u32_e32 vcc, v8, v16
	v_mov_b32_e32 v3, v13
	s_and_saveexec_b64 s[18:19], vcc
; %bb.63:                               ;   in Loop: Header=BB12_36 Depth=1
	v_cmp_eq_u32_e32 vcc, v8, v17
	s_andn2_b64 s[16:17], s[16:17], exec
	s_and_b64 s[22:23], vcc, exec
	s_or_b64 s[16:17], s[16:17], s[22:23]
	v_mov_b32_e32 v3, v14
; %bb.64:                               ;   in Loop: Header=BB12_36 Depth=1
	s_or_b64 exec, exec, s[18:19]
	s_andn2_b64 s[12:13], s[12:13], exec
	s_and_b64 s[16:17], s[16:17], exec
	s_or_b64 s[12:13], s[12:13], s[16:17]
.LBB12_65:                              ;   in Loop: Header=BB12_36 Depth=1
	s_or_b64 exec, exec, s[14:15]
	s_andn2_b64 s[0:1], s[0:1], exec
	s_and_b64 s[12:13], s[12:13], exec
	s_or_b64 s[0:1], s[0:1], s[12:13]
.LBB12_66:                              ;   in Loop: Header=BB12_36 Depth=1
	s_or_b64 exec, exec, s[2:3]
	s_and_saveexec_b64 s[2:3], s[0:1]
	s_cbranch_execz .LBB12_35
; %bb.67:                               ;   in Loop: Header=BB12_36 Depth=1
	scratch_load_dword v3, v3, off
	v_lshl_add_u64 v[8:9], v[6:7], 0, s[8:9]
	s_waitcnt vmcnt(0)
	v_mul_f32_e32 v3, v10, v3
	global_store_dword v[8:9], v3, off offset:12
	s_branch .LBB12_35
.LBB12_68:
	s_and_b32 s14, s20, 3
	s_cmp_eq_u32 s14, 0
	s_mov_b32 s7, 0
	s_cbranch_scc1 .LBB12_79
; %bb.69:
	s_lshl_b64 s[0:1], s[6:7], 2
	s_add_u32 s0, s10, s0
	s_addc_u32 s1, s11, s1
	v_add_u32_e32 v2, s6, v2
	v_lshl_add_u64 v[0:1], v[0:1], 2, s[0:1]
	s_branch .LBB12_71
.LBB12_70:                              ;   in Loop: Header=BB12_71 Depth=1
	s_or_b64 exec, exec, s[2:3]
	s_add_i32 s14, s14, -1
	v_add_u32_e32 v2, 1, v2
	s_cmp_lg_u32 s14, 0
	v_lshl_add_u64 v[0:1], v[0:1], 0, 4
	s_cbranch_scc0 .LBB12_79
.LBB12_71:                              ; =>This Inner Loop Header: Depth=1
	global_load_dword v4, v[0:1], off
	v_mov_b32_e32 v3, 0
	s_waitcnt vmcnt(0)
	v_cmp_eq_u32_e64 s[0:1], v4, v12
	v_cmp_ne_u32_e32 vcc, v4, v12
	s_and_saveexec_b64 s[2:3], vcc
	s_cbranch_execz .LBB12_77
; %bb.72:                               ;   in Loop: Header=BB12_71 Depth=1
	v_cmp_eq_u32_e64 s[6:7], v4, v15
	v_cmp_ne_u32_e32 vcc, v4, v15
	v_mov_b32_e32 v3, v11
	s_and_saveexec_b64 s[8:9], vcc
	s_cbranch_execz .LBB12_76
; %bb.73:                               ;   in Loop: Header=BB12_71 Depth=1
	v_cmp_eq_u32_e64 s[10:11], v4, v16
	v_cmp_ne_u32_e32 vcc, v4, v16
	v_mov_b32_e32 v3, v13
	s_and_saveexec_b64 s[12:13], vcc
; %bb.74:                               ;   in Loop: Header=BB12_71 Depth=1
	v_cmp_eq_u32_e32 vcc, v4, v17
	s_andn2_b64 s[10:11], s[10:11], exec
	s_and_b64 s[16:17], vcc, exec
	s_or_b64 s[10:11], s[10:11], s[16:17]
	v_mov_b32_e32 v3, v14
; %bb.75:                               ;   in Loop: Header=BB12_71 Depth=1
	s_or_b64 exec, exec, s[12:13]
	s_andn2_b64 s[6:7], s[6:7], exec
	s_and_b64 s[10:11], s[10:11], exec
	s_or_b64 s[6:7], s[6:7], s[10:11]
.LBB12_76:                              ;   in Loop: Header=BB12_71 Depth=1
	s_or_b64 exec, exec, s[8:9]
	s_andn2_b64 s[0:1], s[0:1], exec
	s_and_b64 s[6:7], s[6:7], exec
	s_or_b64 s[0:1], s[0:1], s[6:7]
.LBB12_77:                              ;   in Loop: Header=BB12_71 Depth=1
	s_or_b64 exec, exec, s[2:3]
	s_and_saveexec_b64 s[2:3], s[0:1]
	s_cbranch_execz .LBB12_70
; %bb.78:                               ;   in Loop: Header=BB12_71 Depth=1
	scratch_load_dword v4, v3, off
	v_ashrrev_i32_e32 v3, 31, v2
	s_waitcnt vmcnt(0)
	v_mul_f32_e32 v6, v10, v4
	s_waitcnt lgkmcnt(0)
	v_lshl_add_u64 v[4:5], v[2:3], 2, s[4:5]
	global_store_dword v[4:5], v6, off
	s_branch .LBB12_70
.LBB12_79:
	s_endpgm
	.section	.rodata,"a",@progbits
	.p2align	6, 0x0
	.amdhsa_kernel _ZN4vllm3moe22topkGatingSoftplusSqrtILi4ELi8ELi4ELi16ELi64ELb1EifEEvPKT6_PKbPfiPT5_PiiiibdPKfPKS8_SE_
		.amdhsa_group_segment_fixed_size 0
		.amdhsa_private_segment_fixed_size 32
		.amdhsa_kernarg_size 96
		.amdhsa_user_sgpr_count 2
		.amdhsa_user_sgpr_dispatch_ptr 0
		.amdhsa_user_sgpr_queue_ptr 0
		.amdhsa_user_sgpr_kernarg_segment_ptr 1
		.amdhsa_user_sgpr_dispatch_id 0
		.amdhsa_user_sgpr_kernarg_preload_length 0
		.amdhsa_user_sgpr_kernarg_preload_offset 0
		.amdhsa_user_sgpr_private_segment_size 0
		.amdhsa_uses_dynamic_stack 0
		.amdhsa_enable_private_segment 1
		.amdhsa_system_sgpr_workgroup_id_x 1
		.amdhsa_system_sgpr_workgroup_id_y 0
		.amdhsa_system_sgpr_workgroup_id_z 0
		.amdhsa_system_sgpr_workgroup_info 0
		.amdhsa_system_vgpr_workitem_id 1
		.amdhsa_next_free_vgpr 25
		.amdhsa_next_free_sgpr 24
		.amdhsa_accum_offset 28
		.amdhsa_reserve_vcc 1
		.amdhsa_float_round_mode_32 0
		.amdhsa_float_round_mode_16_64 0
		.amdhsa_float_denorm_mode_32 3
		.amdhsa_float_denorm_mode_16_64 3
		.amdhsa_dx10_clamp 1
		.amdhsa_ieee_mode 1
		.amdhsa_fp16_overflow 0
		.amdhsa_tg_split 0
		.amdhsa_exception_fp_ieee_invalid_op 0
		.amdhsa_exception_fp_denorm_src 0
		.amdhsa_exception_fp_ieee_div_zero 0
		.amdhsa_exception_fp_ieee_overflow 0
		.amdhsa_exception_fp_ieee_underflow 0
		.amdhsa_exception_fp_ieee_inexact 0
		.amdhsa_exception_int_div_zero 0
	.end_amdhsa_kernel
	.section	.text._ZN4vllm3moe22topkGatingSoftplusSqrtILi4ELi8ELi4ELi16ELi64ELb1EifEEvPKT6_PKbPfiPT5_PiiiibdPKfPKS8_SE_,"axG",@progbits,_ZN4vllm3moe22topkGatingSoftplusSqrtILi4ELi8ELi4ELi16ELi64ELb1EifEEvPKT6_PKbPfiPT5_PiiiibdPKfPKS8_SE_,comdat
.Lfunc_end12:
	.size	_ZN4vllm3moe22topkGatingSoftplusSqrtILi4ELi8ELi4ELi16ELi64ELb1EifEEvPKT6_PKbPfiPT5_PiiiibdPKfPKS8_SE_, .Lfunc_end12-_ZN4vllm3moe22topkGatingSoftplusSqrtILi4ELi8ELi4ELi16ELi64ELb1EifEEvPKT6_PKbPfiPT5_PiiiibdPKfPKS8_SE_
                                        ; -- End function
	.section	.AMDGPU.csdata,"",@progbits
; Kernel info:
; codeLenInByte = 3356
; NumSgprs: 30
; NumVgprs: 25
; NumAgprs: 0
; TotalNumVgprs: 25
; ScratchSize: 32
; MemoryBound: 0
; FloatMode: 240
; IeeeMode: 1
; LDSByteSize: 0 bytes/workgroup (compile time only)
; SGPRBlocks: 3
; VGPRBlocks: 3
; NumSGPRsForWavesPerEU: 30
; NumVGPRsForWavesPerEU: 25
; AccumOffset: 28
; Occupancy: 8
; WaveLimiterHint : 1
; COMPUTE_PGM_RSRC2:SCRATCH_EN: 1
; COMPUTE_PGM_RSRC2:USER_SGPR: 2
; COMPUTE_PGM_RSRC2:TRAP_HANDLER: 0
; COMPUTE_PGM_RSRC2:TGID_X_EN: 1
; COMPUTE_PGM_RSRC2:TGID_Y_EN: 0
; COMPUTE_PGM_RSRC2:TGID_Z_EN: 0
; COMPUTE_PGM_RSRC2:TIDIG_COMP_CNT: 1
; COMPUTE_PGM_RSRC3_GFX90A:ACCUM_OFFSET: 6
; COMPUTE_PGM_RSRC3_GFX90A:TG_SPLIT: 0
	.section	.text._ZN4vllm3moe22topkGatingSoftplusSqrtILi4ELi8ELi4ELi16ELi64ELb0EifEEvPKT6_PKbPfiPT5_PiiiibdPKfPKS8_SE_,"axG",@progbits,_ZN4vllm3moe22topkGatingSoftplusSqrtILi4ELi8ELi4ELi16ELi64ELb0EifEEvPKT6_PKbPfiPT5_PiiiibdPKfPKS8_SE_,comdat
	.protected	_ZN4vllm3moe22topkGatingSoftplusSqrtILi4ELi8ELi4ELi16ELi64ELb0EifEEvPKT6_PKbPfiPT5_PiiiibdPKfPKS8_SE_ ; -- Begin function _ZN4vllm3moe22topkGatingSoftplusSqrtILi4ELi8ELi4ELi16ELi64ELb0EifEEvPKT6_PKbPfiPT5_PiiiibdPKfPKS8_SE_
	.globl	_ZN4vllm3moe22topkGatingSoftplusSqrtILi4ELi8ELi4ELi16ELi64ELb0EifEEvPKT6_PKbPfiPT5_PiiiibdPKfPKS8_SE_
	.p2align	8
	.type	_ZN4vllm3moe22topkGatingSoftplusSqrtILi4ELi8ELi4ELi16ELi64ELb0EifEEvPKT6_PKbPfiPT5_PiiiibdPKfPKS8_SE_,@function
_ZN4vllm3moe22topkGatingSoftplusSqrtILi4ELi8ELi4ELi16ELi64ELb0EifEEvPKT6_PKbPfiPT5_PiiiibdPKfPKS8_SE_: ; @_ZN4vllm3moe22topkGatingSoftplusSqrtILi4ELi8ELi4ELi16ELi64ELb0EifEEvPKT6_PKbPfiPT5_PiiiibdPKfPKS8_SE_
; %bb.0:
	s_load_dword s30, s[2:3], 0x18
	v_and_b32_e32 v1, 0x3ff, v0
	v_bfe_u32 v4, v0, 10, 10
	s_lshl_b32 s4, s4, 7
	v_lshlrev_b32_e32 v2, 5, v4
	v_lshrrev_b32_e32 v3, 1, v1
	v_add3_u32 v2, s4, v2, v3
	s_waitcnt lgkmcnt(0)
	v_cmp_gt_i32_e32 vcc, s30, v2
	s_and_saveexec_b64 s[4:5], vcc
	s_cbranch_execz .LBB13_39
; %bb.1:
	s_load_dwordx4 s[4:7], s[2:3], 0x0
	s_load_dwordx2 s[20:21], s[2:3], 0x10
	s_waitcnt lgkmcnt(0)
	s_cmp_eq_u64 s[6:7], 0
	s_cbranch_scc1 .LBB13_3
; %bb.2:
	v_ashrrev_i32_e32 v3, 31, v2
	v_lshl_add_u64 v[6:7], s[6:7], 0, v[2:3]
	global_load_ubyte v3, v[6:7], off
	s_waitcnt vmcnt(0)
	v_and_b32_e32 v3, 1, v3
	v_cmp_eq_u32_e32 vcc, 1, v3
	s_xor_b64 s[6:7], vcc, -1
	s_orn2_b64 s[22:23], s[6:7], exec
	s_branch .LBB13_4
.LBB13_3:
	s_mov_b64 s[22:23], -1
.LBB13_4:
	v_lshlrev_b32_e32 v8, 3, v2
	v_mov_b32_e32 v6, s4
	v_mov_b32_e32 v7, s5
	v_ashrrev_i32_e32 v9, 31, v8
	v_and_b32_e32 v3, 1, v1
	v_lshl_add_u64 v[6:7], v[8:9], 2, v[6:7]
	v_mov_b32_e32 v9, 0
	v_lshlrev_b32_e32 v8, 4, v3
	v_lshl_add_u64 v[6:7], v[6:7], 0, v[8:9]
	global_load_dwordx4 v[6:9], v[6:7], off
	s_load_dwordx2 s[4:5], s[0:1], 0x4
	s_load_dwordx4 s[8:11], s[2:3], 0x40
	v_bfe_u32 v0, v0, 20, 10
	s_mov_b32 s16, 0x800000
	s_mov_b32 s13, 0x3f317217
	s_waitcnt lgkmcnt(0)
	s_lshr_b32 s0, s4, 16
	s_mul_i32 s0, s0, s5
	v_mul_lo_u32 v1, s0, v1
	v_mad_u32_u24 v1, v4, s5, v1
	v_add_lshl_u32 v4, v1, v0, 4
	s_mov_b32 s14, 0x7f800000
	s_mov_b32 s12, 0x41a00000
	;; [unrolled: 1-line block ×3, first 2 shown]
	s_cmp_lg_u64 s[10:11], 0
	v_mov_b32_e32 v1, 0x260
	s_cselect_b64 s[6:7], -1, 0
	s_and_b64 s[0:1], exec, s[6:7]
	s_waitcnt vmcnt(0)
	ds_write_b128 v4, v[6:9]
	ds_read_b32 v8, v4
	v_mov_b32_e32 v6, 0x4f800000
	v_mov_b32_e32 v7, 0x41b17218
	s_waitcnt lgkmcnt(0)
	v_mul_f32_e32 v0, 0x3fb8aa3b, v8
	v_exp_f32_e32 v0, v0
	s_nop 0
	v_add_f32_e32 v0, 1.0, v0
	v_cmp_gt_f32_e32 vcc, s16, v0
	s_nop 1
	v_cndmask_b32_e32 v5, 1.0, v6, vcc
	v_mul_f32_e32 v0, v0, v5
	v_log_f32_e32 v9, v0
	v_cndmask_b32_e32 v10, 0, v7, vcc
	v_lshlrev_b32_e32 v5, 2, v3
	v_lshlrev_b32_e32 v0, 2, v5
	v_mul_f32_e32 v11, 0x3f317217, v9
	v_fma_f32 v11, v9, s13, -v11
	v_fmac_f32_e32 v11, 0x3377d1cf, v9
	v_fmac_f32_e32 v11, 0x3f317217, v9
	v_cmp_lt_f32_e64 vcc, |v9|, s14
	s_nop 1
	v_cndmask_b32_e32 v9, v9, v11, vcc
	v_sub_f32_e32 v9, v9, v10
	v_cmp_lt_f32_e32 vcc, s12, v8
	s_nop 1
	v_cndmask_b32_e32 v8, v9, v8, vcc
	v_mul_f32_e32 v9, 0x4f800000, v8
	v_cmp_gt_f32_e32 vcc, s15, v8
	s_nop 1
	v_cndmask_b32_e32 v8, v8, v9, vcc
	v_sqrt_f32_e32 v9, v8
	s_nop 0
	v_add_u32_e32 v10, -1, v9
	v_add_u32_e32 v11, 1, v9
	v_fma_f32 v12, -v10, v9, v8
	v_fma_f32 v13, -v11, v9, v8
	v_cmp_ge_f32_e64 s[4:5], 0, v12
	s_nop 1
	v_cndmask_b32_e64 v9, v9, v10, s[4:5]
	v_cmp_lt_f32_e64 s[4:5], 0, v13
	s_nop 1
	v_cndmask_b32_e64 v9, v9, v11, s[4:5]
	v_mul_f32_e32 v10, 0x37800000, v9
	v_cndmask_b32_e32 v9, v9, v10, vcc
	v_cmp_class_f32_e32 vcc, v8, v1
	s_nop 1
	v_cndmask_b32_e32 v8, v9, v8, vcc
	s_mov_b64 vcc, s[0:1]
	s_cbranch_vccz .LBB13_6
; %bb.5:
	global_load_dword v9, v0, s[10:11]
	s_waitcnt vmcnt(0)
	v_add_f32_e32 v8, v8, v9
.LBB13_6:
	ds_read_b32 v9, v4 offset:4
	ds_write_b32 v4, v8
	s_waitcnt lgkmcnt(1)
	v_mul_f32_e32 v10, 0x3fb8aa3b, v9
	v_exp_f32_e32 v10, v10
	s_nop 0
	v_add_f32_e32 v10, 1.0, v10
	v_cmp_gt_f32_e32 vcc, s16, v10
	s_nop 1
	v_cndmask_b32_e32 v6, 1.0, v6, vcc
	v_mul_f32_e32 v6, v10, v6
	v_log_f32_e32 v6, v6
	v_cndmask_b32_e32 v7, 0, v7, vcc
	v_mul_f32_e32 v8, 0x3f317217, v6
	v_fma_f32 v8, v6, s13, -v8
	v_fmac_f32_e32 v8, 0x3377d1cf, v6
	v_fmac_f32_e32 v8, 0x3f317217, v6
	v_cmp_lt_f32_e64 vcc, |v6|, s14
	s_nop 1
	v_cndmask_b32_e32 v6, v6, v8, vcc
	v_sub_f32_e32 v6, v6, v7
	v_cmp_lt_f32_e32 vcc, s12, v9
	v_cndmask_b32_e64 v8, 0, 1, s[6:7]
	v_cmp_ne_u32_e64 s[0:1], 1, v8
	v_cndmask_b32_e32 v6, v6, v9, vcc
	v_mul_f32_e32 v7, 0x4f800000, v6
	v_cmp_gt_f32_e64 s[4:5], s15, v6
	s_andn2_b64 vcc, exec, s[6:7]
	s_nop 0
	v_cndmask_b32_e64 v6, v6, v7, s[4:5]
	v_sqrt_f32_e32 v7, v6
	s_nop 0
	v_add_u32_e32 v8, -1, v7
	v_add_u32_e32 v9, 1, v7
	v_fma_f32 v10, -v8, v7, v6
	v_fma_f32 v11, -v9, v7, v6
	v_cmp_ge_f32_e64 s[6:7], 0, v10
	s_nop 1
	v_cndmask_b32_e64 v7, v7, v8, s[6:7]
	v_cmp_lt_f32_e64 s[6:7], 0, v11
	s_nop 1
	v_cndmask_b32_e64 v7, v7, v9, s[6:7]
	v_mul_f32_e32 v8, 0x37800000, v7
	v_cndmask_b32_e64 v7, v7, v8, s[4:5]
	v_cmp_class_f32_e64 s[4:5], v6, v1
	s_nop 1
	v_cndmask_b32_e64 v1, v7, v6, s[4:5]
	s_cbranch_vccnz .LBB13_8
; %bb.7:
	global_load_dword v6, v0, s[10:11] offset:4
	s_waitcnt vmcnt(0)
	v_add_f32_e32 v1, v1, v6
.LBB13_8:
	ds_read_b32 v8, v4 offset:8
	s_mov_b32 s12, 0x800000
	s_mov_b32 s7, 0x3f317217
	s_mov_b32 s13, 0x7f800000
	s_mov_b32 s6, 0x41a00000
	s_waitcnt lgkmcnt(0)
	v_mul_f32_e32 v6, 0x3fb8aa3b, v8
	v_exp_f32_e32 v7, v6
	v_mov_b32_e32 v6, 0x4f800000
	s_mov_b32 s14, 0xf800000
	ds_write_b32 v4, v1 offset:4
	v_add_f32_e32 v7, 1.0, v7
	v_cmp_gt_f32_e32 vcc, s12, v7
	s_nop 1
	v_cndmask_b32_e32 v9, 1.0, v6, vcc
	v_mul_f32_e32 v7, v7, v9
	v_log_f32_e32 v9, v7
	v_mov_b32_e32 v7, 0x41b17218
	v_cndmask_b32_e32 v10, 0, v7, vcc
	v_mul_f32_e32 v11, 0x3f317217, v9
	v_fma_f32 v11, v9, s7, -v11
	v_fmac_f32_e32 v11, 0x3377d1cf, v9
	v_fmac_f32_e32 v11, 0x3f317217, v9
	v_cmp_lt_f32_e64 vcc, |v9|, s13
	s_nop 1
	v_cndmask_b32_e32 v9, v9, v11, vcc
	v_sub_f32_e32 v9, v9, v10
	v_cmp_lt_f32_e32 vcc, s6, v8
	s_nop 1
	v_cndmask_b32_e32 v8, v9, v8, vcc
	v_mul_f32_e32 v9, 0x4f800000, v8
	v_cmp_gt_f32_e32 vcc, s14, v8
	s_nop 1
	v_cndmask_b32_e32 v8, v8, v9, vcc
	v_sqrt_f32_e32 v9, v8
	s_nop 0
	v_add_u32_e32 v1, -1, v9
	v_fma_f32 v10, -v1, v9, v8
	v_cmp_ge_f32_e64 s[4:5], 0, v10
	v_add_u32_e32 v10, 1, v9
	s_nop 0
	v_cndmask_b32_e64 v1, v9, v1, s[4:5]
	v_fma_f32 v9, -v10, v9, v8
	v_cmp_lt_f32_e64 s[4:5], 0, v9
	s_nop 1
	v_cndmask_b32_e64 v1, v1, v10, s[4:5]
	v_mul_f32_e32 v9, 0x37800000, v1
	v_cndmask_b32_e32 v9, v1, v9, vcc
	v_mov_b32_e32 v1, 0x260
	v_cmp_class_f32_e64 s[4:5], v8, v1
	s_and_b64 vcc, exec, s[0:1]
	s_nop 0
	v_cndmask_b32_e64 v8, v9, v8, s[4:5]
	s_cbranch_vccnz .LBB13_10
; %bb.9:
	global_load_dword v9, v0, s[10:11] offset:8
	s_waitcnt vmcnt(0)
	v_add_f32_e32 v8, v8, v9
.LBB13_10:
	ds_read_b32 v9, v4 offset:12
	ds_write_b32 v4, v8 offset:8
	s_waitcnt lgkmcnt(1)
	v_mul_f32_e32 v10, 0x3fb8aa3b, v9
	v_exp_f32_e32 v10, v10
	s_nop 0
	v_add_f32_e32 v10, 1.0, v10
	v_cmp_gt_f32_e32 vcc, s12, v10
	s_nop 1
	v_cndmask_b32_e32 v6, 1.0, v6, vcc
	v_mul_f32_e32 v6, v10, v6
	v_log_f32_e32 v6, v6
	v_cndmask_b32_e32 v7, 0, v7, vcc
	v_mul_f32_e32 v10, 0x3f317217, v6
	v_fma_f32 v10, v6, s7, -v10
	v_fmac_f32_e32 v10, 0x3377d1cf, v6
	v_fmac_f32_e32 v10, 0x3f317217, v6
	v_cmp_lt_f32_e64 vcc, |v6|, s13
	s_nop 1
	v_cndmask_b32_e32 v6, v6, v10, vcc
	v_sub_f32_e32 v6, v6, v7
	v_cmp_lt_f32_e32 vcc, s6, v9
	s_nop 1
	v_cndmask_b32_e32 v6, v6, v9, vcc
	v_mul_f32_e32 v7, 0x4f800000, v6
	v_cmp_gt_f32_e64 s[4:5], s14, v6
	s_and_b64 vcc, exec, s[0:1]
	s_nop 0
	v_cndmask_b32_e64 v6, v6, v7, s[4:5]
	v_sqrt_f32_e32 v7, v6
	s_nop 0
	v_add_u32_e32 v8, -1, v7
	v_add_u32_e32 v9, 1, v7
	v_fma_f32 v10, -v8, v7, v6
	v_fma_f32 v11, -v9, v7, v6
	v_cmp_ge_f32_e64 s[6:7], 0, v10
	s_nop 1
	v_cndmask_b32_e64 v7, v7, v8, s[6:7]
	v_cmp_lt_f32_e64 s[6:7], 0, v11
	s_nop 1
	v_cndmask_b32_e64 v7, v7, v9, s[6:7]
	v_mul_f32_e32 v8, 0x37800000, v7
	v_cndmask_b32_e64 v7, v7, v8, s[4:5]
	v_cmp_class_f32_e64 s[4:5], v6, v1
	s_nop 1
	v_cndmask_b32_e64 v1, v7, v6, s[4:5]
	s_cbranch_vccnz .LBB13_12
; %bb.11:
	global_load_dword v0, v0, s[10:11] offset:12
	s_waitcnt vmcnt(0)
	v_add_f32_e32 v1, v1, v0
.LBB13_12:
	s_load_dwordx4 s[12:15], s[2:3], 0x30
	s_mov_b32 s31, 0
	v_cmp_eq_u32_e64 s[6:7], 0, v3
	ds_write_b32 v4, v1 offset:12
	s_waitcnt lgkmcnt(0)
	s_bitcmp1_b32 s15, 0
	s_cselect_b64 s[4:5], -1, 0
	s_cmp_gt_i32 s12, 0
	s_cselect_b64 s[24:25], -1, 0
	s_and_b64 vcc, exec, s[24:25]
	s_cbranch_vccz .LBB13_25
; %bb.13:
	v_mbcnt_lo_u32_b32 v0, -1, 0
	v_mbcnt_hi_u32_b32 v0, -1, v0
	s_load_dwordx4 s[16:19], s[2:3], 0x20
	v_and_b32_e32 v6, 0x7e, v0
	v_xor_b32_e32 v1, 1, v0
	v_add_u32_e32 v6, 2, v6
	v_cmp_lt_i32_e32 vcc, v1, v6
	v_mul_lo_u32 v8, v2, s12
	v_mov_b32_e32 v6, 0
	v_cndmask_b32_e32 v0, v0, v1, vcc
	v_lshlrev_b32_e32 v7, 2, v0
	v_mov_b32_e32 v9, 0xc61c4000
	v_mov_b32_e32 v10, v2
	s_branch .LBB13_15
.LBB13_14:                              ;   in Loop: Header=BB13_15 Depth=1
	s_or_b64 exec, exec, s[2:3]
	s_cmp_eq_u32 s12, s31
	v_add_u32_e32 v10, s30, v10
	s_cbranch_scc1 .LBB13_26
.LBB13_15:                              ; =>This Inner Loop Header: Depth=1
	ds_read_b128 v[12:15], v4
	s_waitcnt lgkmcnt(0)
	v_cmp_gt_f32_e32 vcc, v13, v12
	s_nop 1
	v_cndmask_b32_e32 v1, v12, v13, vcc
	v_cndmask_b32_e64 v0, 0, 1, vcc
	v_cmp_gt_f32_e32 vcc, v14, v1
	s_nop 1
	v_cndmask_b32_e32 v1, v1, v14, vcc
	v_cndmask_b32_e64 v0, v0, 2, vcc
	v_cmp_gt_f32_e32 vcc, v15, v1
	s_nop 1
	v_cndmask_b32_e64 v0, v0, 3, vcc
	v_cndmask_b32_e32 v11, v1, v15, vcc
	ds_bpermute_b32 v1, v7, v11
	v_or_b32_e32 v0, v5, v0
	ds_bpermute_b32 v12, v7, v0
	s_waitcnt lgkmcnt(1)
	v_cmp_lt_f32_e64 s[26:27], v11, v1
	v_cmp_nlt_f32_e32 vcc, v11, v1
	s_and_saveexec_b64 s[28:29], vcc
	s_cbranch_execnz .LBB13_18
; %bb.16:                               ;   in Loop: Header=BB13_15 Depth=1
	s_or_b64 exec, exec, s[28:29]
	s_and_saveexec_b64 s[2:3], s[26:27]
	s_cbranch_execnz .LBB13_19
.LBB13_17:                              ;   in Loop: Header=BB13_15 Depth=1
	s_or_b64 exec, exec, s[2:3]
	s_and_saveexec_b64 s[26:27], s[6:7]
	s_cbranch_execnz .LBB13_20
	s_branch .LBB13_23
.LBB13_18:                              ;   in Loop: Header=BB13_15 Depth=1
	v_cmp_eq_f32_e32 vcc, v11, v1
	s_waitcnt lgkmcnt(0)
	v_cmp_lt_i32_e64 s[2:3], v12, v0
	s_and_b64 s[2:3], vcc, s[2:3]
	s_andn2_b64 s[26:27], s[26:27], exec
	s_and_b64 s[2:3], s[2:3], exec
	s_or_b64 s[26:27], s[26:27], s[2:3]
	s_or_b64 exec, exec, s[28:29]
	s_and_saveexec_b64 s[2:3], s[26:27]
	s_cbranch_execz .LBB13_17
.LBB13_19:                              ;   in Loop: Header=BB13_15 Depth=1
	s_waitcnt lgkmcnt(0)
	v_mov_b32_e32 v0, v12
	v_mov_b32_e32 v11, v1
	s_or_b64 exec, exec, s[2:3]
	s_and_saveexec_b64 s[26:27], s[6:7]
	s_cbranch_execz .LBB13_23
.LBB13_20:                              ;   in Loop: Header=BB13_15 Depth=1
	s_and_b64 vcc, exec, s[0:1]
	s_cbranch_vccnz .LBB13_22
; %bb.21:                               ;   in Loop: Header=BB13_15 Depth=1
	v_ashrrev_i32_e32 v1, 31, v0
	s_waitcnt lgkmcnt(0)
	v_lshl_add_u64 v[12:13], v[0:1], 2, s[10:11]
	global_load_dword v1, v[12:13], off
	s_waitcnt vmcnt(0)
	v_sub_f32_e32 v11, v11, v1
.LBB13_22:                              ;   in Loop: Header=BB13_15 Depth=1
	s_waitcnt lgkmcnt(0)
	v_add_u32_e32 v12, s31, v8
	v_cmp_le_i32_e32 vcc, s13, v0
	v_cmp_gt_i32_e64 s[2:3], s14, v0
	v_ashrrev_i32_e32 v13, 31, v12
	s_and_b64 s[2:3], vcc, s[2:3]
	v_lshlrev_b64 v[12:13], 2, v[12:13]
	v_lshl_add_u64 v[14:15], s[20:21], 0, v[12:13]
	v_subrev_u32_e32 v1, s13, v0
	s_and_b64 vcc, s[22:23], s[2:3]
	global_store_dword v[14:15], v11, off
	v_cndmask_b32_e32 v1, 8, v1, vcc
	v_lshl_add_u64 v[14:15], s[16:17], 0, v[12:13]
	global_store_dword v[14:15], v1, off
	v_add_f32_e32 v1, v6, v11
	v_lshl_add_u64 v[12:13], s[18:19], 0, v[12:13]
	v_cndmask_b32_e64 v6, v6, v1, s[4:5]
	global_store_dword v[12:13], v10, off
.LBB13_23:                              ;   in Loop: Header=BB13_15 Depth=1
	s_or_b64 exec, exec, s[26:27]
	v_ashrrev_i32_e32 v1, 31, v0
	v_lshrrev_b32_e32 v11, 30, v1
	s_waitcnt lgkmcnt(0)
	v_add_u32_e32 v12, v0, v11
	v_ashrrev_i32_e32 v11, 2, v12
	v_lshrrev_b32_e32 v12, 31, v12
	v_add_u32_e32 v12, v11, v12
	s_add_i32 s31, s31, 1
	v_and_b32_e32 v12, -2, v12
	s_cmp_lt_i32 s31, s12
	v_sub_u32_e32 v12, v11, v12
	s_cselect_b64 s[2:3], -1, 0
	v_cmp_eq_u32_e32 vcc, v3, v12
	s_and_b64 s[26:27], s[2:3], vcc
	s_and_saveexec_b64 s[2:3], s[26:27]
	s_cbranch_execz .LBB13_14
; %bb.24:                               ;   in Loop: Header=BB13_15 Depth=1
	v_lshrrev_b32_e32 v1, 29, v1
	v_add_u32_e32 v1, v0, v1
	v_lshlrev_b32_e32 v11, 2, v11
	v_lshrrev_b32_e32 v1, 1, v1
	v_sub_u32_e32 v0, v0, v11
	v_and_b32_e32 v1, 0x7ffffffc, v1
	v_add_u32_e32 v0, v1, v0
	v_lshl_add_u32 v0, v0, 2, v4
	ds_write_b32 v0, v9
	s_branch .LBB13_14
.LBB13_25:
	v_mov_b32_e32 v6, 0
.LBB13_26:
	v_cmp_eq_u32_e32 vcc, 0, v3
	s_and_b64 exec, exec, vcc
	s_cbranch_execz .LBB13_39
; %bb.27:
	s_andn2_b64 vcc, exec, s[4:5]
	v_cvt_f32_f64_e32 v0, s[8:9]
	s_cbranch_vccnz .LBB13_29
; %bb.28:
	v_cmp_lt_f32_e32 vcc, 0, v6
	s_nop 1
	v_cndmask_b32_e32 v1, 1.0, v6, vcc
	v_div_scale_f32 v3, s[0:1], v1, v1, v0
	v_rcp_f32_e32 v4, v3
	s_nop 0
	v_fma_f32 v5, -v3, v4, 1.0
	v_fmac_f32_e32 v4, v5, v4
	v_div_scale_f32 v5, vcc, v0, v1, v0
	v_mul_f32_e32 v6, v5, v4
	v_fma_f32 v7, -v3, v6, v5
	v_fmac_f32_e32 v6, v7, v4
	v_fma_f32 v3, -v3, v6, v5
	v_div_fmas_f32 v3, v3, v4, v6
	v_div_fixup_f32 v0, v3, v1, v0
.LBB13_29:
	s_andn2_b64 vcc, exec, s[24:25]
	s_cbranch_vccnz .LBB13_39
; %bb.30:
	v_mul_lo_u32 v2, v2, s12
	s_cmp_gt_u32 s12, 3
	v_ashrrev_i32_e32 v3, 31, v2
	s_cbranch_scc0 .LBB13_34
; %bb.31:
	s_and_b32 s0, s12, 0x7ffffffc
	v_lshl_add_u64 v[4:5], v[2:3], 2, s[20:21]
	v_mov_b32_e32 v1, v0
	v_lshl_add_u64 v[4:5], v[4:5], 0, 8
	s_mov_b32 s1, s0
.LBB13_32:                              ; =>This Inner Loop Header: Depth=1
	global_load_dwordx4 v[6:9], v[4:5], off offset:-8
	s_add_i32 s1, s1, -4
	s_cmp_lg_u32 s1, 0
	s_waitcnt vmcnt(0)
	v_pk_mul_f32 v[6:7], v[0:1], v[6:7]
	v_pk_mul_f32 v[8:9], v[0:1], v[8:9]
	global_store_dwordx4 v[4:5], v[6:9], off offset:-8
	v_lshl_add_u64 v[4:5], v[4:5], 0, 16
	s_cbranch_scc1 .LBB13_32
; %bb.33:
	s_cmp_lg_u32 s0, s12
	s_cselect_b64 s[2:3], -1, 0
	s_branch .LBB13_36
.LBB13_34:
	s_mov_b64 s[2:3], 0
                                        ; implicit-def: $sgpr0
	s_cbranch_execz .LBB13_36
; %bb.35:
	s_mov_b64 s[2:3], -1
	s_mov_b32 s0, 0
.LBB13_36:
	s_andn2_b64 vcc, exec, s[2:3]
	s_cbranch_vccnz .LBB13_39
; %bb.37:
	s_mov_b32 s1, 0
	v_lshl_add_u64 v[2:3], v[2:3], 0, s[0:1]
	s_sub_i32 s2, s12, s0
	v_lshl_add_u64 v[2:3], v[2:3], 2, s[20:21]
.LBB13_38:                              ; =>This Inner Loop Header: Depth=1
	global_load_dword v1, v[2:3], off
	s_add_i32 s2, s2, -1
	s_cmp_lg_u32 s2, 0
	s_waitcnt vmcnt(0)
	v_mul_f32_e32 v1, v0, v1
	global_store_dword v[2:3], v1, off
	v_lshl_add_u64 v[2:3], v[2:3], 0, 4
	s_cbranch_scc1 .LBB13_38
.LBB13_39:
	s_endpgm
	.section	.rodata,"a",@progbits
	.p2align	6, 0x0
	.amdhsa_kernel _ZN4vllm3moe22topkGatingSoftplusSqrtILi4ELi8ELi4ELi16ELi64ELb0EifEEvPKT6_PKbPfiPT5_PiiiibdPKfPKS8_SE_
		.amdhsa_group_segment_fixed_size 4096
		.amdhsa_private_segment_fixed_size 0
		.amdhsa_kernarg_size 96
		.amdhsa_user_sgpr_count 4
		.amdhsa_user_sgpr_dispatch_ptr 1
		.amdhsa_user_sgpr_queue_ptr 0
		.amdhsa_user_sgpr_kernarg_segment_ptr 1
		.amdhsa_user_sgpr_dispatch_id 0
		.amdhsa_user_sgpr_kernarg_preload_length 0
		.amdhsa_user_sgpr_kernarg_preload_offset 0
		.amdhsa_user_sgpr_private_segment_size 0
		.amdhsa_uses_dynamic_stack 0
		.amdhsa_enable_private_segment 0
		.amdhsa_system_sgpr_workgroup_id_x 1
		.amdhsa_system_sgpr_workgroup_id_y 0
		.amdhsa_system_sgpr_workgroup_id_z 0
		.amdhsa_system_sgpr_workgroup_info 0
		.amdhsa_system_vgpr_workitem_id 2
		.amdhsa_next_free_vgpr 16
		.amdhsa_next_free_sgpr 32
		.amdhsa_accum_offset 16
		.amdhsa_reserve_vcc 1
		.amdhsa_float_round_mode_32 0
		.amdhsa_float_round_mode_16_64 0
		.amdhsa_float_denorm_mode_32 3
		.amdhsa_float_denorm_mode_16_64 3
		.amdhsa_dx10_clamp 1
		.amdhsa_ieee_mode 1
		.amdhsa_fp16_overflow 0
		.amdhsa_tg_split 0
		.amdhsa_exception_fp_ieee_invalid_op 0
		.amdhsa_exception_fp_denorm_src 0
		.amdhsa_exception_fp_ieee_div_zero 0
		.amdhsa_exception_fp_ieee_overflow 0
		.amdhsa_exception_fp_ieee_underflow 0
		.amdhsa_exception_fp_ieee_inexact 0
		.amdhsa_exception_int_div_zero 0
	.end_amdhsa_kernel
	.section	.text._ZN4vllm3moe22topkGatingSoftplusSqrtILi4ELi8ELi4ELi16ELi64ELb0EifEEvPKT6_PKbPfiPT5_PiiiibdPKfPKS8_SE_,"axG",@progbits,_ZN4vllm3moe22topkGatingSoftplusSqrtILi4ELi8ELi4ELi16ELi64ELb0EifEEvPKT6_PKbPfiPT5_PiiiibdPKfPKS8_SE_,comdat
.Lfunc_end13:
	.size	_ZN4vllm3moe22topkGatingSoftplusSqrtILi4ELi8ELi4ELi16ELi64ELb0EifEEvPKT6_PKbPfiPT5_PiiiibdPKfPKS8_SE_, .Lfunc_end13-_ZN4vllm3moe22topkGatingSoftplusSqrtILi4ELi8ELi4ELi16ELi64ELb0EifEEvPKT6_PKbPfiPT5_PiiiibdPKfPKS8_SE_
                                        ; -- End function
	.section	.AMDGPU.csdata,"",@progbits
; Kernel info:
; codeLenInByte = 2500
; NumSgprs: 38
; NumVgprs: 16
; NumAgprs: 0
; TotalNumVgprs: 16
; ScratchSize: 0
; MemoryBound: 0
; FloatMode: 240
; IeeeMode: 1
; LDSByteSize: 4096 bytes/workgroup (compile time only)
; SGPRBlocks: 4
; VGPRBlocks: 1
; NumSGPRsForWavesPerEU: 38
; NumVGPRsForWavesPerEU: 16
; AccumOffset: 16
; Occupancy: 8
; WaveLimiterHint : 0
; COMPUTE_PGM_RSRC2:SCRATCH_EN: 0
; COMPUTE_PGM_RSRC2:USER_SGPR: 4
; COMPUTE_PGM_RSRC2:TRAP_HANDLER: 0
; COMPUTE_PGM_RSRC2:TGID_X_EN: 1
; COMPUTE_PGM_RSRC2:TGID_Y_EN: 0
; COMPUTE_PGM_RSRC2:TGID_Z_EN: 0
; COMPUTE_PGM_RSRC2:TIDIG_COMP_CNT: 2
; COMPUTE_PGM_RSRC3_GFX90A:ACCUM_OFFSET: 3
; COMPUTE_PGM_RSRC3_GFX90A:TG_SPLIT: 0
	.section	.text._ZN4vllm3moe22topkGatingSoftplusSqrtILi4ELi8ELi4ELi16ELi32ELb1EifEEvPKT6_PKbPfiPT5_PiiiibdPKfPKS8_SE_,"axG",@progbits,_ZN4vllm3moe22topkGatingSoftplusSqrtILi4ELi8ELi4ELi16ELi32ELb1EifEEvPKT6_PKbPfiPT5_PiiiibdPKfPKS8_SE_,comdat
	.protected	_ZN4vllm3moe22topkGatingSoftplusSqrtILi4ELi8ELi4ELi16ELi32ELb1EifEEvPKT6_PKbPfiPT5_PiiiibdPKfPKS8_SE_ ; -- Begin function _ZN4vllm3moe22topkGatingSoftplusSqrtILi4ELi8ELi4ELi16ELi32ELb1EifEEvPKT6_PKbPfiPT5_PiiiibdPKfPKS8_SE_
	.globl	_ZN4vllm3moe22topkGatingSoftplusSqrtILi4ELi8ELi4ELi16ELi32ELb1EifEEvPKT6_PKbPfiPT5_PiiiibdPKfPKS8_SE_
	.p2align	8
	.type	_ZN4vllm3moe22topkGatingSoftplusSqrtILi4ELi8ELi4ELi16ELi32ELb1EifEEvPKT6_PKbPfiPT5_PiiiibdPKfPKS8_SE_,@function
_ZN4vllm3moe22topkGatingSoftplusSqrtILi4ELi8ELi4ELi16ELi32ELb1EifEEvPKT6_PKbPfiPT5_PiiiibdPKfPKS8_SE_: ; @_ZN4vllm3moe22topkGatingSoftplusSqrtILi4ELi8ELi4ELi16ELi32ELb1EifEEvPKT6_PKbPfiPT5_PiiiibdPKfPKS8_SE_
; %bb.0:
	s_load_dword s3, s[0:1], 0x18
	v_bfe_u32 v1, v0, 10, 10
	v_and_b32_e32 v8, 0x3ff, v0
	s_lshl_b32 s2, s2, 6
	v_lshlrev_b32_e32 v1, 4, v1
	v_lshrrev_b32_e32 v0, 1, v8
	v_add3_u32 v2, s2, v1, v0
	s_waitcnt lgkmcnt(0)
	v_cmp_gt_i32_e32 vcc, s3, v2
	s_and_saveexec_b64 s[2:3], vcc
	s_cbranch_execz .LBB14_79
; %bb.1:
	s_load_dwordx2 s[2:3], s[0:1], 0x0
	s_load_dword s20, s[0:1], 0x30
	s_load_dwordx4 s[8:11], s[0:1], 0x50
	v_lshlrev_b32_e32 v0, 3, v2
	v_lshlrev_b32_e32 v3, 2, v8
	v_ashrrev_i32_e32 v1, 31, v0
	v_and_b32_e32 v12, 4, v3
	s_waitcnt lgkmcnt(0)
	v_lshl_add_u64 v[0:1], v[0:1], 2, s[2:3]
	v_lshlrev_b32_e32 v6, 2, v12
	v_mov_b32_e32 v7, 0
	v_lshl_add_u64 v[0:1], v[0:1], 0, v[6:7]
	global_load_dwordx4 v[14:17], v[0:1], off
	v_mov_b32_e32 v0, s8
	v_mov_b32_e32 v1, s9
	v_ashrrev_i32_e32 v3, 31, v2
	v_lshl_add_u64 v[0:1], v[2:3], 2, v[0:1]
	global_load_dword v0, v[0:1], off
	s_mov_b32 s6, 0x800000
	v_mov_b32_e32 v3, 0x4f800000
	s_mov_b32 s12, 0x3f317217
	s_mov_b32 s13, 0x7f800000
	v_mov_b32_e32 v6, 0x41b17218
	s_mov_b32 s9, 0x41a00000
	s_mov_b32 s14, 0xf800000
	v_mov_b32_e32 v9, 0x260
	s_cmp_gt_i32 s20, 0
	s_mov_b32 s8, 0
	v_mul_lo_u32 v2, v2, s20
	s_waitcnt vmcnt(1)
	v_mul_f32_e32 v1, 0x3fb8aa3b, v14
	v_mul_f32_e32 v5, 0x3fb8aa3b, v15
	v_exp_f32_e32 v4, v1
	v_exp_f32_e32 v5, v5
	v_mul_f32_e32 v10, 0x3fb8aa3b, v16
	v_mul_f32_e32 v11, 0x3fb8aa3b, v17
	v_exp_f32_e32 v10, v10
	v_exp_f32_e32 v11, v11
	v_pk_add_f32 v[4:5], v[4:5], 1.0 op_sel_hi:[1,0]
	s_waitcnt vmcnt(0)
	v_mul_lo_u32 v0, v0, s20
	v_cmp_gt_f32_e32 vcc, s6, v5
	v_pk_add_f32 v[10:11], v[10:11], 1.0 op_sel_hi:[1,0]
	v_cmp_gt_f32_e64 s[2:3], s6, v4
	v_cndmask_b32_e32 v13, 1.0, v3, vcc
	v_cmp_gt_f32_e64 s[4:5], s6, v11
	v_cndmask_b32_e64 v18, 1.0, v3, s[2:3]
	v_mul_f32_e32 v5, v5, v13
	v_cndmask_b32_e64 v19, 1.0, v3, s[4:5]
	v_cmp_gt_f32_e64 s[6:7], s6, v10
	v_mul_f32_e32 v4, v4, v18
	v_log_f32_e32 v5, v5
	v_cndmask_b32_e64 v3, 1.0, v3, s[6:7]
	v_mul_f32_e32 v11, v11, v19
	v_log_f32_e32 v4, v4
	v_mul_f32_e32 v3, v10, v3
	v_log_f32_e32 v10, v11
	v_mul_f32_e32 v11, 0x3f317217, v5
	v_mul_f32_e32 v20, 0x3f317217, v4
	v_fma_f32 v11, v5, s12, -v11
	v_mul_f32_e32 v21, 0x3f317217, v10
	v_fma_f32 v20, v4, s12, -v20
	v_fmac_f32_e32 v11, 0x3377d1cf, v5
	v_cndmask_b32_e32 v13, 0, v6, vcc
	v_fma_f32 v21, v10, s12, -v21
	v_fmac_f32_e32 v20, 0x3377d1cf, v4
	v_fmac_f32_e32 v11, 0x3f317217, v5
	v_cmp_lt_f32_e64 vcc, |v5|, s13
	v_fmac_f32_e32 v21, 0x3377d1cf, v10
	v_fmac_f32_e32 v20, 0x3f317217, v4
	v_cndmask_b32_e32 v5, v5, v11, vcc
	v_cmp_lt_f32_e64 vcc, |v4|, s13
	v_cndmask_b32_e64 v18, 0, v6, s[2:3]
	v_fmac_f32_e32 v21, 0x3f317217, v10
	v_cndmask_b32_e32 v4, v4, v20, vcc
	v_cmp_lt_f32_e64 vcc, |v10|, s13
	v_sub_f32_e32 v4, v4, v18
	v_sub_f32_e32 v5, v5, v13
	v_cndmask_b32_e32 v10, v10, v21, vcc
	v_cmp_lt_f32_e32 vcc, s9, v14
	v_cndmask_b32_e64 v19, 0, v6, s[4:5]
	v_log_f32_e32 v3, v3
	v_cndmask_b32_e32 v4, v4, v14, vcc
	v_cmp_lt_f32_e32 vcc, s9, v15
	v_mul_f32_e32 v13, 0x4f800000, v4
	v_cmp_gt_f32_e64 s[2:3], s14, v4
	v_cndmask_b32_e32 v5, v5, v15, vcc
	v_mul_f32_e32 v11, 0x4f800000, v5
	v_cmp_gt_f32_e32 vcc, s14, v5
	v_cndmask_b32_e64 v4, v4, v13, s[2:3]
	v_sqrt_f32_e32 v13, v4
	v_cndmask_b32_e32 v5, v5, v11, vcc
	v_sqrt_f32_e32 v11, v5
	v_sub_f32_e32 v10, v10, v19
	v_add_u32_e32 v18, -1, v13
	v_fma_f32 v23, -v18, v13, v4
	v_add_u32_e32 v14, -1, v11
	v_fma_f32 v20, -v14, v11, v5
	v_add_u32_e32 v15, 1, v11
	v_cmp_ge_f32_e64 s[4:5], 0, v20
	v_add_u32_e32 v19, 1, v13
	v_fma_f32 v21, -v15, v11, v5
	v_cndmask_b32_e64 v11, v11, v14, s[4:5]
	v_cmp_ge_f32_e64 s[4:5], 0, v23
	v_fma_f32 v24, -v19, v13, v4
	v_mul_f32_e32 v22, 0x3f317217, v3
	v_cndmask_b32_e64 v13, v13, v18, s[4:5]
	v_cmp_lt_f32_e64 s[4:5], 0, v21
	v_fma_f32 v22, v3, s12, -v22
	v_fmac_f32_e32 v22, 0x3377d1cf, v3
	v_cndmask_b32_e64 v11, v11, v15, s[4:5]
	v_cmp_lt_f32_e64 s[4:5], 0, v24
	v_mul_f32_e32 v14, 0x37800000, v11
	v_cndmask_b32_e32 v11, v11, v14, vcc
	v_cndmask_b32_e64 v13, v13, v19, s[4:5]
	v_mul_f32_e32 v15, 0x37800000, v13
	v_cmp_class_f32_e32 vcc, v5, v9
	v_cndmask_b32_e64 v13, v13, v15, s[2:3]
	v_fmac_f32_e32 v22, 0x3f317217, v3
	v_cndmask_b32_e32 v15, v11, v5, vcc
	v_cmp_class_f32_e32 vcc, v4, v9
	v_cmp_lt_f32_e64 s[2:3], s9, v16
	v_ashrrev_i32_e32 v1, 31, v0
	v_cndmask_b32_e32 v14, v13, v4, vcc
	v_cmp_lt_f32_e64 vcc, |v3|, s13
	v_cndmask_b32_e64 v4, 0, v6, s[6:7]
	s_cselect_b64 s[4:5], -1, 0
	v_cndmask_b32_e32 v3, v3, v22, vcc
	v_cmp_lt_f32_e32 vcc, s9, v17
	v_sub_f32_e32 v3, v3, v4
	v_cndmask_b32_e64 v3, v3, v16, s[2:3]
	v_cndmask_b32_e32 v5, v10, v17, vcc
	v_mul_f32_e32 v6, 0x4f800000, v5
	v_cmp_gt_f32_e32 vcc, s14, v5
	s_cmp_lt_i32 s20, 1
	s_nop 0
	v_cndmask_b32_e32 v5, v5, v6, vcc
	v_sqrt_f32_e32 v6, v5
	s_nop 0
	v_add_u32_e32 v4, -1, v6
	v_fma_f32 v10, -v4, v6, v5
	v_cmp_ge_f32_e64 s[2:3], 0, v10
	v_add_u32_e32 v10, 1, v6
	s_nop 0
	v_cndmask_b32_e64 v4, v6, v4, s[2:3]
	v_fma_f32 v6, -v10, v6, v5
	v_cmp_lt_f32_e64 s[2:3], 0, v6
	s_nop 1
	v_cndmask_b32_e64 v4, v4, v10, s[2:3]
	v_mul_f32_e32 v10, 0x4f800000, v3
	v_cmp_gt_f32_e64 s[2:3], s14, v3
	v_mul_f32_e32 v6, 0x37800000, v4
	v_cndmask_b32_e32 v4, v4, v6, vcc
	v_cndmask_b32_e64 v3, v3, v10, s[2:3]
	v_sqrt_f32_e32 v10, v3
	v_cmp_class_f32_e32 vcc, v5, v9
	s_nop 1
	v_cndmask_b32_e32 v17, v4, v5, vcc
	v_add_u32_e32 v4, -1, v10
	v_fma_f32 v5, -v4, v10, v3
	v_cmp_ge_f32_e32 vcc, 0, v5
	v_add_u32_e32 v5, 1, v10
	v_fma_f32 v6, -v5, v10, v3
	v_cndmask_b32_e32 v4, v10, v4, vcc
	v_cmp_lt_f32_e32 vcc, 0, v6
	s_nop 1
	v_cndmask_b32_e32 v4, v4, v5, vcc
	v_mul_f32_e32 v5, 0x37800000, v4
	v_cndmask_b32_e64 v4, v4, v5, s[2:3]
	v_cmp_class_f32_e32 vcc, v3, v9
	s_nop 1
	v_cndmask_b32_e32 v16, v4, v3, vcc
	v_lshl_add_u64 v[4:5], v[0:1], 2, s[10:11]
	scratch_store_dwordx4 off, v[14:17], off
	s_cbranch_scc1 .LBB14_28
; %bb.2:
	s_load_dwordx2 s[6:7], s[0:1], 0x20
	s_cmp_lt_u32 s20, 4
	v_and_b32_e32 v6, 1, v8
	s_cbranch_scc1 .LBB14_21
; %bb.3:
	v_lshlrev_b32_e32 v7, 2, v6
	s_mov_b32 s13, 0
	s_and_b32 s8, s20, 0x7ffffffc
	v_ashrrev_i32_e32 v3, 31, v2
	v_sub_u32_e32 v13, 0, v7
	v_mov_b32_e32 v7, 0
	s_mov_b32 s12, s13
	s_branch .LBB14_5
.LBB14_4:                               ;   in Loop: Header=BB14_5 Depth=1
	s_or_b64 exec, exec, s[14:15]
	s_add_i32 s12, s12, 4
	s_cmp_eq_u32 s12, s8
	s_cbranch_scc1 .LBB14_21
.LBB14_5:                               ; =>This Loop Header: Depth=1
                                        ;     Child Loop BB14_7 Depth 2
                                        ;     Child Loop BB14_11 Depth 2
	;; [unrolled: 1-line block ×4, first 2 shown]
	v_lshl_add_u64 v[8:9], s[12:13], 2, v[4:5]
	global_load_dword v14, v[8:9], off
	v_add_u32_e32 v10, s12, v2
	v_ashrrev_i32_e32 v11, 31, v10
	v_mov_b32_e32 v15, 0
	s_mov_b64 s[14:15], 0
	s_waitcnt lgkmcnt(0)
	v_lshl_add_u64 v[10:11], v[10:11], 2, s[6:7]
	s_mov_b32 s9, 0
	s_waitcnt vmcnt(0)
	v_add_u32_e32 v16, v13, v14
	s_branch .LBB14_7
.LBB14_6:                               ;   in Loop: Header=BB14_7 Depth=2
	s_or_b64 exec, exec, s[16:17]
	s_add_i32 s18, s9, 1
	s_cmp_gt_u32 s9, 2
	s_cselect_b64 s[2:3], -1, 0
	s_xor_b64 s[16:17], vcc, -1
	s_or_b64 s[2:3], s[16:17], s[2:3]
	s_and_b64 s[2:3], exec, s[2:3]
	v_add_u32_e32 v15, 4, v15
	s_or_b64 s[14:15], s[2:3], s[14:15]
	s_mov_b32 s9, s18
	s_andn2_b64 exec, exec, s[14:15]
	s_cbranch_execz .LBB14_9
.LBB14_7:                               ;   Parent Loop BB14_5 Depth=1
                                        ; =>  This Inner Loop Header: Depth=2
	v_cmp_ne_u32_e32 vcc, s9, v16
	v_cmp_eq_u32_e64 s[2:3], s9, v16
	s_and_saveexec_b64 s[16:17], s[2:3]
	s_cbranch_execz .LBB14_6
; %bb.8:                                ;   in Loop: Header=BB14_7 Depth=2
	scratch_load_dword v17, v15, off
	s_waitcnt vmcnt(0)
	v_add_f32_e32 v7, v7, v17
	global_store_dword v[10:11], v14, off
	s_branch .LBB14_6
.LBB14_9:                               ;   in Loop: Header=BB14_5 Depth=1
	s_or_b64 exec, exec, s[14:15]
	global_load_dword v14, v[8:9], off offset:4
	s_ashr_i32 s3, s12, 31
	s_mov_b32 s2, s12
	v_lshl_add_u64 v[10:11], s[2:3], 0, v[2:3]
	v_mov_b32_e32 v15, 0
	s_mov_b32 s9, 0
	v_lshl_add_u64 v[10:11], v[10:11], 2, s[6:7]
	s_mov_b64 s[14:15], 0
	s_waitcnt vmcnt(0)
	v_add_u32_e32 v16, v13, v14
	s_branch .LBB14_11
.LBB14_10:                              ;   in Loop: Header=BB14_11 Depth=2
	s_or_b64 exec, exec, s[16:17]
	s_add_i32 s18, s9, 1
	s_cmp_gt_u32 s9, 2
	s_cselect_b64 s[2:3], -1, 0
	s_xor_b64 s[16:17], vcc, -1
	s_or_b64 s[2:3], s[16:17], s[2:3]
	s_and_b64 s[2:3], exec, s[2:3]
	v_add_u32_e32 v15, 4, v15
	s_or_b64 s[14:15], s[2:3], s[14:15]
	s_mov_b32 s9, s18
	s_andn2_b64 exec, exec, s[14:15]
	s_cbranch_execz .LBB14_13
.LBB14_11:                              ;   Parent Loop BB14_5 Depth=1
                                        ; =>  This Inner Loop Header: Depth=2
	v_cmp_ne_u32_e32 vcc, s9, v16
	v_cmp_eq_u32_e64 s[2:3], s9, v16
	s_and_saveexec_b64 s[16:17], s[2:3]
	s_cbranch_execz .LBB14_10
; %bb.12:                               ;   in Loop: Header=BB14_11 Depth=2
	scratch_load_dword v17, v15, off
	s_waitcnt vmcnt(0)
	v_add_f32_e32 v7, v7, v17
	global_store_dword v[10:11], v14, off offset:4
	s_branch .LBB14_10
.LBB14_13:                              ;   in Loop: Header=BB14_5 Depth=1
	s_or_b64 exec, exec, s[14:15]
	global_load_dword v14, v[8:9], off offset:8
	v_mov_b32_e32 v15, 0
	s_mov_b32 s9, 0
	s_mov_b64 s[14:15], 0
	s_waitcnt vmcnt(0)
	v_add_u32_e32 v16, v13, v14
	s_branch .LBB14_15
.LBB14_14:                              ;   in Loop: Header=BB14_15 Depth=2
	s_or_b64 exec, exec, s[16:17]
	s_add_i32 s18, s9, 1
	s_cmp_gt_u32 s9, 2
	s_cselect_b64 s[2:3], -1, 0
	s_xor_b64 s[16:17], vcc, -1
	s_or_b64 s[2:3], s[16:17], s[2:3]
	s_and_b64 s[2:3], exec, s[2:3]
	v_add_u32_e32 v15, 4, v15
	s_or_b64 s[14:15], s[2:3], s[14:15]
	s_mov_b32 s9, s18
	s_andn2_b64 exec, exec, s[14:15]
	s_cbranch_execz .LBB14_17
.LBB14_15:                              ;   Parent Loop BB14_5 Depth=1
                                        ; =>  This Inner Loop Header: Depth=2
	v_cmp_ne_u32_e32 vcc, s9, v16
	v_cmp_eq_u32_e64 s[2:3], s9, v16
	s_and_saveexec_b64 s[16:17], s[2:3]
	s_cbranch_execz .LBB14_14
; %bb.16:                               ;   in Loop: Header=BB14_15 Depth=2
	scratch_load_dword v17, v15, off
	s_waitcnt vmcnt(0)
	v_add_f32_e32 v7, v7, v17
	global_store_dword v[10:11], v14, off offset:8
	s_branch .LBB14_14
.LBB14_17:                              ;   in Loop: Header=BB14_5 Depth=1
	s_or_b64 exec, exec, s[14:15]
	global_load_dword v8, v[8:9], off offset:12
	v_mov_b32_e32 v9, 0
	s_mov_b32 s9, 0
	s_mov_b64 s[14:15], 0
	s_waitcnt vmcnt(0)
	v_add_u32_e32 v14, v13, v8
	s_branch .LBB14_19
.LBB14_18:                              ;   in Loop: Header=BB14_19 Depth=2
	s_or_b64 exec, exec, s[16:17]
	s_add_i32 s18, s9, 1
	s_cmp_gt_u32 s9, 2
	s_cselect_b64 s[2:3], -1, 0
	s_xor_b64 s[16:17], vcc, -1
	s_or_b64 s[2:3], s[16:17], s[2:3]
	s_and_b64 s[2:3], exec, s[2:3]
	v_add_u32_e32 v9, 4, v9
	s_or_b64 s[14:15], s[2:3], s[14:15]
	s_mov_b32 s9, s18
	s_andn2_b64 exec, exec, s[14:15]
	s_cbranch_execz .LBB14_4
.LBB14_19:                              ;   Parent Loop BB14_5 Depth=1
                                        ; =>  This Inner Loop Header: Depth=2
	v_cmp_ne_u32_e32 vcc, s9, v14
	v_cmp_eq_u32_e64 s[2:3], s9, v14
	s_and_saveexec_b64 s[16:17], s[2:3]
	s_cbranch_execz .LBB14_18
; %bb.20:                               ;   in Loop: Header=BB14_19 Depth=2
	scratch_load_dword v15, v9, off
	s_waitcnt vmcnt(0)
	v_add_f32_e32 v7, v7, v15
	global_store_dword v[10:11], v8, off offset:12
	s_branch .LBB14_18
.LBB14_21:
	s_and_b32 s16, s20, 3
	s_cmp_eq_u32 s16, 0
	s_mov_b32 s9, 0
	s_cbranch_scc1 .LBB14_28
; %bb.22:
	v_lshlrev_b32_e32 v3, 2, v6
	v_sub_u32_e32 v3, 0, v3
	s_mov_b32 s17, s9
	s_branch .LBB14_24
.LBB14_23:                              ;   in Loop: Header=BB14_24 Depth=1
	s_or_b64 exec, exec, s[12:13]
	s_add_i32 s8, s8, 1
	s_add_i32 s17, s17, 1
	s_cmp_lg_u32 s17, s16
	s_cbranch_scc0 .LBB14_28
.LBB14_24:                              ; =>This Loop Header: Depth=1
                                        ;     Child Loop BB14_26 Depth 2
	v_lshl_add_u64 v[8:9], s[8:9], 2, v[4:5]
	global_load_dword v6, v[8:9], off
	v_add_u32_e32 v8, s8, v2
	v_ashrrev_i32_e32 v9, 31, v8
	v_mov_b32_e32 v10, 0
	s_mov_b32 s18, 0
	s_waitcnt lgkmcnt(0)
	v_lshl_add_u64 v[8:9], v[8:9], 2, s[6:7]
	s_mov_b64 s[12:13], 0
	s_waitcnt vmcnt(0)
	v_add_u32_e32 v11, v3, v6
	s_branch .LBB14_26
.LBB14_25:                              ;   in Loop: Header=BB14_26 Depth=2
	s_or_b64 exec, exec, s[14:15]
	s_add_i32 s19, s18, 1
	s_cmp_gt_u32 s18, 2
	s_cselect_b64 s[2:3], -1, 0
	s_xor_b64 s[14:15], vcc, -1
	s_or_b64 s[2:3], s[14:15], s[2:3]
	s_and_b64 s[2:3], exec, s[2:3]
	v_add_u32_e32 v10, 4, v10
	s_or_b64 s[12:13], s[2:3], s[12:13]
	s_mov_b32 s18, s19
	s_andn2_b64 exec, exec, s[12:13]
	s_cbranch_execz .LBB14_23
.LBB14_26:                              ;   Parent Loop BB14_24 Depth=1
                                        ; =>  This Inner Loop Header: Depth=2
	v_cmp_ne_u32_e32 vcc, s18, v11
	v_cmp_eq_u32_e64 s[2:3], s18, v11
	s_and_saveexec_b64 s[14:15], s[2:3]
	s_cbranch_execz .LBB14_25
; %bb.27:                               ;   in Loop: Header=BB14_26 Depth=2
	scratch_load_dword v13, v10, off
	s_waitcnt vmcnt(0)
	v_add_f32_e32 v7, v7, v13
	global_store_dword v[8:9], v6, off
	s_branch .LBB14_25
.LBB14_28:
	s_waitcnt lgkmcnt(0)
	s_load_dword s6, s[0:1], 0x3c
	s_waitcnt lgkmcnt(0)
	s_bitcmp1_b32 s6, 0
	s_cselect_b64 s[2:3], -1, 0
	s_bitcmp0_b32 s6, 0
	s_cbranch_scc0 .LBB14_31
; %bb.29:
	s_load_dwordx2 s[6:7], s[0:1], 0x40
	s_andn2_b64 vcc, exec, s[2:3]
	s_waitcnt lgkmcnt(0)
	v_cvt_f32_f64_e32 v10, s[6:7]
	s_cbranch_vccz .LBB14_32
.LBB14_30:
	s_andn2_b64 vcc, exec, s[4:5]
	s_cbranch_vccz .LBB14_33
	s_branch .LBB14_79
.LBB14_31:
	v_mbcnt_lo_u32_b32 v3, -1, 0
	v_mbcnt_hi_u32_b32 v3, -1, v3
	v_and_b32_e32 v8, 0x7e, v3
	v_xor_b32_e32 v6, 1, v3
	v_add_u32_e32 v8, 2, v8
	v_cmp_lt_i32_e32 vcc, v6, v8
	s_nop 1
	v_cndmask_b32_e32 v3, v3, v6, vcc
	v_lshlrev_b32_e32 v3, 2, v3
	ds_bpermute_b32 v3, v3, v7
	s_waitcnt lgkmcnt(0)
	v_add_f32_e32 v7, v7, v3
	s_load_dwordx2 s[6:7], s[0:1], 0x40
	s_andn2_b64 vcc, exec, s[2:3]
	s_waitcnt lgkmcnt(0)
	v_cvt_f32_f64_e32 v10, s[6:7]
	s_cbranch_vccnz .LBB14_30
.LBB14_32:
	v_cmp_lt_f32_e32 vcc, 0, v7
	s_nop 1
	v_cndmask_b32_e32 v3, 1.0, v7, vcc
	v_div_scale_f32 v6, s[2:3], v3, v3, v10
	v_rcp_f32_e32 v7, v6
	s_nop 0
	v_fma_f32 v8, -v6, v7, 1.0
	v_fmac_f32_e32 v7, v8, v7
	v_div_scale_f32 v8, vcc, v10, v3, v10
	v_mul_f32_e32 v9, v8, v7
	v_fma_f32 v11, -v6, v9, v8
	v_fmac_f32_e32 v9, v11, v7
	v_fma_f32 v6, -v6, v9, v8
	v_div_fmas_f32 v6, v6, v7, v9
	v_div_fixup_f32 v10, v6, v3, v10
	s_andn2_b64 vcc, exec, s[4:5]
	s_cbranch_vccnz .LBB14_79
.LBB14_33:
	s_load_dwordx2 s[4:5], s[0:1], 0x10
	v_mov_b32_e32 v3, 0
	v_or_b32_e32 v11, 4, v3
	v_or_b32_e32 v13, 8, v3
	;; [unrolled: 1-line block ×6, first 2 shown]
	s_cmp_lt_u32 s20, 4
	s_mov_b32 s6, 0
	s_cbranch_scc1 .LBB14_68
; %bb.34:
	v_ashrrev_i32_e32 v3, 31, v2
	s_and_b32 s6, s20, 0x7ffffffc
	s_waitcnt lgkmcnt(0)
	v_lshl_add_u64 v[6:7], v[2:3], 2, s[4:5]
	s_mov_b32 s7, 0
	s_mov_b64 s[8:9], 0
	s_branch .LBB14_36
.LBB14_35:                              ;   in Loop: Header=BB14_36 Depth=1
	s_or_b64 exec, exec, s[2:3]
	s_add_i32 s7, s7, 4
	s_add_u32 s8, s8, 16
	s_addc_u32 s9, s9, 0
	s_cmp_eq_u32 s6, s7
	s_cbranch_scc1 .LBB14_68
.LBB14_36:                              ; =>This Inner Loop Header: Depth=1
	v_lshl_add_u64 v[8:9], v[4:5], 0, s[8:9]
	global_load_dword v18, v[8:9], off
	v_mov_b32_e32 v3, 0
	s_waitcnt vmcnt(0)
	v_cmp_eq_u32_e32 vcc, v18, v12
	v_cmp_ne_u32_e64 s[0:1], v18, v12
	s_and_saveexec_b64 s[12:13], s[0:1]
	s_cbranch_execz .LBB14_42
; %bb.37:                               ;   in Loop: Header=BB14_36 Depth=1
	v_cmp_eq_u32_e64 s[0:1], v18, v15
	v_cmp_ne_u32_e64 s[2:3], v18, v15
	v_mov_b32_e32 v3, v11
	s_and_saveexec_b64 s[14:15], s[2:3]
	s_cbranch_execz .LBB14_41
; %bb.38:                               ;   in Loop: Header=BB14_36 Depth=1
	v_cmp_eq_u32_e64 s[16:17], v18, v16
	v_cmp_ne_u32_e64 s[2:3], v18, v16
	v_mov_b32_e32 v3, v13
	s_and_saveexec_b64 s[18:19], s[2:3]
	s_xor_b64 s[18:19], exec, s[18:19]
; %bb.39:                               ;   in Loop: Header=BB14_36 Depth=1
	v_cmp_eq_u32_e64 s[2:3], v18, v17
	s_andn2_b64 s[16:17], s[16:17], exec
	s_and_b64 s[2:3], s[2:3], exec
	s_or_b64 s[16:17], s[16:17], s[2:3]
	v_mov_b32_e32 v3, v14
; %bb.40:                               ;   in Loop: Header=BB14_36 Depth=1
	s_or_b64 exec, exec, s[18:19]
	s_andn2_b64 s[0:1], s[0:1], exec
	s_and_b64 s[2:3], s[16:17], exec
	s_or_b64 s[0:1], s[0:1], s[2:3]
.LBB14_41:                              ;   in Loop: Header=BB14_36 Depth=1
	s_or_b64 exec, exec, s[14:15]
	s_andn2_b64 s[2:3], vcc, exec
	s_and_b64 s[0:1], s[0:1], exec
	s_or_b64 vcc, s[2:3], s[0:1]
.LBB14_42:                              ;   in Loop: Header=BB14_36 Depth=1
	s_or_b64 exec, exec, s[12:13]
	s_and_saveexec_b64 s[0:1], vcc
	s_cbranch_execz .LBB14_44
; %bb.43:                               ;   in Loop: Header=BB14_36 Depth=1
	scratch_load_dword v3, v3, off
	v_add_u32_e32 v18, s7, v2
	v_ashrrev_i32_e32 v19, 31, v18
	v_lshl_add_u64 v[18:19], v[18:19], 2, s[4:5]
	s_waitcnt vmcnt(0)
	v_mul_f32_e32 v3, v10, v3
	global_store_dword v[18:19], v3, off
.LBB14_44:                              ;   in Loop: Header=BB14_36 Depth=1
	s_or_b64 exec, exec, s[0:1]
	global_load_dword v18, v[8:9], off offset:4
	v_mov_b32_e32 v3, 0
	s_waitcnt vmcnt(0)
	v_cmp_eq_u32_e64 s[0:1], v18, v12
	v_cmp_ne_u32_e32 vcc, v18, v12
	s_and_saveexec_b64 s[2:3], vcc
	s_cbranch_execz .LBB14_50
; %bb.45:                               ;   in Loop: Header=BB14_36 Depth=1
	v_cmp_eq_u32_e64 s[12:13], v18, v15
	v_cmp_ne_u32_e32 vcc, v18, v15
	v_mov_b32_e32 v3, v11
	s_and_saveexec_b64 s[14:15], vcc
	s_cbranch_execz .LBB14_49
; %bb.46:                               ;   in Loop: Header=BB14_36 Depth=1
	v_cmp_eq_u32_e64 s[16:17], v18, v16
	v_cmp_ne_u32_e32 vcc, v18, v16
	v_mov_b32_e32 v3, v13
	s_and_saveexec_b64 s[18:19], vcc
; %bb.47:                               ;   in Loop: Header=BB14_36 Depth=1
	v_cmp_eq_u32_e32 vcc, v18, v17
	s_andn2_b64 s[16:17], s[16:17], exec
	s_and_b64 s[22:23], vcc, exec
	s_or_b64 s[16:17], s[16:17], s[22:23]
	v_mov_b32_e32 v3, v14
; %bb.48:                               ;   in Loop: Header=BB14_36 Depth=1
	s_or_b64 exec, exec, s[18:19]
	s_andn2_b64 s[12:13], s[12:13], exec
	s_and_b64 s[16:17], s[16:17], exec
	s_or_b64 s[12:13], s[12:13], s[16:17]
.LBB14_49:                              ;   in Loop: Header=BB14_36 Depth=1
	s_or_b64 exec, exec, s[14:15]
	s_andn2_b64 s[0:1], s[0:1], exec
	s_and_b64 s[12:13], s[12:13], exec
	s_or_b64 s[0:1], s[0:1], s[12:13]
.LBB14_50:                              ;   in Loop: Header=BB14_36 Depth=1
	s_or_b64 exec, exec, s[2:3]
	s_and_saveexec_b64 s[2:3], s[0:1]
	s_cbranch_execz .LBB14_52
; %bb.51:                               ;   in Loop: Header=BB14_36 Depth=1
	scratch_load_dword v3, v3, off
	v_lshl_add_u64 v[18:19], v[6:7], 0, s[8:9]
	s_waitcnt vmcnt(0)
	v_mul_f32_e32 v3, v10, v3
	global_store_dword v[18:19], v3, off offset:4
.LBB14_52:                              ;   in Loop: Header=BB14_36 Depth=1
	s_or_b64 exec, exec, s[2:3]
	global_load_dword v18, v[8:9], off offset:8
	v_mov_b32_e32 v3, 0
	s_waitcnt vmcnt(0)
	v_cmp_eq_u32_e64 s[0:1], v18, v12
	v_cmp_ne_u32_e32 vcc, v18, v12
	s_and_saveexec_b64 s[2:3], vcc
	s_cbranch_execz .LBB14_58
; %bb.53:                               ;   in Loop: Header=BB14_36 Depth=1
	v_cmp_eq_u32_e64 s[12:13], v18, v15
	v_cmp_ne_u32_e32 vcc, v18, v15
	v_mov_b32_e32 v3, v11
	s_and_saveexec_b64 s[14:15], vcc
	s_cbranch_execz .LBB14_57
; %bb.54:                               ;   in Loop: Header=BB14_36 Depth=1
	v_cmp_eq_u32_e64 s[16:17], v18, v16
	v_cmp_ne_u32_e32 vcc, v18, v16
	v_mov_b32_e32 v3, v13
	s_and_saveexec_b64 s[18:19], vcc
; %bb.55:                               ;   in Loop: Header=BB14_36 Depth=1
	v_cmp_eq_u32_e32 vcc, v18, v17
	s_andn2_b64 s[16:17], s[16:17], exec
	s_and_b64 s[22:23], vcc, exec
	s_or_b64 s[16:17], s[16:17], s[22:23]
	v_mov_b32_e32 v3, v14
; %bb.56:                               ;   in Loop: Header=BB14_36 Depth=1
	s_or_b64 exec, exec, s[18:19]
	s_andn2_b64 s[12:13], s[12:13], exec
	s_and_b64 s[16:17], s[16:17], exec
	s_or_b64 s[12:13], s[12:13], s[16:17]
.LBB14_57:                              ;   in Loop: Header=BB14_36 Depth=1
	s_or_b64 exec, exec, s[14:15]
	s_andn2_b64 s[0:1], s[0:1], exec
	s_and_b64 s[12:13], s[12:13], exec
	s_or_b64 s[0:1], s[0:1], s[12:13]
.LBB14_58:                              ;   in Loop: Header=BB14_36 Depth=1
	s_or_b64 exec, exec, s[2:3]
	s_and_saveexec_b64 s[2:3], s[0:1]
	s_cbranch_execz .LBB14_60
; %bb.59:                               ;   in Loop: Header=BB14_36 Depth=1
	scratch_load_dword v3, v3, off
	v_lshl_add_u64 v[18:19], v[6:7], 0, s[8:9]
	s_waitcnt vmcnt(0)
	v_mul_f32_e32 v3, v10, v3
	global_store_dword v[18:19], v3, off offset:8
.LBB14_60:                              ;   in Loop: Header=BB14_36 Depth=1
	s_or_b64 exec, exec, s[2:3]
	global_load_dword v8, v[8:9], off offset:12
	v_mov_b32_e32 v3, 0
	s_waitcnt vmcnt(0)
	v_cmp_eq_u32_e64 s[0:1], v8, v12
	v_cmp_ne_u32_e32 vcc, v8, v12
	s_and_saveexec_b64 s[2:3], vcc
	s_cbranch_execz .LBB14_66
; %bb.61:                               ;   in Loop: Header=BB14_36 Depth=1
	v_cmp_eq_u32_e64 s[12:13], v8, v15
	v_cmp_ne_u32_e32 vcc, v8, v15
	v_mov_b32_e32 v3, v11
	s_and_saveexec_b64 s[14:15], vcc
	s_cbranch_execz .LBB14_65
; %bb.62:                               ;   in Loop: Header=BB14_36 Depth=1
	v_cmp_eq_u32_e64 s[16:17], v8, v16
	v_cmp_ne_u32_e32 vcc, v8, v16
	v_mov_b32_e32 v3, v13
	s_and_saveexec_b64 s[18:19], vcc
; %bb.63:                               ;   in Loop: Header=BB14_36 Depth=1
	v_cmp_eq_u32_e32 vcc, v8, v17
	s_andn2_b64 s[16:17], s[16:17], exec
	s_and_b64 s[22:23], vcc, exec
	s_or_b64 s[16:17], s[16:17], s[22:23]
	v_mov_b32_e32 v3, v14
; %bb.64:                               ;   in Loop: Header=BB14_36 Depth=1
	s_or_b64 exec, exec, s[18:19]
	s_andn2_b64 s[12:13], s[12:13], exec
	s_and_b64 s[16:17], s[16:17], exec
	s_or_b64 s[12:13], s[12:13], s[16:17]
.LBB14_65:                              ;   in Loop: Header=BB14_36 Depth=1
	s_or_b64 exec, exec, s[14:15]
	s_andn2_b64 s[0:1], s[0:1], exec
	s_and_b64 s[12:13], s[12:13], exec
	s_or_b64 s[0:1], s[0:1], s[12:13]
.LBB14_66:                              ;   in Loop: Header=BB14_36 Depth=1
	s_or_b64 exec, exec, s[2:3]
	s_and_saveexec_b64 s[2:3], s[0:1]
	s_cbranch_execz .LBB14_35
; %bb.67:                               ;   in Loop: Header=BB14_36 Depth=1
	scratch_load_dword v3, v3, off
	v_lshl_add_u64 v[8:9], v[6:7], 0, s[8:9]
	s_waitcnt vmcnt(0)
	v_mul_f32_e32 v3, v10, v3
	global_store_dword v[8:9], v3, off offset:12
	s_branch .LBB14_35
.LBB14_68:
	s_and_b32 s14, s20, 3
	s_cmp_eq_u32 s14, 0
	s_mov_b32 s7, 0
	s_cbranch_scc1 .LBB14_79
; %bb.69:
	s_lshl_b64 s[0:1], s[6:7], 2
	s_add_u32 s0, s10, s0
	s_addc_u32 s1, s11, s1
	v_add_u32_e32 v2, s6, v2
	v_lshl_add_u64 v[0:1], v[0:1], 2, s[0:1]
	s_branch .LBB14_71
.LBB14_70:                              ;   in Loop: Header=BB14_71 Depth=1
	s_or_b64 exec, exec, s[2:3]
	s_add_i32 s14, s14, -1
	v_add_u32_e32 v2, 1, v2
	s_cmp_lg_u32 s14, 0
	v_lshl_add_u64 v[0:1], v[0:1], 0, 4
	s_cbranch_scc0 .LBB14_79
.LBB14_71:                              ; =>This Inner Loop Header: Depth=1
	global_load_dword v4, v[0:1], off
	v_mov_b32_e32 v3, 0
	s_waitcnt vmcnt(0)
	v_cmp_eq_u32_e64 s[0:1], v4, v12
	v_cmp_ne_u32_e32 vcc, v4, v12
	s_and_saveexec_b64 s[2:3], vcc
	s_cbranch_execz .LBB14_77
; %bb.72:                               ;   in Loop: Header=BB14_71 Depth=1
	v_cmp_eq_u32_e64 s[6:7], v4, v15
	v_cmp_ne_u32_e32 vcc, v4, v15
	v_mov_b32_e32 v3, v11
	s_and_saveexec_b64 s[8:9], vcc
	s_cbranch_execz .LBB14_76
; %bb.73:                               ;   in Loop: Header=BB14_71 Depth=1
	v_cmp_eq_u32_e64 s[10:11], v4, v16
	v_cmp_ne_u32_e32 vcc, v4, v16
	v_mov_b32_e32 v3, v13
	s_and_saveexec_b64 s[12:13], vcc
; %bb.74:                               ;   in Loop: Header=BB14_71 Depth=1
	v_cmp_eq_u32_e32 vcc, v4, v17
	s_andn2_b64 s[10:11], s[10:11], exec
	s_and_b64 s[16:17], vcc, exec
	s_or_b64 s[10:11], s[10:11], s[16:17]
	v_mov_b32_e32 v3, v14
; %bb.75:                               ;   in Loop: Header=BB14_71 Depth=1
	s_or_b64 exec, exec, s[12:13]
	s_andn2_b64 s[6:7], s[6:7], exec
	s_and_b64 s[10:11], s[10:11], exec
	s_or_b64 s[6:7], s[6:7], s[10:11]
.LBB14_76:                              ;   in Loop: Header=BB14_71 Depth=1
	s_or_b64 exec, exec, s[8:9]
	s_andn2_b64 s[0:1], s[0:1], exec
	s_and_b64 s[6:7], s[6:7], exec
	s_or_b64 s[0:1], s[0:1], s[6:7]
.LBB14_77:                              ;   in Loop: Header=BB14_71 Depth=1
	s_or_b64 exec, exec, s[2:3]
	s_and_saveexec_b64 s[2:3], s[0:1]
	s_cbranch_execz .LBB14_70
; %bb.78:                               ;   in Loop: Header=BB14_71 Depth=1
	scratch_load_dword v4, v3, off
	v_ashrrev_i32_e32 v3, 31, v2
	s_waitcnt vmcnt(0)
	v_mul_f32_e32 v6, v10, v4
	s_waitcnt lgkmcnt(0)
	v_lshl_add_u64 v[4:5], v[2:3], 2, s[4:5]
	global_store_dword v[4:5], v6, off
	s_branch .LBB14_70
.LBB14_79:
	s_endpgm
	.section	.rodata,"a",@progbits
	.p2align	6, 0x0
	.amdhsa_kernel _ZN4vllm3moe22topkGatingSoftplusSqrtILi4ELi8ELi4ELi16ELi32ELb1EifEEvPKT6_PKbPfiPT5_PiiiibdPKfPKS8_SE_
		.amdhsa_group_segment_fixed_size 0
		.amdhsa_private_segment_fixed_size 32
		.amdhsa_kernarg_size 96
		.amdhsa_user_sgpr_count 2
		.amdhsa_user_sgpr_dispatch_ptr 0
		.amdhsa_user_sgpr_queue_ptr 0
		.amdhsa_user_sgpr_kernarg_segment_ptr 1
		.amdhsa_user_sgpr_dispatch_id 0
		.amdhsa_user_sgpr_kernarg_preload_length 0
		.amdhsa_user_sgpr_kernarg_preload_offset 0
		.amdhsa_user_sgpr_private_segment_size 0
		.amdhsa_uses_dynamic_stack 0
		.amdhsa_enable_private_segment 1
		.amdhsa_system_sgpr_workgroup_id_x 1
		.amdhsa_system_sgpr_workgroup_id_y 0
		.amdhsa_system_sgpr_workgroup_id_z 0
		.amdhsa_system_sgpr_workgroup_info 0
		.amdhsa_system_vgpr_workitem_id 1
		.amdhsa_next_free_vgpr 25
		.amdhsa_next_free_sgpr 24
		.amdhsa_accum_offset 28
		.amdhsa_reserve_vcc 1
		.amdhsa_float_round_mode_32 0
		.amdhsa_float_round_mode_16_64 0
		.amdhsa_float_denorm_mode_32 3
		.amdhsa_float_denorm_mode_16_64 3
		.amdhsa_dx10_clamp 1
		.amdhsa_ieee_mode 1
		.amdhsa_fp16_overflow 0
		.amdhsa_tg_split 0
		.amdhsa_exception_fp_ieee_invalid_op 0
		.amdhsa_exception_fp_denorm_src 0
		.amdhsa_exception_fp_ieee_div_zero 0
		.amdhsa_exception_fp_ieee_overflow 0
		.amdhsa_exception_fp_ieee_underflow 0
		.amdhsa_exception_fp_ieee_inexact 0
		.amdhsa_exception_int_div_zero 0
	.end_amdhsa_kernel
	.section	.text._ZN4vllm3moe22topkGatingSoftplusSqrtILi4ELi8ELi4ELi16ELi32ELb1EifEEvPKT6_PKbPfiPT5_PiiiibdPKfPKS8_SE_,"axG",@progbits,_ZN4vllm3moe22topkGatingSoftplusSqrtILi4ELi8ELi4ELi16ELi32ELb1EifEEvPKT6_PKbPfiPT5_PiiiibdPKfPKS8_SE_,comdat
.Lfunc_end14:
	.size	_ZN4vllm3moe22topkGatingSoftplusSqrtILi4ELi8ELi4ELi16ELi32ELb1EifEEvPKT6_PKbPfiPT5_PiiiibdPKfPKS8_SE_, .Lfunc_end14-_ZN4vllm3moe22topkGatingSoftplusSqrtILi4ELi8ELi4ELi16ELi32ELb1EifEEvPKT6_PKbPfiPT5_PiiiibdPKfPKS8_SE_
                                        ; -- End function
	.section	.AMDGPU.csdata,"",@progbits
; Kernel info:
; codeLenInByte = 3356
; NumSgprs: 30
; NumVgprs: 25
; NumAgprs: 0
; TotalNumVgprs: 25
; ScratchSize: 32
; MemoryBound: 0
; FloatMode: 240
; IeeeMode: 1
; LDSByteSize: 0 bytes/workgroup (compile time only)
; SGPRBlocks: 3
; VGPRBlocks: 3
; NumSGPRsForWavesPerEU: 30
; NumVGPRsForWavesPerEU: 25
; AccumOffset: 28
; Occupancy: 8
; WaveLimiterHint : 1
; COMPUTE_PGM_RSRC2:SCRATCH_EN: 1
; COMPUTE_PGM_RSRC2:USER_SGPR: 2
; COMPUTE_PGM_RSRC2:TRAP_HANDLER: 0
; COMPUTE_PGM_RSRC2:TGID_X_EN: 1
; COMPUTE_PGM_RSRC2:TGID_Y_EN: 0
; COMPUTE_PGM_RSRC2:TGID_Z_EN: 0
; COMPUTE_PGM_RSRC2:TIDIG_COMP_CNT: 1
; COMPUTE_PGM_RSRC3_GFX90A:ACCUM_OFFSET: 6
; COMPUTE_PGM_RSRC3_GFX90A:TG_SPLIT: 0
	.section	.text._ZN4vllm3moe22topkGatingSoftplusSqrtILi4ELi8ELi4ELi16ELi32ELb0EifEEvPKT6_PKbPfiPT5_PiiiibdPKfPKS8_SE_,"axG",@progbits,_ZN4vllm3moe22topkGatingSoftplusSqrtILi4ELi8ELi4ELi16ELi32ELb0EifEEvPKT6_PKbPfiPT5_PiiiibdPKfPKS8_SE_,comdat
	.protected	_ZN4vllm3moe22topkGatingSoftplusSqrtILi4ELi8ELi4ELi16ELi32ELb0EifEEvPKT6_PKbPfiPT5_PiiiibdPKfPKS8_SE_ ; -- Begin function _ZN4vllm3moe22topkGatingSoftplusSqrtILi4ELi8ELi4ELi16ELi32ELb0EifEEvPKT6_PKbPfiPT5_PiiiibdPKfPKS8_SE_
	.globl	_ZN4vllm3moe22topkGatingSoftplusSqrtILi4ELi8ELi4ELi16ELi32ELb0EifEEvPKT6_PKbPfiPT5_PiiiibdPKfPKS8_SE_
	.p2align	8
	.type	_ZN4vllm3moe22topkGatingSoftplusSqrtILi4ELi8ELi4ELi16ELi32ELb0EifEEvPKT6_PKbPfiPT5_PiiiibdPKfPKS8_SE_,@function
_ZN4vllm3moe22topkGatingSoftplusSqrtILi4ELi8ELi4ELi16ELi32ELb0EifEEvPKT6_PKbPfiPT5_PiiiibdPKfPKS8_SE_: ; @_ZN4vllm3moe22topkGatingSoftplusSqrtILi4ELi8ELi4ELi16ELi32ELb0EifEEvPKT6_PKbPfiPT5_PiiiibdPKfPKS8_SE_
; %bb.0:
	s_load_dword s30, s[2:3], 0x18
	v_and_b32_e32 v1, 0x3ff, v0
	v_bfe_u32 v4, v0, 10, 10
	s_lshl_b32 s4, s4, 6
	v_lshlrev_b32_e32 v2, 4, v4
	v_lshrrev_b32_e32 v3, 1, v1
	v_add3_u32 v2, s4, v2, v3
	s_waitcnt lgkmcnt(0)
	v_cmp_gt_i32_e32 vcc, s30, v2
	s_and_saveexec_b64 s[4:5], vcc
	s_cbranch_execz .LBB15_39
; %bb.1:
	s_load_dwordx4 s[4:7], s[2:3], 0x0
	s_load_dwordx2 s[20:21], s[2:3], 0x10
	s_waitcnt lgkmcnt(0)
	s_cmp_eq_u64 s[6:7], 0
	s_cbranch_scc1 .LBB15_3
; %bb.2:
	v_ashrrev_i32_e32 v3, 31, v2
	v_lshl_add_u64 v[6:7], s[6:7], 0, v[2:3]
	global_load_ubyte v3, v[6:7], off
	s_waitcnt vmcnt(0)
	v_and_b32_e32 v3, 1, v3
	v_cmp_eq_u32_e32 vcc, 1, v3
	s_xor_b64 s[6:7], vcc, -1
	s_orn2_b64 s[22:23], s[6:7], exec
	s_branch .LBB15_4
.LBB15_3:
	s_mov_b64 s[22:23], -1
.LBB15_4:
	v_lshlrev_b32_e32 v8, 3, v2
	v_mov_b32_e32 v6, s4
	v_mov_b32_e32 v7, s5
	v_ashrrev_i32_e32 v9, 31, v8
	v_and_b32_e32 v3, 1, v1
	v_lshl_add_u64 v[6:7], v[8:9], 2, v[6:7]
	v_mov_b32_e32 v9, 0
	v_lshlrev_b32_e32 v8, 4, v3
	v_lshl_add_u64 v[6:7], v[6:7], 0, v[8:9]
	global_load_dwordx4 v[6:9], v[6:7], off
	s_load_dwordx2 s[4:5], s[0:1], 0x4
	s_load_dwordx4 s[8:11], s[2:3], 0x40
	v_bfe_u32 v0, v0, 20, 10
	s_mov_b32 s16, 0x800000
	s_mov_b32 s13, 0x3f317217
	s_waitcnt lgkmcnt(0)
	s_lshr_b32 s0, s4, 16
	v_mul_u32_u24_e32 v4, s5, v4
	s_mul_i32 s0, s0, s5
	v_mad_u32_u24 v1, s0, v1, v4
	v_add_lshl_u32 v4, v1, v0, 4
	s_mov_b32 s14, 0x7f800000
	s_mov_b32 s12, 0x41a00000
	;; [unrolled: 1-line block ×3, first 2 shown]
	s_cmp_lg_u64 s[10:11], 0
	v_mov_b32_e32 v1, 0x260
	s_cselect_b64 s[6:7], -1, 0
	s_and_b64 s[0:1], exec, s[6:7]
	s_waitcnt vmcnt(0)
	ds_write_b128 v4, v[6:9]
	ds_read_b32 v8, v4
	v_mov_b32_e32 v6, 0x4f800000
	v_mov_b32_e32 v7, 0x41b17218
	s_waitcnt lgkmcnt(0)
	v_mul_f32_e32 v0, 0x3fb8aa3b, v8
	v_exp_f32_e32 v0, v0
	s_nop 0
	v_add_f32_e32 v0, 1.0, v0
	v_cmp_gt_f32_e32 vcc, s16, v0
	s_nop 1
	v_cndmask_b32_e32 v5, 1.0, v6, vcc
	v_mul_f32_e32 v0, v0, v5
	v_log_f32_e32 v9, v0
	v_cndmask_b32_e32 v10, 0, v7, vcc
	v_lshlrev_b32_e32 v5, 2, v3
	v_lshlrev_b32_e32 v0, 2, v5
	v_mul_f32_e32 v11, 0x3f317217, v9
	v_fma_f32 v11, v9, s13, -v11
	v_fmac_f32_e32 v11, 0x3377d1cf, v9
	v_fmac_f32_e32 v11, 0x3f317217, v9
	v_cmp_lt_f32_e64 vcc, |v9|, s14
	s_nop 1
	v_cndmask_b32_e32 v9, v9, v11, vcc
	v_sub_f32_e32 v9, v9, v10
	v_cmp_lt_f32_e32 vcc, s12, v8
	s_nop 1
	v_cndmask_b32_e32 v8, v9, v8, vcc
	v_mul_f32_e32 v9, 0x4f800000, v8
	v_cmp_gt_f32_e32 vcc, s15, v8
	s_nop 1
	v_cndmask_b32_e32 v8, v8, v9, vcc
	v_sqrt_f32_e32 v9, v8
	s_nop 0
	v_add_u32_e32 v10, -1, v9
	v_add_u32_e32 v11, 1, v9
	v_fma_f32 v12, -v10, v9, v8
	v_fma_f32 v13, -v11, v9, v8
	v_cmp_ge_f32_e64 s[4:5], 0, v12
	s_nop 1
	v_cndmask_b32_e64 v9, v9, v10, s[4:5]
	v_cmp_lt_f32_e64 s[4:5], 0, v13
	s_nop 1
	v_cndmask_b32_e64 v9, v9, v11, s[4:5]
	v_mul_f32_e32 v10, 0x37800000, v9
	v_cndmask_b32_e32 v9, v9, v10, vcc
	v_cmp_class_f32_e32 vcc, v8, v1
	s_nop 1
	v_cndmask_b32_e32 v8, v9, v8, vcc
	s_mov_b64 vcc, s[0:1]
	s_cbranch_vccz .LBB15_6
; %bb.5:
	global_load_dword v9, v0, s[10:11]
	s_waitcnt vmcnt(0)
	v_add_f32_e32 v8, v8, v9
.LBB15_6:
	ds_read_b32 v9, v4 offset:4
	ds_write_b32 v4, v8
	s_waitcnt lgkmcnt(1)
	v_mul_f32_e32 v10, 0x3fb8aa3b, v9
	v_exp_f32_e32 v10, v10
	s_nop 0
	v_add_f32_e32 v10, 1.0, v10
	v_cmp_gt_f32_e32 vcc, s16, v10
	s_nop 1
	v_cndmask_b32_e32 v6, 1.0, v6, vcc
	v_mul_f32_e32 v6, v10, v6
	v_log_f32_e32 v6, v6
	v_cndmask_b32_e32 v7, 0, v7, vcc
	v_mul_f32_e32 v8, 0x3f317217, v6
	v_fma_f32 v8, v6, s13, -v8
	v_fmac_f32_e32 v8, 0x3377d1cf, v6
	v_fmac_f32_e32 v8, 0x3f317217, v6
	v_cmp_lt_f32_e64 vcc, |v6|, s14
	s_nop 1
	v_cndmask_b32_e32 v6, v6, v8, vcc
	v_sub_f32_e32 v6, v6, v7
	v_cmp_lt_f32_e32 vcc, s12, v9
	v_cndmask_b32_e64 v8, 0, 1, s[6:7]
	v_cmp_ne_u32_e64 s[0:1], 1, v8
	v_cndmask_b32_e32 v6, v6, v9, vcc
	v_mul_f32_e32 v7, 0x4f800000, v6
	v_cmp_gt_f32_e64 s[4:5], s15, v6
	s_andn2_b64 vcc, exec, s[6:7]
	s_nop 0
	v_cndmask_b32_e64 v6, v6, v7, s[4:5]
	v_sqrt_f32_e32 v7, v6
	s_nop 0
	v_add_u32_e32 v8, -1, v7
	v_add_u32_e32 v9, 1, v7
	v_fma_f32 v10, -v8, v7, v6
	v_fma_f32 v11, -v9, v7, v6
	v_cmp_ge_f32_e64 s[6:7], 0, v10
	s_nop 1
	v_cndmask_b32_e64 v7, v7, v8, s[6:7]
	v_cmp_lt_f32_e64 s[6:7], 0, v11
	s_nop 1
	v_cndmask_b32_e64 v7, v7, v9, s[6:7]
	v_mul_f32_e32 v8, 0x37800000, v7
	v_cndmask_b32_e64 v7, v7, v8, s[4:5]
	v_cmp_class_f32_e64 s[4:5], v6, v1
	s_nop 1
	v_cndmask_b32_e64 v1, v7, v6, s[4:5]
	s_cbranch_vccnz .LBB15_8
; %bb.7:
	global_load_dword v6, v0, s[10:11] offset:4
	s_waitcnt vmcnt(0)
	v_add_f32_e32 v1, v1, v6
.LBB15_8:
	ds_read_b32 v8, v4 offset:8
	s_mov_b32 s12, 0x800000
	s_mov_b32 s7, 0x3f317217
	;; [unrolled: 1-line block ×4, first 2 shown]
	s_waitcnt lgkmcnt(0)
	v_mul_f32_e32 v6, 0x3fb8aa3b, v8
	v_exp_f32_e32 v7, v6
	v_mov_b32_e32 v6, 0x4f800000
	s_mov_b32 s14, 0xf800000
	ds_write_b32 v4, v1 offset:4
	v_add_f32_e32 v7, 1.0, v7
	v_cmp_gt_f32_e32 vcc, s12, v7
	s_nop 1
	v_cndmask_b32_e32 v9, 1.0, v6, vcc
	v_mul_f32_e32 v7, v7, v9
	v_log_f32_e32 v9, v7
	v_mov_b32_e32 v7, 0x41b17218
	v_cndmask_b32_e32 v10, 0, v7, vcc
	v_mul_f32_e32 v11, 0x3f317217, v9
	v_fma_f32 v11, v9, s7, -v11
	v_fmac_f32_e32 v11, 0x3377d1cf, v9
	v_fmac_f32_e32 v11, 0x3f317217, v9
	v_cmp_lt_f32_e64 vcc, |v9|, s13
	s_nop 1
	v_cndmask_b32_e32 v9, v9, v11, vcc
	v_sub_f32_e32 v9, v9, v10
	v_cmp_lt_f32_e32 vcc, s6, v8
	s_nop 1
	v_cndmask_b32_e32 v8, v9, v8, vcc
	v_mul_f32_e32 v9, 0x4f800000, v8
	v_cmp_gt_f32_e32 vcc, s14, v8
	s_nop 1
	v_cndmask_b32_e32 v8, v8, v9, vcc
	v_sqrt_f32_e32 v9, v8
	s_nop 0
	v_add_u32_e32 v1, -1, v9
	v_fma_f32 v10, -v1, v9, v8
	v_cmp_ge_f32_e64 s[4:5], 0, v10
	v_add_u32_e32 v10, 1, v9
	s_nop 0
	v_cndmask_b32_e64 v1, v9, v1, s[4:5]
	v_fma_f32 v9, -v10, v9, v8
	v_cmp_lt_f32_e64 s[4:5], 0, v9
	s_nop 1
	v_cndmask_b32_e64 v1, v1, v10, s[4:5]
	v_mul_f32_e32 v9, 0x37800000, v1
	v_cndmask_b32_e32 v9, v1, v9, vcc
	v_mov_b32_e32 v1, 0x260
	v_cmp_class_f32_e64 s[4:5], v8, v1
	s_and_b64 vcc, exec, s[0:1]
	s_nop 0
	v_cndmask_b32_e64 v8, v9, v8, s[4:5]
	s_cbranch_vccnz .LBB15_10
; %bb.9:
	global_load_dword v9, v0, s[10:11] offset:8
	s_waitcnt vmcnt(0)
	v_add_f32_e32 v8, v8, v9
.LBB15_10:
	ds_read_b32 v9, v4 offset:12
	ds_write_b32 v4, v8 offset:8
	s_waitcnt lgkmcnt(1)
	v_mul_f32_e32 v10, 0x3fb8aa3b, v9
	v_exp_f32_e32 v10, v10
	s_nop 0
	v_add_f32_e32 v10, 1.0, v10
	v_cmp_gt_f32_e32 vcc, s12, v10
	s_nop 1
	v_cndmask_b32_e32 v6, 1.0, v6, vcc
	v_mul_f32_e32 v6, v10, v6
	v_log_f32_e32 v6, v6
	v_cndmask_b32_e32 v7, 0, v7, vcc
	v_mul_f32_e32 v10, 0x3f317217, v6
	v_fma_f32 v10, v6, s7, -v10
	v_fmac_f32_e32 v10, 0x3377d1cf, v6
	v_fmac_f32_e32 v10, 0x3f317217, v6
	v_cmp_lt_f32_e64 vcc, |v6|, s13
	s_nop 1
	v_cndmask_b32_e32 v6, v6, v10, vcc
	v_sub_f32_e32 v6, v6, v7
	v_cmp_lt_f32_e32 vcc, s6, v9
	s_nop 1
	v_cndmask_b32_e32 v6, v6, v9, vcc
	v_mul_f32_e32 v7, 0x4f800000, v6
	v_cmp_gt_f32_e64 s[4:5], s14, v6
	s_and_b64 vcc, exec, s[0:1]
	s_nop 0
	v_cndmask_b32_e64 v6, v6, v7, s[4:5]
	v_sqrt_f32_e32 v7, v6
	s_nop 0
	v_add_u32_e32 v8, -1, v7
	v_add_u32_e32 v9, 1, v7
	v_fma_f32 v10, -v8, v7, v6
	v_fma_f32 v11, -v9, v7, v6
	v_cmp_ge_f32_e64 s[6:7], 0, v10
	s_nop 1
	v_cndmask_b32_e64 v7, v7, v8, s[6:7]
	v_cmp_lt_f32_e64 s[6:7], 0, v11
	s_nop 1
	v_cndmask_b32_e64 v7, v7, v9, s[6:7]
	v_mul_f32_e32 v8, 0x37800000, v7
	v_cndmask_b32_e64 v7, v7, v8, s[4:5]
	v_cmp_class_f32_e64 s[4:5], v6, v1
	s_nop 1
	v_cndmask_b32_e64 v1, v7, v6, s[4:5]
	s_cbranch_vccnz .LBB15_12
; %bb.11:
	global_load_dword v0, v0, s[10:11] offset:12
	s_waitcnt vmcnt(0)
	v_add_f32_e32 v1, v1, v0
.LBB15_12:
	s_load_dwordx4 s[12:15], s[2:3], 0x30
	s_mov_b32 s31, 0
	v_cmp_eq_u32_e64 s[6:7], 0, v3
	ds_write_b32 v4, v1 offset:12
	s_waitcnt lgkmcnt(0)
	s_bitcmp1_b32 s15, 0
	s_cselect_b64 s[4:5], -1, 0
	s_cmp_gt_i32 s12, 0
	s_cselect_b64 s[24:25], -1, 0
	s_and_b64 vcc, exec, s[24:25]
	s_cbranch_vccz .LBB15_25
; %bb.13:
	v_mbcnt_lo_u32_b32 v0, -1, 0
	v_mbcnt_hi_u32_b32 v0, -1, v0
	s_load_dwordx4 s[16:19], s[2:3], 0x20
	v_and_b32_e32 v6, 0x7e, v0
	v_xor_b32_e32 v1, 1, v0
	v_add_u32_e32 v6, 2, v6
	v_cmp_lt_i32_e32 vcc, v1, v6
	v_mul_lo_u32 v8, v2, s12
	v_mov_b32_e32 v6, 0
	v_cndmask_b32_e32 v0, v0, v1, vcc
	v_lshlrev_b32_e32 v7, 2, v0
	v_mov_b32_e32 v9, 0xc61c4000
	v_mov_b32_e32 v10, v2
	s_branch .LBB15_15
.LBB15_14:                              ;   in Loop: Header=BB15_15 Depth=1
	s_or_b64 exec, exec, s[2:3]
	s_cmp_eq_u32 s12, s31
	v_add_u32_e32 v10, s30, v10
	s_cbranch_scc1 .LBB15_26
.LBB15_15:                              ; =>This Inner Loop Header: Depth=1
	ds_read_b128 v[12:15], v4
	s_waitcnt lgkmcnt(0)
	v_cmp_gt_f32_e32 vcc, v13, v12
	s_nop 1
	v_cndmask_b32_e32 v1, v12, v13, vcc
	v_cndmask_b32_e64 v0, 0, 1, vcc
	v_cmp_gt_f32_e32 vcc, v14, v1
	s_nop 1
	v_cndmask_b32_e32 v1, v1, v14, vcc
	v_cndmask_b32_e64 v0, v0, 2, vcc
	v_cmp_gt_f32_e32 vcc, v15, v1
	s_nop 1
	v_cndmask_b32_e64 v0, v0, 3, vcc
	v_cndmask_b32_e32 v11, v1, v15, vcc
	ds_bpermute_b32 v1, v7, v11
	v_or_b32_e32 v0, v5, v0
	ds_bpermute_b32 v12, v7, v0
	s_waitcnt lgkmcnt(1)
	v_cmp_lt_f32_e64 s[26:27], v11, v1
	v_cmp_nlt_f32_e32 vcc, v11, v1
	s_and_saveexec_b64 s[28:29], vcc
	s_cbranch_execnz .LBB15_18
; %bb.16:                               ;   in Loop: Header=BB15_15 Depth=1
	s_or_b64 exec, exec, s[28:29]
	s_and_saveexec_b64 s[2:3], s[26:27]
	s_cbranch_execnz .LBB15_19
.LBB15_17:                              ;   in Loop: Header=BB15_15 Depth=1
	s_or_b64 exec, exec, s[2:3]
	s_and_saveexec_b64 s[26:27], s[6:7]
	s_cbranch_execnz .LBB15_20
	s_branch .LBB15_23
.LBB15_18:                              ;   in Loop: Header=BB15_15 Depth=1
	v_cmp_eq_f32_e32 vcc, v11, v1
	s_waitcnt lgkmcnt(0)
	v_cmp_lt_i32_e64 s[2:3], v12, v0
	s_and_b64 s[2:3], vcc, s[2:3]
	s_andn2_b64 s[26:27], s[26:27], exec
	s_and_b64 s[2:3], s[2:3], exec
	s_or_b64 s[26:27], s[26:27], s[2:3]
	s_or_b64 exec, exec, s[28:29]
	s_and_saveexec_b64 s[2:3], s[26:27]
	s_cbranch_execz .LBB15_17
.LBB15_19:                              ;   in Loop: Header=BB15_15 Depth=1
	s_waitcnt lgkmcnt(0)
	v_mov_b32_e32 v0, v12
	v_mov_b32_e32 v11, v1
	s_or_b64 exec, exec, s[2:3]
	s_and_saveexec_b64 s[26:27], s[6:7]
	s_cbranch_execz .LBB15_23
.LBB15_20:                              ;   in Loop: Header=BB15_15 Depth=1
	s_and_b64 vcc, exec, s[0:1]
	s_cbranch_vccnz .LBB15_22
; %bb.21:                               ;   in Loop: Header=BB15_15 Depth=1
	v_ashrrev_i32_e32 v1, 31, v0
	s_waitcnt lgkmcnt(0)
	v_lshl_add_u64 v[12:13], v[0:1], 2, s[10:11]
	global_load_dword v1, v[12:13], off
	s_waitcnt vmcnt(0)
	v_sub_f32_e32 v11, v11, v1
.LBB15_22:                              ;   in Loop: Header=BB15_15 Depth=1
	s_waitcnt lgkmcnt(0)
	v_add_u32_e32 v12, s31, v8
	v_cmp_le_i32_e32 vcc, s13, v0
	v_cmp_gt_i32_e64 s[2:3], s14, v0
	v_ashrrev_i32_e32 v13, 31, v12
	s_and_b64 s[2:3], vcc, s[2:3]
	v_lshlrev_b64 v[12:13], 2, v[12:13]
	v_lshl_add_u64 v[14:15], s[20:21], 0, v[12:13]
	v_subrev_u32_e32 v1, s13, v0
	s_and_b64 vcc, s[22:23], s[2:3]
	global_store_dword v[14:15], v11, off
	v_cndmask_b32_e32 v1, 8, v1, vcc
	v_lshl_add_u64 v[14:15], s[16:17], 0, v[12:13]
	global_store_dword v[14:15], v1, off
	v_add_f32_e32 v1, v6, v11
	v_lshl_add_u64 v[12:13], s[18:19], 0, v[12:13]
	v_cndmask_b32_e64 v6, v6, v1, s[4:5]
	global_store_dword v[12:13], v10, off
.LBB15_23:                              ;   in Loop: Header=BB15_15 Depth=1
	s_or_b64 exec, exec, s[26:27]
	v_ashrrev_i32_e32 v1, 31, v0
	v_lshrrev_b32_e32 v11, 30, v1
	s_waitcnt lgkmcnt(0)
	v_add_u32_e32 v12, v0, v11
	v_ashrrev_i32_e32 v11, 2, v12
	v_lshrrev_b32_e32 v12, 31, v12
	v_add_u32_e32 v12, v11, v12
	s_add_i32 s31, s31, 1
	v_and_b32_e32 v12, -2, v12
	s_cmp_lt_i32 s31, s12
	v_sub_u32_e32 v12, v11, v12
	s_cselect_b64 s[2:3], -1, 0
	v_cmp_eq_u32_e32 vcc, v3, v12
	s_and_b64 s[26:27], s[2:3], vcc
	s_and_saveexec_b64 s[2:3], s[26:27]
	s_cbranch_execz .LBB15_14
; %bb.24:                               ;   in Loop: Header=BB15_15 Depth=1
	v_lshrrev_b32_e32 v1, 29, v1
	v_add_u32_e32 v1, v0, v1
	v_lshlrev_b32_e32 v11, 2, v11
	v_lshrrev_b32_e32 v1, 1, v1
	v_sub_u32_e32 v0, v0, v11
	v_and_b32_e32 v1, 0x7ffffffc, v1
	v_add_u32_e32 v0, v1, v0
	v_lshl_add_u32 v0, v0, 2, v4
	ds_write_b32 v0, v9
	s_branch .LBB15_14
.LBB15_25:
	v_mov_b32_e32 v6, 0
.LBB15_26:
	v_cmp_eq_u32_e32 vcc, 0, v3
	s_and_b64 exec, exec, vcc
	s_cbranch_execz .LBB15_39
; %bb.27:
	s_andn2_b64 vcc, exec, s[4:5]
	v_cvt_f32_f64_e32 v0, s[8:9]
	s_cbranch_vccnz .LBB15_29
; %bb.28:
	v_cmp_lt_f32_e32 vcc, 0, v6
	s_nop 1
	v_cndmask_b32_e32 v1, 1.0, v6, vcc
	v_div_scale_f32 v3, s[0:1], v1, v1, v0
	v_rcp_f32_e32 v4, v3
	s_nop 0
	v_fma_f32 v5, -v3, v4, 1.0
	v_fmac_f32_e32 v4, v5, v4
	v_div_scale_f32 v5, vcc, v0, v1, v0
	v_mul_f32_e32 v6, v5, v4
	v_fma_f32 v7, -v3, v6, v5
	v_fmac_f32_e32 v6, v7, v4
	v_fma_f32 v3, -v3, v6, v5
	v_div_fmas_f32 v3, v3, v4, v6
	v_div_fixup_f32 v0, v3, v1, v0
.LBB15_29:
	s_andn2_b64 vcc, exec, s[24:25]
	s_cbranch_vccnz .LBB15_39
; %bb.30:
	v_mul_lo_u32 v2, v2, s12
	s_cmp_gt_u32 s12, 3
	v_ashrrev_i32_e32 v3, 31, v2
	s_cbranch_scc0 .LBB15_34
; %bb.31:
	s_and_b32 s0, s12, 0x7ffffffc
	v_lshl_add_u64 v[4:5], v[2:3], 2, s[20:21]
	v_mov_b32_e32 v1, v0
	v_lshl_add_u64 v[4:5], v[4:5], 0, 8
	s_mov_b32 s1, s0
.LBB15_32:                              ; =>This Inner Loop Header: Depth=1
	global_load_dwordx4 v[6:9], v[4:5], off offset:-8
	s_add_i32 s1, s1, -4
	s_cmp_lg_u32 s1, 0
	s_waitcnt vmcnt(0)
	v_pk_mul_f32 v[6:7], v[0:1], v[6:7]
	v_pk_mul_f32 v[8:9], v[0:1], v[8:9]
	global_store_dwordx4 v[4:5], v[6:9], off offset:-8
	v_lshl_add_u64 v[4:5], v[4:5], 0, 16
	s_cbranch_scc1 .LBB15_32
; %bb.33:
	s_cmp_lg_u32 s0, s12
	s_cselect_b64 s[2:3], -1, 0
	s_branch .LBB15_36
.LBB15_34:
	s_mov_b64 s[2:3], 0
                                        ; implicit-def: $sgpr0
	s_cbranch_execz .LBB15_36
; %bb.35:
	s_mov_b64 s[2:3], -1
	s_mov_b32 s0, 0
.LBB15_36:
	s_andn2_b64 vcc, exec, s[2:3]
	s_cbranch_vccnz .LBB15_39
; %bb.37:
	s_mov_b32 s1, 0
	v_lshl_add_u64 v[2:3], v[2:3], 0, s[0:1]
	s_sub_i32 s2, s12, s0
	v_lshl_add_u64 v[2:3], v[2:3], 2, s[20:21]
.LBB15_38:                              ; =>This Inner Loop Header: Depth=1
	global_load_dword v1, v[2:3], off
	s_add_i32 s2, s2, -1
	s_cmp_lg_u32 s2, 0
	s_waitcnt vmcnt(0)
	v_mul_f32_e32 v1, v0, v1
	global_store_dword v[2:3], v1, off
	v_lshl_add_u64 v[2:3], v[2:3], 0, 4
	s_cbranch_scc1 .LBB15_38
.LBB15_39:
	s_endpgm
	.section	.rodata,"a",@progbits
	.p2align	6, 0x0
	.amdhsa_kernel _ZN4vllm3moe22topkGatingSoftplusSqrtILi4ELi8ELi4ELi16ELi32ELb0EifEEvPKT6_PKbPfiPT5_PiiiibdPKfPKS8_SE_
		.amdhsa_group_segment_fixed_size 2048
		.amdhsa_private_segment_fixed_size 0
		.amdhsa_kernarg_size 96
		.amdhsa_user_sgpr_count 4
		.amdhsa_user_sgpr_dispatch_ptr 1
		.amdhsa_user_sgpr_queue_ptr 0
		.amdhsa_user_sgpr_kernarg_segment_ptr 1
		.amdhsa_user_sgpr_dispatch_id 0
		.amdhsa_user_sgpr_kernarg_preload_length 0
		.amdhsa_user_sgpr_kernarg_preload_offset 0
		.amdhsa_user_sgpr_private_segment_size 0
		.amdhsa_uses_dynamic_stack 0
		.amdhsa_enable_private_segment 0
		.amdhsa_system_sgpr_workgroup_id_x 1
		.amdhsa_system_sgpr_workgroup_id_y 0
		.amdhsa_system_sgpr_workgroup_id_z 0
		.amdhsa_system_sgpr_workgroup_info 0
		.amdhsa_system_vgpr_workitem_id 2
		.amdhsa_next_free_vgpr 16
		.amdhsa_next_free_sgpr 32
		.amdhsa_accum_offset 16
		.amdhsa_reserve_vcc 1
		.amdhsa_float_round_mode_32 0
		.amdhsa_float_round_mode_16_64 0
		.amdhsa_float_denorm_mode_32 3
		.amdhsa_float_denorm_mode_16_64 3
		.amdhsa_dx10_clamp 1
		.amdhsa_ieee_mode 1
		.amdhsa_fp16_overflow 0
		.amdhsa_tg_split 0
		.amdhsa_exception_fp_ieee_invalid_op 0
		.amdhsa_exception_fp_denorm_src 0
		.amdhsa_exception_fp_ieee_div_zero 0
		.amdhsa_exception_fp_ieee_overflow 0
		.amdhsa_exception_fp_ieee_underflow 0
		.amdhsa_exception_fp_ieee_inexact 0
		.amdhsa_exception_int_div_zero 0
	.end_amdhsa_kernel
	.section	.text._ZN4vllm3moe22topkGatingSoftplusSqrtILi4ELi8ELi4ELi16ELi32ELb0EifEEvPKT6_PKbPfiPT5_PiiiibdPKfPKS8_SE_,"axG",@progbits,_ZN4vllm3moe22topkGatingSoftplusSqrtILi4ELi8ELi4ELi16ELi32ELb0EifEEvPKT6_PKbPfiPT5_PiiiibdPKfPKS8_SE_,comdat
.Lfunc_end15:
	.size	_ZN4vllm3moe22topkGatingSoftplusSqrtILi4ELi8ELi4ELi16ELi32ELb0EifEEvPKT6_PKbPfiPT5_PiiiibdPKfPKS8_SE_, .Lfunc_end15-_ZN4vllm3moe22topkGatingSoftplusSqrtILi4ELi8ELi4ELi16ELi32ELb0EifEEvPKT6_PKbPfiPT5_PiiiibdPKfPKS8_SE_
                                        ; -- End function
	.section	.AMDGPU.csdata,"",@progbits
; Kernel info:
; codeLenInByte = 2496
; NumSgprs: 38
; NumVgprs: 16
; NumAgprs: 0
; TotalNumVgprs: 16
; ScratchSize: 0
; MemoryBound: 0
; FloatMode: 240
; IeeeMode: 1
; LDSByteSize: 2048 bytes/workgroup (compile time only)
; SGPRBlocks: 4
; VGPRBlocks: 1
; NumSGPRsForWavesPerEU: 38
; NumVGPRsForWavesPerEU: 16
; AccumOffset: 16
; Occupancy: 8
; WaveLimiterHint : 0
; COMPUTE_PGM_RSRC2:SCRATCH_EN: 0
; COMPUTE_PGM_RSRC2:USER_SGPR: 4
; COMPUTE_PGM_RSRC2:TRAP_HANDLER: 0
; COMPUTE_PGM_RSRC2:TGID_X_EN: 1
; COMPUTE_PGM_RSRC2:TGID_Y_EN: 0
; COMPUTE_PGM_RSRC2:TGID_Z_EN: 0
; COMPUTE_PGM_RSRC2:TIDIG_COMP_CNT: 2
; COMPUTE_PGM_RSRC3_GFX90A:ACCUM_OFFSET: 3
; COMPUTE_PGM_RSRC3_GFX90A:TG_SPLIT: 0
	.section	.text._ZN4vllm3moe22topkGatingSoftplusSqrtILi4ELi16ELi4ELi16ELi64ELb1EifEEvPKT6_PKbPfiPT5_PiiiibdPKfPKS8_SE_,"axG",@progbits,_ZN4vllm3moe22topkGatingSoftplusSqrtILi4ELi16ELi4ELi16ELi64ELb1EifEEvPKT6_PKbPfiPT5_PiiiibdPKfPKS8_SE_,comdat
	.protected	_ZN4vllm3moe22topkGatingSoftplusSqrtILi4ELi16ELi4ELi16ELi64ELb1EifEEvPKT6_PKbPfiPT5_PiiiibdPKfPKS8_SE_ ; -- Begin function _ZN4vllm3moe22topkGatingSoftplusSqrtILi4ELi16ELi4ELi16ELi64ELb1EifEEvPKT6_PKbPfiPT5_PiiiibdPKfPKS8_SE_
	.globl	_ZN4vllm3moe22topkGatingSoftplusSqrtILi4ELi16ELi4ELi16ELi64ELb1EifEEvPKT6_PKbPfiPT5_PiiiibdPKfPKS8_SE_
	.p2align	8
	.type	_ZN4vllm3moe22topkGatingSoftplusSqrtILi4ELi16ELi4ELi16ELi64ELb1EifEEvPKT6_PKbPfiPT5_PiiiibdPKfPKS8_SE_,@function
_ZN4vllm3moe22topkGatingSoftplusSqrtILi4ELi16ELi4ELi16ELi64ELb1EifEEvPKT6_PKbPfiPT5_PiiiibdPKfPKS8_SE_: ; @_ZN4vllm3moe22topkGatingSoftplusSqrtILi4ELi16ELi4ELi16ELi64ELb1EifEEvPKT6_PKbPfiPT5_PiiiibdPKfPKS8_SE_
; %bb.0:
	s_load_dword s3, s[0:1], 0x18
	v_bfe_u32 v1, v0, 10, 10
	v_and_b32_e32 v8, 0x3ff, v0
	s_lshl_b32 s2, s2, 6
	v_lshlrev_b32_e32 v1, 4, v1
	v_lshrrev_b32_e32 v0, 2, v8
	v_add3_u32 v2, s2, v1, v0
	s_waitcnt lgkmcnt(0)
	v_cmp_gt_i32_e32 vcc, s3, v2
	s_and_saveexec_b64 s[2:3], vcc
	s_cbranch_execz .LBB16_79
; %bb.1:
	s_load_dwordx2 s[2:3], s[0:1], 0x0
	s_load_dword s20, s[0:1], 0x30
	s_load_dwordx4 s[8:11], s[0:1], 0x50
	v_lshlrev_b32_e32 v0, 4, v2
	v_lshlrev_b32_e32 v3, 2, v8
	v_ashrrev_i32_e32 v1, 31, v0
	v_and_b32_e32 v12, 12, v3
	s_waitcnt lgkmcnt(0)
	v_lshl_add_u64 v[0:1], v[0:1], 2, s[2:3]
	v_lshlrev_b32_e32 v6, 2, v12
	v_mov_b32_e32 v7, 0
	v_lshl_add_u64 v[0:1], v[0:1], 0, v[6:7]
	global_load_dwordx4 v[14:17], v[0:1], off
	v_mov_b32_e32 v0, s8
	v_mov_b32_e32 v1, s9
	v_ashrrev_i32_e32 v3, 31, v2
	v_lshl_add_u64 v[0:1], v[2:3], 2, v[0:1]
	global_load_dword v0, v[0:1], off
	s_mov_b32 s6, 0x800000
	v_mov_b32_e32 v3, 0x4f800000
	s_mov_b32 s12, 0x3f317217
	s_mov_b32 s13, 0x7f800000
	v_mov_b32_e32 v6, 0x41b17218
	s_mov_b32 s9, 0x41a00000
	s_mov_b32 s14, 0xf800000
	v_mov_b32_e32 v9, 0x260
	s_cmp_gt_i32 s20, 0
	s_mov_b32 s8, 0
	v_mul_lo_u32 v2, v2, s20
	s_waitcnt vmcnt(1)
	v_mul_f32_e32 v1, 0x3fb8aa3b, v14
	v_mul_f32_e32 v5, 0x3fb8aa3b, v15
	v_exp_f32_e32 v4, v1
	v_exp_f32_e32 v5, v5
	v_mul_f32_e32 v10, 0x3fb8aa3b, v16
	v_mul_f32_e32 v11, 0x3fb8aa3b, v17
	v_exp_f32_e32 v10, v10
	v_exp_f32_e32 v11, v11
	v_pk_add_f32 v[4:5], v[4:5], 1.0 op_sel_hi:[1,0]
	s_waitcnt vmcnt(0)
	v_mul_lo_u32 v0, v0, s20
	v_cmp_gt_f32_e32 vcc, s6, v5
	v_pk_add_f32 v[10:11], v[10:11], 1.0 op_sel_hi:[1,0]
	v_cmp_gt_f32_e64 s[2:3], s6, v4
	v_cndmask_b32_e32 v13, 1.0, v3, vcc
	v_cmp_gt_f32_e64 s[4:5], s6, v11
	v_cndmask_b32_e64 v18, 1.0, v3, s[2:3]
	v_mul_f32_e32 v5, v5, v13
	v_cndmask_b32_e64 v19, 1.0, v3, s[4:5]
	v_cmp_gt_f32_e64 s[6:7], s6, v10
	v_mul_f32_e32 v4, v4, v18
	v_log_f32_e32 v5, v5
	v_cndmask_b32_e64 v3, 1.0, v3, s[6:7]
	v_mul_f32_e32 v11, v11, v19
	v_log_f32_e32 v4, v4
	v_mul_f32_e32 v3, v10, v3
	v_log_f32_e32 v10, v11
	v_mul_f32_e32 v11, 0x3f317217, v5
	v_mul_f32_e32 v20, 0x3f317217, v4
	v_fma_f32 v11, v5, s12, -v11
	v_mul_f32_e32 v21, 0x3f317217, v10
	v_fma_f32 v20, v4, s12, -v20
	v_fmac_f32_e32 v11, 0x3377d1cf, v5
	v_cndmask_b32_e32 v13, 0, v6, vcc
	v_fma_f32 v21, v10, s12, -v21
	v_fmac_f32_e32 v20, 0x3377d1cf, v4
	v_fmac_f32_e32 v11, 0x3f317217, v5
	v_cmp_lt_f32_e64 vcc, |v5|, s13
	v_fmac_f32_e32 v21, 0x3377d1cf, v10
	v_fmac_f32_e32 v20, 0x3f317217, v4
	v_cndmask_b32_e32 v5, v5, v11, vcc
	v_cmp_lt_f32_e64 vcc, |v4|, s13
	v_cndmask_b32_e64 v18, 0, v6, s[2:3]
	v_fmac_f32_e32 v21, 0x3f317217, v10
	v_cndmask_b32_e32 v4, v4, v20, vcc
	v_cmp_lt_f32_e64 vcc, |v10|, s13
	v_sub_f32_e32 v4, v4, v18
	v_sub_f32_e32 v5, v5, v13
	v_cndmask_b32_e32 v10, v10, v21, vcc
	v_cmp_lt_f32_e32 vcc, s9, v14
	v_cndmask_b32_e64 v19, 0, v6, s[4:5]
	v_log_f32_e32 v3, v3
	v_cndmask_b32_e32 v4, v4, v14, vcc
	v_cmp_lt_f32_e32 vcc, s9, v15
	v_mul_f32_e32 v13, 0x4f800000, v4
	v_cmp_gt_f32_e64 s[2:3], s14, v4
	v_cndmask_b32_e32 v5, v5, v15, vcc
	v_mul_f32_e32 v11, 0x4f800000, v5
	v_cmp_gt_f32_e32 vcc, s14, v5
	v_cndmask_b32_e64 v4, v4, v13, s[2:3]
	v_sqrt_f32_e32 v13, v4
	v_cndmask_b32_e32 v5, v5, v11, vcc
	v_sqrt_f32_e32 v11, v5
	v_sub_f32_e32 v10, v10, v19
	v_add_u32_e32 v18, -1, v13
	v_fma_f32 v23, -v18, v13, v4
	v_add_u32_e32 v14, -1, v11
	v_fma_f32 v20, -v14, v11, v5
	v_add_u32_e32 v15, 1, v11
	v_cmp_ge_f32_e64 s[4:5], 0, v20
	v_add_u32_e32 v19, 1, v13
	v_fma_f32 v21, -v15, v11, v5
	v_cndmask_b32_e64 v11, v11, v14, s[4:5]
	v_cmp_ge_f32_e64 s[4:5], 0, v23
	v_fma_f32 v24, -v19, v13, v4
	v_mul_f32_e32 v22, 0x3f317217, v3
	v_cndmask_b32_e64 v13, v13, v18, s[4:5]
	v_cmp_lt_f32_e64 s[4:5], 0, v21
	v_fma_f32 v22, v3, s12, -v22
	v_fmac_f32_e32 v22, 0x3377d1cf, v3
	v_cndmask_b32_e64 v11, v11, v15, s[4:5]
	v_cmp_lt_f32_e64 s[4:5], 0, v24
	v_mul_f32_e32 v14, 0x37800000, v11
	v_cndmask_b32_e32 v11, v11, v14, vcc
	v_cndmask_b32_e64 v13, v13, v19, s[4:5]
	v_mul_f32_e32 v15, 0x37800000, v13
	v_cmp_class_f32_e32 vcc, v5, v9
	v_cndmask_b32_e64 v13, v13, v15, s[2:3]
	v_fmac_f32_e32 v22, 0x3f317217, v3
	v_cndmask_b32_e32 v15, v11, v5, vcc
	v_cmp_class_f32_e32 vcc, v4, v9
	v_cmp_lt_f32_e64 s[2:3], s9, v16
	v_ashrrev_i32_e32 v1, 31, v0
	v_cndmask_b32_e32 v14, v13, v4, vcc
	v_cmp_lt_f32_e64 vcc, |v3|, s13
	v_cndmask_b32_e64 v4, 0, v6, s[6:7]
	s_cselect_b64 s[4:5], -1, 0
	v_cndmask_b32_e32 v3, v3, v22, vcc
	v_cmp_lt_f32_e32 vcc, s9, v17
	v_sub_f32_e32 v3, v3, v4
	v_cndmask_b32_e64 v3, v3, v16, s[2:3]
	v_cndmask_b32_e32 v5, v10, v17, vcc
	v_mul_f32_e32 v6, 0x4f800000, v5
	v_cmp_gt_f32_e32 vcc, s14, v5
	s_cmp_lt_i32 s20, 1
	s_nop 0
	v_cndmask_b32_e32 v5, v5, v6, vcc
	v_sqrt_f32_e32 v6, v5
	s_nop 0
	v_add_u32_e32 v4, -1, v6
	v_fma_f32 v10, -v4, v6, v5
	v_cmp_ge_f32_e64 s[2:3], 0, v10
	v_add_u32_e32 v10, 1, v6
	s_nop 0
	v_cndmask_b32_e64 v4, v6, v4, s[2:3]
	v_fma_f32 v6, -v10, v6, v5
	v_cmp_lt_f32_e64 s[2:3], 0, v6
	s_nop 1
	v_cndmask_b32_e64 v4, v4, v10, s[2:3]
	v_mul_f32_e32 v10, 0x4f800000, v3
	v_cmp_gt_f32_e64 s[2:3], s14, v3
	v_mul_f32_e32 v6, 0x37800000, v4
	v_cndmask_b32_e32 v4, v4, v6, vcc
	v_cndmask_b32_e64 v3, v3, v10, s[2:3]
	v_sqrt_f32_e32 v10, v3
	v_cmp_class_f32_e32 vcc, v5, v9
	s_nop 1
	v_cndmask_b32_e32 v17, v4, v5, vcc
	v_add_u32_e32 v4, -1, v10
	v_fma_f32 v5, -v4, v10, v3
	v_cmp_ge_f32_e32 vcc, 0, v5
	v_add_u32_e32 v5, 1, v10
	v_fma_f32 v6, -v5, v10, v3
	v_cndmask_b32_e32 v4, v10, v4, vcc
	v_cmp_lt_f32_e32 vcc, 0, v6
	s_nop 1
	v_cndmask_b32_e32 v4, v4, v5, vcc
	v_mul_f32_e32 v5, 0x37800000, v4
	v_cndmask_b32_e64 v4, v4, v5, s[2:3]
	v_cmp_class_f32_e32 vcc, v3, v9
	s_nop 1
	v_cndmask_b32_e32 v16, v4, v3, vcc
	v_lshl_add_u64 v[4:5], v[0:1], 2, s[10:11]
	scratch_store_dwordx4 off, v[14:17], off
	s_cbranch_scc1 .LBB16_28
; %bb.2:
	s_load_dwordx2 s[6:7], s[0:1], 0x20
	s_cmp_lt_u32 s20, 4
	v_and_b32_e32 v6, 3, v8
	s_cbranch_scc1 .LBB16_21
; %bb.3:
	v_lshlrev_b32_e32 v7, 2, v6
	s_mov_b32 s13, 0
	s_and_b32 s8, s20, 0x7ffffffc
	v_ashrrev_i32_e32 v3, 31, v2
	v_sub_u32_e32 v13, 0, v7
	v_mov_b32_e32 v7, 0
	s_mov_b32 s12, s13
	s_branch .LBB16_5
.LBB16_4:                               ;   in Loop: Header=BB16_5 Depth=1
	s_or_b64 exec, exec, s[14:15]
	s_add_i32 s12, s12, 4
	s_cmp_eq_u32 s12, s8
	s_cbranch_scc1 .LBB16_21
.LBB16_5:                               ; =>This Loop Header: Depth=1
                                        ;     Child Loop BB16_7 Depth 2
                                        ;     Child Loop BB16_11 Depth 2
	;; [unrolled: 1-line block ×4, first 2 shown]
	v_lshl_add_u64 v[8:9], s[12:13], 2, v[4:5]
	global_load_dword v14, v[8:9], off
	v_add_u32_e32 v10, s12, v2
	v_ashrrev_i32_e32 v11, 31, v10
	v_mov_b32_e32 v15, 0
	s_mov_b64 s[14:15], 0
	s_waitcnt lgkmcnt(0)
	v_lshl_add_u64 v[10:11], v[10:11], 2, s[6:7]
	s_mov_b32 s9, 0
	s_waitcnt vmcnt(0)
	v_add_u32_e32 v16, v13, v14
	s_branch .LBB16_7
.LBB16_6:                               ;   in Loop: Header=BB16_7 Depth=2
	s_or_b64 exec, exec, s[16:17]
	s_add_i32 s18, s9, 1
	s_cmp_gt_u32 s9, 2
	s_cselect_b64 s[2:3], -1, 0
	s_xor_b64 s[16:17], vcc, -1
	s_or_b64 s[2:3], s[16:17], s[2:3]
	s_and_b64 s[2:3], exec, s[2:3]
	v_add_u32_e32 v15, 4, v15
	s_or_b64 s[14:15], s[2:3], s[14:15]
	s_mov_b32 s9, s18
	s_andn2_b64 exec, exec, s[14:15]
	s_cbranch_execz .LBB16_9
.LBB16_7:                               ;   Parent Loop BB16_5 Depth=1
                                        ; =>  This Inner Loop Header: Depth=2
	v_cmp_ne_u32_e32 vcc, s9, v16
	v_cmp_eq_u32_e64 s[2:3], s9, v16
	s_and_saveexec_b64 s[16:17], s[2:3]
	s_cbranch_execz .LBB16_6
; %bb.8:                                ;   in Loop: Header=BB16_7 Depth=2
	scratch_load_dword v17, v15, off
	s_waitcnt vmcnt(0)
	v_add_f32_e32 v7, v7, v17
	global_store_dword v[10:11], v14, off
	s_branch .LBB16_6
.LBB16_9:                               ;   in Loop: Header=BB16_5 Depth=1
	s_or_b64 exec, exec, s[14:15]
	global_load_dword v14, v[8:9], off offset:4
	s_ashr_i32 s3, s12, 31
	s_mov_b32 s2, s12
	v_lshl_add_u64 v[10:11], s[2:3], 0, v[2:3]
	v_mov_b32_e32 v15, 0
	s_mov_b32 s9, 0
	v_lshl_add_u64 v[10:11], v[10:11], 2, s[6:7]
	s_mov_b64 s[14:15], 0
	s_waitcnt vmcnt(0)
	v_add_u32_e32 v16, v13, v14
	s_branch .LBB16_11
.LBB16_10:                              ;   in Loop: Header=BB16_11 Depth=2
	s_or_b64 exec, exec, s[16:17]
	s_add_i32 s18, s9, 1
	s_cmp_gt_u32 s9, 2
	s_cselect_b64 s[2:3], -1, 0
	s_xor_b64 s[16:17], vcc, -1
	s_or_b64 s[2:3], s[16:17], s[2:3]
	s_and_b64 s[2:3], exec, s[2:3]
	v_add_u32_e32 v15, 4, v15
	s_or_b64 s[14:15], s[2:3], s[14:15]
	s_mov_b32 s9, s18
	s_andn2_b64 exec, exec, s[14:15]
	s_cbranch_execz .LBB16_13
.LBB16_11:                              ;   Parent Loop BB16_5 Depth=1
                                        ; =>  This Inner Loop Header: Depth=2
	v_cmp_ne_u32_e32 vcc, s9, v16
	v_cmp_eq_u32_e64 s[2:3], s9, v16
	s_and_saveexec_b64 s[16:17], s[2:3]
	s_cbranch_execz .LBB16_10
; %bb.12:                               ;   in Loop: Header=BB16_11 Depth=2
	scratch_load_dword v17, v15, off
	s_waitcnt vmcnt(0)
	v_add_f32_e32 v7, v7, v17
	global_store_dword v[10:11], v14, off offset:4
	s_branch .LBB16_10
.LBB16_13:                              ;   in Loop: Header=BB16_5 Depth=1
	s_or_b64 exec, exec, s[14:15]
	global_load_dword v14, v[8:9], off offset:8
	v_mov_b32_e32 v15, 0
	s_mov_b32 s9, 0
	s_mov_b64 s[14:15], 0
	s_waitcnt vmcnt(0)
	v_add_u32_e32 v16, v13, v14
	s_branch .LBB16_15
.LBB16_14:                              ;   in Loop: Header=BB16_15 Depth=2
	s_or_b64 exec, exec, s[16:17]
	s_add_i32 s18, s9, 1
	s_cmp_gt_u32 s9, 2
	s_cselect_b64 s[2:3], -1, 0
	s_xor_b64 s[16:17], vcc, -1
	s_or_b64 s[2:3], s[16:17], s[2:3]
	s_and_b64 s[2:3], exec, s[2:3]
	v_add_u32_e32 v15, 4, v15
	s_or_b64 s[14:15], s[2:3], s[14:15]
	s_mov_b32 s9, s18
	s_andn2_b64 exec, exec, s[14:15]
	s_cbranch_execz .LBB16_17
.LBB16_15:                              ;   Parent Loop BB16_5 Depth=1
                                        ; =>  This Inner Loop Header: Depth=2
	v_cmp_ne_u32_e32 vcc, s9, v16
	v_cmp_eq_u32_e64 s[2:3], s9, v16
	s_and_saveexec_b64 s[16:17], s[2:3]
	s_cbranch_execz .LBB16_14
; %bb.16:                               ;   in Loop: Header=BB16_15 Depth=2
	scratch_load_dword v17, v15, off
	s_waitcnt vmcnt(0)
	v_add_f32_e32 v7, v7, v17
	global_store_dword v[10:11], v14, off offset:8
	s_branch .LBB16_14
.LBB16_17:                              ;   in Loop: Header=BB16_5 Depth=1
	s_or_b64 exec, exec, s[14:15]
	global_load_dword v8, v[8:9], off offset:12
	v_mov_b32_e32 v9, 0
	s_mov_b32 s9, 0
	s_mov_b64 s[14:15], 0
	s_waitcnt vmcnt(0)
	v_add_u32_e32 v14, v13, v8
	s_branch .LBB16_19
.LBB16_18:                              ;   in Loop: Header=BB16_19 Depth=2
	s_or_b64 exec, exec, s[16:17]
	s_add_i32 s18, s9, 1
	s_cmp_gt_u32 s9, 2
	s_cselect_b64 s[2:3], -1, 0
	s_xor_b64 s[16:17], vcc, -1
	s_or_b64 s[2:3], s[16:17], s[2:3]
	s_and_b64 s[2:3], exec, s[2:3]
	v_add_u32_e32 v9, 4, v9
	s_or_b64 s[14:15], s[2:3], s[14:15]
	s_mov_b32 s9, s18
	s_andn2_b64 exec, exec, s[14:15]
	s_cbranch_execz .LBB16_4
.LBB16_19:                              ;   Parent Loop BB16_5 Depth=1
                                        ; =>  This Inner Loop Header: Depth=2
	v_cmp_ne_u32_e32 vcc, s9, v14
	v_cmp_eq_u32_e64 s[2:3], s9, v14
	s_and_saveexec_b64 s[16:17], s[2:3]
	s_cbranch_execz .LBB16_18
; %bb.20:                               ;   in Loop: Header=BB16_19 Depth=2
	scratch_load_dword v15, v9, off
	s_waitcnt vmcnt(0)
	v_add_f32_e32 v7, v7, v15
	global_store_dword v[10:11], v8, off offset:12
	s_branch .LBB16_18
.LBB16_21:
	s_and_b32 s16, s20, 3
	s_cmp_eq_u32 s16, 0
	s_mov_b32 s9, 0
	s_cbranch_scc1 .LBB16_28
; %bb.22:
	v_lshlrev_b32_e32 v3, 2, v6
	v_sub_u32_e32 v3, 0, v3
	s_mov_b32 s17, s9
	s_branch .LBB16_24
.LBB16_23:                              ;   in Loop: Header=BB16_24 Depth=1
	s_or_b64 exec, exec, s[12:13]
	s_add_i32 s8, s8, 1
	s_add_i32 s17, s17, 1
	s_cmp_lg_u32 s17, s16
	s_cbranch_scc0 .LBB16_28
.LBB16_24:                              ; =>This Loop Header: Depth=1
                                        ;     Child Loop BB16_26 Depth 2
	v_lshl_add_u64 v[8:9], s[8:9], 2, v[4:5]
	global_load_dword v6, v[8:9], off
	v_add_u32_e32 v8, s8, v2
	v_ashrrev_i32_e32 v9, 31, v8
	v_mov_b32_e32 v10, 0
	s_mov_b32 s18, 0
	s_waitcnt lgkmcnt(0)
	v_lshl_add_u64 v[8:9], v[8:9], 2, s[6:7]
	s_mov_b64 s[12:13], 0
	s_waitcnt vmcnt(0)
	v_add_u32_e32 v11, v3, v6
	s_branch .LBB16_26
.LBB16_25:                              ;   in Loop: Header=BB16_26 Depth=2
	s_or_b64 exec, exec, s[14:15]
	s_add_i32 s19, s18, 1
	s_cmp_gt_u32 s18, 2
	s_cselect_b64 s[2:3], -1, 0
	s_xor_b64 s[14:15], vcc, -1
	s_or_b64 s[2:3], s[14:15], s[2:3]
	s_and_b64 s[2:3], exec, s[2:3]
	v_add_u32_e32 v10, 4, v10
	s_or_b64 s[12:13], s[2:3], s[12:13]
	s_mov_b32 s18, s19
	s_andn2_b64 exec, exec, s[12:13]
	s_cbranch_execz .LBB16_23
.LBB16_26:                              ;   Parent Loop BB16_24 Depth=1
                                        ; =>  This Inner Loop Header: Depth=2
	v_cmp_ne_u32_e32 vcc, s18, v11
	v_cmp_eq_u32_e64 s[2:3], s18, v11
	s_and_saveexec_b64 s[14:15], s[2:3]
	s_cbranch_execz .LBB16_25
; %bb.27:                               ;   in Loop: Header=BB16_26 Depth=2
	scratch_load_dword v13, v10, off
	s_waitcnt vmcnt(0)
	v_add_f32_e32 v7, v7, v13
	global_store_dword v[8:9], v6, off
	s_branch .LBB16_25
.LBB16_28:
	s_waitcnt lgkmcnt(0)
	s_load_dword s6, s[0:1], 0x3c
	s_waitcnt lgkmcnt(0)
	s_bitcmp1_b32 s6, 0
	s_cselect_b64 s[2:3], -1, 0
	s_bitcmp0_b32 s6, 0
	s_cbranch_scc0 .LBB16_31
; %bb.29:
	s_load_dwordx2 s[6:7], s[0:1], 0x40
	s_andn2_b64 vcc, exec, s[2:3]
	s_waitcnt lgkmcnt(0)
	v_cvt_f32_f64_e32 v10, s[6:7]
	s_cbranch_vccz .LBB16_32
.LBB16_30:
	s_andn2_b64 vcc, exec, s[4:5]
	s_cbranch_vccz .LBB16_33
	s_branch .LBB16_79
.LBB16_31:
	v_mbcnt_lo_u32_b32 v3, -1, 0
	v_mbcnt_hi_u32_b32 v3, -1, v3
	v_and_b32_e32 v6, 0x7c, v3
	v_add_u32_e32 v6, 4, v6
	v_xor_b32_e32 v8, 2, v3
	v_cmp_lt_i32_e32 vcc, v8, v6
	v_xor_b32_e32 v9, 1, v3
	s_nop 0
	v_cndmask_b32_e32 v8, v3, v8, vcc
	v_lshlrev_b32_e32 v8, 2, v8
	ds_bpermute_b32 v8, v8, v7
	v_cmp_lt_i32_e32 vcc, v9, v6
	s_waitcnt lgkmcnt(0)
	v_add_f32_e32 v7, v7, v8
	v_cndmask_b32_e32 v3, v3, v9, vcc
	v_lshlrev_b32_e32 v3, 2, v3
	ds_bpermute_b32 v3, v3, v7
	s_waitcnt lgkmcnt(0)
	v_add_f32_e32 v7, v7, v3
	s_load_dwordx2 s[6:7], s[0:1], 0x40
	s_andn2_b64 vcc, exec, s[2:3]
	s_waitcnt lgkmcnt(0)
	v_cvt_f32_f64_e32 v10, s[6:7]
	s_cbranch_vccnz .LBB16_30
.LBB16_32:
	v_cmp_lt_f32_e32 vcc, 0, v7
	s_nop 1
	v_cndmask_b32_e32 v3, 1.0, v7, vcc
	v_div_scale_f32 v6, s[2:3], v3, v3, v10
	v_rcp_f32_e32 v7, v6
	s_nop 0
	v_fma_f32 v8, -v6, v7, 1.0
	v_fmac_f32_e32 v7, v8, v7
	v_div_scale_f32 v8, vcc, v10, v3, v10
	v_mul_f32_e32 v9, v8, v7
	v_fma_f32 v11, -v6, v9, v8
	v_fmac_f32_e32 v9, v11, v7
	v_fma_f32 v6, -v6, v9, v8
	v_div_fmas_f32 v6, v6, v7, v9
	v_div_fixup_f32 v10, v6, v3, v10
	s_andn2_b64 vcc, exec, s[4:5]
	s_cbranch_vccnz .LBB16_79
.LBB16_33:
	s_load_dwordx2 s[4:5], s[0:1], 0x10
	v_mov_b32_e32 v3, 0
	v_or_b32_e32 v11, 4, v3
	v_or_b32_e32 v13, 8, v3
	;; [unrolled: 1-line block ×6, first 2 shown]
	s_cmp_lt_u32 s20, 4
	s_mov_b32 s6, 0
	s_cbranch_scc1 .LBB16_68
; %bb.34:
	v_ashrrev_i32_e32 v3, 31, v2
	s_and_b32 s6, s20, 0x7ffffffc
	s_waitcnt lgkmcnt(0)
	v_lshl_add_u64 v[6:7], v[2:3], 2, s[4:5]
	s_mov_b32 s7, 0
	s_mov_b64 s[8:9], 0
	s_branch .LBB16_36
.LBB16_35:                              ;   in Loop: Header=BB16_36 Depth=1
	s_or_b64 exec, exec, s[2:3]
	s_add_i32 s7, s7, 4
	s_add_u32 s8, s8, 16
	s_addc_u32 s9, s9, 0
	s_cmp_eq_u32 s6, s7
	s_cbranch_scc1 .LBB16_68
.LBB16_36:                              ; =>This Inner Loop Header: Depth=1
	v_lshl_add_u64 v[8:9], v[4:5], 0, s[8:9]
	global_load_dword v18, v[8:9], off
	v_mov_b32_e32 v3, 0
	s_waitcnt vmcnt(0)
	v_cmp_eq_u32_e32 vcc, v18, v12
	v_cmp_ne_u32_e64 s[0:1], v18, v12
	s_and_saveexec_b64 s[12:13], s[0:1]
	s_cbranch_execz .LBB16_42
; %bb.37:                               ;   in Loop: Header=BB16_36 Depth=1
	v_cmp_eq_u32_e64 s[0:1], v18, v15
	v_cmp_ne_u32_e64 s[2:3], v18, v15
	v_mov_b32_e32 v3, v11
	s_and_saveexec_b64 s[14:15], s[2:3]
	s_cbranch_execz .LBB16_41
; %bb.38:                               ;   in Loop: Header=BB16_36 Depth=1
	v_cmp_eq_u32_e64 s[16:17], v18, v16
	v_cmp_ne_u32_e64 s[2:3], v18, v16
	v_mov_b32_e32 v3, v13
	s_and_saveexec_b64 s[18:19], s[2:3]
	s_xor_b64 s[18:19], exec, s[18:19]
; %bb.39:                               ;   in Loop: Header=BB16_36 Depth=1
	v_cmp_eq_u32_e64 s[2:3], v18, v17
	s_andn2_b64 s[16:17], s[16:17], exec
	s_and_b64 s[2:3], s[2:3], exec
	s_or_b64 s[16:17], s[16:17], s[2:3]
	v_mov_b32_e32 v3, v14
; %bb.40:                               ;   in Loop: Header=BB16_36 Depth=1
	s_or_b64 exec, exec, s[18:19]
	s_andn2_b64 s[0:1], s[0:1], exec
	s_and_b64 s[2:3], s[16:17], exec
	s_or_b64 s[0:1], s[0:1], s[2:3]
.LBB16_41:                              ;   in Loop: Header=BB16_36 Depth=1
	s_or_b64 exec, exec, s[14:15]
	s_andn2_b64 s[2:3], vcc, exec
	s_and_b64 s[0:1], s[0:1], exec
	s_or_b64 vcc, s[2:3], s[0:1]
.LBB16_42:                              ;   in Loop: Header=BB16_36 Depth=1
	s_or_b64 exec, exec, s[12:13]
	s_and_saveexec_b64 s[0:1], vcc
	s_cbranch_execz .LBB16_44
; %bb.43:                               ;   in Loop: Header=BB16_36 Depth=1
	scratch_load_dword v3, v3, off
	v_add_u32_e32 v18, s7, v2
	v_ashrrev_i32_e32 v19, 31, v18
	v_lshl_add_u64 v[18:19], v[18:19], 2, s[4:5]
	s_waitcnt vmcnt(0)
	v_mul_f32_e32 v3, v10, v3
	global_store_dword v[18:19], v3, off
.LBB16_44:                              ;   in Loop: Header=BB16_36 Depth=1
	s_or_b64 exec, exec, s[0:1]
	global_load_dword v18, v[8:9], off offset:4
	v_mov_b32_e32 v3, 0
	s_waitcnt vmcnt(0)
	v_cmp_eq_u32_e64 s[0:1], v18, v12
	v_cmp_ne_u32_e32 vcc, v18, v12
	s_and_saveexec_b64 s[2:3], vcc
	s_cbranch_execz .LBB16_50
; %bb.45:                               ;   in Loop: Header=BB16_36 Depth=1
	v_cmp_eq_u32_e64 s[12:13], v18, v15
	v_cmp_ne_u32_e32 vcc, v18, v15
	v_mov_b32_e32 v3, v11
	s_and_saveexec_b64 s[14:15], vcc
	s_cbranch_execz .LBB16_49
; %bb.46:                               ;   in Loop: Header=BB16_36 Depth=1
	v_cmp_eq_u32_e64 s[16:17], v18, v16
	v_cmp_ne_u32_e32 vcc, v18, v16
	v_mov_b32_e32 v3, v13
	s_and_saveexec_b64 s[18:19], vcc
; %bb.47:                               ;   in Loop: Header=BB16_36 Depth=1
	v_cmp_eq_u32_e32 vcc, v18, v17
	s_andn2_b64 s[16:17], s[16:17], exec
	s_and_b64 s[22:23], vcc, exec
	s_or_b64 s[16:17], s[16:17], s[22:23]
	v_mov_b32_e32 v3, v14
; %bb.48:                               ;   in Loop: Header=BB16_36 Depth=1
	s_or_b64 exec, exec, s[18:19]
	s_andn2_b64 s[12:13], s[12:13], exec
	s_and_b64 s[16:17], s[16:17], exec
	s_or_b64 s[12:13], s[12:13], s[16:17]
.LBB16_49:                              ;   in Loop: Header=BB16_36 Depth=1
	s_or_b64 exec, exec, s[14:15]
	s_andn2_b64 s[0:1], s[0:1], exec
	s_and_b64 s[12:13], s[12:13], exec
	s_or_b64 s[0:1], s[0:1], s[12:13]
.LBB16_50:                              ;   in Loop: Header=BB16_36 Depth=1
	s_or_b64 exec, exec, s[2:3]
	s_and_saveexec_b64 s[2:3], s[0:1]
	s_cbranch_execz .LBB16_52
; %bb.51:                               ;   in Loop: Header=BB16_36 Depth=1
	scratch_load_dword v3, v3, off
	v_lshl_add_u64 v[18:19], v[6:7], 0, s[8:9]
	s_waitcnt vmcnt(0)
	v_mul_f32_e32 v3, v10, v3
	global_store_dword v[18:19], v3, off offset:4
.LBB16_52:                              ;   in Loop: Header=BB16_36 Depth=1
	s_or_b64 exec, exec, s[2:3]
	global_load_dword v18, v[8:9], off offset:8
	v_mov_b32_e32 v3, 0
	s_waitcnt vmcnt(0)
	v_cmp_eq_u32_e64 s[0:1], v18, v12
	v_cmp_ne_u32_e32 vcc, v18, v12
	s_and_saveexec_b64 s[2:3], vcc
	s_cbranch_execz .LBB16_58
; %bb.53:                               ;   in Loop: Header=BB16_36 Depth=1
	v_cmp_eq_u32_e64 s[12:13], v18, v15
	v_cmp_ne_u32_e32 vcc, v18, v15
	v_mov_b32_e32 v3, v11
	s_and_saveexec_b64 s[14:15], vcc
	s_cbranch_execz .LBB16_57
; %bb.54:                               ;   in Loop: Header=BB16_36 Depth=1
	v_cmp_eq_u32_e64 s[16:17], v18, v16
	v_cmp_ne_u32_e32 vcc, v18, v16
	v_mov_b32_e32 v3, v13
	s_and_saveexec_b64 s[18:19], vcc
; %bb.55:                               ;   in Loop: Header=BB16_36 Depth=1
	v_cmp_eq_u32_e32 vcc, v18, v17
	s_andn2_b64 s[16:17], s[16:17], exec
	s_and_b64 s[22:23], vcc, exec
	s_or_b64 s[16:17], s[16:17], s[22:23]
	v_mov_b32_e32 v3, v14
; %bb.56:                               ;   in Loop: Header=BB16_36 Depth=1
	s_or_b64 exec, exec, s[18:19]
	s_andn2_b64 s[12:13], s[12:13], exec
	s_and_b64 s[16:17], s[16:17], exec
	s_or_b64 s[12:13], s[12:13], s[16:17]
.LBB16_57:                              ;   in Loop: Header=BB16_36 Depth=1
	s_or_b64 exec, exec, s[14:15]
	s_andn2_b64 s[0:1], s[0:1], exec
	s_and_b64 s[12:13], s[12:13], exec
	s_or_b64 s[0:1], s[0:1], s[12:13]
.LBB16_58:                              ;   in Loop: Header=BB16_36 Depth=1
	s_or_b64 exec, exec, s[2:3]
	s_and_saveexec_b64 s[2:3], s[0:1]
	s_cbranch_execz .LBB16_60
; %bb.59:                               ;   in Loop: Header=BB16_36 Depth=1
	scratch_load_dword v3, v3, off
	v_lshl_add_u64 v[18:19], v[6:7], 0, s[8:9]
	s_waitcnt vmcnt(0)
	v_mul_f32_e32 v3, v10, v3
	global_store_dword v[18:19], v3, off offset:8
.LBB16_60:                              ;   in Loop: Header=BB16_36 Depth=1
	s_or_b64 exec, exec, s[2:3]
	global_load_dword v8, v[8:9], off offset:12
	v_mov_b32_e32 v3, 0
	s_waitcnt vmcnt(0)
	v_cmp_eq_u32_e64 s[0:1], v8, v12
	v_cmp_ne_u32_e32 vcc, v8, v12
	s_and_saveexec_b64 s[2:3], vcc
	s_cbranch_execz .LBB16_66
; %bb.61:                               ;   in Loop: Header=BB16_36 Depth=1
	v_cmp_eq_u32_e64 s[12:13], v8, v15
	v_cmp_ne_u32_e32 vcc, v8, v15
	v_mov_b32_e32 v3, v11
	s_and_saveexec_b64 s[14:15], vcc
	s_cbranch_execz .LBB16_65
; %bb.62:                               ;   in Loop: Header=BB16_36 Depth=1
	v_cmp_eq_u32_e64 s[16:17], v8, v16
	v_cmp_ne_u32_e32 vcc, v8, v16
	v_mov_b32_e32 v3, v13
	s_and_saveexec_b64 s[18:19], vcc
; %bb.63:                               ;   in Loop: Header=BB16_36 Depth=1
	v_cmp_eq_u32_e32 vcc, v8, v17
	s_andn2_b64 s[16:17], s[16:17], exec
	s_and_b64 s[22:23], vcc, exec
	s_or_b64 s[16:17], s[16:17], s[22:23]
	v_mov_b32_e32 v3, v14
; %bb.64:                               ;   in Loop: Header=BB16_36 Depth=1
	s_or_b64 exec, exec, s[18:19]
	s_andn2_b64 s[12:13], s[12:13], exec
	s_and_b64 s[16:17], s[16:17], exec
	s_or_b64 s[12:13], s[12:13], s[16:17]
.LBB16_65:                              ;   in Loop: Header=BB16_36 Depth=1
	s_or_b64 exec, exec, s[14:15]
	s_andn2_b64 s[0:1], s[0:1], exec
	s_and_b64 s[12:13], s[12:13], exec
	s_or_b64 s[0:1], s[0:1], s[12:13]
.LBB16_66:                              ;   in Loop: Header=BB16_36 Depth=1
	s_or_b64 exec, exec, s[2:3]
	s_and_saveexec_b64 s[2:3], s[0:1]
	s_cbranch_execz .LBB16_35
; %bb.67:                               ;   in Loop: Header=BB16_36 Depth=1
	scratch_load_dword v3, v3, off
	v_lshl_add_u64 v[8:9], v[6:7], 0, s[8:9]
	s_waitcnt vmcnt(0)
	v_mul_f32_e32 v3, v10, v3
	global_store_dword v[8:9], v3, off offset:12
	s_branch .LBB16_35
.LBB16_68:
	s_and_b32 s14, s20, 3
	s_cmp_eq_u32 s14, 0
	s_mov_b32 s7, 0
	s_cbranch_scc1 .LBB16_79
; %bb.69:
	s_lshl_b64 s[0:1], s[6:7], 2
	s_add_u32 s0, s10, s0
	s_addc_u32 s1, s11, s1
	v_add_u32_e32 v2, s6, v2
	v_lshl_add_u64 v[0:1], v[0:1], 2, s[0:1]
	s_branch .LBB16_71
.LBB16_70:                              ;   in Loop: Header=BB16_71 Depth=1
	s_or_b64 exec, exec, s[2:3]
	s_add_i32 s14, s14, -1
	v_add_u32_e32 v2, 1, v2
	s_cmp_lg_u32 s14, 0
	v_lshl_add_u64 v[0:1], v[0:1], 0, 4
	s_cbranch_scc0 .LBB16_79
.LBB16_71:                              ; =>This Inner Loop Header: Depth=1
	global_load_dword v4, v[0:1], off
	v_mov_b32_e32 v3, 0
	s_waitcnt vmcnt(0)
	v_cmp_eq_u32_e64 s[0:1], v4, v12
	v_cmp_ne_u32_e32 vcc, v4, v12
	s_and_saveexec_b64 s[2:3], vcc
	s_cbranch_execz .LBB16_77
; %bb.72:                               ;   in Loop: Header=BB16_71 Depth=1
	v_cmp_eq_u32_e64 s[6:7], v4, v15
	v_cmp_ne_u32_e32 vcc, v4, v15
	v_mov_b32_e32 v3, v11
	s_and_saveexec_b64 s[8:9], vcc
	s_cbranch_execz .LBB16_76
; %bb.73:                               ;   in Loop: Header=BB16_71 Depth=1
	v_cmp_eq_u32_e64 s[10:11], v4, v16
	v_cmp_ne_u32_e32 vcc, v4, v16
	v_mov_b32_e32 v3, v13
	s_and_saveexec_b64 s[12:13], vcc
; %bb.74:                               ;   in Loop: Header=BB16_71 Depth=1
	v_cmp_eq_u32_e32 vcc, v4, v17
	s_andn2_b64 s[10:11], s[10:11], exec
	s_and_b64 s[16:17], vcc, exec
	s_or_b64 s[10:11], s[10:11], s[16:17]
	v_mov_b32_e32 v3, v14
; %bb.75:                               ;   in Loop: Header=BB16_71 Depth=1
	s_or_b64 exec, exec, s[12:13]
	s_andn2_b64 s[6:7], s[6:7], exec
	s_and_b64 s[10:11], s[10:11], exec
	s_or_b64 s[6:7], s[6:7], s[10:11]
.LBB16_76:                              ;   in Loop: Header=BB16_71 Depth=1
	s_or_b64 exec, exec, s[8:9]
	s_andn2_b64 s[0:1], s[0:1], exec
	s_and_b64 s[6:7], s[6:7], exec
	s_or_b64 s[0:1], s[0:1], s[6:7]
.LBB16_77:                              ;   in Loop: Header=BB16_71 Depth=1
	s_or_b64 exec, exec, s[2:3]
	s_and_saveexec_b64 s[2:3], s[0:1]
	s_cbranch_execz .LBB16_70
; %bb.78:                               ;   in Loop: Header=BB16_71 Depth=1
	scratch_load_dword v4, v3, off
	v_ashrrev_i32_e32 v3, 31, v2
	s_waitcnt vmcnt(0)
	v_mul_f32_e32 v6, v10, v4
	s_waitcnt lgkmcnt(0)
	v_lshl_add_u64 v[4:5], v[2:3], 2, s[4:5]
	global_store_dword v[4:5], v6, off
	s_branch .LBB16_70
.LBB16_79:
	s_endpgm
	.section	.rodata,"a",@progbits
	.p2align	6, 0x0
	.amdhsa_kernel _ZN4vllm3moe22topkGatingSoftplusSqrtILi4ELi16ELi4ELi16ELi64ELb1EifEEvPKT6_PKbPfiPT5_PiiiibdPKfPKS8_SE_
		.amdhsa_group_segment_fixed_size 0
		.amdhsa_private_segment_fixed_size 32
		.amdhsa_kernarg_size 96
		.amdhsa_user_sgpr_count 2
		.amdhsa_user_sgpr_dispatch_ptr 0
		.amdhsa_user_sgpr_queue_ptr 0
		.amdhsa_user_sgpr_kernarg_segment_ptr 1
		.amdhsa_user_sgpr_dispatch_id 0
		.amdhsa_user_sgpr_kernarg_preload_length 0
		.amdhsa_user_sgpr_kernarg_preload_offset 0
		.amdhsa_user_sgpr_private_segment_size 0
		.amdhsa_uses_dynamic_stack 0
		.amdhsa_enable_private_segment 1
		.amdhsa_system_sgpr_workgroup_id_x 1
		.amdhsa_system_sgpr_workgroup_id_y 0
		.amdhsa_system_sgpr_workgroup_id_z 0
		.amdhsa_system_sgpr_workgroup_info 0
		.amdhsa_system_vgpr_workitem_id 1
		.amdhsa_next_free_vgpr 25
		.amdhsa_next_free_sgpr 24
		.amdhsa_accum_offset 28
		.amdhsa_reserve_vcc 1
		.amdhsa_float_round_mode_32 0
		.amdhsa_float_round_mode_16_64 0
		.amdhsa_float_denorm_mode_32 3
		.amdhsa_float_denorm_mode_16_64 3
		.amdhsa_dx10_clamp 1
		.amdhsa_ieee_mode 1
		.amdhsa_fp16_overflow 0
		.amdhsa_tg_split 0
		.amdhsa_exception_fp_ieee_invalid_op 0
		.amdhsa_exception_fp_denorm_src 0
		.amdhsa_exception_fp_ieee_div_zero 0
		.amdhsa_exception_fp_ieee_overflow 0
		.amdhsa_exception_fp_ieee_underflow 0
		.amdhsa_exception_fp_ieee_inexact 0
		.amdhsa_exception_int_div_zero 0
	.end_amdhsa_kernel
	.section	.text._ZN4vllm3moe22topkGatingSoftplusSqrtILi4ELi16ELi4ELi16ELi64ELb1EifEEvPKT6_PKbPfiPT5_PiiiibdPKfPKS8_SE_,"axG",@progbits,_ZN4vllm3moe22topkGatingSoftplusSqrtILi4ELi16ELi4ELi16ELi64ELb1EifEEvPKT6_PKbPfiPT5_PiiiibdPKfPKS8_SE_,comdat
.Lfunc_end16:
	.size	_ZN4vllm3moe22topkGatingSoftplusSqrtILi4ELi16ELi4ELi16ELi64ELb1EifEEvPKT6_PKbPfiPT5_PiiiibdPKfPKS8_SE_, .Lfunc_end16-_ZN4vllm3moe22topkGatingSoftplusSqrtILi4ELi16ELi4ELi16ELi64ELb1EifEEvPKT6_PKbPfiPT5_PiiiibdPKfPKS8_SE_
                                        ; -- End function
	.section	.AMDGPU.csdata,"",@progbits
; Kernel info:
; codeLenInByte = 3388
; NumSgprs: 30
; NumVgprs: 25
; NumAgprs: 0
; TotalNumVgprs: 25
; ScratchSize: 32
; MemoryBound: 0
; FloatMode: 240
; IeeeMode: 1
; LDSByteSize: 0 bytes/workgroup (compile time only)
; SGPRBlocks: 3
; VGPRBlocks: 3
; NumSGPRsForWavesPerEU: 30
; NumVGPRsForWavesPerEU: 25
; AccumOffset: 28
; Occupancy: 8
; WaveLimiterHint : 1
; COMPUTE_PGM_RSRC2:SCRATCH_EN: 1
; COMPUTE_PGM_RSRC2:USER_SGPR: 2
; COMPUTE_PGM_RSRC2:TRAP_HANDLER: 0
; COMPUTE_PGM_RSRC2:TGID_X_EN: 1
; COMPUTE_PGM_RSRC2:TGID_Y_EN: 0
; COMPUTE_PGM_RSRC2:TGID_Z_EN: 0
; COMPUTE_PGM_RSRC2:TIDIG_COMP_CNT: 1
; COMPUTE_PGM_RSRC3_GFX90A:ACCUM_OFFSET: 6
; COMPUTE_PGM_RSRC3_GFX90A:TG_SPLIT: 0
	.section	.text._ZN4vllm3moe22topkGatingSoftplusSqrtILi4ELi16ELi4ELi16ELi64ELb0EifEEvPKT6_PKbPfiPT5_PiiiibdPKfPKS8_SE_,"axG",@progbits,_ZN4vllm3moe22topkGatingSoftplusSqrtILi4ELi16ELi4ELi16ELi64ELb0EifEEvPKT6_PKbPfiPT5_PiiiibdPKfPKS8_SE_,comdat
	.protected	_ZN4vllm3moe22topkGatingSoftplusSqrtILi4ELi16ELi4ELi16ELi64ELb0EifEEvPKT6_PKbPfiPT5_PiiiibdPKfPKS8_SE_ ; -- Begin function _ZN4vllm3moe22topkGatingSoftplusSqrtILi4ELi16ELi4ELi16ELi64ELb0EifEEvPKT6_PKbPfiPT5_PiiiibdPKfPKS8_SE_
	.globl	_ZN4vllm3moe22topkGatingSoftplusSqrtILi4ELi16ELi4ELi16ELi64ELb0EifEEvPKT6_PKbPfiPT5_PiiiibdPKfPKS8_SE_
	.p2align	8
	.type	_ZN4vllm3moe22topkGatingSoftplusSqrtILi4ELi16ELi4ELi16ELi64ELb0EifEEvPKT6_PKbPfiPT5_PiiiibdPKfPKS8_SE_,@function
_ZN4vllm3moe22topkGatingSoftplusSqrtILi4ELi16ELi4ELi16ELi64ELb0EifEEvPKT6_PKbPfiPT5_PiiiibdPKfPKS8_SE_: ; @_ZN4vllm3moe22topkGatingSoftplusSqrtILi4ELi16ELi4ELi16ELi64ELb0EifEEvPKT6_PKbPfiPT5_PiiiibdPKfPKS8_SE_
; %bb.0:
	s_load_dword s30, s[2:3], 0x18
	v_and_b32_e32 v1, 0x3ff, v0
	v_bfe_u32 v4, v0, 10, 10
	s_lshl_b32 s4, s4, 6
	v_lshlrev_b32_e32 v2, 4, v4
	v_lshrrev_b32_e32 v3, 2, v1
	v_add3_u32 v2, s4, v2, v3
	s_waitcnt lgkmcnt(0)
	v_cmp_gt_i32_e32 vcc, s30, v2
	s_and_saveexec_b64 s[4:5], vcc
	s_cbranch_execz .LBB17_43
; %bb.1:
	s_load_dwordx4 s[4:7], s[2:3], 0x0
	s_load_dwordx2 s[20:21], s[2:3], 0x10
	s_waitcnt lgkmcnt(0)
	s_cmp_eq_u64 s[6:7], 0
	s_cbranch_scc1 .LBB17_3
; %bb.2:
	v_ashrrev_i32_e32 v3, 31, v2
	v_lshl_add_u64 v[6:7], s[6:7], 0, v[2:3]
	global_load_ubyte v3, v[6:7], off
	s_waitcnt vmcnt(0)
	v_and_b32_e32 v3, 1, v3
	v_cmp_eq_u32_e32 vcc, 1, v3
	s_xor_b64 s[6:7], vcc, -1
	s_orn2_b64 s[22:23], s[6:7], exec
	s_branch .LBB17_4
.LBB17_3:
	s_mov_b64 s[22:23], -1
.LBB17_4:
	v_lshlrev_b32_e32 v8, 4, v2
	v_mov_b32_e32 v6, s4
	v_mov_b32_e32 v7, s5
	v_ashrrev_i32_e32 v9, 31, v8
	v_and_b32_e32 v3, 3, v1
	v_lshl_add_u64 v[6:7], v[8:9], 2, v[6:7]
	v_mov_b32_e32 v9, 0
	v_lshlrev_b32_e32 v8, 4, v3
	v_lshl_add_u64 v[6:7], v[6:7], 0, v[8:9]
	global_load_dwordx4 v[6:9], v[6:7], off
	s_load_dwordx2 s[4:5], s[0:1], 0x4
	s_load_dwordx4 s[8:11], s[2:3], 0x40
	v_bfe_u32 v0, v0, 20, 10
	s_mov_b32 s16, 0x800000
	s_mov_b32 s13, 0x3f317217
	s_waitcnt lgkmcnt(0)
	s_lshr_b32 s0, s4, 16
	s_mul_i32 s0, s0, s5
	v_mul_lo_u32 v1, s0, v1
	v_mad_u32_u24 v1, v4, s5, v1
	v_add_lshl_u32 v4, v1, v0, 4
	s_mov_b32 s14, 0x7f800000
	s_mov_b32 s12, 0x41a00000
	s_mov_b32 s15, 0xf800000
	s_cmp_lg_u64 s[10:11], 0
	v_mov_b32_e32 v1, 0x260
	s_cselect_b64 s[6:7], -1, 0
	s_and_b64 s[0:1], exec, s[6:7]
	s_waitcnt vmcnt(0)
	ds_write_b128 v4, v[6:9]
	ds_read_b32 v8, v4
	v_mov_b32_e32 v6, 0x4f800000
	v_mov_b32_e32 v7, 0x41b17218
	s_waitcnt lgkmcnt(0)
	v_mul_f32_e32 v0, 0x3fb8aa3b, v8
	v_exp_f32_e32 v0, v0
	s_nop 0
	v_add_f32_e32 v0, 1.0, v0
	v_cmp_gt_f32_e32 vcc, s16, v0
	s_nop 1
	v_cndmask_b32_e32 v5, 1.0, v6, vcc
	v_mul_f32_e32 v0, v0, v5
	v_log_f32_e32 v9, v0
	v_cndmask_b32_e32 v10, 0, v7, vcc
	v_lshlrev_b32_e32 v5, 2, v3
	v_lshlrev_b32_e32 v0, 2, v5
	v_mul_f32_e32 v11, 0x3f317217, v9
	v_fma_f32 v11, v9, s13, -v11
	v_fmac_f32_e32 v11, 0x3377d1cf, v9
	v_fmac_f32_e32 v11, 0x3f317217, v9
	v_cmp_lt_f32_e64 vcc, |v9|, s14
	s_nop 1
	v_cndmask_b32_e32 v9, v9, v11, vcc
	v_sub_f32_e32 v9, v9, v10
	v_cmp_lt_f32_e32 vcc, s12, v8
	s_nop 1
	v_cndmask_b32_e32 v8, v9, v8, vcc
	v_mul_f32_e32 v9, 0x4f800000, v8
	v_cmp_gt_f32_e32 vcc, s15, v8
	s_nop 1
	v_cndmask_b32_e32 v8, v8, v9, vcc
	v_sqrt_f32_e32 v9, v8
	s_nop 0
	v_add_u32_e32 v10, -1, v9
	v_add_u32_e32 v11, 1, v9
	v_fma_f32 v12, -v10, v9, v8
	v_fma_f32 v13, -v11, v9, v8
	v_cmp_ge_f32_e64 s[4:5], 0, v12
	s_nop 1
	v_cndmask_b32_e64 v9, v9, v10, s[4:5]
	v_cmp_lt_f32_e64 s[4:5], 0, v13
	s_nop 1
	v_cndmask_b32_e64 v9, v9, v11, s[4:5]
	v_mul_f32_e32 v10, 0x37800000, v9
	v_cndmask_b32_e32 v9, v9, v10, vcc
	v_cmp_class_f32_e32 vcc, v8, v1
	s_nop 1
	v_cndmask_b32_e32 v8, v9, v8, vcc
	s_mov_b64 vcc, s[0:1]
	s_cbranch_vccz .LBB17_6
; %bb.5:
	global_load_dword v9, v0, s[10:11]
	s_waitcnt vmcnt(0)
	v_add_f32_e32 v8, v8, v9
.LBB17_6:
	ds_read_b32 v9, v4 offset:4
	ds_write_b32 v4, v8
	s_waitcnt lgkmcnt(1)
	v_mul_f32_e32 v10, 0x3fb8aa3b, v9
	v_exp_f32_e32 v10, v10
	s_nop 0
	v_add_f32_e32 v10, 1.0, v10
	v_cmp_gt_f32_e32 vcc, s16, v10
	s_nop 1
	v_cndmask_b32_e32 v6, 1.0, v6, vcc
	v_mul_f32_e32 v6, v10, v6
	v_log_f32_e32 v6, v6
	v_cndmask_b32_e32 v7, 0, v7, vcc
	v_mul_f32_e32 v8, 0x3f317217, v6
	v_fma_f32 v8, v6, s13, -v8
	v_fmac_f32_e32 v8, 0x3377d1cf, v6
	v_fmac_f32_e32 v8, 0x3f317217, v6
	v_cmp_lt_f32_e64 vcc, |v6|, s14
	s_nop 1
	v_cndmask_b32_e32 v6, v6, v8, vcc
	v_sub_f32_e32 v6, v6, v7
	v_cmp_lt_f32_e32 vcc, s12, v9
	v_cndmask_b32_e64 v8, 0, 1, s[6:7]
	v_cmp_ne_u32_e64 s[0:1], 1, v8
	v_cndmask_b32_e32 v6, v6, v9, vcc
	v_mul_f32_e32 v7, 0x4f800000, v6
	v_cmp_gt_f32_e64 s[4:5], s15, v6
	s_andn2_b64 vcc, exec, s[6:7]
	s_nop 0
	v_cndmask_b32_e64 v6, v6, v7, s[4:5]
	v_sqrt_f32_e32 v7, v6
	s_nop 0
	v_add_u32_e32 v8, -1, v7
	v_add_u32_e32 v9, 1, v7
	v_fma_f32 v10, -v8, v7, v6
	v_fma_f32 v11, -v9, v7, v6
	v_cmp_ge_f32_e64 s[6:7], 0, v10
	s_nop 1
	v_cndmask_b32_e64 v7, v7, v8, s[6:7]
	v_cmp_lt_f32_e64 s[6:7], 0, v11
	s_nop 1
	v_cndmask_b32_e64 v7, v7, v9, s[6:7]
	v_mul_f32_e32 v8, 0x37800000, v7
	v_cndmask_b32_e64 v7, v7, v8, s[4:5]
	v_cmp_class_f32_e64 s[4:5], v6, v1
	s_nop 1
	v_cndmask_b32_e64 v1, v7, v6, s[4:5]
	s_cbranch_vccnz .LBB17_8
; %bb.7:
	global_load_dword v6, v0, s[10:11] offset:4
	s_waitcnt vmcnt(0)
	v_add_f32_e32 v1, v1, v6
.LBB17_8:
	ds_read_b32 v8, v4 offset:8
	s_mov_b32 s12, 0x800000
	s_mov_b32 s7, 0x3f317217
	;; [unrolled: 1-line block ×4, first 2 shown]
	s_waitcnt lgkmcnt(0)
	v_mul_f32_e32 v6, 0x3fb8aa3b, v8
	v_exp_f32_e32 v7, v6
	v_mov_b32_e32 v6, 0x4f800000
	s_mov_b32 s14, 0xf800000
	ds_write_b32 v4, v1 offset:4
	v_add_f32_e32 v7, 1.0, v7
	v_cmp_gt_f32_e32 vcc, s12, v7
	s_nop 1
	v_cndmask_b32_e32 v9, 1.0, v6, vcc
	v_mul_f32_e32 v7, v7, v9
	v_log_f32_e32 v9, v7
	v_mov_b32_e32 v7, 0x41b17218
	v_cndmask_b32_e32 v10, 0, v7, vcc
	v_mul_f32_e32 v11, 0x3f317217, v9
	v_fma_f32 v11, v9, s7, -v11
	v_fmac_f32_e32 v11, 0x3377d1cf, v9
	v_fmac_f32_e32 v11, 0x3f317217, v9
	v_cmp_lt_f32_e64 vcc, |v9|, s13
	s_nop 1
	v_cndmask_b32_e32 v9, v9, v11, vcc
	v_sub_f32_e32 v9, v9, v10
	v_cmp_lt_f32_e32 vcc, s6, v8
	s_nop 1
	v_cndmask_b32_e32 v8, v9, v8, vcc
	v_mul_f32_e32 v9, 0x4f800000, v8
	v_cmp_gt_f32_e32 vcc, s14, v8
	s_nop 1
	v_cndmask_b32_e32 v8, v8, v9, vcc
	v_sqrt_f32_e32 v9, v8
	s_nop 0
	v_add_u32_e32 v1, -1, v9
	v_fma_f32 v10, -v1, v9, v8
	v_cmp_ge_f32_e64 s[4:5], 0, v10
	v_add_u32_e32 v10, 1, v9
	s_nop 0
	v_cndmask_b32_e64 v1, v9, v1, s[4:5]
	v_fma_f32 v9, -v10, v9, v8
	v_cmp_lt_f32_e64 s[4:5], 0, v9
	s_nop 1
	v_cndmask_b32_e64 v1, v1, v10, s[4:5]
	v_mul_f32_e32 v9, 0x37800000, v1
	v_cndmask_b32_e32 v9, v1, v9, vcc
	v_mov_b32_e32 v1, 0x260
	v_cmp_class_f32_e64 s[4:5], v8, v1
	s_and_b64 vcc, exec, s[0:1]
	s_nop 0
	v_cndmask_b32_e64 v8, v9, v8, s[4:5]
	s_cbranch_vccnz .LBB17_10
; %bb.9:
	global_load_dword v9, v0, s[10:11] offset:8
	s_waitcnt vmcnt(0)
	v_add_f32_e32 v8, v8, v9
.LBB17_10:
	ds_read_b32 v9, v4 offset:12
	ds_write_b32 v4, v8 offset:8
	s_waitcnt lgkmcnt(1)
	v_mul_f32_e32 v10, 0x3fb8aa3b, v9
	v_exp_f32_e32 v10, v10
	s_nop 0
	v_add_f32_e32 v10, 1.0, v10
	v_cmp_gt_f32_e32 vcc, s12, v10
	s_nop 1
	v_cndmask_b32_e32 v6, 1.0, v6, vcc
	v_mul_f32_e32 v6, v10, v6
	v_log_f32_e32 v6, v6
	v_cndmask_b32_e32 v7, 0, v7, vcc
	v_mul_f32_e32 v10, 0x3f317217, v6
	v_fma_f32 v10, v6, s7, -v10
	v_fmac_f32_e32 v10, 0x3377d1cf, v6
	v_fmac_f32_e32 v10, 0x3f317217, v6
	v_cmp_lt_f32_e64 vcc, |v6|, s13
	s_nop 1
	v_cndmask_b32_e32 v6, v6, v10, vcc
	v_sub_f32_e32 v6, v6, v7
	v_cmp_lt_f32_e32 vcc, s6, v9
	s_nop 1
	v_cndmask_b32_e32 v6, v6, v9, vcc
	v_mul_f32_e32 v7, 0x4f800000, v6
	v_cmp_gt_f32_e64 s[4:5], s14, v6
	s_and_b64 vcc, exec, s[0:1]
	s_nop 0
	v_cndmask_b32_e64 v6, v6, v7, s[4:5]
	v_sqrt_f32_e32 v7, v6
	s_nop 0
	v_add_u32_e32 v8, -1, v7
	v_add_u32_e32 v9, 1, v7
	v_fma_f32 v10, -v8, v7, v6
	v_fma_f32 v11, -v9, v7, v6
	v_cmp_ge_f32_e64 s[6:7], 0, v10
	s_nop 1
	v_cndmask_b32_e64 v7, v7, v8, s[6:7]
	v_cmp_lt_f32_e64 s[6:7], 0, v11
	s_nop 1
	v_cndmask_b32_e64 v7, v7, v9, s[6:7]
	v_mul_f32_e32 v8, 0x37800000, v7
	v_cndmask_b32_e64 v7, v7, v8, s[4:5]
	v_cmp_class_f32_e64 s[4:5], v6, v1
	s_nop 1
	v_cndmask_b32_e64 v1, v7, v6, s[4:5]
	s_cbranch_vccnz .LBB17_12
; %bb.11:
	global_load_dword v0, v0, s[10:11] offset:12
	s_waitcnt vmcnt(0)
	v_add_f32_e32 v1, v1, v0
.LBB17_12:
	s_load_dwordx4 s[12:15], s[2:3], 0x30
	s_mov_b32 s31, 0
	v_cmp_eq_u32_e64 s[6:7], 0, v3
	ds_write_b32 v4, v1 offset:12
	s_waitcnt lgkmcnt(0)
	s_bitcmp1_b32 s15, 0
	s_cselect_b64 s[4:5], -1, 0
	s_cmp_gt_i32 s12, 0
	s_cselect_b64 s[24:25], -1, 0
	s_and_b64 vcc, exec, s[24:25]
	s_cbranch_vccz .LBB17_29
; %bb.13:
	v_mbcnt_lo_u32_b32 v0, -1, 0
	v_mbcnt_hi_u32_b32 v0, -1, v0
	v_and_b32_e32 v1, 0x7c, v0
	v_add_u32_e32 v1, 4, v1
	v_xor_b32_e32 v6, 2, v0
	v_cmp_lt_i32_e32 vcc, v6, v1
	s_load_dwordx4 s[16:19], s[2:3], 0x20
	v_mul_lo_u32 v7, v2, s12
	v_cndmask_b32_e32 v6, v0, v6, vcc
	v_lshlrev_b32_e32 v8, 2, v6
	v_xor_b32_e32 v6, 1, v0
	v_cmp_lt_i32_e32 vcc, v6, v1
	v_mov_b32_e32 v10, 0xc61c4000
	v_mov_b32_e32 v11, v2
	v_cndmask_b32_e32 v0, v0, v6, vcc
	v_lshlrev_b32_e32 v9, 2, v0
	v_mov_b32_e32 v6, 0
	s_branch .LBB17_15
.LBB17_14:                              ;   in Loop: Header=BB17_15 Depth=1
	s_or_b64 exec, exec, s[2:3]
	s_cmp_eq_u32 s12, s31
	v_add_u32_e32 v11, s30, v11
	s_cbranch_scc1 .LBB17_30
.LBB17_15:                              ; =>This Inner Loop Header: Depth=1
	ds_read_b128 v[12:15], v4
	s_waitcnt lgkmcnt(0)
	v_cmp_gt_f32_e32 vcc, v13, v12
	s_nop 1
	v_cndmask_b32_e32 v1, v12, v13, vcc
	v_cndmask_b32_e64 v0, 0, 1, vcc
	v_cmp_gt_f32_e32 vcc, v14, v1
	s_nop 1
	v_cndmask_b32_e32 v1, v1, v14, vcc
	v_cndmask_b32_e64 v0, v0, 2, vcc
	v_cmp_gt_f32_e32 vcc, v15, v1
	s_nop 1
	v_cndmask_b32_e64 v0, v0, 3, vcc
	v_cndmask_b32_e32 v12, v1, v15, vcc
	ds_bpermute_b32 v1, v8, v12
	v_or_b32_e32 v0, v5, v0
	ds_bpermute_b32 v13, v8, v0
	s_waitcnt lgkmcnt(1)
	v_cmp_lt_f32_e64 s[26:27], v12, v1
	v_cmp_nlt_f32_e32 vcc, v12, v1
	s_and_saveexec_b64 s[28:29], vcc
	s_cbranch_execz .LBB17_17
; %bb.16:                               ;   in Loop: Header=BB17_15 Depth=1
	v_cmp_eq_f32_e32 vcc, v12, v1
	s_waitcnt lgkmcnt(0)
	v_cmp_lt_i32_e64 s[2:3], v13, v0
	s_and_b64 s[2:3], vcc, s[2:3]
	s_andn2_b64 s[26:27], s[26:27], exec
	s_and_b64 s[2:3], s[2:3], exec
	s_or_b64 s[26:27], s[26:27], s[2:3]
.LBB17_17:                              ;   in Loop: Header=BB17_15 Depth=1
	s_or_b64 exec, exec, s[28:29]
	s_and_saveexec_b64 s[2:3], s[26:27]
	s_cbranch_execz .LBB17_19
; %bb.18:                               ;   in Loop: Header=BB17_15 Depth=1
	v_mov_b32_e32 v12, v1
	s_waitcnt lgkmcnt(0)
	v_mov_b32_e32 v0, v13
.LBB17_19:                              ;   in Loop: Header=BB17_15 Depth=1
	s_or_b64 exec, exec, s[2:3]
	ds_bpermute_b32 v1, v9, v12
	s_waitcnt lgkmcnt(1)
	ds_bpermute_b32 v13, v9, v0
	s_waitcnt lgkmcnt(1)
	v_cmp_lt_f32_e64 s[26:27], v12, v1
	v_cmp_nlt_f32_e32 vcc, v12, v1
	s_and_saveexec_b64 s[28:29], vcc
	s_cbranch_execnz .LBB17_22
; %bb.20:                               ;   in Loop: Header=BB17_15 Depth=1
	s_or_b64 exec, exec, s[28:29]
	s_and_saveexec_b64 s[2:3], s[26:27]
	s_cbranch_execnz .LBB17_23
.LBB17_21:                              ;   in Loop: Header=BB17_15 Depth=1
	s_or_b64 exec, exec, s[2:3]
	s_and_saveexec_b64 s[26:27], s[6:7]
	s_cbranch_execnz .LBB17_24
	s_branch .LBB17_27
.LBB17_22:                              ;   in Loop: Header=BB17_15 Depth=1
	v_cmp_eq_f32_e32 vcc, v12, v1
	s_waitcnt lgkmcnt(0)
	v_cmp_lt_i32_e64 s[2:3], v13, v0
	s_and_b64 s[2:3], vcc, s[2:3]
	s_andn2_b64 s[26:27], s[26:27], exec
	s_and_b64 s[2:3], s[2:3], exec
	s_or_b64 s[26:27], s[26:27], s[2:3]
	s_or_b64 exec, exec, s[28:29]
	s_and_saveexec_b64 s[2:3], s[26:27]
	s_cbranch_execz .LBB17_21
.LBB17_23:                              ;   in Loop: Header=BB17_15 Depth=1
	s_waitcnt lgkmcnt(0)
	v_mov_b32_e32 v0, v13
	v_mov_b32_e32 v12, v1
	s_or_b64 exec, exec, s[2:3]
	s_and_saveexec_b64 s[26:27], s[6:7]
	s_cbranch_execz .LBB17_27
.LBB17_24:                              ;   in Loop: Header=BB17_15 Depth=1
	s_and_b64 vcc, exec, s[0:1]
	s_cbranch_vccnz .LBB17_26
; %bb.25:                               ;   in Loop: Header=BB17_15 Depth=1
	v_ashrrev_i32_e32 v1, 31, v0
	v_lshl_add_u64 v[14:15], v[0:1], 2, s[10:11]
	global_load_dword v1, v[14:15], off
	s_waitcnt vmcnt(0)
	v_sub_f32_e32 v12, v12, v1
.LBB17_26:                              ;   in Loop: Header=BB17_15 Depth=1
	v_add_u32_e32 v14, s31, v7
	v_cmp_le_i32_e32 vcc, s13, v0
	v_cmp_gt_i32_e64 s[2:3], s14, v0
	v_ashrrev_i32_e32 v15, 31, v14
	s_and_b64 s[2:3], vcc, s[2:3]
	v_lshlrev_b64 v[14:15], 2, v[14:15]
	v_lshl_add_u64 v[16:17], s[20:21], 0, v[14:15]
	v_subrev_u32_e32 v1, s13, v0
	s_and_b64 vcc, s[22:23], s[2:3]
	global_store_dword v[16:17], v12, off
	v_cndmask_b32_e32 v1, 16, v1, vcc
	v_lshl_add_u64 v[16:17], s[16:17], 0, v[14:15]
	global_store_dword v[16:17], v1, off
	v_add_f32_e32 v1, v6, v12
	v_lshl_add_u64 v[14:15], s[18:19], 0, v[14:15]
	v_cndmask_b32_e64 v6, v6, v1, s[4:5]
	global_store_dword v[14:15], v11, off
.LBB17_27:                              ;   in Loop: Header=BB17_15 Depth=1
	s_or_b64 exec, exec, s[26:27]
	v_ashrrev_i32_e32 v1, 31, v0
	v_lshrrev_b32_e32 v12, 30, v1
	v_add_u32_e32 v12, v0, v12
	v_ashrrev_i32_e32 v12, 2, v12
	s_waitcnt lgkmcnt(0)
	v_lshrrev_b32_e32 v13, 30, v12
	v_add_u32_e32 v13, v12, v13
	s_add_i32 s31, s31, 1
	v_and_b32_e32 v13, -4, v13
	s_cmp_lt_i32 s31, s12
	v_sub_u32_e32 v13, v12, v13
	s_cselect_b64 s[2:3], -1, 0
	v_cmp_eq_u32_e32 vcc, v3, v13
	s_and_b64 s[26:27], s[2:3], vcc
	s_and_saveexec_b64 s[2:3], s[26:27]
	s_cbranch_execz .LBB17_14
; %bb.28:                               ;   in Loop: Header=BB17_15 Depth=1
	v_lshrrev_b32_e32 v1, 28, v1
	v_add_u32_e32 v1, v0, v1
	v_lshlrev_b32_e32 v12, 2, v12
	v_lshrrev_b32_e32 v1, 2, v1
	v_sub_u32_e32 v0, v0, v12
	v_and_b32_e32 v1, 0x3ffffffc, v1
	v_add_u32_e32 v0, v1, v0
	v_lshl_add_u32 v0, v0, 2, v4
	ds_write_b32 v0, v10
	s_branch .LBB17_14
.LBB17_29:
	v_mov_b32_e32 v6, 0
.LBB17_30:
	v_cmp_eq_u32_e32 vcc, 0, v3
	s_and_b64 exec, exec, vcc
	s_cbranch_execz .LBB17_43
; %bb.31:
	s_andn2_b64 vcc, exec, s[4:5]
	v_cvt_f32_f64_e32 v0, s[8:9]
	s_cbranch_vccnz .LBB17_33
; %bb.32:
	v_cmp_lt_f32_e32 vcc, 0, v6
	s_nop 1
	v_cndmask_b32_e32 v1, 1.0, v6, vcc
	v_div_scale_f32 v3, s[0:1], v1, v1, v0
	v_rcp_f32_e32 v4, v3
	s_nop 0
	v_fma_f32 v5, -v3, v4, 1.0
	v_fmac_f32_e32 v4, v5, v4
	v_div_scale_f32 v5, vcc, v0, v1, v0
	v_mul_f32_e32 v6, v5, v4
	v_fma_f32 v7, -v3, v6, v5
	v_fmac_f32_e32 v6, v7, v4
	v_fma_f32 v3, -v3, v6, v5
	v_div_fmas_f32 v3, v3, v4, v6
	v_div_fixup_f32 v0, v3, v1, v0
.LBB17_33:
	s_andn2_b64 vcc, exec, s[24:25]
	s_cbranch_vccnz .LBB17_43
; %bb.34:
	v_mul_lo_u32 v2, v2, s12
	s_cmp_gt_u32 s12, 3
	v_ashrrev_i32_e32 v3, 31, v2
	s_cbranch_scc0 .LBB17_38
; %bb.35:
	s_and_b32 s0, s12, 0x7ffffffc
	v_lshl_add_u64 v[4:5], v[2:3], 2, s[20:21]
	v_mov_b32_e32 v1, v0
	v_lshl_add_u64 v[4:5], v[4:5], 0, 8
	s_mov_b32 s1, s0
.LBB17_36:                              ; =>This Inner Loop Header: Depth=1
	global_load_dwordx4 v[6:9], v[4:5], off offset:-8
	s_add_i32 s1, s1, -4
	s_cmp_lg_u32 s1, 0
	s_waitcnt vmcnt(0)
	v_pk_mul_f32 v[6:7], v[0:1], v[6:7]
	v_pk_mul_f32 v[8:9], v[0:1], v[8:9]
	global_store_dwordx4 v[4:5], v[6:9], off offset:-8
	v_lshl_add_u64 v[4:5], v[4:5], 0, 16
	s_cbranch_scc1 .LBB17_36
; %bb.37:
	s_cmp_lg_u32 s0, s12
	s_cselect_b64 s[2:3], -1, 0
	s_branch .LBB17_40
.LBB17_38:
	s_mov_b64 s[2:3], 0
                                        ; implicit-def: $sgpr0
	s_cbranch_execz .LBB17_40
; %bb.39:
	s_mov_b64 s[2:3], -1
	s_mov_b32 s0, 0
.LBB17_40:
	s_andn2_b64 vcc, exec, s[2:3]
	s_cbranch_vccnz .LBB17_43
; %bb.41:
	s_mov_b32 s1, 0
	v_lshl_add_u64 v[2:3], v[2:3], 0, s[0:1]
	s_sub_i32 s2, s12, s0
	v_lshl_add_u64 v[2:3], v[2:3], 2, s[20:21]
.LBB17_42:                              ; =>This Inner Loop Header: Depth=1
	global_load_dword v1, v[2:3], off
	s_add_i32 s2, s2, -1
	s_cmp_lg_u32 s2, 0
	s_waitcnt vmcnt(0)
	v_mul_f32_e32 v1, v0, v1
	global_store_dword v[2:3], v1, off
	v_lshl_add_u64 v[2:3], v[2:3], 0, 4
	s_cbranch_scc1 .LBB17_42
.LBB17_43:
	s_endpgm
	.section	.rodata,"a",@progbits
	.p2align	6, 0x0
	.amdhsa_kernel _ZN4vllm3moe22topkGatingSoftplusSqrtILi4ELi16ELi4ELi16ELi64ELb0EifEEvPKT6_PKbPfiPT5_PiiiibdPKfPKS8_SE_
		.amdhsa_group_segment_fixed_size 4096
		.amdhsa_private_segment_fixed_size 0
		.amdhsa_kernarg_size 96
		.amdhsa_user_sgpr_count 4
		.amdhsa_user_sgpr_dispatch_ptr 1
		.amdhsa_user_sgpr_queue_ptr 0
		.amdhsa_user_sgpr_kernarg_segment_ptr 1
		.amdhsa_user_sgpr_dispatch_id 0
		.amdhsa_user_sgpr_kernarg_preload_length 0
		.amdhsa_user_sgpr_kernarg_preload_offset 0
		.amdhsa_user_sgpr_private_segment_size 0
		.amdhsa_uses_dynamic_stack 0
		.amdhsa_enable_private_segment 0
		.amdhsa_system_sgpr_workgroup_id_x 1
		.amdhsa_system_sgpr_workgroup_id_y 0
		.amdhsa_system_sgpr_workgroup_id_z 0
		.amdhsa_system_sgpr_workgroup_info 0
		.amdhsa_system_vgpr_workitem_id 2
		.amdhsa_next_free_vgpr 18
		.amdhsa_next_free_sgpr 32
		.amdhsa_accum_offset 20
		.amdhsa_reserve_vcc 1
		.amdhsa_float_round_mode_32 0
		.amdhsa_float_round_mode_16_64 0
		.amdhsa_float_denorm_mode_32 3
		.amdhsa_float_denorm_mode_16_64 3
		.amdhsa_dx10_clamp 1
		.amdhsa_ieee_mode 1
		.amdhsa_fp16_overflow 0
		.amdhsa_tg_split 0
		.amdhsa_exception_fp_ieee_invalid_op 0
		.amdhsa_exception_fp_denorm_src 0
		.amdhsa_exception_fp_ieee_div_zero 0
		.amdhsa_exception_fp_ieee_overflow 0
		.amdhsa_exception_fp_ieee_underflow 0
		.amdhsa_exception_fp_ieee_inexact 0
		.amdhsa_exception_int_div_zero 0
	.end_amdhsa_kernel
	.section	.text._ZN4vllm3moe22topkGatingSoftplusSqrtILi4ELi16ELi4ELi16ELi64ELb0EifEEvPKT6_PKbPfiPT5_PiiiibdPKfPKS8_SE_,"axG",@progbits,_ZN4vllm3moe22topkGatingSoftplusSqrtILi4ELi16ELi4ELi16ELi64ELb0EifEEvPKT6_PKbPfiPT5_PiiiibdPKfPKS8_SE_,comdat
.Lfunc_end17:
	.size	_ZN4vllm3moe22topkGatingSoftplusSqrtILi4ELi16ELi4ELi16ELi64ELb0EifEEvPKT6_PKbPfiPT5_PiiiibdPKfPKS8_SE_, .Lfunc_end17-_ZN4vllm3moe22topkGatingSoftplusSqrtILi4ELi16ELi4ELi16ELi64ELb0EifEEvPKT6_PKbPfiPT5_PiiiibdPKfPKS8_SE_
                                        ; -- End function
	.section	.AMDGPU.csdata,"",@progbits
; Kernel info:
; codeLenInByte = 2612
; NumSgprs: 38
; NumVgprs: 18
; NumAgprs: 0
; TotalNumVgprs: 18
; ScratchSize: 0
; MemoryBound: 0
; FloatMode: 240
; IeeeMode: 1
; LDSByteSize: 4096 bytes/workgroup (compile time only)
; SGPRBlocks: 4
; VGPRBlocks: 2
; NumSGPRsForWavesPerEU: 38
; NumVGPRsForWavesPerEU: 18
; AccumOffset: 20
; Occupancy: 8
; WaveLimiterHint : 0
; COMPUTE_PGM_RSRC2:SCRATCH_EN: 0
; COMPUTE_PGM_RSRC2:USER_SGPR: 4
; COMPUTE_PGM_RSRC2:TRAP_HANDLER: 0
; COMPUTE_PGM_RSRC2:TGID_X_EN: 1
; COMPUTE_PGM_RSRC2:TGID_Y_EN: 0
; COMPUTE_PGM_RSRC2:TGID_Z_EN: 0
; COMPUTE_PGM_RSRC2:TIDIG_COMP_CNT: 2
; COMPUTE_PGM_RSRC3_GFX90A:ACCUM_OFFSET: 4
; COMPUTE_PGM_RSRC3_GFX90A:TG_SPLIT: 0
	.section	.text._ZN4vllm3moe22topkGatingSoftplusSqrtILi4ELi16ELi4ELi16ELi32ELb1EifEEvPKT6_PKbPfiPT5_PiiiibdPKfPKS8_SE_,"axG",@progbits,_ZN4vllm3moe22topkGatingSoftplusSqrtILi4ELi16ELi4ELi16ELi32ELb1EifEEvPKT6_PKbPfiPT5_PiiiibdPKfPKS8_SE_,comdat
	.protected	_ZN4vllm3moe22topkGatingSoftplusSqrtILi4ELi16ELi4ELi16ELi32ELb1EifEEvPKT6_PKbPfiPT5_PiiiibdPKfPKS8_SE_ ; -- Begin function _ZN4vllm3moe22topkGatingSoftplusSqrtILi4ELi16ELi4ELi16ELi32ELb1EifEEvPKT6_PKbPfiPT5_PiiiibdPKfPKS8_SE_
	.globl	_ZN4vllm3moe22topkGatingSoftplusSqrtILi4ELi16ELi4ELi16ELi32ELb1EifEEvPKT6_PKbPfiPT5_PiiiibdPKfPKS8_SE_
	.p2align	8
	.type	_ZN4vllm3moe22topkGatingSoftplusSqrtILi4ELi16ELi4ELi16ELi32ELb1EifEEvPKT6_PKbPfiPT5_PiiiibdPKfPKS8_SE_,@function
_ZN4vllm3moe22topkGatingSoftplusSqrtILi4ELi16ELi4ELi16ELi32ELb1EifEEvPKT6_PKbPfiPT5_PiiiibdPKfPKS8_SE_: ; @_ZN4vllm3moe22topkGatingSoftplusSqrtILi4ELi16ELi4ELi16ELi32ELb1EifEEvPKT6_PKbPfiPT5_PiiiibdPKfPKS8_SE_
; %bb.0:
	s_load_dword s3, s[0:1], 0x18
	v_bfe_u32 v1, v0, 10, 10
	v_and_b32_e32 v8, 0x3ff, v0
	s_lshl_b32 s2, s2, 5
	v_lshlrev_b32_e32 v1, 3, v1
	v_lshrrev_b32_e32 v0, 2, v8
	v_add3_u32 v2, s2, v1, v0
	s_waitcnt lgkmcnt(0)
	v_cmp_gt_i32_e32 vcc, s3, v2
	s_and_saveexec_b64 s[2:3], vcc
	s_cbranch_execz .LBB18_79
; %bb.1:
	s_load_dwordx2 s[2:3], s[0:1], 0x0
	s_load_dword s20, s[0:1], 0x30
	s_load_dwordx4 s[8:11], s[0:1], 0x50
	v_lshlrev_b32_e32 v0, 4, v2
	v_lshlrev_b32_e32 v3, 2, v8
	v_ashrrev_i32_e32 v1, 31, v0
	v_and_b32_e32 v12, 12, v3
	s_waitcnt lgkmcnt(0)
	v_lshl_add_u64 v[0:1], v[0:1], 2, s[2:3]
	v_lshlrev_b32_e32 v6, 2, v12
	v_mov_b32_e32 v7, 0
	v_lshl_add_u64 v[0:1], v[0:1], 0, v[6:7]
	global_load_dwordx4 v[14:17], v[0:1], off
	v_mov_b32_e32 v0, s8
	v_mov_b32_e32 v1, s9
	v_ashrrev_i32_e32 v3, 31, v2
	v_lshl_add_u64 v[0:1], v[2:3], 2, v[0:1]
	global_load_dword v0, v[0:1], off
	s_mov_b32 s6, 0x800000
	v_mov_b32_e32 v3, 0x4f800000
	s_mov_b32 s12, 0x3f317217
	s_mov_b32 s13, 0x7f800000
	v_mov_b32_e32 v6, 0x41b17218
	s_mov_b32 s9, 0x41a00000
	s_mov_b32 s14, 0xf800000
	v_mov_b32_e32 v9, 0x260
	s_cmp_gt_i32 s20, 0
	s_mov_b32 s8, 0
	v_mul_lo_u32 v2, v2, s20
	s_waitcnt vmcnt(1)
	v_mul_f32_e32 v1, 0x3fb8aa3b, v14
	v_mul_f32_e32 v5, 0x3fb8aa3b, v15
	v_exp_f32_e32 v4, v1
	v_exp_f32_e32 v5, v5
	v_mul_f32_e32 v10, 0x3fb8aa3b, v16
	v_mul_f32_e32 v11, 0x3fb8aa3b, v17
	v_exp_f32_e32 v10, v10
	v_exp_f32_e32 v11, v11
	v_pk_add_f32 v[4:5], v[4:5], 1.0 op_sel_hi:[1,0]
	s_waitcnt vmcnt(0)
	v_mul_lo_u32 v0, v0, s20
	v_cmp_gt_f32_e32 vcc, s6, v5
	v_pk_add_f32 v[10:11], v[10:11], 1.0 op_sel_hi:[1,0]
	v_cmp_gt_f32_e64 s[2:3], s6, v4
	v_cndmask_b32_e32 v13, 1.0, v3, vcc
	v_cmp_gt_f32_e64 s[4:5], s6, v11
	v_cndmask_b32_e64 v18, 1.0, v3, s[2:3]
	v_mul_f32_e32 v5, v5, v13
	v_cndmask_b32_e64 v19, 1.0, v3, s[4:5]
	v_cmp_gt_f32_e64 s[6:7], s6, v10
	v_mul_f32_e32 v4, v4, v18
	v_log_f32_e32 v5, v5
	v_cndmask_b32_e64 v3, 1.0, v3, s[6:7]
	v_mul_f32_e32 v11, v11, v19
	v_log_f32_e32 v4, v4
	v_mul_f32_e32 v3, v10, v3
	v_log_f32_e32 v10, v11
	v_mul_f32_e32 v11, 0x3f317217, v5
	v_mul_f32_e32 v20, 0x3f317217, v4
	v_fma_f32 v11, v5, s12, -v11
	v_mul_f32_e32 v21, 0x3f317217, v10
	v_fma_f32 v20, v4, s12, -v20
	v_fmac_f32_e32 v11, 0x3377d1cf, v5
	v_cndmask_b32_e32 v13, 0, v6, vcc
	v_fma_f32 v21, v10, s12, -v21
	v_fmac_f32_e32 v20, 0x3377d1cf, v4
	v_fmac_f32_e32 v11, 0x3f317217, v5
	v_cmp_lt_f32_e64 vcc, |v5|, s13
	v_fmac_f32_e32 v21, 0x3377d1cf, v10
	v_fmac_f32_e32 v20, 0x3f317217, v4
	v_cndmask_b32_e32 v5, v5, v11, vcc
	v_cmp_lt_f32_e64 vcc, |v4|, s13
	v_cndmask_b32_e64 v18, 0, v6, s[2:3]
	v_fmac_f32_e32 v21, 0x3f317217, v10
	v_cndmask_b32_e32 v4, v4, v20, vcc
	v_cmp_lt_f32_e64 vcc, |v10|, s13
	v_sub_f32_e32 v4, v4, v18
	v_sub_f32_e32 v5, v5, v13
	v_cndmask_b32_e32 v10, v10, v21, vcc
	v_cmp_lt_f32_e32 vcc, s9, v14
	v_cndmask_b32_e64 v19, 0, v6, s[4:5]
	v_log_f32_e32 v3, v3
	v_cndmask_b32_e32 v4, v4, v14, vcc
	v_cmp_lt_f32_e32 vcc, s9, v15
	v_mul_f32_e32 v13, 0x4f800000, v4
	v_cmp_gt_f32_e64 s[2:3], s14, v4
	v_cndmask_b32_e32 v5, v5, v15, vcc
	v_mul_f32_e32 v11, 0x4f800000, v5
	v_cmp_gt_f32_e32 vcc, s14, v5
	v_cndmask_b32_e64 v4, v4, v13, s[2:3]
	v_sqrt_f32_e32 v13, v4
	v_cndmask_b32_e32 v5, v5, v11, vcc
	v_sqrt_f32_e32 v11, v5
	v_sub_f32_e32 v10, v10, v19
	v_add_u32_e32 v18, -1, v13
	v_fma_f32 v23, -v18, v13, v4
	v_add_u32_e32 v14, -1, v11
	v_fma_f32 v20, -v14, v11, v5
	v_add_u32_e32 v15, 1, v11
	v_cmp_ge_f32_e64 s[4:5], 0, v20
	v_add_u32_e32 v19, 1, v13
	v_fma_f32 v21, -v15, v11, v5
	v_cndmask_b32_e64 v11, v11, v14, s[4:5]
	v_cmp_ge_f32_e64 s[4:5], 0, v23
	v_fma_f32 v24, -v19, v13, v4
	v_mul_f32_e32 v22, 0x3f317217, v3
	v_cndmask_b32_e64 v13, v13, v18, s[4:5]
	v_cmp_lt_f32_e64 s[4:5], 0, v21
	v_fma_f32 v22, v3, s12, -v22
	v_fmac_f32_e32 v22, 0x3377d1cf, v3
	v_cndmask_b32_e64 v11, v11, v15, s[4:5]
	v_cmp_lt_f32_e64 s[4:5], 0, v24
	v_mul_f32_e32 v14, 0x37800000, v11
	v_cndmask_b32_e32 v11, v11, v14, vcc
	v_cndmask_b32_e64 v13, v13, v19, s[4:5]
	v_mul_f32_e32 v15, 0x37800000, v13
	v_cmp_class_f32_e32 vcc, v5, v9
	v_cndmask_b32_e64 v13, v13, v15, s[2:3]
	v_fmac_f32_e32 v22, 0x3f317217, v3
	v_cndmask_b32_e32 v15, v11, v5, vcc
	v_cmp_class_f32_e32 vcc, v4, v9
	v_cmp_lt_f32_e64 s[2:3], s9, v16
	v_ashrrev_i32_e32 v1, 31, v0
	v_cndmask_b32_e32 v14, v13, v4, vcc
	v_cmp_lt_f32_e64 vcc, |v3|, s13
	v_cndmask_b32_e64 v4, 0, v6, s[6:7]
	s_cselect_b64 s[4:5], -1, 0
	v_cndmask_b32_e32 v3, v3, v22, vcc
	v_cmp_lt_f32_e32 vcc, s9, v17
	v_sub_f32_e32 v3, v3, v4
	v_cndmask_b32_e64 v3, v3, v16, s[2:3]
	v_cndmask_b32_e32 v5, v10, v17, vcc
	v_mul_f32_e32 v6, 0x4f800000, v5
	v_cmp_gt_f32_e32 vcc, s14, v5
	s_cmp_lt_i32 s20, 1
	s_nop 0
	v_cndmask_b32_e32 v5, v5, v6, vcc
	v_sqrt_f32_e32 v6, v5
	s_nop 0
	v_add_u32_e32 v4, -1, v6
	v_fma_f32 v10, -v4, v6, v5
	v_cmp_ge_f32_e64 s[2:3], 0, v10
	v_add_u32_e32 v10, 1, v6
	s_nop 0
	v_cndmask_b32_e64 v4, v6, v4, s[2:3]
	v_fma_f32 v6, -v10, v6, v5
	v_cmp_lt_f32_e64 s[2:3], 0, v6
	s_nop 1
	v_cndmask_b32_e64 v4, v4, v10, s[2:3]
	v_mul_f32_e32 v10, 0x4f800000, v3
	v_cmp_gt_f32_e64 s[2:3], s14, v3
	v_mul_f32_e32 v6, 0x37800000, v4
	v_cndmask_b32_e32 v4, v4, v6, vcc
	v_cndmask_b32_e64 v3, v3, v10, s[2:3]
	v_sqrt_f32_e32 v10, v3
	v_cmp_class_f32_e32 vcc, v5, v9
	s_nop 1
	v_cndmask_b32_e32 v17, v4, v5, vcc
	v_add_u32_e32 v4, -1, v10
	v_fma_f32 v5, -v4, v10, v3
	v_cmp_ge_f32_e32 vcc, 0, v5
	v_add_u32_e32 v5, 1, v10
	v_fma_f32 v6, -v5, v10, v3
	v_cndmask_b32_e32 v4, v10, v4, vcc
	v_cmp_lt_f32_e32 vcc, 0, v6
	s_nop 1
	v_cndmask_b32_e32 v4, v4, v5, vcc
	v_mul_f32_e32 v5, 0x37800000, v4
	v_cndmask_b32_e64 v4, v4, v5, s[2:3]
	v_cmp_class_f32_e32 vcc, v3, v9
	s_nop 1
	v_cndmask_b32_e32 v16, v4, v3, vcc
	v_lshl_add_u64 v[4:5], v[0:1], 2, s[10:11]
	scratch_store_dwordx4 off, v[14:17], off
	s_cbranch_scc1 .LBB18_28
; %bb.2:
	s_load_dwordx2 s[6:7], s[0:1], 0x20
	s_cmp_lt_u32 s20, 4
	v_and_b32_e32 v6, 3, v8
	s_cbranch_scc1 .LBB18_21
; %bb.3:
	v_lshlrev_b32_e32 v7, 2, v6
	s_mov_b32 s13, 0
	s_and_b32 s8, s20, 0x7ffffffc
	v_ashrrev_i32_e32 v3, 31, v2
	v_sub_u32_e32 v13, 0, v7
	v_mov_b32_e32 v7, 0
	s_mov_b32 s12, s13
	s_branch .LBB18_5
.LBB18_4:                               ;   in Loop: Header=BB18_5 Depth=1
	s_or_b64 exec, exec, s[14:15]
	s_add_i32 s12, s12, 4
	s_cmp_eq_u32 s12, s8
	s_cbranch_scc1 .LBB18_21
.LBB18_5:                               ; =>This Loop Header: Depth=1
                                        ;     Child Loop BB18_7 Depth 2
                                        ;     Child Loop BB18_11 Depth 2
	;; [unrolled: 1-line block ×4, first 2 shown]
	v_lshl_add_u64 v[8:9], s[12:13], 2, v[4:5]
	global_load_dword v14, v[8:9], off
	v_add_u32_e32 v10, s12, v2
	v_ashrrev_i32_e32 v11, 31, v10
	v_mov_b32_e32 v15, 0
	s_mov_b64 s[14:15], 0
	s_waitcnt lgkmcnt(0)
	v_lshl_add_u64 v[10:11], v[10:11], 2, s[6:7]
	s_mov_b32 s9, 0
	s_waitcnt vmcnt(0)
	v_add_u32_e32 v16, v13, v14
	s_branch .LBB18_7
.LBB18_6:                               ;   in Loop: Header=BB18_7 Depth=2
	s_or_b64 exec, exec, s[16:17]
	s_add_i32 s18, s9, 1
	s_cmp_gt_u32 s9, 2
	s_cselect_b64 s[2:3], -1, 0
	s_xor_b64 s[16:17], vcc, -1
	s_or_b64 s[2:3], s[16:17], s[2:3]
	s_and_b64 s[2:3], exec, s[2:3]
	v_add_u32_e32 v15, 4, v15
	s_or_b64 s[14:15], s[2:3], s[14:15]
	s_mov_b32 s9, s18
	s_andn2_b64 exec, exec, s[14:15]
	s_cbranch_execz .LBB18_9
.LBB18_7:                               ;   Parent Loop BB18_5 Depth=1
                                        ; =>  This Inner Loop Header: Depth=2
	v_cmp_ne_u32_e32 vcc, s9, v16
	v_cmp_eq_u32_e64 s[2:3], s9, v16
	s_and_saveexec_b64 s[16:17], s[2:3]
	s_cbranch_execz .LBB18_6
; %bb.8:                                ;   in Loop: Header=BB18_7 Depth=2
	scratch_load_dword v17, v15, off
	s_waitcnt vmcnt(0)
	v_add_f32_e32 v7, v7, v17
	global_store_dword v[10:11], v14, off
	s_branch .LBB18_6
.LBB18_9:                               ;   in Loop: Header=BB18_5 Depth=1
	s_or_b64 exec, exec, s[14:15]
	global_load_dword v14, v[8:9], off offset:4
	s_ashr_i32 s3, s12, 31
	s_mov_b32 s2, s12
	v_lshl_add_u64 v[10:11], s[2:3], 0, v[2:3]
	v_mov_b32_e32 v15, 0
	s_mov_b32 s9, 0
	v_lshl_add_u64 v[10:11], v[10:11], 2, s[6:7]
	s_mov_b64 s[14:15], 0
	s_waitcnt vmcnt(0)
	v_add_u32_e32 v16, v13, v14
	s_branch .LBB18_11
.LBB18_10:                              ;   in Loop: Header=BB18_11 Depth=2
	s_or_b64 exec, exec, s[16:17]
	s_add_i32 s18, s9, 1
	s_cmp_gt_u32 s9, 2
	s_cselect_b64 s[2:3], -1, 0
	s_xor_b64 s[16:17], vcc, -1
	s_or_b64 s[2:3], s[16:17], s[2:3]
	s_and_b64 s[2:3], exec, s[2:3]
	v_add_u32_e32 v15, 4, v15
	s_or_b64 s[14:15], s[2:3], s[14:15]
	s_mov_b32 s9, s18
	s_andn2_b64 exec, exec, s[14:15]
	s_cbranch_execz .LBB18_13
.LBB18_11:                              ;   Parent Loop BB18_5 Depth=1
                                        ; =>  This Inner Loop Header: Depth=2
	v_cmp_ne_u32_e32 vcc, s9, v16
	v_cmp_eq_u32_e64 s[2:3], s9, v16
	s_and_saveexec_b64 s[16:17], s[2:3]
	s_cbranch_execz .LBB18_10
; %bb.12:                               ;   in Loop: Header=BB18_11 Depth=2
	scratch_load_dword v17, v15, off
	s_waitcnt vmcnt(0)
	v_add_f32_e32 v7, v7, v17
	global_store_dword v[10:11], v14, off offset:4
	s_branch .LBB18_10
.LBB18_13:                              ;   in Loop: Header=BB18_5 Depth=1
	s_or_b64 exec, exec, s[14:15]
	global_load_dword v14, v[8:9], off offset:8
	v_mov_b32_e32 v15, 0
	s_mov_b32 s9, 0
	s_mov_b64 s[14:15], 0
	s_waitcnt vmcnt(0)
	v_add_u32_e32 v16, v13, v14
	s_branch .LBB18_15
.LBB18_14:                              ;   in Loop: Header=BB18_15 Depth=2
	s_or_b64 exec, exec, s[16:17]
	s_add_i32 s18, s9, 1
	s_cmp_gt_u32 s9, 2
	s_cselect_b64 s[2:3], -1, 0
	s_xor_b64 s[16:17], vcc, -1
	s_or_b64 s[2:3], s[16:17], s[2:3]
	s_and_b64 s[2:3], exec, s[2:3]
	v_add_u32_e32 v15, 4, v15
	s_or_b64 s[14:15], s[2:3], s[14:15]
	s_mov_b32 s9, s18
	s_andn2_b64 exec, exec, s[14:15]
	s_cbranch_execz .LBB18_17
.LBB18_15:                              ;   Parent Loop BB18_5 Depth=1
                                        ; =>  This Inner Loop Header: Depth=2
	v_cmp_ne_u32_e32 vcc, s9, v16
	v_cmp_eq_u32_e64 s[2:3], s9, v16
	s_and_saveexec_b64 s[16:17], s[2:3]
	s_cbranch_execz .LBB18_14
; %bb.16:                               ;   in Loop: Header=BB18_15 Depth=2
	scratch_load_dword v17, v15, off
	s_waitcnt vmcnt(0)
	v_add_f32_e32 v7, v7, v17
	global_store_dword v[10:11], v14, off offset:8
	s_branch .LBB18_14
.LBB18_17:                              ;   in Loop: Header=BB18_5 Depth=1
	s_or_b64 exec, exec, s[14:15]
	global_load_dword v8, v[8:9], off offset:12
	v_mov_b32_e32 v9, 0
	s_mov_b32 s9, 0
	s_mov_b64 s[14:15], 0
	s_waitcnt vmcnt(0)
	v_add_u32_e32 v14, v13, v8
	s_branch .LBB18_19
.LBB18_18:                              ;   in Loop: Header=BB18_19 Depth=2
	s_or_b64 exec, exec, s[16:17]
	s_add_i32 s18, s9, 1
	s_cmp_gt_u32 s9, 2
	s_cselect_b64 s[2:3], -1, 0
	s_xor_b64 s[16:17], vcc, -1
	s_or_b64 s[2:3], s[16:17], s[2:3]
	s_and_b64 s[2:3], exec, s[2:3]
	v_add_u32_e32 v9, 4, v9
	s_or_b64 s[14:15], s[2:3], s[14:15]
	s_mov_b32 s9, s18
	s_andn2_b64 exec, exec, s[14:15]
	s_cbranch_execz .LBB18_4
.LBB18_19:                              ;   Parent Loop BB18_5 Depth=1
                                        ; =>  This Inner Loop Header: Depth=2
	v_cmp_ne_u32_e32 vcc, s9, v14
	v_cmp_eq_u32_e64 s[2:3], s9, v14
	s_and_saveexec_b64 s[16:17], s[2:3]
	s_cbranch_execz .LBB18_18
; %bb.20:                               ;   in Loop: Header=BB18_19 Depth=2
	scratch_load_dword v15, v9, off
	s_waitcnt vmcnt(0)
	v_add_f32_e32 v7, v7, v15
	global_store_dword v[10:11], v8, off offset:12
	s_branch .LBB18_18
.LBB18_21:
	s_and_b32 s16, s20, 3
	s_cmp_eq_u32 s16, 0
	s_mov_b32 s9, 0
	s_cbranch_scc1 .LBB18_28
; %bb.22:
	v_lshlrev_b32_e32 v3, 2, v6
	v_sub_u32_e32 v3, 0, v3
	s_mov_b32 s17, s9
	s_branch .LBB18_24
.LBB18_23:                              ;   in Loop: Header=BB18_24 Depth=1
	s_or_b64 exec, exec, s[12:13]
	s_add_i32 s8, s8, 1
	s_add_i32 s17, s17, 1
	s_cmp_lg_u32 s17, s16
	s_cbranch_scc0 .LBB18_28
.LBB18_24:                              ; =>This Loop Header: Depth=1
                                        ;     Child Loop BB18_26 Depth 2
	v_lshl_add_u64 v[8:9], s[8:9], 2, v[4:5]
	global_load_dword v6, v[8:9], off
	v_add_u32_e32 v8, s8, v2
	v_ashrrev_i32_e32 v9, 31, v8
	v_mov_b32_e32 v10, 0
	s_mov_b32 s18, 0
	s_waitcnt lgkmcnt(0)
	v_lshl_add_u64 v[8:9], v[8:9], 2, s[6:7]
	s_mov_b64 s[12:13], 0
	s_waitcnt vmcnt(0)
	v_add_u32_e32 v11, v3, v6
	s_branch .LBB18_26
.LBB18_25:                              ;   in Loop: Header=BB18_26 Depth=2
	s_or_b64 exec, exec, s[14:15]
	s_add_i32 s19, s18, 1
	s_cmp_gt_u32 s18, 2
	s_cselect_b64 s[2:3], -1, 0
	s_xor_b64 s[14:15], vcc, -1
	s_or_b64 s[2:3], s[14:15], s[2:3]
	s_and_b64 s[2:3], exec, s[2:3]
	v_add_u32_e32 v10, 4, v10
	s_or_b64 s[12:13], s[2:3], s[12:13]
	s_mov_b32 s18, s19
	s_andn2_b64 exec, exec, s[12:13]
	s_cbranch_execz .LBB18_23
.LBB18_26:                              ;   Parent Loop BB18_24 Depth=1
                                        ; =>  This Inner Loop Header: Depth=2
	v_cmp_ne_u32_e32 vcc, s18, v11
	v_cmp_eq_u32_e64 s[2:3], s18, v11
	s_and_saveexec_b64 s[14:15], s[2:3]
	s_cbranch_execz .LBB18_25
; %bb.27:                               ;   in Loop: Header=BB18_26 Depth=2
	scratch_load_dword v13, v10, off
	s_waitcnt vmcnt(0)
	v_add_f32_e32 v7, v7, v13
	global_store_dword v[8:9], v6, off
	s_branch .LBB18_25
.LBB18_28:
	s_waitcnt lgkmcnt(0)
	s_load_dword s6, s[0:1], 0x3c
	s_waitcnt lgkmcnt(0)
	s_bitcmp1_b32 s6, 0
	s_cselect_b64 s[2:3], -1, 0
	s_bitcmp0_b32 s6, 0
	s_cbranch_scc0 .LBB18_31
; %bb.29:
	s_load_dwordx2 s[6:7], s[0:1], 0x40
	s_andn2_b64 vcc, exec, s[2:3]
	s_waitcnt lgkmcnt(0)
	v_cvt_f32_f64_e32 v10, s[6:7]
	s_cbranch_vccz .LBB18_32
.LBB18_30:
	s_andn2_b64 vcc, exec, s[4:5]
	s_cbranch_vccz .LBB18_33
	s_branch .LBB18_79
.LBB18_31:
	v_mbcnt_lo_u32_b32 v3, -1, 0
	v_mbcnt_hi_u32_b32 v3, -1, v3
	v_and_b32_e32 v6, 0x7c, v3
	v_add_u32_e32 v6, 4, v6
	v_xor_b32_e32 v8, 2, v3
	v_cmp_lt_i32_e32 vcc, v8, v6
	v_xor_b32_e32 v9, 1, v3
	s_nop 0
	v_cndmask_b32_e32 v8, v3, v8, vcc
	v_lshlrev_b32_e32 v8, 2, v8
	ds_bpermute_b32 v8, v8, v7
	v_cmp_lt_i32_e32 vcc, v9, v6
	s_waitcnt lgkmcnt(0)
	v_add_f32_e32 v7, v7, v8
	v_cndmask_b32_e32 v3, v3, v9, vcc
	v_lshlrev_b32_e32 v3, 2, v3
	ds_bpermute_b32 v3, v3, v7
	s_waitcnt lgkmcnt(0)
	v_add_f32_e32 v7, v7, v3
	s_load_dwordx2 s[6:7], s[0:1], 0x40
	s_andn2_b64 vcc, exec, s[2:3]
	s_waitcnt lgkmcnt(0)
	v_cvt_f32_f64_e32 v10, s[6:7]
	s_cbranch_vccnz .LBB18_30
.LBB18_32:
	v_cmp_lt_f32_e32 vcc, 0, v7
	s_nop 1
	v_cndmask_b32_e32 v3, 1.0, v7, vcc
	v_div_scale_f32 v6, s[2:3], v3, v3, v10
	v_rcp_f32_e32 v7, v6
	s_nop 0
	v_fma_f32 v8, -v6, v7, 1.0
	v_fmac_f32_e32 v7, v8, v7
	v_div_scale_f32 v8, vcc, v10, v3, v10
	v_mul_f32_e32 v9, v8, v7
	v_fma_f32 v11, -v6, v9, v8
	v_fmac_f32_e32 v9, v11, v7
	v_fma_f32 v6, -v6, v9, v8
	v_div_fmas_f32 v6, v6, v7, v9
	v_div_fixup_f32 v10, v6, v3, v10
	s_andn2_b64 vcc, exec, s[4:5]
	s_cbranch_vccnz .LBB18_79
.LBB18_33:
	s_load_dwordx2 s[4:5], s[0:1], 0x10
	v_mov_b32_e32 v3, 0
	v_or_b32_e32 v11, 4, v3
	v_or_b32_e32 v13, 8, v3
	;; [unrolled: 1-line block ×6, first 2 shown]
	s_cmp_lt_u32 s20, 4
	s_mov_b32 s6, 0
	s_cbranch_scc1 .LBB18_68
; %bb.34:
	v_ashrrev_i32_e32 v3, 31, v2
	s_and_b32 s6, s20, 0x7ffffffc
	s_waitcnt lgkmcnt(0)
	v_lshl_add_u64 v[6:7], v[2:3], 2, s[4:5]
	s_mov_b32 s7, 0
	s_mov_b64 s[8:9], 0
	s_branch .LBB18_36
.LBB18_35:                              ;   in Loop: Header=BB18_36 Depth=1
	s_or_b64 exec, exec, s[2:3]
	s_add_i32 s7, s7, 4
	s_add_u32 s8, s8, 16
	s_addc_u32 s9, s9, 0
	s_cmp_eq_u32 s6, s7
	s_cbranch_scc1 .LBB18_68
.LBB18_36:                              ; =>This Inner Loop Header: Depth=1
	v_lshl_add_u64 v[8:9], v[4:5], 0, s[8:9]
	global_load_dword v18, v[8:9], off
	v_mov_b32_e32 v3, 0
	s_waitcnt vmcnt(0)
	v_cmp_eq_u32_e32 vcc, v18, v12
	v_cmp_ne_u32_e64 s[0:1], v18, v12
	s_and_saveexec_b64 s[12:13], s[0:1]
	s_cbranch_execz .LBB18_42
; %bb.37:                               ;   in Loop: Header=BB18_36 Depth=1
	v_cmp_eq_u32_e64 s[0:1], v18, v15
	v_cmp_ne_u32_e64 s[2:3], v18, v15
	v_mov_b32_e32 v3, v11
	s_and_saveexec_b64 s[14:15], s[2:3]
	s_cbranch_execz .LBB18_41
; %bb.38:                               ;   in Loop: Header=BB18_36 Depth=1
	v_cmp_eq_u32_e64 s[16:17], v18, v16
	v_cmp_ne_u32_e64 s[2:3], v18, v16
	v_mov_b32_e32 v3, v13
	s_and_saveexec_b64 s[18:19], s[2:3]
	s_xor_b64 s[18:19], exec, s[18:19]
; %bb.39:                               ;   in Loop: Header=BB18_36 Depth=1
	v_cmp_eq_u32_e64 s[2:3], v18, v17
	s_andn2_b64 s[16:17], s[16:17], exec
	s_and_b64 s[2:3], s[2:3], exec
	s_or_b64 s[16:17], s[16:17], s[2:3]
	v_mov_b32_e32 v3, v14
; %bb.40:                               ;   in Loop: Header=BB18_36 Depth=1
	s_or_b64 exec, exec, s[18:19]
	s_andn2_b64 s[0:1], s[0:1], exec
	s_and_b64 s[2:3], s[16:17], exec
	s_or_b64 s[0:1], s[0:1], s[2:3]
.LBB18_41:                              ;   in Loop: Header=BB18_36 Depth=1
	s_or_b64 exec, exec, s[14:15]
	s_andn2_b64 s[2:3], vcc, exec
	s_and_b64 s[0:1], s[0:1], exec
	s_or_b64 vcc, s[2:3], s[0:1]
.LBB18_42:                              ;   in Loop: Header=BB18_36 Depth=1
	s_or_b64 exec, exec, s[12:13]
	s_and_saveexec_b64 s[0:1], vcc
	s_cbranch_execz .LBB18_44
; %bb.43:                               ;   in Loop: Header=BB18_36 Depth=1
	scratch_load_dword v3, v3, off
	v_add_u32_e32 v18, s7, v2
	v_ashrrev_i32_e32 v19, 31, v18
	v_lshl_add_u64 v[18:19], v[18:19], 2, s[4:5]
	s_waitcnt vmcnt(0)
	v_mul_f32_e32 v3, v10, v3
	global_store_dword v[18:19], v3, off
.LBB18_44:                              ;   in Loop: Header=BB18_36 Depth=1
	s_or_b64 exec, exec, s[0:1]
	global_load_dword v18, v[8:9], off offset:4
	v_mov_b32_e32 v3, 0
	s_waitcnt vmcnt(0)
	v_cmp_eq_u32_e64 s[0:1], v18, v12
	v_cmp_ne_u32_e32 vcc, v18, v12
	s_and_saveexec_b64 s[2:3], vcc
	s_cbranch_execz .LBB18_50
; %bb.45:                               ;   in Loop: Header=BB18_36 Depth=1
	v_cmp_eq_u32_e64 s[12:13], v18, v15
	v_cmp_ne_u32_e32 vcc, v18, v15
	v_mov_b32_e32 v3, v11
	s_and_saveexec_b64 s[14:15], vcc
	s_cbranch_execz .LBB18_49
; %bb.46:                               ;   in Loop: Header=BB18_36 Depth=1
	v_cmp_eq_u32_e64 s[16:17], v18, v16
	v_cmp_ne_u32_e32 vcc, v18, v16
	v_mov_b32_e32 v3, v13
	s_and_saveexec_b64 s[18:19], vcc
; %bb.47:                               ;   in Loop: Header=BB18_36 Depth=1
	v_cmp_eq_u32_e32 vcc, v18, v17
	s_andn2_b64 s[16:17], s[16:17], exec
	s_and_b64 s[22:23], vcc, exec
	s_or_b64 s[16:17], s[16:17], s[22:23]
	v_mov_b32_e32 v3, v14
; %bb.48:                               ;   in Loop: Header=BB18_36 Depth=1
	s_or_b64 exec, exec, s[18:19]
	s_andn2_b64 s[12:13], s[12:13], exec
	s_and_b64 s[16:17], s[16:17], exec
	s_or_b64 s[12:13], s[12:13], s[16:17]
.LBB18_49:                              ;   in Loop: Header=BB18_36 Depth=1
	s_or_b64 exec, exec, s[14:15]
	s_andn2_b64 s[0:1], s[0:1], exec
	s_and_b64 s[12:13], s[12:13], exec
	s_or_b64 s[0:1], s[0:1], s[12:13]
.LBB18_50:                              ;   in Loop: Header=BB18_36 Depth=1
	s_or_b64 exec, exec, s[2:3]
	s_and_saveexec_b64 s[2:3], s[0:1]
	s_cbranch_execz .LBB18_52
; %bb.51:                               ;   in Loop: Header=BB18_36 Depth=1
	scratch_load_dword v3, v3, off
	v_lshl_add_u64 v[18:19], v[6:7], 0, s[8:9]
	s_waitcnt vmcnt(0)
	v_mul_f32_e32 v3, v10, v3
	global_store_dword v[18:19], v3, off offset:4
.LBB18_52:                              ;   in Loop: Header=BB18_36 Depth=1
	s_or_b64 exec, exec, s[2:3]
	global_load_dword v18, v[8:9], off offset:8
	v_mov_b32_e32 v3, 0
	s_waitcnt vmcnt(0)
	v_cmp_eq_u32_e64 s[0:1], v18, v12
	v_cmp_ne_u32_e32 vcc, v18, v12
	s_and_saveexec_b64 s[2:3], vcc
	s_cbranch_execz .LBB18_58
; %bb.53:                               ;   in Loop: Header=BB18_36 Depth=1
	v_cmp_eq_u32_e64 s[12:13], v18, v15
	v_cmp_ne_u32_e32 vcc, v18, v15
	v_mov_b32_e32 v3, v11
	s_and_saveexec_b64 s[14:15], vcc
	s_cbranch_execz .LBB18_57
; %bb.54:                               ;   in Loop: Header=BB18_36 Depth=1
	v_cmp_eq_u32_e64 s[16:17], v18, v16
	v_cmp_ne_u32_e32 vcc, v18, v16
	v_mov_b32_e32 v3, v13
	s_and_saveexec_b64 s[18:19], vcc
; %bb.55:                               ;   in Loop: Header=BB18_36 Depth=1
	v_cmp_eq_u32_e32 vcc, v18, v17
	s_andn2_b64 s[16:17], s[16:17], exec
	s_and_b64 s[22:23], vcc, exec
	s_or_b64 s[16:17], s[16:17], s[22:23]
	v_mov_b32_e32 v3, v14
; %bb.56:                               ;   in Loop: Header=BB18_36 Depth=1
	s_or_b64 exec, exec, s[18:19]
	s_andn2_b64 s[12:13], s[12:13], exec
	s_and_b64 s[16:17], s[16:17], exec
	s_or_b64 s[12:13], s[12:13], s[16:17]
.LBB18_57:                              ;   in Loop: Header=BB18_36 Depth=1
	s_or_b64 exec, exec, s[14:15]
	s_andn2_b64 s[0:1], s[0:1], exec
	s_and_b64 s[12:13], s[12:13], exec
	s_or_b64 s[0:1], s[0:1], s[12:13]
.LBB18_58:                              ;   in Loop: Header=BB18_36 Depth=1
	s_or_b64 exec, exec, s[2:3]
	s_and_saveexec_b64 s[2:3], s[0:1]
	s_cbranch_execz .LBB18_60
; %bb.59:                               ;   in Loop: Header=BB18_36 Depth=1
	scratch_load_dword v3, v3, off
	v_lshl_add_u64 v[18:19], v[6:7], 0, s[8:9]
	s_waitcnt vmcnt(0)
	v_mul_f32_e32 v3, v10, v3
	global_store_dword v[18:19], v3, off offset:8
.LBB18_60:                              ;   in Loop: Header=BB18_36 Depth=1
	s_or_b64 exec, exec, s[2:3]
	global_load_dword v8, v[8:9], off offset:12
	v_mov_b32_e32 v3, 0
	s_waitcnt vmcnt(0)
	v_cmp_eq_u32_e64 s[0:1], v8, v12
	v_cmp_ne_u32_e32 vcc, v8, v12
	s_and_saveexec_b64 s[2:3], vcc
	s_cbranch_execz .LBB18_66
; %bb.61:                               ;   in Loop: Header=BB18_36 Depth=1
	v_cmp_eq_u32_e64 s[12:13], v8, v15
	v_cmp_ne_u32_e32 vcc, v8, v15
	v_mov_b32_e32 v3, v11
	s_and_saveexec_b64 s[14:15], vcc
	s_cbranch_execz .LBB18_65
; %bb.62:                               ;   in Loop: Header=BB18_36 Depth=1
	v_cmp_eq_u32_e64 s[16:17], v8, v16
	v_cmp_ne_u32_e32 vcc, v8, v16
	v_mov_b32_e32 v3, v13
	s_and_saveexec_b64 s[18:19], vcc
; %bb.63:                               ;   in Loop: Header=BB18_36 Depth=1
	v_cmp_eq_u32_e32 vcc, v8, v17
	s_andn2_b64 s[16:17], s[16:17], exec
	s_and_b64 s[22:23], vcc, exec
	s_or_b64 s[16:17], s[16:17], s[22:23]
	v_mov_b32_e32 v3, v14
; %bb.64:                               ;   in Loop: Header=BB18_36 Depth=1
	s_or_b64 exec, exec, s[18:19]
	s_andn2_b64 s[12:13], s[12:13], exec
	s_and_b64 s[16:17], s[16:17], exec
	s_or_b64 s[12:13], s[12:13], s[16:17]
.LBB18_65:                              ;   in Loop: Header=BB18_36 Depth=1
	s_or_b64 exec, exec, s[14:15]
	s_andn2_b64 s[0:1], s[0:1], exec
	s_and_b64 s[12:13], s[12:13], exec
	s_or_b64 s[0:1], s[0:1], s[12:13]
.LBB18_66:                              ;   in Loop: Header=BB18_36 Depth=1
	s_or_b64 exec, exec, s[2:3]
	s_and_saveexec_b64 s[2:3], s[0:1]
	s_cbranch_execz .LBB18_35
; %bb.67:                               ;   in Loop: Header=BB18_36 Depth=1
	scratch_load_dword v3, v3, off
	v_lshl_add_u64 v[8:9], v[6:7], 0, s[8:9]
	s_waitcnt vmcnt(0)
	v_mul_f32_e32 v3, v10, v3
	global_store_dword v[8:9], v3, off offset:12
	s_branch .LBB18_35
.LBB18_68:
	s_and_b32 s14, s20, 3
	s_cmp_eq_u32 s14, 0
	s_mov_b32 s7, 0
	s_cbranch_scc1 .LBB18_79
; %bb.69:
	s_lshl_b64 s[0:1], s[6:7], 2
	s_add_u32 s0, s10, s0
	s_addc_u32 s1, s11, s1
	v_add_u32_e32 v2, s6, v2
	v_lshl_add_u64 v[0:1], v[0:1], 2, s[0:1]
	s_branch .LBB18_71
.LBB18_70:                              ;   in Loop: Header=BB18_71 Depth=1
	s_or_b64 exec, exec, s[2:3]
	s_add_i32 s14, s14, -1
	v_add_u32_e32 v2, 1, v2
	s_cmp_lg_u32 s14, 0
	v_lshl_add_u64 v[0:1], v[0:1], 0, 4
	s_cbranch_scc0 .LBB18_79
.LBB18_71:                              ; =>This Inner Loop Header: Depth=1
	global_load_dword v4, v[0:1], off
	v_mov_b32_e32 v3, 0
	s_waitcnt vmcnt(0)
	v_cmp_eq_u32_e64 s[0:1], v4, v12
	v_cmp_ne_u32_e32 vcc, v4, v12
	s_and_saveexec_b64 s[2:3], vcc
	s_cbranch_execz .LBB18_77
; %bb.72:                               ;   in Loop: Header=BB18_71 Depth=1
	v_cmp_eq_u32_e64 s[6:7], v4, v15
	v_cmp_ne_u32_e32 vcc, v4, v15
	v_mov_b32_e32 v3, v11
	s_and_saveexec_b64 s[8:9], vcc
	s_cbranch_execz .LBB18_76
; %bb.73:                               ;   in Loop: Header=BB18_71 Depth=1
	v_cmp_eq_u32_e64 s[10:11], v4, v16
	v_cmp_ne_u32_e32 vcc, v4, v16
	v_mov_b32_e32 v3, v13
	s_and_saveexec_b64 s[12:13], vcc
; %bb.74:                               ;   in Loop: Header=BB18_71 Depth=1
	v_cmp_eq_u32_e32 vcc, v4, v17
	s_andn2_b64 s[10:11], s[10:11], exec
	s_and_b64 s[16:17], vcc, exec
	s_or_b64 s[10:11], s[10:11], s[16:17]
	v_mov_b32_e32 v3, v14
; %bb.75:                               ;   in Loop: Header=BB18_71 Depth=1
	s_or_b64 exec, exec, s[12:13]
	s_andn2_b64 s[6:7], s[6:7], exec
	s_and_b64 s[10:11], s[10:11], exec
	s_or_b64 s[6:7], s[6:7], s[10:11]
.LBB18_76:                              ;   in Loop: Header=BB18_71 Depth=1
	s_or_b64 exec, exec, s[8:9]
	s_andn2_b64 s[0:1], s[0:1], exec
	s_and_b64 s[6:7], s[6:7], exec
	s_or_b64 s[0:1], s[0:1], s[6:7]
.LBB18_77:                              ;   in Loop: Header=BB18_71 Depth=1
	s_or_b64 exec, exec, s[2:3]
	s_and_saveexec_b64 s[2:3], s[0:1]
	s_cbranch_execz .LBB18_70
; %bb.78:                               ;   in Loop: Header=BB18_71 Depth=1
	scratch_load_dword v4, v3, off
	v_ashrrev_i32_e32 v3, 31, v2
	s_waitcnt vmcnt(0)
	v_mul_f32_e32 v6, v10, v4
	s_waitcnt lgkmcnt(0)
	v_lshl_add_u64 v[4:5], v[2:3], 2, s[4:5]
	global_store_dword v[4:5], v6, off
	s_branch .LBB18_70
.LBB18_79:
	s_endpgm
	.section	.rodata,"a",@progbits
	.p2align	6, 0x0
	.amdhsa_kernel _ZN4vllm3moe22topkGatingSoftplusSqrtILi4ELi16ELi4ELi16ELi32ELb1EifEEvPKT6_PKbPfiPT5_PiiiibdPKfPKS8_SE_
		.amdhsa_group_segment_fixed_size 0
		.amdhsa_private_segment_fixed_size 32
		.amdhsa_kernarg_size 96
		.amdhsa_user_sgpr_count 2
		.amdhsa_user_sgpr_dispatch_ptr 0
		.amdhsa_user_sgpr_queue_ptr 0
		.amdhsa_user_sgpr_kernarg_segment_ptr 1
		.amdhsa_user_sgpr_dispatch_id 0
		.amdhsa_user_sgpr_kernarg_preload_length 0
		.amdhsa_user_sgpr_kernarg_preload_offset 0
		.amdhsa_user_sgpr_private_segment_size 0
		.amdhsa_uses_dynamic_stack 0
		.amdhsa_enable_private_segment 1
		.amdhsa_system_sgpr_workgroup_id_x 1
		.amdhsa_system_sgpr_workgroup_id_y 0
		.amdhsa_system_sgpr_workgroup_id_z 0
		.amdhsa_system_sgpr_workgroup_info 0
		.amdhsa_system_vgpr_workitem_id 1
		.amdhsa_next_free_vgpr 25
		.amdhsa_next_free_sgpr 24
		.amdhsa_accum_offset 28
		.amdhsa_reserve_vcc 1
		.amdhsa_float_round_mode_32 0
		.amdhsa_float_round_mode_16_64 0
		.amdhsa_float_denorm_mode_32 3
		.amdhsa_float_denorm_mode_16_64 3
		.amdhsa_dx10_clamp 1
		.amdhsa_ieee_mode 1
		.amdhsa_fp16_overflow 0
		.amdhsa_tg_split 0
		.amdhsa_exception_fp_ieee_invalid_op 0
		.amdhsa_exception_fp_denorm_src 0
		.amdhsa_exception_fp_ieee_div_zero 0
		.amdhsa_exception_fp_ieee_overflow 0
		.amdhsa_exception_fp_ieee_underflow 0
		.amdhsa_exception_fp_ieee_inexact 0
		.amdhsa_exception_int_div_zero 0
	.end_amdhsa_kernel
	.section	.text._ZN4vllm3moe22topkGatingSoftplusSqrtILi4ELi16ELi4ELi16ELi32ELb1EifEEvPKT6_PKbPfiPT5_PiiiibdPKfPKS8_SE_,"axG",@progbits,_ZN4vllm3moe22topkGatingSoftplusSqrtILi4ELi16ELi4ELi16ELi32ELb1EifEEvPKT6_PKbPfiPT5_PiiiibdPKfPKS8_SE_,comdat
.Lfunc_end18:
	.size	_ZN4vllm3moe22topkGatingSoftplusSqrtILi4ELi16ELi4ELi16ELi32ELb1EifEEvPKT6_PKbPfiPT5_PiiiibdPKfPKS8_SE_, .Lfunc_end18-_ZN4vllm3moe22topkGatingSoftplusSqrtILi4ELi16ELi4ELi16ELi32ELb1EifEEvPKT6_PKbPfiPT5_PiiiibdPKfPKS8_SE_
                                        ; -- End function
	.section	.AMDGPU.csdata,"",@progbits
; Kernel info:
; codeLenInByte = 3388
; NumSgprs: 30
; NumVgprs: 25
; NumAgprs: 0
; TotalNumVgprs: 25
; ScratchSize: 32
; MemoryBound: 0
; FloatMode: 240
; IeeeMode: 1
; LDSByteSize: 0 bytes/workgroup (compile time only)
; SGPRBlocks: 3
; VGPRBlocks: 3
; NumSGPRsForWavesPerEU: 30
; NumVGPRsForWavesPerEU: 25
; AccumOffset: 28
; Occupancy: 8
; WaveLimiterHint : 1
; COMPUTE_PGM_RSRC2:SCRATCH_EN: 1
; COMPUTE_PGM_RSRC2:USER_SGPR: 2
; COMPUTE_PGM_RSRC2:TRAP_HANDLER: 0
; COMPUTE_PGM_RSRC2:TGID_X_EN: 1
; COMPUTE_PGM_RSRC2:TGID_Y_EN: 0
; COMPUTE_PGM_RSRC2:TGID_Z_EN: 0
; COMPUTE_PGM_RSRC2:TIDIG_COMP_CNT: 1
; COMPUTE_PGM_RSRC3_GFX90A:ACCUM_OFFSET: 6
; COMPUTE_PGM_RSRC3_GFX90A:TG_SPLIT: 0
	.section	.text._ZN4vllm3moe22topkGatingSoftplusSqrtILi4ELi16ELi4ELi16ELi32ELb0EifEEvPKT6_PKbPfiPT5_PiiiibdPKfPKS8_SE_,"axG",@progbits,_ZN4vllm3moe22topkGatingSoftplusSqrtILi4ELi16ELi4ELi16ELi32ELb0EifEEvPKT6_PKbPfiPT5_PiiiibdPKfPKS8_SE_,comdat
	.protected	_ZN4vllm3moe22topkGatingSoftplusSqrtILi4ELi16ELi4ELi16ELi32ELb0EifEEvPKT6_PKbPfiPT5_PiiiibdPKfPKS8_SE_ ; -- Begin function _ZN4vllm3moe22topkGatingSoftplusSqrtILi4ELi16ELi4ELi16ELi32ELb0EifEEvPKT6_PKbPfiPT5_PiiiibdPKfPKS8_SE_
	.globl	_ZN4vllm3moe22topkGatingSoftplusSqrtILi4ELi16ELi4ELi16ELi32ELb0EifEEvPKT6_PKbPfiPT5_PiiiibdPKfPKS8_SE_
	.p2align	8
	.type	_ZN4vllm3moe22topkGatingSoftplusSqrtILi4ELi16ELi4ELi16ELi32ELb0EifEEvPKT6_PKbPfiPT5_PiiiibdPKfPKS8_SE_,@function
_ZN4vllm3moe22topkGatingSoftplusSqrtILi4ELi16ELi4ELi16ELi32ELb0EifEEvPKT6_PKbPfiPT5_PiiiibdPKfPKS8_SE_: ; @_ZN4vllm3moe22topkGatingSoftplusSqrtILi4ELi16ELi4ELi16ELi32ELb0EifEEvPKT6_PKbPfiPT5_PiiiibdPKfPKS8_SE_
; %bb.0:
	s_load_dword s30, s[2:3], 0x18
	v_and_b32_e32 v1, 0x3ff, v0
	v_bfe_u32 v4, v0, 10, 10
	s_lshl_b32 s4, s4, 5
	v_lshlrev_b32_e32 v2, 3, v4
	v_lshrrev_b32_e32 v3, 2, v1
	v_add3_u32 v2, s4, v2, v3
	s_waitcnt lgkmcnt(0)
	v_cmp_gt_i32_e32 vcc, s30, v2
	s_and_saveexec_b64 s[4:5], vcc
	s_cbranch_execz .LBB19_43
; %bb.1:
	s_load_dwordx4 s[4:7], s[2:3], 0x0
	s_load_dwordx2 s[20:21], s[2:3], 0x10
	s_waitcnt lgkmcnt(0)
	s_cmp_eq_u64 s[6:7], 0
	s_cbranch_scc1 .LBB19_3
; %bb.2:
	v_ashrrev_i32_e32 v3, 31, v2
	v_lshl_add_u64 v[6:7], s[6:7], 0, v[2:3]
	global_load_ubyte v3, v[6:7], off
	s_waitcnt vmcnt(0)
	v_and_b32_e32 v3, 1, v3
	v_cmp_eq_u32_e32 vcc, 1, v3
	s_xor_b64 s[6:7], vcc, -1
	s_orn2_b64 s[22:23], s[6:7], exec
	s_branch .LBB19_4
.LBB19_3:
	s_mov_b64 s[22:23], -1
.LBB19_4:
	v_lshlrev_b32_e32 v8, 4, v2
	v_mov_b32_e32 v6, s4
	v_mov_b32_e32 v7, s5
	v_ashrrev_i32_e32 v9, 31, v8
	v_and_b32_e32 v3, 3, v1
	v_lshl_add_u64 v[6:7], v[8:9], 2, v[6:7]
	v_mov_b32_e32 v9, 0
	v_lshlrev_b32_e32 v8, 4, v3
	v_lshl_add_u64 v[6:7], v[6:7], 0, v[8:9]
	global_load_dwordx4 v[6:9], v[6:7], off
	s_load_dwordx2 s[4:5], s[0:1], 0x4
	s_load_dwordx4 s[8:11], s[2:3], 0x40
	v_bfe_u32 v0, v0, 20, 10
	s_mov_b32 s16, 0x800000
	s_mov_b32 s13, 0x3f317217
	s_waitcnt lgkmcnt(0)
	s_lshr_b32 s0, s4, 16
	v_mul_u32_u24_e32 v4, s5, v4
	s_mul_i32 s0, s0, s5
	v_mad_u32_u24 v1, s0, v1, v4
	v_add_lshl_u32 v4, v1, v0, 4
	s_mov_b32 s14, 0x7f800000
	s_mov_b32 s12, 0x41a00000
	;; [unrolled: 1-line block ×3, first 2 shown]
	s_cmp_lg_u64 s[10:11], 0
	v_mov_b32_e32 v1, 0x260
	s_cselect_b64 s[6:7], -1, 0
	s_and_b64 s[0:1], exec, s[6:7]
	s_waitcnt vmcnt(0)
	ds_write_b128 v4, v[6:9]
	ds_read_b32 v8, v4
	v_mov_b32_e32 v6, 0x4f800000
	v_mov_b32_e32 v7, 0x41b17218
	s_waitcnt lgkmcnt(0)
	v_mul_f32_e32 v0, 0x3fb8aa3b, v8
	v_exp_f32_e32 v0, v0
	s_nop 0
	v_add_f32_e32 v0, 1.0, v0
	v_cmp_gt_f32_e32 vcc, s16, v0
	s_nop 1
	v_cndmask_b32_e32 v5, 1.0, v6, vcc
	v_mul_f32_e32 v0, v0, v5
	v_log_f32_e32 v9, v0
	v_cndmask_b32_e32 v10, 0, v7, vcc
	v_lshlrev_b32_e32 v5, 2, v3
	v_lshlrev_b32_e32 v0, 2, v5
	v_mul_f32_e32 v11, 0x3f317217, v9
	v_fma_f32 v11, v9, s13, -v11
	v_fmac_f32_e32 v11, 0x3377d1cf, v9
	v_fmac_f32_e32 v11, 0x3f317217, v9
	v_cmp_lt_f32_e64 vcc, |v9|, s14
	s_nop 1
	v_cndmask_b32_e32 v9, v9, v11, vcc
	v_sub_f32_e32 v9, v9, v10
	v_cmp_lt_f32_e32 vcc, s12, v8
	s_nop 1
	v_cndmask_b32_e32 v8, v9, v8, vcc
	v_mul_f32_e32 v9, 0x4f800000, v8
	v_cmp_gt_f32_e32 vcc, s15, v8
	s_nop 1
	v_cndmask_b32_e32 v8, v8, v9, vcc
	v_sqrt_f32_e32 v9, v8
	s_nop 0
	v_add_u32_e32 v10, -1, v9
	v_add_u32_e32 v11, 1, v9
	v_fma_f32 v12, -v10, v9, v8
	v_fma_f32 v13, -v11, v9, v8
	v_cmp_ge_f32_e64 s[4:5], 0, v12
	s_nop 1
	v_cndmask_b32_e64 v9, v9, v10, s[4:5]
	v_cmp_lt_f32_e64 s[4:5], 0, v13
	s_nop 1
	v_cndmask_b32_e64 v9, v9, v11, s[4:5]
	v_mul_f32_e32 v10, 0x37800000, v9
	v_cndmask_b32_e32 v9, v9, v10, vcc
	v_cmp_class_f32_e32 vcc, v8, v1
	s_nop 1
	v_cndmask_b32_e32 v8, v9, v8, vcc
	s_mov_b64 vcc, s[0:1]
	s_cbranch_vccz .LBB19_6
; %bb.5:
	global_load_dword v9, v0, s[10:11]
	s_waitcnt vmcnt(0)
	v_add_f32_e32 v8, v8, v9
.LBB19_6:
	ds_read_b32 v9, v4 offset:4
	ds_write_b32 v4, v8
	s_waitcnt lgkmcnt(1)
	v_mul_f32_e32 v10, 0x3fb8aa3b, v9
	v_exp_f32_e32 v10, v10
	s_nop 0
	v_add_f32_e32 v10, 1.0, v10
	v_cmp_gt_f32_e32 vcc, s16, v10
	s_nop 1
	v_cndmask_b32_e32 v6, 1.0, v6, vcc
	v_mul_f32_e32 v6, v10, v6
	v_log_f32_e32 v6, v6
	v_cndmask_b32_e32 v7, 0, v7, vcc
	v_mul_f32_e32 v8, 0x3f317217, v6
	v_fma_f32 v8, v6, s13, -v8
	v_fmac_f32_e32 v8, 0x3377d1cf, v6
	v_fmac_f32_e32 v8, 0x3f317217, v6
	v_cmp_lt_f32_e64 vcc, |v6|, s14
	s_nop 1
	v_cndmask_b32_e32 v6, v6, v8, vcc
	v_sub_f32_e32 v6, v6, v7
	v_cmp_lt_f32_e32 vcc, s12, v9
	v_cndmask_b32_e64 v8, 0, 1, s[6:7]
	v_cmp_ne_u32_e64 s[0:1], 1, v8
	v_cndmask_b32_e32 v6, v6, v9, vcc
	v_mul_f32_e32 v7, 0x4f800000, v6
	v_cmp_gt_f32_e64 s[4:5], s15, v6
	s_andn2_b64 vcc, exec, s[6:7]
	s_nop 0
	v_cndmask_b32_e64 v6, v6, v7, s[4:5]
	v_sqrt_f32_e32 v7, v6
	s_nop 0
	v_add_u32_e32 v8, -1, v7
	v_add_u32_e32 v9, 1, v7
	v_fma_f32 v10, -v8, v7, v6
	v_fma_f32 v11, -v9, v7, v6
	v_cmp_ge_f32_e64 s[6:7], 0, v10
	s_nop 1
	v_cndmask_b32_e64 v7, v7, v8, s[6:7]
	v_cmp_lt_f32_e64 s[6:7], 0, v11
	s_nop 1
	v_cndmask_b32_e64 v7, v7, v9, s[6:7]
	v_mul_f32_e32 v8, 0x37800000, v7
	v_cndmask_b32_e64 v7, v7, v8, s[4:5]
	v_cmp_class_f32_e64 s[4:5], v6, v1
	s_nop 1
	v_cndmask_b32_e64 v1, v7, v6, s[4:5]
	s_cbranch_vccnz .LBB19_8
; %bb.7:
	global_load_dword v6, v0, s[10:11] offset:4
	s_waitcnt vmcnt(0)
	v_add_f32_e32 v1, v1, v6
.LBB19_8:
	ds_read_b32 v8, v4 offset:8
	s_mov_b32 s12, 0x800000
	s_mov_b32 s7, 0x3f317217
	;; [unrolled: 1-line block ×4, first 2 shown]
	s_waitcnt lgkmcnt(0)
	v_mul_f32_e32 v6, 0x3fb8aa3b, v8
	v_exp_f32_e32 v7, v6
	v_mov_b32_e32 v6, 0x4f800000
	s_mov_b32 s14, 0xf800000
	ds_write_b32 v4, v1 offset:4
	v_add_f32_e32 v7, 1.0, v7
	v_cmp_gt_f32_e32 vcc, s12, v7
	s_nop 1
	v_cndmask_b32_e32 v9, 1.0, v6, vcc
	v_mul_f32_e32 v7, v7, v9
	v_log_f32_e32 v9, v7
	v_mov_b32_e32 v7, 0x41b17218
	v_cndmask_b32_e32 v10, 0, v7, vcc
	v_mul_f32_e32 v11, 0x3f317217, v9
	v_fma_f32 v11, v9, s7, -v11
	v_fmac_f32_e32 v11, 0x3377d1cf, v9
	v_fmac_f32_e32 v11, 0x3f317217, v9
	v_cmp_lt_f32_e64 vcc, |v9|, s13
	s_nop 1
	v_cndmask_b32_e32 v9, v9, v11, vcc
	v_sub_f32_e32 v9, v9, v10
	v_cmp_lt_f32_e32 vcc, s6, v8
	s_nop 1
	v_cndmask_b32_e32 v8, v9, v8, vcc
	v_mul_f32_e32 v9, 0x4f800000, v8
	v_cmp_gt_f32_e32 vcc, s14, v8
	s_nop 1
	v_cndmask_b32_e32 v8, v8, v9, vcc
	v_sqrt_f32_e32 v9, v8
	s_nop 0
	v_add_u32_e32 v1, -1, v9
	v_fma_f32 v10, -v1, v9, v8
	v_cmp_ge_f32_e64 s[4:5], 0, v10
	v_add_u32_e32 v10, 1, v9
	s_nop 0
	v_cndmask_b32_e64 v1, v9, v1, s[4:5]
	v_fma_f32 v9, -v10, v9, v8
	v_cmp_lt_f32_e64 s[4:5], 0, v9
	s_nop 1
	v_cndmask_b32_e64 v1, v1, v10, s[4:5]
	v_mul_f32_e32 v9, 0x37800000, v1
	v_cndmask_b32_e32 v9, v1, v9, vcc
	v_mov_b32_e32 v1, 0x260
	v_cmp_class_f32_e64 s[4:5], v8, v1
	s_and_b64 vcc, exec, s[0:1]
	s_nop 0
	v_cndmask_b32_e64 v8, v9, v8, s[4:5]
	s_cbranch_vccnz .LBB19_10
; %bb.9:
	global_load_dword v9, v0, s[10:11] offset:8
	s_waitcnt vmcnt(0)
	v_add_f32_e32 v8, v8, v9
.LBB19_10:
	ds_read_b32 v9, v4 offset:12
	ds_write_b32 v4, v8 offset:8
	s_waitcnt lgkmcnt(1)
	v_mul_f32_e32 v10, 0x3fb8aa3b, v9
	v_exp_f32_e32 v10, v10
	s_nop 0
	v_add_f32_e32 v10, 1.0, v10
	v_cmp_gt_f32_e32 vcc, s12, v10
	s_nop 1
	v_cndmask_b32_e32 v6, 1.0, v6, vcc
	v_mul_f32_e32 v6, v10, v6
	v_log_f32_e32 v6, v6
	v_cndmask_b32_e32 v7, 0, v7, vcc
	v_mul_f32_e32 v10, 0x3f317217, v6
	v_fma_f32 v10, v6, s7, -v10
	v_fmac_f32_e32 v10, 0x3377d1cf, v6
	v_fmac_f32_e32 v10, 0x3f317217, v6
	v_cmp_lt_f32_e64 vcc, |v6|, s13
	s_nop 1
	v_cndmask_b32_e32 v6, v6, v10, vcc
	v_sub_f32_e32 v6, v6, v7
	v_cmp_lt_f32_e32 vcc, s6, v9
	s_nop 1
	v_cndmask_b32_e32 v6, v6, v9, vcc
	v_mul_f32_e32 v7, 0x4f800000, v6
	v_cmp_gt_f32_e64 s[4:5], s14, v6
	s_and_b64 vcc, exec, s[0:1]
	s_nop 0
	v_cndmask_b32_e64 v6, v6, v7, s[4:5]
	v_sqrt_f32_e32 v7, v6
	s_nop 0
	v_add_u32_e32 v8, -1, v7
	v_add_u32_e32 v9, 1, v7
	v_fma_f32 v10, -v8, v7, v6
	v_fma_f32 v11, -v9, v7, v6
	v_cmp_ge_f32_e64 s[6:7], 0, v10
	s_nop 1
	v_cndmask_b32_e64 v7, v7, v8, s[6:7]
	v_cmp_lt_f32_e64 s[6:7], 0, v11
	s_nop 1
	v_cndmask_b32_e64 v7, v7, v9, s[6:7]
	v_mul_f32_e32 v8, 0x37800000, v7
	v_cndmask_b32_e64 v7, v7, v8, s[4:5]
	v_cmp_class_f32_e64 s[4:5], v6, v1
	s_nop 1
	v_cndmask_b32_e64 v1, v7, v6, s[4:5]
	s_cbranch_vccnz .LBB19_12
; %bb.11:
	global_load_dword v0, v0, s[10:11] offset:12
	s_waitcnt vmcnt(0)
	v_add_f32_e32 v1, v1, v0
.LBB19_12:
	s_load_dwordx4 s[12:15], s[2:3], 0x30
	s_mov_b32 s31, 0
	v_cmp_eq_u32_e64 s[6:7], 0, v3
	ds_write_b32 v4, v1 offset:12
	s_waitcnt lgkmcnt(0)
	s_bitcmp1_b32 s15, 0
	s_cselect_b64 s[4:5], -1, 0
	s_cmp_gt_i32 s12, 0
	s_cselect_b64 s[24:25], -1, 0
	s_and_b64 vcc, exec, s[24:25]
	s_cbranch_vccz .LBB19_29
; %bb.13:
	v_mbcnt_lo_u32_b32 v0, -1, 0
	v_mbcnt_hi_u32_b32 v0, -1, v0
	v_and_b32_e32 v1, 0x7c, v0
	v_add_u32_e32 v1, 4, v1
	v_xor_b32_e32 v6, 2, v0
	v_cmp_lt_i32_e32 vcc, v6, v1
	s_load_dwordx4 s[16:19], s[2:3], 0x20
	v_mul_lo_u32 v7, v2, s12
	v_cndmask_b32_e32 v6, v0, v6, vcc
	v_lshlrev_b32_e32 v8, 2, v6
	v_xor_b32_e32 v6, 1, v0
	v_cmp_lt_i32_e32 vcc, v6, v1
	v_mov_b32_e32 v10, 0xc61c4000
	v_mov_b32_e32 v11, v2
	v_cndmask_b32_e32 v0, v0, v6, vcc
	v_lshlrev_b32_e32 v9, 2, v0
	v_mov_b32_e32 v6, 0
	s_branch .LBB19_15
.LBB19_14:                              ;   in Loop: Header=BB19_15 Depth=1
	s_or_b64 exec, exec, s[2:3]
	s_cmp_eq_u32 s12, s31
	v_add_u32_e32 v11, s30, v11
	s_cbranch_scc1 .LBB19_30
.LBB19_15:                              ; =>This Inner Loop Header: Depth=1
	ds_read_b128 v[12:15], v4
	s_waitcnt lgkmcnt(0)
	v_cmp_gt_f32_e32 vcc, v13, v12
	s_nop 1
	v_cndmask_b32_e32 v1, v12, v13, vcc
	v_cndmask_b32_e64 v0, 0, 1, vcc
	v_cmp_gt_f32_e32 vcc, v14, v1
	s_nop 1
	v_cndmask_b32_e32 v1, v1, v14, vcc
	v_cndmask_b32_e64 v0, v0, 2, vcc
	v_cmp_gt_f32_e32 vcc, v15, v1
	s_nop 1
	v_cndmask_b32_e64 v0, v0, 3, vcc
	v_cndmask_b32_e32 v12, v1, v15, vcc
	ds_bpermute_b32 v1, v8, v12
	v_or_b32_e32 v0, v5, v0
	ds_bpermute_b32 v13, v8, v0
	s_waitcnt lgkmcnt(1)
	v_cmp_lt_f32_e64 s[26:27], v12, v1
	v_cmp_nlt_f32_e32 vcc, v12, v1
	s_and_saveexec_b64 s[28:29], vcc
	s_cbranch_execz .LBB19_17
; %bb.16:                               ;   in Loop: Header=BB19_15 Depth=1
	v_cmp_eq_f32_e32 vcc, v12, v1
	s_waitcnt lgkmcnt(0)
	v_cmp_lt_i32_e64 s[2:3], v13, v0
	s_and_b64 s[2:3], vcc, s[2:3]
	s_andn2_b64 s[26:27], s[26:27], exec
	s_and_b64 s[2:3], s[2:3], exec
	s_or_b64 s[26:27], s[26:27], s[2:3]
.LBB19_17:                              ;   in Loop: Header=BB19_15 Depth=1
	s_or_b64 exec, exec, s[28:29]
	s_and_saveexec_b64 s[2:3], s[26:27]
	s_cbranch_execz .LBB19_19
; %bb.18:                               ;   in Loop: Header=BB19_15 Depth=1
	v_mov_b32_e32 v12, v1
	s_waitcnt lgkmcnt(0)
	v_mov_b32_e32 v0, v13
.LBB19_19:                              ;   in Loop: Header=BB19_15 Depth=1
	s_or_b64 exec, exec, s[2:3]
	ds_bpermute_b32 v1, v9, v12
	s_waitcnt lgkmcnt(1)
	ds_bpermute_b32 v13, v9, v0
	s_waitcnt lgkmcnt(1)
	v_cmp_lt_f32_e64 s[26:27], v12, v1
	v_cmp_nlt_f32_e32 vcc, v12, v1
	s_and_saveexec_b64 s[28:29], vcc
	s_cbranch_execnz .LBB19_22
; %bb.20:                               ;   in Loop: Header=BB19_15 Depth=1
	s_or_b64 exec, exec, s[28:29]
	s_and_saveexec_b64 s[2:3], s[26:27]
	s_cbranch_execnz .LBB19_23
.LBB19_21:                              ;   in Loop: Header=BB19_15 Depth=1
	s_or_b64 exec, exec, s[2:3]
	s_and_saveexec_b64 s[26:27], s[6:7]
	s_cbranch_execnz .LBB19_24
	s_branch .LBB19_27
.LBB19_22:                              ;   in Loop: Header=BB19_15 Depth=1
	v_cmp_eq_f32_e32 vcc, v12, v1
	s_waitcnt lgkmcnt(0)
	v_cmp_lt_i32_e64 s[2:3], v13, v0
	s_and_b64 s[2:3], vcc, s[2:3]
	s_andn2_b64 s[26:27], s[26:27], exec
	s_and_b64 s[2:3], s[2:3], exec
	s_or_b64 s[26:27], s[26:27], s[2:3]
	s_or_b64 exec, exec, s[28:29]
	s_and_saveexec_b64 s[2:3], s[26:27]
	s_cbranch_execz .LBB19_21
.LBB19_23:                              ;   in Loop: Header=BB19_15 Depth=1
	s_waitcnt lgkmcnt(0)
	v_mov_b32_e32 v0, v13
	v_mov_b32_e32 v12, v1
	s_or_b64 exec, exec, s[2:3]
	s_and_saveexec_b64 s[26:27], s[6:7]
	s_cbranch_execz .LBB19_27
.LBB19_24:                              ;   in Loop: Header=BB19_15 Depth=1
	s_and_b64 vcc, exec, s[0:1]
	s_cbranch_vccnz .LBB19_26
; %bb.25:                               ;   in Loop: Header=BB19_15 Depth=1
	v_ashrrev_i32_e32 v1, 31, v0
	v_lshl_add_u64 v[14:15], v[0:1], 2, s[10:11]
	global_load_dword v1, v[14:15], off
	s_waitcnt vmcnt(0)
	v_sub_f32_e32 v12, v12, v1
.LBB19_26:                              ;   in Loop: Header=BB19_15 Depth=1
	v_add_u32_e32 v14, s31, v7
	v_cmp_le_i32_e32 vcc, s13, v0
	v_cmp_gt_i32_e64 s[2:3], s14, v0
	v_ashrrev_i32_e32 v15, 31, v14
	s_and_b64 s[2:3], vcc, s[2:3]
	v_lshlrev_b64 v[14:15], 2, v[14:15]
	v_lshl_add_u64 v[16:17], s[20:21], 0, v[14:15]
	v_subrev_u32_e32 v1, s13, v0
	s_and_b64 vcc, s[22:23], s[2:3]
	global_store_dword v[16:17], v12, off
	v_cndmask_b32_e32 v1, 16, v1, vcc
	v_lshl_add_u64 v[16:17], s[16:17], 0, v[14:15]
	global_store_dword v[16:17], v1, off
	v_add_f32_e32 v1, v6, v12
	v_lshl_add_u64 v[14:15], s[18:19], 0, v[14:15]
	v_cndmask_b32_e64 v6, v6, v1, s[4:5]
	global_store_dword v[14:15], v11, off
.LBB19_27:                              ;   in Loop: Header=BB19_15 Depth=1
	s_or_b64 exec, exec, s[26:27]
	v_ashrrev_i32_e32 v1, 31, v0
	v_lshrrev_b32_e32 v12, 30, v1
	v_add_u32_e32 v12, v0, v12
	v_ashrrev_i32_e32 v12, 2, v12
	s_waitcnt lgkmcnt(0)
	v_lshrrev_b32_e32 v13, 30, v12
	v_add_u32_e32 v13, v12, v13
	s_add_i32 s31, s31, 1
	v_and_b32_e32 v13, -4, v13
	s_cmp_lt_i32 s31, s12
	v_sub_u32_e32 v13, v12, v13
	s_cselect_b64 s[2:3], -1, 0
	v_cmp_eq_u32_e32 vcc, v3, v13
	s_and_b64 s[26:27], s[2:3], vcc
	s_and_saveexec_b64 s[2:3], s[26:27]
	s_cbranch_execz .LBB19_14
; %bb.28:                               ;   in Loop: Header=BB19_15 Depth=1
	v_lshrrev_b32_e32 v1, 28, v1
	v_add_u32_e32 v1, v0, v1
	v_lshlrev_b32_e32 v12, 2, v12
	v_lshrrev_b32_e32 v1, 2, v1
	v_sub_u32_e32 v0, v0, v12
	v_and_b32_e32 v1, 0x3ffffffc, v1
	v_add_u32_e32 v0, v1, v0
	v_lshl_add_u32 v0, v0, 2, v4
	ds_write_b32 v0, v10
	s_branch .LBB19_14
.LBB19_29:
	v_mov_b32_e32 v6, 0
.LBB19_30:
	v_cmp_eq_u32_e32 vcc, 0, v3
	s_and_b64 exec, exec, vcc
	s_cbranch_execz .LBB19_43
; %bb.31:
	s_andn2_b64 vcc, exec, s[4:5]
	v_cvt_f32_f64_e32 v0, s[8:9]
	s_cbranch_vccnz .LBB19_33
; %bb.32:
	v_cmp_lt_f32_e32 vcc, 0, v6
	s_nop 1
	v_cndmask_b32_e32 v1, 1.0, v6, vcc
	v_div_scale_f32 v3, s[0:1], v1, v1, v0
	v_rcp_f32_e32 v4, v3
	s_nop 0
	v_fma_f32 v5, -v3, v4, 1.0
	v_fmac_f32_e32 v4, v5, v4
	v_div_scale_f32 v5, vcc, v0, v1, v0
	v_mul_f32_e32 v6, v5, v4
	v_fma_f32 v7, -v3, v6, v5
	v_fmac_f32_e32 v6, v7, v4
	v_fma_f32 v3, -v3, v6, v5
	v_div_fmas_f32 v3, v3, v4, v6
	v_div_fixup_f32 v0, v3, v1, v0
.LBB19_33:
	s_andn2_b64 vcc, exec, s[24:25]
	s_cbranch_vccnz .LBB19_43
; %bb.34:
	v_mul_lo_u32 v2, v2, s12
	s_cmp_gt_u32 s12, 3
	v_ashrrev_i32_e32 v3, 31, v2
	s_cbranch_scc0 .LBB19_38
; %bb.35:
	s_and_b32 s0, s12, 0x7ffffffc
	v_lshl_add_u64 v[4:5], v[2:3], 2, s[20:21]
	v_mov_b32_e32 v1, v0
	v_lshl_add_u64 v[4:5], v[4:5], 0, 8
	s_mov_b32 s1, s0
.LBB19_36:                              ; =>This Inner Loop Header: Depth=1
	global_load_dwordx4 v[6:9], v[4:5], off offset:-8
	s_add_i32 s1, s1, -4
	s_cmp_lg_u32 s1, 0
	s_waitcnt vmcnt(0)
	v_pk_mul_f32 v[6:7], v[0:1], v[6:7]
	v_pk_mul_f32 v[8:9], v[0:1], v[8:9]
	global_store_dwordx4 v[4:5], v[6:9], off offset:-8
	v_lshl_add_u64 v[4:5], v[4:5], 0, 16
	s_cbranch_scc1 .LBB19_36
; %bb.37:
	s_cmp_lg_u32 s0, s12
	s_cselect_b64 s[2:3], -1, 0
	s_branch .LBB19_40
.LBB19_38:
	s_mov_b64 s[2:3], 0
                                        ; implicit-def: $sgpr0
	s_cbranch_execz .LBB19_40
; %bb.39:
	s_mov_b64 s[2:3], -1
	s_mov_b32 s0, 0
.LBB19_40:
	s_andn2_b64 vcc, exec, s[2:3]
	s_cbranch_vccnz .LBB19_43
; %bb.41:
	s_mov_b32 s1, 0
	v_lshl_add_u64 v[2:3], v[2:3], 0, s[0:1]
	s_sub_i32 s2, s12, s0
	v_lshl_add_u64 v[2:3], v[2:3], 2, s[20:21]
.LBB19_42:                              ; =>This Inner Loop Header: Depth=1
	global_load_dword v1, v[2:3], off
	s_add_i32 s2, s2, -1
	s_cmp_lg_u32 s2, 0
	s_waitcnt vmcnt(0)
	v_mul_f32_e32 v1, v0, v1
	global_store_dword v[2:3], v1, off
	v_lshl_add_u64 v[2:3], v[2:3], 0, 4
	s_cbranch_scc1 .LBB19_42
.LBB19_43:
	s_endpgm
	.section	.rodata,"a",@progbits
	.p2align	6, 0x0
	.amdhsa_kernel _ZN4vllm3moe22topkGatingSoftplusSqrtILi4ELi16ELi4ELi16ELi32ELb0EifEEvPKT6_PKbPfiPT5_PiiiibdPKfPKS8_SE_
		.amdhsa_group_segment_fixed_size 2048
		.amdhsa_private_segment_fixed_size 0
		.amdhsa_kernarg_size 96
		.amdhsa_user_sgpr_count 4
		.amdhsa_user_sgpr_dispatch_ptr 1
		.amdhsa_user_sgpr_queue_ptr 0
		.amdhsa_user_sgpr_kernarg_segment_ptr 1
		.amdhsa_user_sgpr_dispatch_id 0
		.amdhsa_user_sgpr_kernarg_preload_length 0
		.amdhsa_user_sgpr_kernarg_preload_offset 0
		.amdhsa_user_sgpr_private_segment_size 0
		.amdhsa_uses_dynamic_stack 0
		.amdhsa_enable_private_segment 0
		.amdhsa_system_sgpr_workgroup_id_x 1
		.amdhsa_system_sgpr_workgroup_id_y 0
		.amdhsa_system_sgpr_workgroup_id_z 0
		.amdhsa_system_sgpr_workgroup_info 0
		.amdhsa_system_vgpr_workitem_id 2
		.amdhsa_next_free_vgpr 18
		.amdhsa_next_free_sgpr 32
		.amdhsa_accum_offset 20
		.amdhsa_reserve_vcc 1
		.amdhsa_float_round_mode_32 0
		.amdhsa_float_round_mode_16_64 0
		.amdhsa_float_denorm_mode_32 3
		.amdhsa_float_denorm_mode_16_64 3
		.amdhsa_dx10_clamp 1
		.amdhsa_ieee_mode 1
		.amdhsa_fp16_overflow 0
		.amdhsa_tg_split 0
		.amdhsa_exception_fp_ieee_invalid_op 0
		.amdhsa_exception_fp_denorm_src 0
		.amdhsa_exception_fp_ieee_div_zero 0
		.amdhsa_exception_fp_ieee_overflow 0
		.amdhsa_exception_fp_ieee_underflow 0
		.amdhsa_exception_fp_ieee_inexact 0
		.amdhsa_exception_int_div_zero 0
	.end_amdhsa_kernel
	.section	.text._ZN4vllm3moe22topkGatingSoftplusSqrtILi4ELi16ELi4ELi16ELi32ELb0EifEEvPKT6_PKbPfiPT5_PiiiibdPKfPKS8_SE_,"axG",@progbits,_ZN4vllm3moe22topkGatingSoftplusSqrtILi4ELi16ELi4ELi16ELi32ELb0EifEEvPKT6_PKbPfiPT5_PiiiibdPKfPKS8_SE_,comdat
.Lfunc_end19:
	.size	_ZN4vllm3moe22topkGatingSoftplusSqrtILi4ELi16ELi4ELi16ELi32ELb0EifEEvPKT6_PKbPfiPT5_PiiiibdPKfPKS8_SE_, .Lfunc_end19-_ZN4vllm3moe22topkGatingSoftplusSqrtILi4ELi16ELi4ELi16ELi32ELb0EifEEvPKT6_PKbPfiPT5_PiiiibdPKfPKS8_SE_
                                        ; -- End function
	.section	.AMDGPU.csdata,"",@progbits
; Kernel info:
; codeLenInByte = 2608
; NumSgprs: 38
; NumVgprs: 18
; NumAgprs: 0
; TotalNumVgprs: 18
; ScratchSize: 0
; MemoryBound: 0
; FloatMode: 240
; IeeeMode: 1
; LDSByteSize: 2048 bytes/workgroup (compile time only)
; SGPRBlocks: 4
; VGPRBlocks: 2
; NumSGPRsForWavesPerEU: 38
; NumVGPRsForWavesPerEU: 18
; AccumOffset: 20
; Occupancy: 8
; WaveLimiterHint : 0
; COMPUTE_PGM_RSRC2:SCRATCH_EN: 0
; COMPUTE_PGM_RSRC2:USER_SGPR: 4
; COMPUTE_PGM_RSRC2:TRAP_HANDLER: 0
; COMPUTE_PGM_RSRC2:TGID_X_EN: 1
; COMPUTE_PGM_RSRC2:TGID_Y_EN: 0
; COMPUTE_PGM_RSRC2:TGID_Z_EN: 0
; COMPUTE_PGM_RSRC2:TIDIG_COMP_CNT: 2
; COMPUTE_PGM_RSRC3_GFX90A:ACCUM_OFFSET: 4
; COMPUTE_PGM_RSRC3_GFX90A:TG_SPLIT: 0
	.section	.text._ZN4vllm3moe22topkGatingSoftplusSqrtILi4ELi32ELi4ELi16ELi64ELb1EifEEvPKT6_PKbPfiPT5_PiiiibdPKfPKS8_SE_,"axG",@progbits,_ZN4vllm3moe22topkGatingSoftplusSqrtILi4ELi32ELi4ELi16ELi64ELb1EifEEvPKT6_PKbPfiPT5_PiiiibdPKfPKS8_SE_,comdat
	.protected	_ZN4vllm3moe22topkGatingSoftplusSqrtILi4ELi32ELi4ELi16ELi64ELb1EifEEvPKT6_PKbPfiPT5_PiiiibdPKfPKS8_SE_ ; -- Begin function _ZN4vllm3moe22topkGatingSoftplusSqrtILi4ELi32ELi4ELi16ELi64ELb1EifEEvPKT6_PKbPfiPT5_PiiiibdPKfPKS8_SE_
	.globl	_ZN4vllm3moe22topkGatingSoftplusSqrtILi4ELi32ELi4ELi16ELi64ELb1EifEEvPKT6_PKbPfiPT5_PiiiibdPKfPKS8_SE_
	.p2align	8
	.type	_ZN4vllm3moe22topkGatingSoftplusSqrtILi4ELi32ELi4ELi16ELi64ELb1EifEEvPKT6_PKbPfiPT5_PiiiibdPKfPKS8_SE_,@function
_ZN4vllm3moe22topkGatingSoftplusSqrtILi4ELi32ELi4ELi16ELi64ELb1EifEEvPKT6_PKbPfiPT5_PiiiibdPKfPKS8_SE_: ; @_ZN4vllm3moe22topkGatingSoftplusSqrtILi4ELi32ELi4ELi16ELi64ELb1EifEEvPKT6_PKbPfiPT5_PiiiibdPKfPKS8_SE_
; %bb.0:
	s_load_dword s3, s[0:1], 0x18
	v_bfe_u32 v1, v0, 10, 10
	v_and_b32_e32 v8, 0x3ff, v0
	s_lshl_b32 s2, s2, 5
	v_lshlrev_b32_e32 v1, 3, v1
	v_lshrrev_b32_e32 v0, 3, v8
	v_add3_u32 v2, s2, v1, v0
	s_waitcnt lgkmcnt(0)
	v_cmp_gt_i32_e32 vcc, s3, v2
	s_and_saveexec_b64 s[2:3], vcc
	s_cbranch_execz .LBB20_79
; %bb.1:
	s_load_dwordx2 s[2:3], s[0:1], 0x0
	s_load_dword s20, s[0:1], 0x30
	s_load_dwordx4 s[8:11], s[0:1], 0x50
	v_lshlrev_b32_e32 v0, 5, v2
	v_lshlrev_b32_e32 v3, 2, v8
	v_ashrrev_i32_e32 v1, 31, v0
	v_and_b32_e32 v12, 28, v3
	s_waitcnt lgkmcnt(0)
	v_lshl_add_u64 v[0:1], v[0:1], 2, s[2:3]
	v_lshlrev_b32_e32 v6, 2, v12
	v_mov_b32_e32 v7, 0
	v_lshl_add_u64 v[0:1], v[0:1], 0, v[6:7]
	global_load_dwordx4 v[14:17], v[0:1], off
	v_mov_b32_e32 v0, s8
	v_mov_b32_e32 v1, s9
	v_ashrrev_i32_e32 v3, 31, v2
	v_lshl_add_u64 v[0:1], v[2:3], 2, v[0:1]
	global_load_dword v0, v[0:1], off
	s_mov_b32 s6, 0x800000
	v_mov_b32_e32 v3, 0x4f800000
	s_mov_b32 s12, 0x3f317217
	s_mov_b32 s13, 0x7f800000
	v_mov_b32_e32 v6, 0x41b17218
	s_mov_b32 s9, 0x41a00000
	s_mov_b32 s14, 0xf800000
	v_mov_b32_e32 v9, 0x260
	s_cmp_gt_i32 s20, 0
	s_mov_b32 s8, 0
	v_mul_lo_u32 v2, v2, s20
	s_waitcnt vmcnt(1)
	v_mul_f32_e32 v1, 0x3fb8aa3b, v14
	v_mul_f32_e32 v5, 0x3fb8aa3b, v15
	v_exp_f32_e32 v4, v1
	v_exp_f32_e32 v5, v5
	v_mul_f32_e32 v10, 0x3fb8aa3b, v16
	v_mul_f32_e32 v11, 0x3fb8aa3b, v17
	v_exp_f32_e32 v10, v10
	v_exp_f32_e32 v11, v11
	v_pk_add_f32 v[4:5], v[4:5], 1.0 op_sel_hi:[1,0]
	s_waitcnt vmcnt(0)
	v_mul_lo_u32 v0, v0, s20
	v_cmp_gt_f32_e32 vcc, s6, v5
	v_pk_add_f32 v[10:11], v[10:11], 1.0 op_sel_hi:[1,0]
	v_cmp_gt_f32_e64 s[2:3], s6, v4
	v_cndmask_b32_e32 v13, 1.0, v3, vcc
	v_cmp_gt_f32_e64 s[4:5], s6, v11
	v_cndmask_b32_e64 v18, 1.0, v3, s[2:3]
	v_mul_f32_e32 v5, v5, v13
	v_cndmask_b32_e64 v19, 1.0, v3, s[4:5]
	v_cmp_gt_f32_e64 s[6:7], s6, v10
	v_mul_f32_e32 v4, v4, v18
	v_log_f32_e32 v5, v5
	v_cndmask_b32_e64 v3, 1.0, v3, s[6:7]
	v_mul_f32_e32 v11, v11, v19
	v_log_f32_e32 v4, v4
	v_mul_f32_e32 v3, v10, v3
	v_log_f32_e32 v10, v11
	v_mul_f32_e32 v11, 0x3f317217, v5
	v_mul_f32_e32 v20, 0x3f317217, v4
	v_fma_f32 v11, v5, s12, -v11
	v_mul_f32_e32 v21, 0x3f317217, v10
	v_fma_f32 v20, v4, s12, -v20
	v_fmac_f32_e32 v11, 0x3377d1cf, v5
	v_cndmask_b32_e32 v13, 0, v6, vcc
	v_fma_f32 v21, v10, s12, -v21
	v_fmac_f32_e32 v20, 0x3377d1cf, v4
	v_fmac_f32_e32 v11, 0x3f317217, v5
	v_cmp_lt_f32_e64 vcc, |v5|, s13
	v_fmac_f32_e32 v21, 0x3377d1cf, v10
	v_fmac_f32_e32 v20, 0x3f317217, v4
	v_cndmask_b32_e32 v5, v5, v11, vcc
	v_cmp_lt_f32_e64 vcc, |v4|, s13
	v_cndmask_b32_e64 v18, 0, v6, s[2:3]
	v_fmac_f32_e32 v21, 0x3f317217, v10
	v_cndmask_b32_e32 v4, v4, v20, vcc
	v_cmp_lt_f32_e64 vcc, |v10|, s13
	v_sub_f32_e32 v4, v4, v18
	v_sub_f32_e32 v5, v5, v13
	v_cndmask_b32_e32 v10, v10, v21, vcc
	v_cmp_lt_f32_e32 vcc, s9, v14
	v_cndmask_b32_e64 v19, 0, v6, s[4:5]
	v_log_f32_e32 v3, v3
	v_cndmask_b32_e32 v4, v4, v14, vcc
	v_cmp_lt_f32_e32 vcc, s9, v15
	v_mul_f32_e32 v13, 0x4f800000, v4
	v_cmp_gt_f32_e64 s[2:3], s14, v4
	v_cndmask_b32_e32 v5, v5, v15, vcc
	v_mul_f32_e32 v11, 0x4f800000, v5
	v_cmp_gt_f32_e32 vcc, s14, v5
	v_cndmask_b32_e64 v4, v4, v13, s[2:3]
	v_sqrt_f32_e32 v13, v4
	v_cndmask_b32_e32 v5, v5, v11, vcc
	v_sqrt_f32_e32 v11, v5
	v_sub_f32_e32 v10, v10, v19
	v_add_u32_e32 v18, -1, v13
	v_fma_f32 v23, -v18, v13, v4
	v_add_u32_e32 v14, -1, v11
	v_fma_f32 v20, -v14, v11, v5
	v_add_u32_e32 v15, 1, v11
	v_cmp_ge_f32_e64 s[4:5], 0, v20
	v_add_u32_e32 v19, 1, v13
	v_fma_f32 v21, -v15, v11, v5
	v_cndmask_b32_e64 v11, v11, v14, s[4:5]
	v_cmp_ge_f32_e64 s[4:5], 0, v23
	v_fma_f32 v24, -v19, v13, v4
	v_mul_f32_e32 v22, 0x3f317217, v3
	v_cndmask_b32_e64 v13, v13, v18, s[4:5]
	v_cmp_lt_f32_e64 s[4:5], 0, v21
	v_fma_f32 v22, v3, s12, -v22
	v_fmac_f32_e32 v22, 0x3377d1cf, v3
	v_cndmask_b32_e64 v11, v11, v15, s[4:5]
	v_cmp_lt_f32_e64 s[4:5], 0, v24
	v_mul_f32_e32 v14, 0x37800000, v11
	v_cndmask_b32_e32 v11, v11, v14, vcc
	v_cndmask_b32_e64 v13, v13, v19, s[4:5]
	v_mul_f32_e32 v15, 0x37800000, v13
	v_cmp_class_f32_e32 vcc, v5, v9
	v_cndmask_b32_e64 v13, v13, v15, s[2:3]
	v_fmac_f32_e32 v22, 0x3f317217, v3
	v_cndmask_b32_e32 v15, v11, v5, vcc
	v_cmp_class_f32_e32 vcc, v4, v9
	v_cmp_lt_f32_e64 s[2:3], s9, v16
	v_ashrrev_i32_e32 v1, 31, v0
	v_cndmask_b32_e32 v14, v13, v4, vcc
	v_cmp_lt_f32_e64 vcc, |v3|, s13
	v_cndmask_b32_e64 v4, 0, v6, s[6:7]
	s_cselect_b64 s[4:5], -1, 0
	v_cndmask_b32_e32 v3, v3, v22, vcc
	v_cmp_lt_f32_e32 vcc, s9, v17
	v_sub_f32_e32 v3, v3, v4
	v_cndmask_b32_e64 v3, v3, v16, s[2:3]
	v_cndmask_b32_e32 v5, v10, v17, vcc
	v_mul_f32_e32 v6, 0x4f800000, v5
	v_cmp_gt_f32_e32 vcc, s14, v5
	s_cmp_lt_i32 s20, 1
	s_nop 0
	v_cndmask_b32_e32 v5, v5, v6, vcc
	v_sqrt_f32_e32 v6, v5
	s_nop 0
	v_add_u32_e32 v4, -1, v6
	v_fma_f32 v10, -v4, v6, v5
	v_cmp_ge_f32_e64 s[2:3], 0, v10
	v_add_u32_e32 v10, 1, v6
	s_nop 0
	v_cndmask_b32_e64 v4, v6, v4, s[2:3]
	v_fma_f32 v6, -v10, v6, v5
	v_cmp_lt_f32_e64 s[2:3], 0, v6
	s_nop 1
	v_cndmask_b32_e64 v4, v4, v10, s[2:3]
	v_mul_f32_e32 v10, 0x4f800000, v3
	v_cmp_gt_f32_e64 s[2:3], s14, v3
	v_mul_f32_e32 v6, 0x37800000, v4
	v_cndmask_b32_e32 v4, v4, v6, vcc
	v_cndmask_b32_e64 v3, v3, v10, s[2:3]
	v_sqrt_f32_e32 v10, v3
	v_cmp_class_f32_e32 vcc, v5, v9
	s_nop 1
	v_cndmask_b32_e32 v17, v4, v5, vcc
	v_add_u32_e32 v4, -1, v10
	v_fma_f32 v5, -v4, v10, v3
	v_cmp_ge_f32_e32 vcc, 0, v5
	v_add_u32_e32 v5, 1, v10
	v_fma_f32 v6, -v5, v10, v3
	v_cndmask_b32_e32 v4, v10, v4, vcc
	v_cmp_lt_f32_e32 vcc, 0, v6
	s_nop 1
	v_cndmask_b32_e32 v4, v4, v5, vcc
	v_mul_f32_e32 v5, 0x37800000, v4
	v_cndmask_b32_e64 v4, v4, v5, s[2:3]
	v_cmp_class_f32_e32 vcc, v3, v9
	s_nop 1
	v_cndmask_b32_e32 v16, v4, v3, vcc
	v_lshl_add_u64 v[4:5], v[0:1], 2, s[10:11]
	scratch_store_dwordx4 off, v[14:17], off
	s_cbranch_scc1 .LBB20_28
; %bb.2:
	s_load_dwordx2 s[6:7], s[0:1], 0x20
	s_cmp_lt_u32 s20, 4
	v_and_b32_e32 v6, 7, v8
	s_cbranch_scc1 .LBB20_21
; %bb.3:
	v_lshlrev_b32_e32 v7, 2, v6
	s_mov_b32 s13, 0
	s_and_b32 s8, s20, 0x7ffffffc
	v_ashrrev_i32_e32 v3, 31, v2
	v_sub_u32_e32 v13, 0, v7
	v_mov_b32_e32 v7, 0
	s_mov_b32 s12, s13
	s_branch .LBB20_5
.LBB20_4:                               ;   in Loop: Header=BB20_5 Depth=1
	s_or_b64 exec, exec, s[14:15]
	s_add_i32 s12, s12, 4
	s_cmp_eq_u32 s12, s8
	s_cbranch_scc1 .LBB20_21
.LBB20_5:                               ; =>This Loop Header: Depth=1
                                        ;     Child Loop BB20_7 Depth 2
                                        ;     Child Loop BB20_11 Depth 2
	;; [unrolled: 1-line block ×4, first 2 shown]
	v_lshl_add_u64 v[8:9], s[12:13], 2, v[4:5]
	global_load_dword v14, v[8:9], off
	v_add_u32_e32 v10, s12, v2
	v_ashrrev_i32_e32 v11, 31, v10
	v_mov_b32_e32 v15, 0
	s_mov_b64 s[14:15], 0
	s_waitcnt lgkmcnt(0)
	v_lshl_add_u64 v[10:11], v[10:11], 2, s[6:7]
	s_mov_b32 s9, 0
	s_waitcnt vmcnt(0)
	v_add_u32_e32 v16, v13, v14
	s_branch .LBB20_7
.LBB20_6:                               ;   in Loop: Header=BB20_7 Depth=2
	s_or_b64 exec, exec, s[16:17]
	s_add_i32 s18, s9, 1
	s_cmp_gt_u32 s9, 2
	s_cselect_b64 s[2:3], -1, 0
	s_xor_b64 s[16:17], vcc, -1
	s_or_b64 s[2:3], s[16:17], s[2:3]
	s_and_b64 s[2:3], exec, s[2:3]
	v_add_u32_e32 v15, 4, v15
	s_or_b64 s[14:15], s[2:3], s[14:15]
	s_mov_b32 s9, s18
	s_andn2_b64 exec, exec, s[14:15]
	s_cbranch_execz .LBB20_9
.LBB20_7:                               ;   Parent Loop BB20_5 Depth=1
                                        ; =>  This Inner Loop Header: Depth=2
	v_cmp_ne_u32_e32 vcc, s9, v16
	v_cmp_eq_u32_e64 s[2:3], s9, v16
	s_and_saveexec_b64 s[16:17], s[2:3]
	s_cbranch_execz .LBB20_6
; %bb.8:                                ;   in Loop: Header=BB20_7 Depth=2
	scratch_load_dword v17, v15, off
	s_waitcnt vmcnt(0)
	v_add_f32_e32 v7, v7, v17
	global_store_dword v[10:11], v14, off
	s_branch .LBB20_6
.LBB20_9:                               ;   in Loop: Header=BB20_5 Depth=1
	s_or_b64 exec, exec, s[14:15]
	global_load_dword v14, v[8:9], off offset:4
	s_ashr_i32 s3, s12, 31
	s_mov_b32 s2, s12
	v_lshl_add_u64 v[10:11], s[2:3], 0, v[2:3]
	v_mov_b32_e32 v15, 0
	s_mov_b32 s9, 0
	v_lshl_add_u64 v[10:11], v[10:11], 2, s[6:7]
	s_mov_b64 s[14:15], 0
	s_waitcnt vmcnt(0)
	v_add_u32_e32 v16, v13, v14
	s_branch .LBB20_11
.LBB20_10:                              ;   in Loop: Header=BB20_11 Depth=2
	s_or_b64 exec, exec, s[16:17]
	s_add_i32 s18, s9, 1
	s_cmp_gt_u32 s9, 2
	s_cselect_b64 s[2:3], -1, 0
	s_xor_b64 s[16:17], vcc, -1
	s_or_b64 s[2:3], s[16:17], s[2:3]
	s_and_b64 s[2:3], exec, s[2:3]
	v_add_u32_e32 v15, 4, v15
	s_or_b64 s[14:15], s[2:3], s[14:15]
	s_mov_b32 s9, s18
	s_andn2_b64 exec, exec, s[14:15]
	s_cbranch_execz .LBB20_13
.LBB20_11:                              ;   Parent Loop BB20_5 Depth=1
                                        ; =>  This Inner Loop Header: Depth=2
	v_cmp_ne_u32_e32 vcc, s9, v16
	v_cmp_eq_u32_e64 s[2:3], s9, v16
	s_and_saveexec_b64 s[16:17], s[2:3]
	s_cbranch_execz .LBB20_10
; %bb.12:                               ;   in Loop: Header=BB20_11 Depth=2
	scratch_load_dword v17, v15, off
	s_waitcnt vmcnt(0)
	v_add_f32_e32 v7, v7, v17
	global_store_dword v[10:11], v14, off offset:4
	s_branch .LBB20_10
.LBB20_13:                              ;   in Loop: Header=BB20_5 Depth=1
	s_or_b64 exec, exec, s[14:15]
	global_load_dword v14, v[8:9], off offset:8
	v_mov_b32_e32 v15, 0
	s_mov_b32 s9, 0
	s_mov_b64 s[14:15], 0
	s_waitcnt vmcnt(0)
	v_add_u32_e32 v16, v13, v14
	s_branch .LBB20_15
.LBB20_14:                              ;   in Loop: Header=BB20_15 Depth=2
	s_or_b64 exec, exec, s[16:17]
	s_add_i32 s18, s9, 1
	s_cmp_gt_u32 s9, 2
	s_cselect_b64 s[2:3], -1, 0
	s_xor_b64 s[16:17], vcc, -1
	s_or_b64 s[2:3], s[16:17], s[2:3]
	s_and_b64 s[2:3], exec, s[2:3]
	v_add_u32_e32 v15, 4, v15
	s_or_b64 s[14:15], s[2:3], s[14:15]
	s_mov_b32 s9, s18
	s_andn2_b64 exec, exec, s[14:15]
	s_cbranch_execz .LBB20_17
.LBB20_15:                              ;   Parent Loop BB20_5 Depth=1
                                        ; =>  This Inner Loop Header: Depth=2
	v_cmp_ne_u32_e32 vcc, s9, v16
	v_cmp_eq_u32_e64 s[2:3], s9, v16
	s_and_saveexec_b64 s[16:17], s[2:3]
	s_cbranch_execz .LBB20_14
; %bb.16:                               ;   in Loop: Header=BB20_15 Depth=2
	scratch_load_dword v17, v15, off
	s_waitcnt vmcnt(0)
	v_add_f32_e32 v7, v7, v17
	global_store_dword v[10:11], v14, off offset:8
	s_branch .LBB20_14
.LBB20_17:                              ;   in Loop: Header=BB20_5 Depth=1
	s_or_b64 exec, exec, s[14:15]
	global_load_dword v8, v[8:9], off offset:12
	v_mov_b32_e32 v9, 0
	s_mov_b32 s9, 0
	s_mov_b64 s[14:15], 0
	s_waitcnt vmcnt(0)
	v_add_u32_e32 v14, v13, v8
	s_branch .LBB20_19
.LBB20_18:                              ;   in Loop: Header=BB20_19 Depth=2
	s_or_b64 exec, exec, s[16:17]
	s_add_i32 s18, s9, 1
	s_cmp_gt_u32 s9, 2
	s_cselect_b64 s[2:3], -1, 0
	s_xor_b64 s[16:17], vcc, -1
	s_or_b64 s[2:3], s[16:17], s[2:3]
	s_and_b64 s[2:3], exec, s[2:3]
	v_add_u32_e32 v9, 4, v9
	s_or_b64 s[14:15], s[2:3], s[14:15]
	s_mov_b32 s9, s18
	s_andn2_b64 exec, exec, s[14:15]
	s_cbranch_execz .LBB20_4
.LBB20_19:                              ;   Parent Loop BB20_5 Depth=1
                                        ; =>  This Inner Loop Header: Depth=2
	v_cmp_ne_u32_e32 vcc, s9, v14
	v_cmp_eq_u32_e64 s[2:3], s9, v14
	s_and_saveexec_b64 s[16:17], s[2:3]
	s_cbranch_execz .LBB20_18
; %bb.20:                               ;   in Loop: Header=BB20_19 Depth=2
	scratch_load_dword v15, v9, off
	s_waitcnt vmcnt(0)
	v_add_f32_e32 v7, v7, v15
	global_store_dword v[10:11], v8, off offset:12
	s_branch .LBB20_18
.LBB20_21:
	s_and_b32 s16, s20, 3
	s_cmp_eq_u32 s16, 0
	s_mov_b32 s9, 0
	s_cbranch_scc1 .LBB20_28
; %bb.22:
	v_lshlrev_b32_e32 v3, 2, v6
	v_sub_u32_e32 v3, 0, v3
	s_mov_b32 s17, s9
	s_branch .LBB20_24
.LBB20_23:                              ;   in Loop: Header=BB20_24 Depth=1
	s_or_b64 exec, exec, s[12:13]
	s_add_i32 s8, s8, 1
	s_add_i32 s17, s17, 1
	s_cmp_lg_u32 s17, s16
	s_cbranch_scc0 .LBB20_28
.LBB20_24:                              ; =>This Loop Header: Depth=1
                                        ;     Child Loop BB20_26 Depth 2
	v_lshl_add_u64 v[8:9], s[8:9], 2, v[4:5]
	global_load_dword v6, v[8:9], off
	v_add_u32_e32 v8, s8, v2
	v_ashrrev_i32_e32 v9, 31, v8
	v_mov_b32_e32 v10, 0
	s_mov_b32 s18, 0
	s_waitcnt lgkmcnt(0)
	v_lshl_add_u64 v[8:9], v[8:9], 2, s[6:7]
	s_mov_b64 s[12:13], 0
	s_waitcnt vmcnt(0)
	v_add_u32_e32 v11, v3, v6
	s_branch .LBB20_26
.LBB20_25:                              ;   in Loop: Header=BB20_26 Depth=2
	s_or_b64 exec, exec, s[14:15]
	s_add_i32 s19, s18, 1
	s_cmp_gt_u32 s18, 2
	s_cselect_b64 s[2:3], -1, 0
	s_xor_b64 s[14:15], vcc, -1
	s_or_b64 s[2:3], s[14:15], s[2:3]
	s_and_b64 s[2:3], exec, s[2:3]
	v_add_u32_e32 v10, 4, v10
	s_or_b64 s[12:13], s[2:3], s[12:13]
	s_mov_b32 s18, s19
	s_andn2_b64 exec, exec, s[12:13]
	s_cbranch_execz .LBB20_23
.LBB20_26:                              ;   Parent Loop BB20_24 Depth=1
                                        ; =>  This Inner Loop Header: Depth=2
	v_cmp_ne_u32_e32 vcc, s18, v11
	v_cmp_eq_u32_e64 s[2:3], s18, v11
	s_and_saveexec_b64 s[14:15], s[2:3]
	s_cbranch_execz .LBB20_25
; %bb.27:                               ;   in Loop: Header=BB20_26 Depth=2
	scratch_load_dword v13, v10, off
	s_waitcnt vmcnt(0)
	v_add_f32_e32 v7, v7, v13
	global_store_dword v[8:9], v6, off
	s_branch .LBB20_25
.LBB20_28:
	s_waitcnt lgkmcnt(0)
	s_load_dword s6, s[0:1], 0x3c
	s_waitcnt lgkmcnt(0)
	s_bitcmp1_b32 s6, 0
	s_cselect_b64 s[2:3], -1, 0
	s_bitcmp0_b32 s6, 0
	s_cbranch_scc0 .LBB20_31
; %bb.29:
	s_load_dwordx2 s[6:7], s[0:1], 0x40
	s_andn2_b64 vcc, exec, s[2:3]
	s_waitcnt lgkmcnt(0)
	v_cvt_f32_f64_e32 v10, s[6:7]
	s_cbranch_vccz .LBB20_32
.LBB20_30:
	s_andn2_b64 vcc, exec, s[4:5]
	s_cbranch_vccz .LBB20_33
	s_branch .LBB20_79
.LBB20_31:
	v_mbcnt_lo_u32_b32 v3, -1, 0
	v_mbcnt_hi_u32_b32 v3, -1, v3
	v_and_b32_e32 v6, 0x78, v3
	v_add_u32_e32 v6, 8, v6
	v_xor_b32_e32 v8, 4, v3
	v_cmp_lt_i32_e32 vcc, v8, v6
	v_xor_b32_e32 v9, 2, v3
	s_nop 0
	v_cndmask_b32_e32 v8, v3, v8, vcc
	v_lshlrev_b32_e32 v8, 2, v8
	ds_bpermute_b32 v8, v8, v7
	v_cmp_lt_i32_e32 vcc, v9, v6
	s_waitcnt lgkmcnt(0)
	v_add_f32_e32 v7, v7, v8
	v_cndmask_b32_e32 v8, v3, v9, vcc
	v_lshlrev_b32_e32 v8, 2, v8
	ds_bpermute_b32 v8, v8, v7
	v_xor_b32_e32 v9, 1, v3
	v_cmp_lt_i32_e32 vcc, v9, v6
	s_waitcnt lgkmcnt(0)
	v_add_f32_e32 v7, v7, v8
	v_cndmask_b32_e32 v3, v3, v9, vcc
	v_lshlrev_b32_e32 v3, 2, v3
	ds_bpermute_b32 v3, v3, v7
	s_waitcnt lgkmcnt(0)
	v_add_f32_e32 v7, v7, v3
	s_load_dwordx2 s[6:7], s[0:1], 0x40
	s_andn2_b64 vcc, exec, s[2:3]
	s_waitcnt lgkmcnt(0)
	v_cvt_f32_f64_e32 v10, s[6:7]
	s_cbranch_vccnz .LBB20_30
.LBB20_32:
	v_cmp_lt_f32_e32 vcc, 0, v7
	s_nop 1
	v_cndmask_b32_e32 v3, 1.0, v7, vcc
	v_div_scale_f32 v6, s[2:3], v3, v3, v10
	v_rcp_f32_e32 v7, v6
	s_nop 0
	v_fma_f32 v8, -v6, v7, 1.0
	v_fmac_f32_e32 v7, v8, v7
	v_div_scale_f32 v8, vcc, v10, v3, v10
	v_mul_f32_e32 v9, v8, v7
	v_fma_f32 v11, -v6, v9, v8
	v_fmac_f32_e32 v9, v11, v7
	v_fma_f32 v6, -v6, v9, v8
	v_div_fmas_f32 v6, v6, v7, v9
	v_div_fixup_f32 v10, v6, v3, v10
	s_andn2_b64 vcc, exec, s[4:5]
	s_cbranch_vccnz .LBB20_79
.LBB20_33:
	s_load_dwordx2 s[4:5], s[0:1], 0x10
	v_mov_b32_e32 v3, 0
	v_or_b32_e32 v11, 4, v3
	v_or_b32_e32 v13, 8, v3
	;; [unrolled: 1-line block ×6, first 2 shown]
	s_cmp_lt_u32 s20, 4
	s_mov_b32 s6, 0
	s_cbranch_scc1 .LBB20_68
; %bb.34:
	v_ashrrev_i32_e32 v3, 31, v2
	s_and_b32 s6, s20, 0x7ffffffc
	s_waitcnt lgkmcnt(0)
	v_lshl_add_u64 v[6:7], v[2:3], 2, s[4:5]
	s_mov_b32 s7, 0
	s_mov_b64 s[8:9], 0
	s_branch .LBB20_36
.LBB20_35:                              ;   in Loop: Header=BB20_36 Depth=1
	s_or_b64 exec, exec, s[2:3]
	s_add_i32 s7, s7, 4
	s_add_u32 s8, s8, 16
	s_addc_u32 s9, s9, 0
	s_cmp_eq_u32 s6, s7
	s_cbranch_scc1 .LBB20_68
.LBB20_36:                              ; =>This Inner Loop Header: Depth=1
	v_lshl_add_u64 v[8:9], v[4:5], 0, s[8:9]
	global_load_dword v18, v[8:9], off
	v_mov_b32_e32 v3, 0
	s_waitcnt vmcnt(0)
	v_cmp_eq_u32_e32 vcc, v18, v12
	v_cmp_ne_u32_e64 s[0:1], v18, v12
	s_and_saveexec_b64 s[12:13], s[0:1]
	s_cbranch_execz .LBB20_42
; %bb.37:                               ;   in Loop: Header=BB20_36 Depth=1
	v_cmp_eq_u32_e64 s[0:1], v18, v15
	v_cmp_ne_u32_e64 s[2:3], v18, v15
	v_mov_b32_e32 v3, v11
	s_and_saveexec_b64 s[14:15], s[2:3]
	s_cbranch_execz .LBB20_41
; %bb.38:                               ;   in Loop: Header=BB20_36 Depth=1
	v_cmp_eq_u32_e64 s[16:17], v18, v16
	v_cmp_ne_u32_e64 s[2:3], v18, v16
	v_mov_b32_e32 v3, v13
	s_and_saveexec_b64 s[18:19], s[2:3]
	s_xor_b64 s[18:19], exec, s[18:19]
; %bb.39:                               ;   in Loop: Header=BB20_36 Depth=1
	v_cmp_eq_u32_e64 s[2:3], v18, v17
	s_andn2_b64 s[16:17], s[16:17], exec
	s_and_b64 s[2:3], s[2:3], exec
	s_or_b64 s[16:17], s[16:17], s[2:3]
	v_mov_b32_e32 v3, v14
; %bb.40:                               ;   in Loop: Header=BB20_36 Depth=1
	s_or_b64 exec, exec, s[18:19]
	s_andn2_b64 s[0:1], s[0:1], exec
	s_and_b64 s[2:3], s[16:17], exec
	s_or_b64 s[0:1], s[0:1], s[2:3]
.LBB20_41:                              ;   in Loop: Header=BB20_36 Depth=1
	s_or_b64 exec, exec, s[14:15]
	s_andn2_b64 s[2:3], vcc, exec
	s_and_b64 s[0:1], s[0:1], exec
	s_or_b64 vcc, s[2:3], s[0:1]
.LBB20_42:                              ;   in Loop: Header=BB20_36 Depth=1
	s_or_b64 exec, exec, s[12:13]
	s_and_saveexec_b64 s[0:1], vcc
	s_cbranch_execz .LBB20_44
; %bb.43:                               ;   in Loop: Header=BB20_36 Depth=1
	scratch_load_dword v3, v3, off
	v_add_u32_e32 v18, s7, v2
	v_ashrrev_i32_e32 v19, 31, v18
	v_lshl_add_u64 v[18:19], v[18:19], 2, s[4:5]
	s_waitcnt vmcnt(0)
	v_mul_f32_e32 v3, v10, v3
	global_store_dword v[18:19], v3, off
.LBB20_44:                              ;   in Loop: Header=BB20_36 Depth=1
	s_or_b64 exec, exec, s[0:1]
	global_load_dword v18, v[8:9], off offset:4
	v_mov_b32_e32 v3, 0
	s_waitcnt vmcnt(0)
	v_cmp_eq_u32_e64 s[0:1], v18, v12
	v_cmp_ne_u32_e32 vcc, v18, v12
	s_and_saveexec_b64 s[2:3], vcc
	s_cbranch_execz .LBB20_50
; %bb.45:                               ;   in Loop: Header=BB20_36 Depth=1
	v_cmp_eq_u32_e64 s[12:13], v18, v15
	v_cmp_ne_u32_e32 vcc, v18, v15
	v_mov_b32_e32 v3, v11
	s_and_saveexec_b64 s[14:15], vcc
	s_cbranch_execz .LBB20_49
; %bb.46:                               ;   in Loop: Header=BB20_36 Depth=1
	v_cmp_eq_u32_e64 s[16:17], v18, v16
	v_cmp_ne_u32_e32 vcc, v18, v16
	v_mov_b32_e32 v3, v13
	s_and_saveexec_b64 s[18:19], vcc
; %bb.47:                               ;   in Loop: Header=BB20_36 Depth=1
	v_cmp_eq_u32_e32 vcc, v18, v17
	s_andn2_b64 s[16:17], s[16:17], exec
	s_and_b64 s[22:23], vcc, exec
	s_or_b64 s[16:17], s[16:17], s[22:23]
	v_mov_b32_e32 v3, v14
; %bb.48:                               ;   in Loop: Header=BB20_36 Depth=1
	s_or_b64 exec, exec, s[18:19]
	s_andn2_b64 s[12:13], s[12:13], exec
	s_and_b64 s[16:17], s[16:17], exec
	s_or_b64 s[12:13], s[12:13], s[16:17]
.LBB20_49:                              ;   in Loop: Header=BB20_36 Depth=1
	s_or_b64 exec, exec, s[14:15]
	s_andn2_b64 s[0:1], s[0:1], exec
	s_and_b64 s[12:13], s[12:13], exec
	s_or_b64 s[0:1], s[0:1], s[12:13]
.LBB20_50:                              ;   in Loop: Header=BB20_36 Depth=1
	s_or_b64 exec, exec, s[2:3]
	s_and_saveexec_b64 s[2:3], s[0:1]
	s_cbranch_execz .LBB20_52
; %bb.51:                               ;   in Loop: Header=BB20_36 Depth=1
	scratch_load_dword v3, v3, off
	v_lshl_add_u64 v[18:19], v[6:7], 0, s[8:9]
	s_waitcnt vmcnt(0)
	v_mul_f32_e32 v3, v10, v3
	global_store_dword v[18:19], v3, off offset:4
.LBB20_52:                              ;   in Loop: Header=BB20_36 Depth=1
	s_or_b64 exec, exec, s[2:3]
	global_load_dword v18, v[8:9], off offset:8
	v_mov_b32_e32 v3, 0
	s_waitcnt vmcnt(0)
	v_cmp_eq_u32_e64 s[0:1], v18, v12
	v_cmp_ne_u32_e32 vcc, v18, v12
	s_and_saveexec_b64 s[2:3], vcc
	s_cbranch_execz .LBB20_58
; %bb.53:                               ;   in Loop: Header=BB20_36 Depth=1
	v_cmp_eq_u32_e64 s[12:13], v18, v15
	v_cmp_ne_u32_e32 vcc, v18, v15
	v_mov_b32_e32 v3, v11
	s_and_saveexec_b64 s[14:15], vcc
	s_cbranch_execz .LBB20_57
; %bb.54:                               ;   in Loop: Header=BB20_36 Depth=1
	v_cmp_eq_u32_e64 s[16:17], v18, v16
	v_cmp_ne_u32_e32 vcc, v18, v16
	v_mov_b32_e32 v3, v13
	s_and_saveexec_b64 s[18:19], vcc
; %bb.55:                               ;   in Loop: Header=BB20_36 Depth=1
	v_cmp_eq_u32_e32 vcc, v18, v17
	s_andn2_b64 s[16:17], s[16:17], exec
	s_and_b64 s[22:23], vcc, exec
	s_or_b64 s[16:17], s[16:17], s[22:23]
	v_mov_b32_e32 v3, v14
; %bb.56:                               ;   in Loop: Header=BB20_36 Depth=1
	s_or_b64 exec, exec, s[18:19]
	s_andn2_b64 s[12:13], s[12:13], exec
	s_and_b64 s[16:17], s[16:17], exec
	s_or_b64 s[12:13], s[12:13], s[16:17]
.LBB20_57:                              ;   in Loop: Header=BB20_36 Depth=1
	s_or_b64 exec, exec, s[14:15]
	s_andn2_b64 s[0:1], s[0:1], exec
	s_and_b64 s[12:13], s[12:13], exec
	s_or_b64 s[0:1], s[0:1], s[12:13]
.LBB20_58:                              ;   in Loop: Header=BB20_36 Depth=1
	s_or_b64 exec, exec, s[2:3]
	s_and_saveexec_b64 s[2:3], s[0:1]
	s_cbranch_execz .LBB20_60
; %bb.59:                               ;   in Loop: Header=BB20_36 Depth=1
	scratch_load_dword v3, v3, off
	v_lshl_add_u64 v[18:19], v[6:7], 0, s[8:9]
	s_waitcnt vmcnt(0)
	v_mul_f32_e32 v3, v10, v3
	global_store_dword v[18:19], v3, off offset:8
.LBB20_60:                              ;   in Loop: Header=BB20_36 Depth=1
	s_or_b64 exec, exec, s[2:3]
	global_load_dword v8, v[8:9], off offset:12
	v_mov_b32_e32 v3, 0
	s_waitcnt vmcnt(0)
	v_cmp_eq_u32_e64 s[0:1], v8, v12
	v_cmp_ne_u32_e32 vcc, v8, v12
	s_and_saveexec_b64 s[2:3], vcc
	s_cbranch_execz .LBB20_66
; %bb.61:                               ;   in Loop: Header=BB20_36 Depth=1
	v_cmp_eq_u32_e64 s[12:13], v8, v15
	v_cmp_ne_u32_e32 vcc, v8, v15
	v_mov_b32_e32 v3, v11
	s_and_saveexec_b64 s[14:15], vcc
	s_cbranch_execz .LBB20_65
; %bb.62:                               ;   in Loop: Header=BB20_36 Depth=1
	v_cmp_eq_u32_e64 s[16:17], v8, v16
	v_cmp_ne_u32_e32 vcc, v8, v16
	v_mov_b32_e32 v3, v13
	s_and_saveexec_b64 s[18:19], vcc
; %bb.63:                               ;   in Loop: Header=BB20_36 Depth=1
	v_cmp_eq_u32_e32 vcc, v8, v17
	s_andn2_b64 s[16:17], s[16:17], exec
	s_and_b64 s[22:23], vcc, exec
	s_or_b64 s[16:17], s[16:17], s[22:23]
	v_mov_b32_e32 v3, v14
; %bb.64:                               ;   in Loop: Header=BB20_36 Depth=1
	s_or_b64 exec, exec, s[18:19]
	s_andn2_b64 s[12:13], s[12:13], exec
	s_and_b64 s[16:17], s[16:17], exec
	s_or_b64 s[12:13], s[12:13], s[16:17]
.LBB20_65:                              ;   in Loop: Header=BB20_36 Depth=1
	s_or_b64 exec, exec, s[14:15]
	s_andn2_b64 s[0:1], s[0:1], exec
	s_and_b64 s[12:13], s[12:13], exec
	s_or_b64 s[0:1], s[0:1], s[12:13]
.LBB20_66:                              ;   in Loop: Header=BB20_36 Depth=1
	s_or_b64 exec, exec, s[2:3]
	s_and_saveexec_b64 s[2:3], s[0:1]
	s_cbranch_execz .LBB20_35
; %bb.67:                               ;   in Loop: Header=BB20_36 Depth=1
	scratch_load_dword v3, v3, off
	v_lshl_add_u64 v[8:9], v[6:7], 0, s[8:9]
	s_waitcnt vmcnt(0)
	v_mul_f32_e32 v3, v10, v3
	global_store_dword v[8:9], v3, off offset:12
	s_branch .LBB20_35
.LBB20_68:
	s_and_b32 s14, s20, 3
	s_cmp_eq_u32 s14, 0
	s_mov_b32 s7, 0
	s_cbranch_scc1 .LBB20_79
; %bb.69:
	s_lshl_b64 s[0:1], s[6:7], 2
	s_add_u32 s0, s10, s0
	s_addc_u32 s1, s11, s1
	v_add_u32_e32 v2, s6, v2
	v_lshl_add_u64 v[0:1], v[0:1], 2, s[0:1]
	s_branch .LBB20_71
.LBB20_70:                              ;   in Loop: Header=BB20_71 Depth=1
	s_or_b64 exec, exec, s[2:3]
	s_add_i32 s14, s14, -1
	v_add_u32_e32 v2, 1, v2
	s_cmp_lg_u32 s14, 0
	v_lshl_add_u64 v[0:1], v[0:1], 0, 4
	s_cbranch_scc0 .LBB20_79
.LBB20_71:                              ; =>This Inner Loop Header: Depth=1
	global_load_dword v4, v[0:1], off
	v_mov_b32_e32 v3, 0
	s_waitcnt vmcnt(0)
	v_cmp_eq_u32_e64 s[0:1], v4, v12
	v_cmp_ne_u32_e32 vcc, v4, v12
	s_and_saveexec_b64 s[2:3], vcc
	s_cbranch_execz .LBB20_77
; %bb.72:                               ;   in Loop: Header=BB20_71 Depth=1
	v_cmp_eq_u32_e64 s[6:7], v4, v15
	v_cmp_ne_u32_e32 vcc, v4, v15
	v_mov_b32_e32 v3, v11
	s_and_saveexec_b64 s[8:9], vcc
	s_cbranch_execz .LBB20_76
; %bb.73:                               ;   in Loop: Header=BB20_71 Depth=1
	v_cmp_eq_u32_e64 s[10:11], v4, v16
	v_cmp_ne_u32_e32 vcc, v4, v16
	v_mov_b32_e32 v3, v13
	s_and_saveexec_b64 s[12:13], vcc
; %bb.74:                               ;   in Loop: Header=BB20_71 Depth=1
	v_cmp_eq_u32_e32 vcc, v4, v17
	s_andn2_b64 s[10:11], s[10:11], exec
	s_and_b64 s[16:17], vcc, exec
	s_or_b64 s[10:11], s[10:11], s[16:17]
	v_mov_b32_e32 v3, v14
; %bb.75:                               ;   in Loop: Header=BB20_71 Depth=1
	s_or_b64 exec, exec, s[12:13]
	s_andn2_b64 s[6:7], s[6:7], exec
	s_and_b64 s[10:11], s[10:11], exec
	s_or_b64 s[6:7], s[6:7], s[10:11]
.LBB20_76:                              ;   in Loop: Header=BB20_71 Depth=1
	s_or_b64 exec, exec, s[8:9]
	s_andn2_b64 s[0:1], s[0:1], exec
	s_and_b64 s[6:7], s[6:7], exec
	s_or_b64 s[0:1], s[0:1], s[6:7]
.LBB20_77:                              ;   in Loop: Header=BB20_71 Depth=1
	s_or_b64 exec, exec, s[2:3]
	s_and_saveexec_b64 s[2:3], s[0:1]
	s_cbranch_execz .LBB20_70
; %bb.78:                               ;   in Loop: Header=BB20_71 Depth=1
	scratch_load_dword v4, v3, off
	v_ashrrev_i32_e32 v3, 31, v2
	s_waitcnt vmcnt(0)
	v_mul_f32_e32 v6, v10, v4
	s_waitcnt lgkmcnt(0)
	v_lshl_add_u64 v[4:5], v[2:3], 2, s[4:5]
	global_store_dword v[4:5], v6, off
	s_branch .LBB20_70
.LBB20_79:
	s_endpgm
	.section	.rodata,"a",@progbits
	.p2align	6, 0x0
	.amdhsa_kernel _ZN4vllm3moe22topkGatingSoftplusSqrtILi4ELi32ELi4ELi16ELi64ELb1EifEEvPKT6_PKbPfiPT5_PiiiibdPKfPKS8_SE_
		.amdhsa_group_segment_fixed_size 0
		.amdhsa_private_segment_fixed_size 32
		.amdhsa_kernarg_size 96
		.amdhsa_user_sgpr_count 2
		.amdhsa_user_sgpr_dispatch_ptr 0
		.amdhsa_user_sgpr_queue_ptr 0
		.amdhsa_user_sgpr_kernarg_segment_ptr 1
		.amdhsa_user_sgpr_dispatch_id 0
		.amdhsa_user_sgpr_kernarg_preload_length 0
		.amdhsa_user_sgpr_kernarg_preload_offset 0
		.amdhsa_user_sgpr_private_segment_size 0
		.amdhsa_uses_dynamic_stack 0
		.amdhsa_enable_private_segment 1
		.amdhsa_system_sgpr_workgroup_id_x 1
		.amdhsa_system_sgpr_workgroup_id_y 0
		.amdhsa_system_sgpr_workgroup_id_z 0
		.amdhsa_system_sgpr_workgroup_info 0
		.amdhsa_system_vgpr_workitem_id 1
		.amdhsa_next_free_vgpr 25
		.amdhsa_next_free_sgpr 24
		.amdhsa_accum_offset 28
		.amdhsa_reserve_vcc 1
		.amdhsa_float_round_mode_32 0
		.amdhsa_float_round_mode_16_64 0
		.amdhsa_float_denorm_mode_32 3
		.amdhsa_float_denorm_mode_16_64 3
		.amdhsa_dx10_clamp 1
		.amdhsa_ieee_mode 1
		.amdhsa_fp16_overflow 0
		.amdhsa_tg_split 0
		.amdhsa_exception_fp_ieee_invalid_op 0
		.amdhsa_exception_fp_denorm_src 0
		.amdhsa_exception_fp_ieee_div_zero 0
		.amdhsa_exception_fp_ieee_overflow 0
		.amdhsa_exception_fp_ieee_underflow 0
		.amdhsa_exception_fp_ieee_inexact 0
		.amdhsa_exception_int_div_zero 0
	.end_amdhsa_kernel
	.section	.text._ZN4vllm3moe22topkGatingSoftplusSqrtILi4ELi32ELi4ELi16ELi64ELb1EifEEvPKT6_PKbPfiPT5_PiiiibdPKfPKS8_SE_,"axG",@progbits,_ZN4vllm3moe22topkGatingSoftplusSqrtILi4ELi32ELi4ELi16ELi64ELb1EifEEvPKT6_PKbPfiPT5_PiiiibdPKfPKS8_SE_,comdat
.Lfunc_end20:
	.size	_ZN4vllm3moe22topkGatingSoftplusSqrtILi4ELi32ELi4ELi16ELi64ELb1EifEEvPKT6_PKbPfiPT5_PiiiibdPKfPKS8_SE_, .Lfunc_end20-_ZN4vllm3moe22topkGatingSoftplusSqrtILi4ELi32ELi4ELi16ELi64ELb1EifEEvPKT6_PKbPfiPT5_PiiiibdPKfPKS8_SE_
                                        ; -- End function
	.section	.AMDGPU.csdata,"",@progbits
; Kernel info:
; codeLenInByte = 3420
; NumSgprs: 30
; NumVgprs: 25
; NumAgprs: 0
; TotalNumVgprs: 25
; ScratchSize: 32
; MemoryBound: 0
; FloatMode: 240
; IeeeMode: 1
; LDSByteSize: 0 bytes/workgroup (compile time only)
; SGPRBlocks: 3
; VGPRBlocks: 3
; NumSGPRsForWavesPerEU: 30
; NumVGPRsForWavesPerEU: 25
; AccumOffset: 28
; Occupancy: 8
; WaveLimiterHint : 1
; COMPUTE_PGM_RSRC2:SCRATCH_EN: 1
; COMPUTE_PGM_RSRC2:USER_SGPR: 2
; COMPUTE_PGM_RSRC2:TRAP_HANDLER: 0
; COMPUTE_PGM_RSRC2:TGID_X_EN: 1
; COMPUTE_PGM_RSRC2:TGID_Y_EN: 0
; COMPUTE_PGM_RSRC2:TGID_Z_EN: 0
; COMPUTE_PGM_RSRC2:TIDIG_COMP_CNT: 1
; COMPUTE_PGM_RSRC3_GFX90A:ACCUM_OFFSET: 6
; COMPUTE_PGM_RSRC3_GFX90A:TG_SPLIT: 0
	.section	.text._ZN4vllm3moe22topkGatingSoftplusSqrtILi4ELi32ELi4ELi16ELi64ELb0EifEEvPKT6_PKbPfiPT5_PiiiibdPKfPKS8_SE_,"axG",@progbits,_ZN4vllm3moe22topkGatingSoftplusSqrtILi4ELi32ELi4ELi16ELi64ELb0EifEEvPKT6_PKbPfiPT5_PiiiibdPKfPKS8_SE_,comdat
	.protected	_ZN4vllm3moe22topkGatingSoftplusSqrtILi4ELi32ELi4ELi16ELi64ELb0EifEEvPKT6_PKbPfiPT5_PiiiibdPKfPKS8_SE_ ; -- Begin function _ZN4vllm3moe22topkGatingSoftplusSqrtILi4ELi32ELi4ELi16ELi64ELb0EifEEvPKT6_PKbPfiPT5_PiiiibdPKfPKS8_SE_
	.globl	_ZN4vllm3moe22topkGatingSoftplusSqrtILi4ELi32ELi4ELi16ELi64ELb0EifEEvPKT6_PKbPfiPT5_PiiiibdPKfPKS8_SE_
	.p2align	8
	.type	_ZN4vllm3moe22topkGatingSoftplusSqrtILi4ELi32ELi4ELi16ELi64ELb0EifEEvPKT6_PKbPfiPT5_PiiiibdPKfPKS8_SE_,@function
_ZN4vllm3moe22topkGatingSoftplusSqrtILi4ELi32ELi4ELi16ELi64ELb0EifEEvPKT6_PKbPfiPT5_PiiiibdPKfPKS8_SE_: ; @_ZN4vllm3moe22topkGatingSoftplusSqrtILi4ELi32ELi4ELi16ELi64ELb0EifEEvPKT6_PKbPfiPT5_PiiiibdPKfPKS8_SE_
; %bb.0:
	s_load_dword s30, s[2:3], 0x18
	v_and_b32_e32 v1, 0x3ff, v0
	v_bfe_u32 v4, v0, 10, 10
	s_lshl_b32 s4, s4, 5
	v_lshlrev_b32_e32 v2, 3, v4
	v_lshrrev_b32_e32 v3, 3, v1
	v_add3_u32 v2, s4, v2, v3
	s_waitcnt lgkmcnt(0)
	v_cmp_gt_i32_e32 vcc, s30, v2
	s_and_saveexec_b64 s[4:5], vcc
	s_cbranch_execz .LBB21_47
; %bb.1:
	s_load_dwordx4 s[4:7], s[2:3], 0x0
	s_load_dwordx2 s[20:21], s[2:3], 0x10
	s_waitcnt lgkmcnt(0)
	s_cmp_eq_u64 s[6:7], 0
	s_cbranch_scc1 .LBB21_3
; %bb.2:
	v_ashrrev_i32_e32 v3, 31, v2
	v_lshl_add_u64 v[6:7], s[6:7], 0, v[2:3]
	global_load_ubyte v3, v[6:7], off
	s_waitcnt vmcnt(0)
	v_and_b32_e32 v3, 1, v3
	v_cmp_eq_u32_e32 vcc, 1, v3
	s_xor_b64 s[6:7], vcc, -1
	s_orn2_b64 s[22:23], s[6:7], exec
	s_branch .LBB21_4
.LBB21_3:
	s_mov_b64 s[22:23], -1
.LBB21_4:
	v_lshlrev_b32_e32 v8, 5, v2
	v_mov_b32_e32 v6, s4
	v_mov_b32_e32 v7, s5
	v_ashrrev_i32_e32 v9, 31, v8
	v_and_b32_e32 v3, 7, v1
	v_lshl_add_u64 v[6:7], v[8:9], 2, v[6:7]
	v_mov_b32_e32 v9, 0
	v_lshlrev_b32_e32 v8, 4, v3
	v_lshl_add_u64 v[6:7], v[6:7], 0, v[8:9]
	global_load_dwordx4 v[6:9], v[6:7], off
	s_load_dwordx2 s[4:5], s[0:1], 0x4
	s_load_dwordx4 s[8:11], s[2:3], 0x40
	v_bfe_u32 v0, v0, 20, 10
	s_mov_b32 s16, 0x800000
	s_mov_b32 s13, 0x3f317217
	s_waitcnt lgkmcnt(0)
	s_lshr_b32 s0, s4, 16
	s_mul_i32 s0, s0, s5
	v_mul_lo_u32 v1, s0, v1
	v_mad_u32_u24 v1, v4, s5, v1
	v_add_lshl_u32 v4, v1, v0, 4
	s_mov_b32 s14, 0x7f800000
	s_mov_b32 s12, 0x41a00000
	;; [unrolled: 1-line block ×3, first 2 shown]
	s_cmp_lg_u64 s[10:11], 0
	v_mov_b32_e32 v1, 0x260
	s_cselect_b64 s[6:7], -1, 0
	s_and_b64 s[0:1], exec, s[6:7]
	s_waitcnt vmcnt(0)
	ds_write_b128 v4, v[6:9]
	ds_read_b32 v8, v4
	v_mov_b32_e32 v6, 0x4f800000
	v_mov_b32_e32 v7, 0x41b17218
	s_waitcnt lgkmcnt(0)
	v_mul_f32_e32 v0, 0x3fb8aa3b, v8
	v_exp_f32_e32 v0, v0
	s_nop 0
	v_add_f32_e32 v0, 1.0, v0
	v_cmp_gt_f32_e32 vcc, s16, v0
	s_nop 1
	v_cndmask_b32_e32 v5, 1.0, v6, vcc
	v_mul_f32_e32 v0, v0, v5
	v_log_f32_e32 v9, v0
	v_cndmask_b32_e32 v10, 0, v7, vcc
	v_lshlrev_b32_e32 v5, 2, v3
	v_lshlrev_b32_e32 v0, 2, v5
	v_mul_f32_e32 v11, 0x3f317217, v9
	v_fma_f32 v11, v9, s13, -v11
	v_fmac_f32_e32 v11, 0x3377d1cf, v9
	v_fmac_f32_e32 v11, 0x3f317217, v9
	v_cmp_lt_f32_e64 vcc, |v9|, s14
	s_nop 1
	v_cndmask_b32_e32 v9, v9, v11, vcc
	v_sub_f32_e32 v9, v9, v10
	v_cmp_lt_f32_e32 vcc, s12, v8
	s_nop 1
	v_cndmask_b32_e32 v8, v9, v8, vcc
	v_mul_f32_e32 v9, 0x4f800000, v8
	v_cmp_gt_f32_e32 vcc, s15, v8
	s_nop 1
	v_cndmask_b32_e32 v8, v8, v9, vcc
	v_sqrt_f32_e32 v9, v8
	s_nop 0
	v_add_u32_e32 v10, -1, v9
	v_add_u32_e32 v11, 1, v9
	v_fma_f32 v12, -v10, v9, v8
	v_fma_f32 v13, -v11, v9, v8
	v_cmp_ge_f32_e64 s[4:5], 0, v12
	s_nop 1
	v_cndmask_b32_e64 v9, v9, v10, s[4:5]
	v_cmp_lt_f32_e64 s[4:5], 0, v13
	s_nop 1
	v_cndmask_b32_e64 v9, v9, v11, s[4:5]
	v_mul_f32_e32 v10, 0x37800000, v9
	v_cndmask_b32_e32 v9, v9, v10, vcc
	v_cmp_class_f32_e32 vcc, v8, v1
	s_nop 1
	v_cndmask_b32_e32 v8, v9, v8, vcc
	s_mov_b64 vcc, s[0:1]
	s_cbranch_vccz .LBB21_6
; %bb.5:
	global_load_dword v9, v0, s[10:11]
	s_waitcnt vmcnt(0)
	v_add_f32_e32 v8, v8, v9
.LBB21_6:
	ds_read_b32 v9, v4 offset:4
	ds_write_b32 v4, v8
	s_waitcnt lgkmcnt(1)
	v_mul_f32_e32 v10, 0x3fb8aa3b, v9
	v_exp_f32_e32 v10, v10
	s_nop 0
	v_add_f32_e32 v10, 1.0, v10
	v_cmp_gt_f32_e32 vcc, s16, v10
	s_nop 1
	v_cndmask_b32_e32 v6, 1.0, v6, vcc
	v_mul_f32_e32 v6, v10, v6
	v_log_f32_e32 v6, v6
	v_cndmask_b32_e32 v7, 0, v7, vcc
	v_mul_f32_e32 v8, 0x3f317217, v6
	v_fma_f32 v8, v6, s13, -v8
	v_fmac_f32_e32 v8, 0x3377d1cf, v6
	v_fmac_f32_e32 v8, 0x3f317217, v6
	v_cmp_lt_f32_e64 vcc, |v6|, s14
	s_nop 1
	v_cndmask_b32_e32 v6, v6, v8, vcc
	v_sub_f32_e32 v6, v6, v7
	v_cmp_lt_f32_e32 vcc, s12, v9
	v_cndmask_b32_e64 v8, 0, 1, s[6:7]
	v_cmp_ne_u32_e64 s[0:1], 1, v8
	v_cndmask_b32_e32 v6, v6, v9, vcc
	v_mul_f32_e32 v7, 0x4f800000, v6
	v_cmp_gt_f32_e64 s[4:5], s15, v6
	s_andn2_b64 vcc, exec, s[6:7]
	s_nop 0
	v_cndmask_b32_e64 v6, v6, v7, s[4:5]
	v_sqrt_f32_e32 v7, v6
	s_nop 0
	v_add_u32_e32 v8, -1, v7
	v_add_u32_e32 v9, 1, v7
	v_fma_f32 v10, -v8, v7, v6
	v_fma_f32 v11, -v9, v7, v6
	v_cmp_ge_f32_e64 s[6:7], 0, v10
	s_nop 1
	v_cndmask_b32_e64 v7, v7, v8, s[6:7]
	v_cmp_lt_f32_e64 s[6:7], 0, v11
	s_nop 1
	v_cndmask_b32_e64 v7, v7, v9, s[6:7]
	v_mul_f32_e32 v8, 0x37800000, v7
	v_cndmask_b32_e64 v7, v7, v8, s[4:5]
	v_cmp_class_f32_e64 s[4:5], v6, v1
	s_nop 1
	v_cndmask_b32_e64 v1, v7, v6, s[4:5]
	s_cbranch_vccnz .LBB21_8
; %bb.7:
	global_load_dword v6, v0, s[10:11] offset:4
	s_waitcnt vmcnt(0)
	v_add_f32_e32 v1, v1, v6
.LBB21_8:
	ds_read_b32 v8, v4 offset:8
	s_mov_b32 s12, 0x800000
	s_mov_b32 s7, 0x3f317217
	;; [unrolled: 1-line block ×4, first 2 shown]
	s_waitcnt lgkmcnt(0)
	v_mul_f32_e32 v6, 0x3fb8aa3b, v8
	v_exp_f32_e32 v7, v6
	v_mov_b32_e32 v6, 0x4f800000
	s_mov_b32 s14, 0xf800000
	ds_write_b32 v4, v1 offset:4
	v_add_f32_e32 v7, 1.0, v7
	v_cmp_gt_f32_e32 vcc, s12, v7
	s_nop 1
	v_cndmask_b32_e32 v9, 1.0, v6, vcc
	v_mul_f32_e32 v7, v7, v9
	v_log_f32_e32 v9, v7
	v_mov_b32_e32 v7, 0x41b17218
	v_cndmask_b32_e32 v10, 0, v7, vcc
	v_mul_f32_e32 v11, 0x3f317217, v9
	v_fma_f32 v11, v9, s7, -v11
	v_fmac_f32_e32 v11, 0x3377d1cf, v9
	v_fmac_f32_e32 v11, 0x3f317217, v9
	v_cmp_lt_f32_e64 vcc, |v9|, s13
	s_nop 1
	v_cndmask_b32_e32 v9, v9, v11, vcc
	v_sub_f32_e32 v9, v9, v10
	v_cmp_lt_f32_e32 vcc, s6, v8
	s_nop 1
	v_cndmask_b32_e32 v8, v9, v8, vcc
	v_mul_f32_e32 v9, 0x4f800000, v8
	v_cmp_gt_f32_e32 vcc, s14, v8
	s_nop 1
	v_cndmask_b32_e32 v8, v8, v9, vcc
	v_sqrt_f32_e32 v9, v8
	s_nop 0
	v_add_u32_e32 v1, -1, v9
	v_fma_f32 v10, -v1, v9, v8
	v_cmp_ge_f32_e64 s[4:5], 0, v10
	v_add_u32_e32 v10, 1, v9
	s_nop 0
	v_cndmask_b32_e64 v1, v9, v1, s[4:5]
	v_fma_f32 v9, -v10, v9, v8
	v_cmp_lt_f32_e64 s[4:5], 0, v9
	s_nop 1
	v_cndmask_b32_e64 v1, v1, v10, s[4:5]
	v_mul_f32_e32 v9, 0x37800000, v1
	v_cndmask_b32_e32 v9, v1, v9, vcc
	v_mov_b32_e32 v1, 0x260
	v_cmp_class_f32_e64 s[4:5], v8, v1
	s_and_b64 vcc, exec, s[0:1]
	s_nop 0
	v_cndmask_b32_e64 v8, v9, v8, s[4:5]
	s_cbranch_vccnz .LBB21_10
; %bb.9:
	global_load_dword v9, v0, s[10:11] offset:8
	s_waitcnt vmcnt(0)
	v_add_f32_e32 v8, v8, v9
.LBB21_10:
	ds_read_b32 v9, v4 offset:12
	ds_write_b32 v4, v8 offset:8
	s_waitcnt lgkmcnt(1)
	v_mul_f32_e32 v10, 0x3fb8aa3b, v9
	v_exp_f32_e32 v10, v10
	s_nop 0
	v_add_f32_e32 v10, 1.0, v10
	v_cmp_gt_f32_e32 vcc, s12, v10
	s_nop 1
	v_cndmask_b32_e32 v6, 1.0, v6, vcc
	v_mul_f32_e32 v6, v10, v6
	v_log_f32_e32 v6, v6
	v_cndmask_b32_e32 v7, 0, v7, vcc
	v_mul_f32_e32 v10, 0x3f317217, v6
	v_fma_f32 v10, v6, s7, -v10
	v_fmac_f32_e32 v10, 0x3377d1cf, v6
	v_fmac_f32_e32 v10, 0x3f317217, v6
	v_cmp_lt_f32_e64 vcc, |v6|, s13
	s_nop 1
	v_cndmask_b32_e32 v6, v6, v10, vcc
	v_sub_f32_e32 v6, v6, v7
	v_cmp_lt_f32_e32 vcc, s6, v9
	s_nop 1
	v_cndmask_b32_e32 v6, v6, v9, vcc
	v_mul_f32_e32 v7, 0x4f800000, v6
	v_cmp_gt_f32_e64 s[4:5], s14, v6
	s_and_b64 vcc, exec, s[0:1]
	s_nop 0
	v_cndmask_b32_e64 v6, v6, v7, s[4:5]
	v_sqrt_f32_e32 v7, v6
	s_nop 0
	v_add_u32_e32 v8, -1, v7
	v_add_u32_e32 v9, 1, v7
	v_fma_f32 v10, -v8, v7, v6
	v_fma_f32 v11, -v9, v7, v6
	v_cmp_ge_f32_e64 s[6:7], 0, v10
	s_nop 1
	v_cndmask_b32_e64 v7, v7, v8, s[6:7]
	v_cmp_lt_f32_e64 s[6:7], 0, v11
	s_nop 1
	v_cndmask_b32_e64 v7, v7, v9, s[6:7]
	v_mul_f32_e32 v8, 0x37800000, v7
	v_cndmask_b32_e64 v7, v7, v8, s[4:5]
	v_cmp_class_f32_e64 s[4:5], v6, v1
	s_nop 1
	v_cndmask_b32_e64 v1, v7, v6, s[4:5]
	s_cbranch_vccnz .LBB21_12
; %bb.11:
	global_load_dword v0, v0, s[10:11] offset:12
	s_waitcnt vmcnt(0)
	v_add_f32_e32 v1, v1, v0
.LBB21_12:
	s_load_dwordx4 s[12:15], s[2:3], 0x30
	s_mov_b32 s31, 0
	v_cmp_eq_u32_e64 s[6:7], 0, v3
	ds_write_b32 v4, v1 offset:12
	s_waitcnt lgkmcnt(0)
	s_bitcmp1_b32 s15, 0
	s_cselect_b64 s[4:5], -1, 0
	s_cmp_gt_i32 s12, 0
	s_cselect_b64 s[24:25], -1, 0
	s_and_b64 vcc, exec, s[24:25]
	s_cbranch_vccz .LBB21_33
; %bb.13:
	v_mbcnt_lo_u32_b32 v0, -1, 0
	v_mbcnt_hi_u32_b32 v0, -1, v0
	v_and_b32_e32 v1, 0x78, v0
	v_add_u32_e32 v1, 8, v1
	v_xor_b32_e32 v6, 4, v0
	v_cmp_lt_i32_e32 vcc, v6, v1
	s_load_dwordx4 s[16:19], s[2:3], 0x20
	v_mul_lo_u32 v7, v2, s12
	v_cndmask_b32_e32 v6, v0, v6, vcc
	v_lshlrev_b32_e32 v8, 2, v6
	v_xor_b32_e32 v6, 2, v0
	v_cmp_lt_i32_e32 vcc, v6, v1
	v_mov_b32_e32 v11, 0xc61c4000
	v_mov_b32_e32 v12, v2
	v_cndmask_b32_e32 v6, v0, v6, vcc
	v_lshlrev_b32_e32 v9, 2, v6
	v_xor_b32_e32 v6, 1, v0
	v_cmp_lt_i32_e32 vcc, v6, v1
	s_nop 1
	v_cndmask_b32_e32 v0, v0, v6, vcc
	v_lshlrev_b32_e32 v10, 2, v0
	v_mov_b32_e32 v6, 0
	s_branch .LBB21_15
.LBB21_14:                              ;   in Loop: Header=BB21_15 Depth=1
	s_or_b64 exec, exec, s[2:3]
	s_cmp_eq_u32 s12, s31
	v_add_u32_e32 v12, s30, v12
	s_cbranch_scc1 .LBB21_34
.LBB21_15:                              ; =>This Inner Loop Header: Depth=1
	ds_read_b128 v[14:17], v4
	s_waitcnt lgkmcnt(0)
	v_cmp_gt_f32_e32 vcc, v15, v14
	s_nop 1
	v_cndmask_b32_e32 v1, v14, v15, vcc
	v_cndmask_b32_e64 v0, 0, 1, vcc
	v_cmp_gt_f32_e32 vcc, v16, v1
	s_nop 1
	v_cndmask_b32_e32 v1, v1, v16, vcc
	v_cndmask_b32_e64 v0, v0, 2, vcc
	v_cmp_gt_f32_e32 vcc, v17, v1
	s_nop 1
	v_cndmask_b32_e64 v0, v0, 3, vcc
	v_cndmask_b32_e32 v13, v1, v17, vcc
	ds_bpermute_b32 v1, v8, v13
	v_or_b32_e32 v0, v5, v0
	ds_bpermute_b32 v14, v8, v0
	s_waitcnt lgkmcnt(1)
	v_cmp_lt_f32_e64 s[26:27], v13, v1
	v_cmp_nlt_f32_e32 vcc, v13, v1
	s_and_saveexec_b64 s[28:29], vcc
	s_cbranch_execz .LBB21_17
; %bb.16:                               ;   in Loop: Header=BB21_15 Depth=1
	v_cmp_eq_f32_e32 vcc, v13, v1
	s_waitcnt lgkmcnt(0)
	v_cmp_lt_i32_e64 s[2:3], v14, v0
	s_and_b64 s[2:3], vcc, s[2:3]
	s_andn2_b64 s[26:27], s[26:27], exec
	s_and_b64 s[2:3], s[2:3], exec
	s_or_b64 s[26:27], s[26:27], s[2:3]
.LBB21_17:                              ;   in Loop: Header=BB21_15 Depth=1
	s_or_b64 exec, exec, s[28:29]
	s_and_saveexec_b64 s[2:3], s[26:27]
	s_cbranch_execz .LBB21_19
; %bb.18:                               ;   in Loop: Header=BB21_15 Depth=1
	v_mov_b32_e32 v13, v1
	s_waitcnt lgkmcnt(0)
	v_mov_b32_e32 v0, v14
.LBB21_19:                              ;   in Loop: Header=BB21_15 Depth=1
	s_or_b64 exec, exec, s[2:3]
	ds_bpermute_b32 v1, v9, v13
	s_waitcnt lgkmcnt(1)
	ds_bpermute_b32 v14, v9, v0
	s_waitcnt lgkmcnt(1)
	v_cmp_lt_f32_e64 s[26:27], v13, v1
	v_cmp_nlt_f32_e32 vcc, v13, v1
	s_and_saveexec_b64 s[28:29], vcc
	s_cbranch_execz .LBB21_21
; %bb.20:                               ;   in Loop: Header=BB21_15 Depth=1
	v_cmp_eq_f32_e32 vcc, v13, v1
	s_waitcnt lgkmcnt(0)
	v_cmp_lt_i32_e64 s[2:3], v14, v0
	s_and_b64 s[2:3], vcc, s[2:3]
	s_andn2_b64 s[26:27], s[26:27], exec
	s_and_b64 s[2:3], s[2:3], exec
	s_or_b64 s[26:27], s[26:27], s[2:3]
.LBB21_21:                              ;   in Loop: Header=BB21_15 Depth=1
	s_or_b64 exec, exec, s[28:29]
	s_and_saveexec_b64 s[2:3], s[26:27]
	s_cbranch_execz .LBB21_23
; %bb.22:                               ;   in Loop: Header=BB21_15 Depth=1
	v_mov_b32_e32 v13, v1
	s_waitcnt lgkmcnt(0)
	v_mov_b32_e32 v0, v14
.LBB21_23:                              ;   in Loop: Header=BB21_15 Depth=1
	s_or_b64 exec, exec, s[2:3]
	ds_bpermute_b32 v1, v10, v13
	s_waitcnt lgkmcnt(1)
	ds_bpermute_b32 v14, v10, v0
	s_waitcnt lgkmcnt(1)
	v_cmp_lt_f32_e64 s[26:27], v13, v1
	v_cmp_nlt_f32_e32 vcc, v13, v1
	s_and_saveexec_b64 s[28:29], vcc
	s_cbranch_execnz .LBB21_26
; %bb.24:                               ;   in Loop: Header=BB21_15 Depth=1
	s_or_b64 exec, exec, s[28:29]
	s_and_saveexec_b64 s[2:3], s[26:27]
	s_cbranch_execnz .LBB21_27
.LBB21_25:                              ;   in Loop: Header=BB21_15 Depth=1
	s_or_b64 exec, exec, s[2:3]
	s_and_saveexec_b64 s[26:27], s[6:7]
	s_cbranch_execnz .LBB21_28
	s_branch .LBB21_31
.LBB21_26:                              ;   in Loop: Header=BB21_15 Depth=1
	v_cmp_eq_f32_e32 vcc, v13, v1
	s_waitcnt lgkmcnt(0)
	v_cmp_lt_i32_e64 s[2:3], v14, v0
	s_and_b64 s[2:3], vcc, s[2:3]
	s_andn2_b64 s[26:27], s[26:27], exec
	s_and_b64 s[2:3], s[2:3], exec
	s_or_b64 s[26:27], s[26:27], s[2:3]
	s_or_b64 exec, exec, s[28:29]
	s_and_saveexec_b64 s[2:3], s[26:27]
	s_cbranch_execz .LBB21_25
.LBB21_27:                              ;   in Loop: Header=BB21_15 Depth=1
	s_waitcnt lgkmcnt(0)
	v_mov_b32_e32 v0, v14
	v_mov_b32_e32 v13, v1
	s_or_b64 exec, exec, s[2:3]
	s_and_saveexec_b64 s[26:27], s[6:7]
	s_cbranch_execz .LBB21_31
.LBB21_28:                              ;   in Loop: Header=BB21_15 Depth=1
	s_and_b64 vcc, exec, s[0:1]
	s_cbranch_vccnz .LBB21_30
; %bb.29:                               ;   in Loop: Header=BB21_15 Depth=1
	v_ashrrev_i32_e32 v1, 31, v0
	s_waitcnt lgkmcnt(0)
	v_lshl_add_u64 v[14:15], v[0:1], 2, s[10:11]
	global_load_dword v1, v[14:15], off
	s_waitcnt vmcnt(0)
	v_sub_f32_e32 v13, v13, v1
.LBB21_30:                              ;   in Loop: Header=BB21_15 Depth=1
	s_waitcnt lgkmcnt(0)
	v_add_u32_e32 v14, s31, v7
	v_cmp_le_i32_e32 vcc, s13, v0
	v_cmp_gt_i32_e64 s[2:3], s14, v0
	v_ashrrev_i32_e32 v15, 31, v14
	s_and_b64 s[2:3], vcc, s[2:3]
	v_lshlrev_b64 v[14:15], 2, v[14:15]
	v_lshl_add_u64 v[16:17], s[20:21], 0, v[14:15]
	v_subrev_u32_e32 v1, s13, v0
	s_and_b64 vcc, s[22:23], s[2:3]
	global_store_dword v[16:17], v13, off
	v_cndmask_b32_e32 v1, 32, v1, vcc
	v_lshl_add_u64 v[16:17], s[16:17], 0, v[14:15]
	global_store_dword v[16:17], v1, off
	v_add_f32_e32 v1, v6, v13
	v_lshl_add_u64 v[14:15], s[18:19], 0, v[14:15]
	v_cndmask_b32_e64 v6, v6, v1, s[4:5]
	global_store_dword v[14:15], v12, off
.LBB21_31:                              ;   in Loop: Header=BB21_15 Depth=1
	s_or_b64 exec, exec, s[26:27]
	v_ashrrev_i32_e32 v13, 31, v0
	v_lshrrev_b32_e32 v1, 30, v13
	v_add_u32_e32 v1, v0, v1
	v_ashrrev_i32_e32 v1, 2, v1
	s_waitcnt lgkmcnt(0)
	v_lshrrev_b32_e32 v14, 29, v1
	v_add_u32_e32 v14, v1, v14
	s_add_i32 s31, s31, 1
	v_and_b32_e32 v14, -8, v14
	s_cmp_lt_i32 s31, s12
	v_sub_u32_e32 v14, v1, v14
	s_cselect_b64 s[2:3], -1, 0
	v_cmp_eq_u32_e32 vcc, v3, v14
	s_and_b64 s[26:27], s[2:3], vcc
	s_and_saveexec_b64 s[2:3], s[26:27]
	s_cbranch_execz .LBB21_14
; %bb.32:                               ;   in Loop: Header=BB21_15 Depth=1
	v_lshrrev_b32_e32 v13, 27, v13
	v_add_u32_e32 v13, v0, v13
	v_lshlrev_b32_e32 v1, 2, v1
	v_ashrrev_i32_e32 v13, 5, v13
	v_sub_u32_e32 v0, v0, v1
	v_lshl_add_u32 v0, v13, 2, v0
	v_lshl_add_u32 v0, v0, 2, v4
	ds_write_b32 v0, v11
	s_branch .LBB21_14
.LBB21_33:
	v_mov_b32_e32 v6, 0
.LBB21_34:
	v_cmp_eq_u32_e32 vcc, 0, v3
	s_and_b64 exec, exec, vcc
	s_cbranch_execz .LBB21_47
; %bb.35:
	s_andn2_b64 vcc, exec, s[4:5]
	v_cvt_f32_f64_e32 v0, s[8:9]
	s_cbranch_vccnz .LBB21_37
; %bb.36:
	v_cmp_lt_f32_e32 vcc, 0, v6
	s_nop 1
	v_cndmask_b32_e32 v1, 1.0, v6, vcc
	v_div_scale_f32 v3, s[0:1], v1, v1, v0
	v_rcp_f32_e32 v4, v3
	s_nop 0
	v_fma_f32 v5, -v3, v4, 1.0
	v_fmac_f32_e32 v4, v5, v4
	v_div_scale_f32 v5, vcc, v0, v1, v0
	v_mul_f32_e32 v6, v5, v4
	v_fma_f32 v7, -v3, v6, v5
	v_fmac_f32_e32 v6, v7, v4
	v_fma_f32 v3, -v3, v6, v5
	v_div_fmas_f32 v3, v3, v4, v6
	v_div_fixup_f32 v0, v3, v1, v0
.LBB21_37:
	s_andn2_b64 vcc, exec, s[24:25]
	s_cbranch_vccnz .LBB21_47
; %bb.38:
	v_mul_lo_u32 v2, v2, s12
	s_cmp_gt_u32 s12, 3
	v_ashrrev_i32_e32 v3, 31, v2
	s_cbranch_scc0 .LBB21_42
; %bb.39:
	s_and_b32 s0, s12, 0x7ffffffc
	v_lshl_add_u64 v[4:5], v[2:3], 2, s[20:21]
	v_mov_b32_e32 v1, v0
	v_lshl_add_u64 v[4:5], v[4:5], 0, 8
	s_mov_b32 s1, s0
.LBB21_40:                              ; =>This Inner Loop Header: Depth=1
	global_load_dwordx4 v[6:9], v[4:5], off offset:-8
	s_add_i32 s1, s1, -4
	s_cmp_lg_u32 s1, 0
	s_waitcnt vmcnt(0)
	v_pk_mul_f32 v[6:7], v[0:1], v[6:7]
	v_pk_mul_f32 v[8:9], v[0:1], v[8:9]
	global_store_dwordx4 v[4:5], v[6:9], off offset:-8
	v_lshl_add_u64 v[4:5], v[4:5], 0, 16
	s_cbranch_scc1 .LBB21_40
; %bb.41:
	s_cmp_lg_u32 s0, s12
	s_cselect_b64 s[2:3], -1, 0
	s_branch .LBB21_44
.LBB21_42:
	s_mov_b64 s[2:3], 0
                                        ; implicit-def: $sgpr0
	s_cbranch_execz .LBB21_44
; %bb.43:
	s_mov_b64 s[2:3], -1
	s_mov_b32 s0, 0
.LBB21_44:
	s_andn2_b64 vcc, exec, s[2:3]
	s_cbranch_vccnz .LBB21_47
; %bb.45:
	s_mov_b32 s1, 0
	v_lshl_add_u64 v[2:3], v[2:3], 0, s[0:1]
	s_sub_i32 s2, s12, s0
	v_lshl_add_u64 v[2:3], v[2:3], 2, s[20:21]
.LBB21_46:                              ; =>This Inner Loop Header: Depth=1
	global_load_dword v1, v[2:3], off
	s_add_i32 s2, s2, -1
	s_cmp_lg_u32 s2, 0
	s_waitcnt vmcnt(0)
	v_mul_f32_e32 v1, v0, v1
	global_store_dword v[2:3], v1, off
	v_lshl_add_u64 v[2:3], v[2:3], 0, 4
	s_cbranch_scc1 .LBB21_46
.LBB21_47:
	s_endpgm
	.section	.rodata,"a",@progbits
	.p2align	6, 0x0
	.amdhsa_kernel _ZN4vllm3moe22topkGatingSoftplusSqrtILi4ELi32ELi4ELi16ELi64ELb0EifEEvPKT6_PKbPfiPT5_PiiiibdPKfPKS8_SE_
		.amdhsa_group_segment_fixed_size 4096
		.amdhsa_private_segment_fixed_size 0
		.amdhsa_kernarg_size 96
		.amdhsa_user_sgpr_count 4
		.amdhsa_user_sgpr_dispatch_ptr 1
		.amdhsa_user_sgpr_queue_ptr 0
		.amdhsa_user_sgpr_kernarg_segment_ptr 1
		.amdhsa_user_sgpr_dispatch_id 0
		.amdhsa_user_sgpr_kernarg_preload_length 0
		.amdhsa_user_sgpr_kernarg_preload_offset 0
		.amdhsa_user_sgpr_private_segment_size 0
		.amdhsa_uses_dynamic_stack 0
		.amdhsa_enable_private_segment 0
		.amdhsa_system_sgpr_workgroup_id_x 1
		.amdhsa_system_sgpr_workgroup_id_y 0
		.amdhsa_system_sgpr_workgroup_id_z 0
		.amdhsa_system_sgpr_workgroup_info 0
		.amdhsa_system_vgpr_workitem_id 2
		.amdhsa_next_free_vgpr 18
		.amdhsa_next_free_sgpr 32
		.amdhsa_accum_offset 20
		.amdhsa_reserve_vcc 1
		.amdhsa_float_round_mode_32 0
		.amdhsa_float_round_mode_16_64 0
		.amdhsa_float_denorm_mode_32 3
		.amdhsa_float_denorm_mode_16_64 3
		.amdhsa_dx10_clamp 1
		.amdhsa_ieee_mode 1
		.amdhsa_fp16_overflow 0
		.amdhsa_tg_split 0
		.amdhsa_exception_fp_ieee_invalid_op 0
		.amdhsa_exception_fp_denorm_src 0
		.amdhsa_exception_fp_ieee_div_zero 0
		.amdhsa_exception_fp_ieee_overflow 0
		.amdhsa_exception_fp_ieee_underflow 0
		.amdhsa_exception_fp_ieee_inexact 0
		.amdhsa_exception_int_div_zero 0
	.end_amdhsa_kernel
	.section	.text._ZN4vllm3moe22topkGatingSoftplusSqrtILi4ELi32ELi4ELi16ELi64ELb0EifEEvPKT6_PKbPfiPT5_PiiiibdPKfPKS8_SE_,"axG",@progbits,_ZN4vllm3moe22topkGatingSoftplusSqrtILi4ELi32ELi4ELi16ELi64ELb0EifEEvPKT6_PKbPfiPT5_PiiiibdPKfPKS8_SE_,comdat
.Lfunc_end21:
	.size	_ZN4vllm3moe22topkGatingSoftplusSqrtILi4ELi32ELi4ELi16ELi64ELb0EifEEvPKT6_PKbPfiPT5_PiiiibdPKfPKS8_SE_, .Lfunc_end21-_ZN4vllm3moe22topkGatingSoftplusSqrtILi4ELi32ELi4ELi16ELi64ELb0EifEEvPKT6_PKbPfiPT5_PiiiibdPKfPKS8_SE_
                                        ; -- End function
	.section	.AMDGPU.csdata,"",@progbits
; Kernel info:
; codeLenInByte = 2740
; NumSgprs: 38
; NumVgprs: 18
; NumAgprs: 0
; TotalNumVgprs: 18
; ScratchSize: 0
; MemoryBound: 0
; FloatMode: 240
; IeeeMode: 1
; LDSByteSize: 4096 bytes/workgroup (compile time only)
; SGPRBlocks: 4
; VGPRBlocks: 2
; NumSGPRsForWavesPerEU: 38
; NumVGPRsForWavesPerEU: 18
; AccumOffset: 20
; Occupancy: 8
; WaveLimiterHint : 0
; COMPUTE_PGM_RSRC2:SCRATCH_EN: 0
; COMPUTE_PGM_RSRC2:USER_SGPR: 4
; COMPUTE_PGM_RSRC2:TRAP_HANDLER: 0
; COMPUTE_PGM_RSRC2:TGID_X_EN: 1
; COMPUTE_PGM_RSRC2:TGID_Y_EN: 0
; COMPUTE_PGM_RSRC2:TGID_Z_EN: 0
; COMPUTE_PGM_RSRC2:TIDIG_COMP_CNT: 2
; COMPUTE_PGM_RSRC3_GFX90A:ACCUM_OFFSET: 4
; COMPUTE_PGM_RSRC3_GFX90A:TG_SPLIT: 0
	.section	.text._ZN4vllm3moe22topkGatingSoftplusSqrtILi4ELi32ELi4ELi16ELi32ELb1EifEEvPKT6_PKbPfiPT5_PiiiibdPKfPKS8_SE_,"axG",@progbits,_ZN4vllm3moe22topkGatingSoftplusSqrtILi4ELi32ELi4ELi16ELi32ELb1EifEEvPKT6_PKbPfiPT5_PiiiibdPKfPKS8_SE_,comdat
	.protected	_ZN4vllm3moe22topkGatingSoftplusSqrtILi4ELi32ELi4ELi16ELi32ELb1EifEEvPKT6_PKbPfiPT5_PiiiibdPKfPKS8_SE_ ; -- Begin function _ZN4vllm3moe22topkGatingSoftplusSqrtILi4ELi32ELi4ELi16ELi32ELb1EifEEvPKT6_PKbPfiPT5_PiiiibdPKfPKS8_SE_
	.globl	_ZN4vllm3moe22topkGatingSoftplusSqrtILi4ELi32ELi4ELi16ELi32ELb1EifEEvPKT6_PKbPfiPT5_PiiiibdPKfPKS8_SE_
	.p2align	8
	.type	_ZN4vllm3moe22topkGatingSoftplusSqrtILi4ELi32ELi4ELi16ELi32ELb1EifEEvPKT6_PKbPfiPT5_PiiiibdPKfPKS8_SE_,@function
_ZN4vllm3moe22topkGatingSoftplusSqrtILi4ELi32ELi4ELi16ELi32ELb1EifEEvPKT6_PKbPfiPT5_PiiiibdPKfPKS8_SE_: ; @_ZN4vllm3moe22topkGatingSoftplusSqrtILi4ELi32ELi4ELi16ELi32ELb1EifEEvPKT6_PKbPfiPT5_PiiiibdPKfPKS8_SE_
; %bb.0:
	s_load_dword s3, s[0:1], 0x18
	v_bfe_u32 v1, v0, 10, 10
	v_and_b32_e32 v8, 0x3ff, v0
	s_lshl_b32 s2, s2, 4
	v_lshlrev_b32_e32 v1, 2, v1
	v_lshrrev_b32_e32 v0, 3, v8
	v_add3_u32 v2, s2, v1, v0
	s_waitcnt lgkmcnt(0)
	v_cmp_gt_i32_e32 vcc, s3, v2
	s_and_saveexec_b64 s[2:3], vcc
	s_cbranch_execz .LBB22_79
; %bb.1:
	s_load_dwordx2 s[2:3], s[0:1], 0x0
	s_load_dword s20, s[0:1], 0x30
	s_load_dwordx4 s[8:11], s[0:1], 0x50
	v_lshlrev_b32_e32 v0, 5, v2
	v_lshlrev_b32_e32 v3, 2, v8
	v_ashrrev_i32_e32 v1, 31, v0
	v_and_b32_e32 v12, 28, v3
	s_waitcnt lgkmcnt(0)
	v_lshl_add_u64 v[0:1], v[0:1], 2, s[2:3]
	v_lshlrev_b32_e32 v6, 2, v12
	v_mov_b32_e32 v7, 0
	v_lshl_add_u64 v[0:1], v[0:1], 0, v[6:7]
	global_load_dwordx4 v[14:17], v[0:1], off
	v_mov_b32_e32 v0, s8
	v_mov_b32_e32 v1, s9
	v_ashrrev_i32_e32 v3, 31, v2
	v_lshl_add_u64 v[0:1], v[2:3], 2, v[0:1]
	global_load_dword v0, v[0:1], off
	s_mov_b32 s6, 0x800000
	v_mov_b32_e32 v3, 0x4f800000
	s_mov_b32 s12, 0x3f317217
	s_mov_b32 s13, 0x7f800000
	v_mov_b32_e32 v6, 0x41b17218
	s_mov_b32 s9, 0x41a00000
	s_mov_b32 s14, 0xf800000
	v_mov_b32_e32 v9, 0x260
	s_cmp_gt_i32 s20, 0
	s_mov_b32 s8, 0
	v_mul_lo_u32 v2, v2, s20
	s_waitcnt vmcnt(1)
	v_mul_f32_e32 v1, 0x3fb8aa3b, v14
	v_mul_f32_e32 v5, 0x3fb8aa3b, v15
	v_exp_f32_e32 v4, v1
	v_exp_f32_e32 v5, v5
	v_mul_f32_e32 v10, 0x3fb8aa3b, v16
	v_mul_f32_e32 v11, 0x3fb8aa3b, v17
	v_exp_f32_e32 v10, v10
	v_exp_f32_e32 v11, v11
	v_pk_add_f32 v[4:5], v[4:5], 1.0 op_sel_hi:[1,0]
	s_waitcnt vmcnt(0)
	v_mul_lo_u32 v0, v0, s20
	v_cmp_gt_f32_e32 vcc, s6, v5
	v_pk_add_f32 v[10:11], v[10:11], 1.0 op_sel_hi:[1,0]
	v_cmp_gt_f32_e64 s[2:3], s6, v4
	v_cndmask_b32_e32 v13, 1.0, v3, vcc
	v_cmp_gt_f32_e64 s[4:5], s6, v11
	v_cndmask_b32_e64 v18, 1.0, v3, s[2:3]
	v_mul_f32_e32 v5, v5, v13
	v_cndmask_b32_e64 v19, 1.0, v3, s[4:5]
	v_cmp_gt_f32_e64 s[6:7], s6, v10
	v_mul_f32_e32 v4, v4, v18
	v_log_f32_e32 v5, v5
	v_cndmask_b32_e64 v3, 1.0, v3, s[6:7]
	v_mul_f32_e32 v11, v11, v19
	v_log_f32_e32 v4, v4
	v_mul_f32_e32 v3, v10, v3
	v_log_f32_e32 v10, v11
	v_mul_f32_e32 v11, 0x3f317217, v5
	v_mul_f32_e32 v20, 0x3f317217, v4
	v_fma_f32 v11, v5, s12, -v11
	v_mul_f32_e32 v21, 0x3f317217, v10
	v_fma_f32 v20, v4, s12, -v20
	v_fmac_f32_e32 v11, 0x3377d1cf, v5
	v_cndmask_b32_e32 v13, 0, v6, vcc
	v_fma_f32 v21, v10, s12, -v21
	v_fmac_f32_e32 v20, 0x3377d1cf, v4
	v_fmac_f32_e32 v11, 0x3f317217, v5
	v_cmp_lt_f32_e64 vcc, |v5|, s13
	v_fmac_f32_e32 v21, 0x3377d1cf, v10
	v_fmac_f32_e32 v20, 0x3f317217, v4
	v_cndmask_b32_e32 v5, v5, v11, vcc
	v_cmp_lt_f32_e64 vcc, |v4|, s13
	v_cndmask_b32_e64 v18, 0, v6, s[2:3]
	v_fmac_f32_e32 v21, 0x3f317217, v10
	v_cndmask_b32_e32 v4, v4, v20, vcc
	v_cmp_lt_f32_e64 vcc, |v10|, s13
	v_sub_f32_e32 v4, v4, v18
	v_sub_f32_e32 v5, v5, v13
	v_cndmask_b32_e32 v10, v10, v21, vcc
	v_cmp_lt_f32_e32 vcc, s9, v14
	v_cndmask_b32_e64 v19, 0, v6, s[4:5]
	v_log_f32_e32 v3, v3
	v_cndmask_b32_e32 v4, v4, v14, vcc
	v_cmp_lt_f32_e32 vcc, s9, v15
	v_mul_f32_e32 v13, 0x4f800000, v4
	v_cmp_gt_f32_e64 s[2:3], s14, v4
	v_cndmask_b32_e32 v5, v5, v15, vcc
	v_mul_f32_e32 v11, 0x4f800000, v5
	v_cmp_gt_f32_e32 vcc, s14, v5
	v_cndmask_b32_e64 v4, v4, v13, s[2:3]
	v_sqrt_f32_e32 v13, v4
	v_cndmask_b32_e32 v5, v5, v11, vcc
	v_sqrt_f32_e32 v11, v5
	v_sub_f32_e32 v10, v10, v19
	v_add_u32_e32 v18, -1, v13
	v_fma_f32 v23, -v18, v13, v4
	v_add_u32_e32 v14, -1, v11
	v_fma_f32 v20, -v14, v11, v5
	v_add_u32_e32 v15, 1, v11
	v_cmp_ge_f32_e64 s[4:5], 0, v20
	v_add_u32_e32 v19, 1, v13
	v_fma_f32 v21, -v15, v11, v5
	v_cndmask_b32_e64 v11, v11, v14, s[4:5]
	v_cmp_ge_f32_e64 s[4:5], 0, v23
	v_fma_f32 v24, -v19, v13, v4
	v_mul_f32_e32 v22, 0x3f317217, v3
	v_cndmask_b32_e64 v13, v13, v18, s[4:5]
	v_cmp_lt_f32_e64 s[4:5], 0, v21
	v_fma_f32 v22, v3, s12, -v22
	v_fmac_f32_e32 v22, 0x3377d1cf, v3
	v_cndmask_b32_e64 v11, v11, v15, s[4:5]
	v_cmp_lt_f32_e64 s[4:5], 0, v24
	v_mul_f32_e32 v14, 0x37800000, v11
	v_cndmask_b32_e32 v11, v11, v14, vcc
	v_cndmask_b32_e64 v13, v13, v19, s[4:5]
	v_mul_f32_e32 v15, 0x37800000, v13
	v_cmp_class_f32_e32 vcc, v5, v9
	v_cndmask_b32_e64 v13, v13, v15, s[2:3]
	v_fmac_f32_e32 v22, 0x3f317217, v3
	v_cndmask_b32_e32 v15, v11, v5, vcc
	v_cmp_class_f32_e32 vcc, v4, v9
	v_cmp_lt_f32_e64 s[2:3], s9, v16
	v_ashrrev_i32_e32 v1, 31, v0
	v_cndmask_b32_e32 v14, v13, v4, vcc
	v_cmp_lt_f32_e64 vcc, |v3|, s13
	v_cndmask_b32_e64 v4, 0, v6, s[6:7]
	s_cselect_b64 s[4:5], -1, 0
	v_cndmask_b32_e32 v3, v3, v22, vcc
	v_cmp_lt_f32_e32 vcc, s9, v17
	v_sub_f32_e32 v3, v3, v4
	v_cndmask_b32_e64 v3, v3, v16, s[2:3]
	v_cndmask_b32_e32 v5, v10, v17, vcc
	v_mul_f32_e32 v6, 0x4f800000, v5
	v_cmp_gt_f32_e32 vcc, s14, v5
	s_cmp_lt_i32 s20, 1
	s_nop 0
	v_cndmask_b32_e32 v5, v5, v6, vcc
	v_sqrt_f32_e32 v6, v5
	s_nop 0
	v_add_u32_e32 v4, -1, v6
	v_fma_f32 v10, -v4, v6, v5
	v_cmp_ge_f32_e64 s[2:3], 0, v10
	v_add_u32_e32 v10, 1, v6
	s_nop 0
	v_cndmask_b32_e64 v4, v6, v4, s[2:3]
	v_fma_f32 v6, -v10, v6, v5
	v_cmp_lt_f32_e64 s[2:3], 0, v6
	s_nop 1
	v_cndmask_b32_e64 v4, v4, v10, s[2:3]
	v_mul_f32_e32 v10, 0x4f800000, v3
	v_cmp_gt_f32_e64 s[2:3], s14, v3
	v_mul_f32_e32 v6, 0x37800000, v4
	v_cndmask_b32_e32 v4, v4, v6, vcc
	v_cndmask_b32_e64 v3, v3, v10, s[2:3]
	v_sqrt_f32_e32 v10, v3
	v_cmp_class_f32_e32 vcc, v5, v9
	s_nop 1
	v_cndmask_b32_e32 v17, v4, v5, vcc
	v_add_u32_e32 v4, -1, v10
	v_fma_f32 v5, -v4, v10, v3
	v_cmp_ge_f32_e32 vcc, 0, v5
	v_add_u32_e32 v5, 1, v10
	v_fma_f32 v6, -v5, v10, v3
	v_cndmask_b32_e32 v4, v10, v4, vcc
	v_cmp_lt_f32_e32 vcc, 0, v6
	s_nop 1
	v_cndmask_b32_e32 v4, v4, v5, vcc
	v_mul_f32_e32 v5, 0x37800000, v4
	v_cndmask_b32_e64 v4, v4, v5, s[2:3]
	v_cmp_class_f32_e32 vcc, v3, v9
	s_nop 1
	v_cndmask_b32_e32 v16, v4, v3, vcc
	v_lshl_add_u64 v[4:5], v[0:1], 2, s[10:11]
	scratch_store_dwordx4 off, v[14:17], off
	s_cbranch_scc1 .LBB22_28
; %bb.2:
	s_load_dwordx2 s[6:7], s[0:1], 0x20
	s_cmp_lt_u32 s20, 4
	v_and_b32_e32 v6, 7, v8
	s_cbranch_scc1 .LBB22_21
; %bb.3:
	v_lshlrev_b32_e32 v7, 2, v6
	s_mov_b32 s13, 0
	s_and_b32 s8, s20, 0x7ffffffc
	v_ashrrev_i32_e32 v3, 31, v2
	v_sub_u32_e32 v13, 0, v7
	v_mov_b32_e32 v7, 0
	s_mov_b32 s12, s13
	s_branch .LBB22_5
.LBB22_4:                               ;   in Loop: Header=BB22_5 Depth=1
	s_or_b64 exec, exec, s[14:15]
	s_add_i32 s12, s12, 4
	s_cmp_eq_u32 s12, s8
	s_cbranch_scc1 .LBB22_21
.LBB22_5:                               ; =>This Loop Header: Depth=1
                                        ;     Child Loop BB22_7 Depth 2
                                        ;     Child Loop BB22_11 Depth 2
	;; [unrolled: 1-line block ×4, first 2 shown]
	v_lshl_add_u64 v[8:9], s[12:13], 2, v[4:5]
	global_load_dword v14, v[8:9], off
	v_add_u32_e32 v10, s12, v2
	v_ashrrev_i32_e32 v11, 31, v10
	v_mov_b32_e32 v15, 0
	s_mov_b64 s[14:15], 0
	s_waitcnt lgkmcnt(0)
	v_lshl_add_u64 v[10:11], v[10:11], 2, s[6:7]
	s_mov_b32 s9, 0
	s_waitcnt vmcnt(0)
	v_add_u32_e32 v16, v13, v14
	s_branch .LBB22_7
.LBB22_6:                               ;   in Loop: Header=BB22_7 Depth=2
	s_or_b64 exec, exec, s[16:17]
	s_add_i32 s18, s9, 1
	s_cmp_gt_u32 s9, 2
	s_cselect_b64 s[2:3], -1, 0
	s_xor_b64 s[16:17], vcc, -1
	s_or_b64 s[2:3], s[16:17], s[2:3]
	s_and_b64 s[2:3], exec, s[2:3]
	v_add_u32_e32 v15, 4, v15
	s_or_b64 s[14:15], s[2:3], s[14:15]
	s_mov_b32 s9, s18
	s_andn2_b64 exec, exec, s[14:15]
	s_cbranch_execz .LBB22_9
.LBB22_7:                               ;   Parent Loop BB22_5 Depth=1
                                        ; =>  This Inner Loop Header: Depth=2
	v_cmp_ne_u32_e32 vcc, s9, v16
	v_cmp_eq_u32_e64 s[2:3], s9, v16
	s_and_saveexec_b64 s[16:17], s[2:3]
	s_cbranch_execz .LBB22_6
; %bb.8:                                ;   in Loop: Header=BB22_7 Depth=2
	scratch_load_dword v17, v15, off
	s_waitcnt vmcnt(0)
	v_add_f32_e32 v7, v7, v17
	global_store_dword v[10:11], v14, off
	s_branch .LBB22_6
.LBB22_9:                               ;   in Loop: Header=BB22_5 Depth=1
	s_or_b64 exec, exec, s[14:15]
	global_load_dword v14, v[8:9], off offset:4
	s_ashr_i32 s3, s12, 31
	s_mov_b32 s2, s12
	v_lshl_add_u64 v[10:11], s[2:3], 0, v[2:3]
	v_mov_b32_e32 v15, 0
	s_mov_b32 s9, 0
	v_lshl_add_u64 v[10:11], v[10:11], 2, s[6:7]
	s_mov_b64 s[14:15], 0
	s_waitcnt vmcnt(0)
	v_add_u32_e32 v16, v13, v14
	s_branch .LBB22_11
.LBB22_10:                              ;   in Loop: Header=BB22_11 Depth=2
	s_or_b64 exec, exec, s[16:17]
	s_add_i32 s18, s9, 1
	s_cmp_gt_u32 s9, 2
	s_cselect_b64 s[2:3], -1, 0
	s_xor_b64 s[16:17], vcc, -1
	s_or_b64 s[2:3], s[16:17], s[2:3]
	s_and_b64 s[2:3], exec, s[2:3]
	v_add_u32_e32 v15, 4, v15
	s_or_b64 s[14:15], s[2:3], s[14:15]
	s_mov_b32 s9, s18
	s_andn2_b64 exec, exec, s[14:15]
	s_cbranch_execz .LBB22_13
.LBB22_11:                              ;   Parent Loop BB22_5 Depth=1
                                        ; =>  This Inner Loop Header: Depth=2
	v_cmp_ne_u32_e32 vcc, s9, v16
	v_cmp_eq_u32_e64 s[2:3], s9, v16
	s_and_saveexec_b64 s[16:17], s[2:3]
	s_cbranch_execz .LBB22_10
; %bb.12:                               ;   in Loop: Header=BB22_11 Depth=2
	scratch_load_dword v17, v15, off
	s_waitcnt vmcnt(0)
	v_add_f32_e32 v7, v7, v17
	global_store_dword v[10:11], v14, off offset:4
	s_branch .LBB22_10
.LBB22_13:                              ;   in Loop: Header=BB22_5 Depth=1
	s_or_b64 exec, exec, s[14:15]
	global_load_dword v14, v[8:9], off offset:8
	v_mov_b32_e32 v15, 0
	s_mov_b32 s9, 0
	s_mov_b64 s[14:15], 0
	s_waitcnt vmcnt(0)
	v_add_u32_e32 v16, v13, v14
	s_branch .LBB22_15
.LBB22_14:                              ;   in Loop: Header=BB22_15 Depth=2
	s_or_b64 exec, exec, s[16:17]
	s_add_i32 s18, s9, 1
	s_cmp_gt_u32 s9, 2
	s_cselect_b64 s[2:3], -1, 0
	s_xor_b64 s[16:17], vcc, -1
	s_or_b64 s[2:3], s[16:17], s[2:3]
	s_and_b64 s[2:3], exec, s[2:3]
	v_add_u32_e32 v15, 4, v15
	s_or_b64 s[14:15], s[2:3], s[14:15]
	s_mov_b32 s9, s18
	s_andn2_b64 exec, exec, s[14:15]
	s_cbranch_execz .LBB22_17
.LBB22_15:                              ;   Parent Loop BB22_5 Depth=1
                                        ; =>  This Inner Loop Header: Depth=2
	v_cmp_ne_u32_e32 vcc, s9, v16
	v_cmp_eq_u32_e64 s[2:3], s9, v16
	s_and_saveexec_b64 s[16:17], s[2:3]
	s_cbranch_execz .LBB22_14
; %bb.16:                               ;   in Loop: Header=BB22_15 Depth=2
	scratch_load_dword v17, v15, off
	s_waitcnt vmcnt(0)
	v_add_f32_e32 v7, v7, v17
	global_store_dword v[10:11], v14, off offset:8
	s_branch .LBB22_14
.LBB22_17:                              ;   in Loop: Header=BB22_5 Depth=1
	s_or_b64 exec, exec, s[14:15]
	global_load_dword v8, v[8:9], off offset:12
	v_mov_b32_e32 v9, 0
	s_mov_b32 s9, 0
	s_mov_b64 s[14:15], 0
	s_waitcnt vmcnt(0)
	v_add_u32_e32 v14, v13, v8
	s_branch .LBB22_19
.LBB22_18:                              ;   in Loop: Header=BB22_19 Depth=2
	s_or_b64 exec, exec, s[16:17]
	s_add_i32 s18, s9, 1
	s_cmp_gt_u32 s9, 2
	s_cselect_b64 s[2:3], -1, 0
	s_xor_b64 s[16:17], vcc, -1
	s_or_b64 s[2:3], s[16:17], s[2:3]
	s_and_b64 s[2:3], exec, s[2:3]
	v_add_u32_e32 v9, 4, v9
	s_or_b64 s[14:15], s[2:3], s[14:15]
	s_mov_b32 s9, s18
	s_andn2_b64 exec, exec, s[14:15]
	s_cbranch_execz .LBB22_4
.LBB22_19:                              ;   Parent Loop BB22_5 Depth=1
                                        ; =>  This Inner Loop Header: Depth=2
	v_cmp_ne_u32_e32 vcc, s9, v14
	v_cmp_eq_u32_e64 s[2:3], s9, v14
	s_and_saveexec_b64 s[16:17], s[2:3]
	s_cbranch_execz .LBB22_18
; %bb.20:                               ;   in Loop: Header=BB22_19 Depth=2
	scratch_load_dword v15, v9, off
	s_waitcnt vmcnt(0)
	v_add_f32_e32 v7, v7, v15
	global_store_dword v[10:11], v8, off offset:12
	s_branch .LBB22_18
.LBB22_21:
	s_and_b32 s16, s20, 3
	s_cmp_eq_u32 s16, 0
	s_mov_b32 s9, 0
	s_cbranch_scc1 .LBB22_28
; %bb.22:
	v_lshlrev_b32_e32 v3, 2, v6
	v_sub_u32_e32 v3, 0, v3
	s_mov_b32 s17, s9
	s_branch .LBB22_24
.LBB22_23:                              ;   in Loop: Header=BB22_24 Depth=1
	s_or_b64 exec, exec, s[12:13]
	s_add_i32 s8, s8, 1
	s_add_i32 s17, s17, 1
	s_cmp_lg_u32 s17, s16
	s_cbranch_scc0 .LBB22_28
.LBB22_24:                              ; =>This Loop Header: Depth=1
                                        ;     Child Loop BB22_26 Depth 2
	v_lshl_add_u64 v[8:9], s[8:9], 2, v[4:5]
	global_load_dword v6, v[8:9], off
	v_add_u32_e32 v8, s8, v2
	v_ashrrev_i32_e32 v9, 31, v8
	v_mov_b32_e32 v10, 0
	s_mov_b32 s18, 0
	s_waitcnt lgkmcnt(0)
	v_lshl_add_u64 v[8:9], v[8:9], 2, s[6:7]
	s_mov_b64 s[12:13], 0
	s_waitcnt vmcnt(0)
	v_add_u32_e32 v11, v3, v6
	s_branch .LBB22_26
.LBB22_25:                              ;   in Loop: Header=BB22_26 Depth=2
	s_or_b64 exec, exec, s[14:15]
	s_add_i32 s19, s18, 1
	s_cmp_gt_u32 s18, 2
	s_cselect_b64 s[2:3], -1, 0
	s_xor_b64 s[14:15], vcc, -1
	s_or_b64 s[2:3], s[14:15], s[2:3]
	s_and_b64 s[2:3], exec, s[2:3]
	v_add_u32_e32 v10, 4, v10
	s_or_b64 s[12:13], s[2:3], s[12:13]
	s_mov_b32 s18, s19
	s_andn2_b64 exec, exec, s[12:13]
	s_cbranch_execz .LBB22_23
.LBB22_26:                              ;   Parent Loop BB22_24 Depth=1
                                        ; =>  This Inner Loop Header: Depth=2
	v_cmp_ne_u32_e32 vcc, s18, v11
	v_cmp_eq_u32_e64 s[2:3], s18, v11
	s_and_saveexec_b64 s[14:15], s[2:3]
	s_cbranch_execz .LBB22_25
; %bb.27:                               ;   in Loop: Header=BB22_26 Depth=2
	scratch_load_dword v13, v10, off
	s_waitcnt vmcnt(0)
	v_add_f32_e32 v7, v7, v13
	global_store_dword v[8:9], v6, off
	s_branch .LBB22_25
.LBB22_28:
	s_waitcnt lgkmcnt(0)
	s_load_dword s6, s[0:1], 0x3c
	s_waitcnt lgkmcnt(0)
	s_bitcmp1_b32 s6, 0
	s_cselect_b64 s[2:3], -1, 0
	s_bitcmp0_b32 s6, 0
	s_cbranch_scc0 .LBB22_31
; %bb.29:
	s_load_dwordx2 s[6:7], s[0:1], 0x40
	s_andn2_b64 vcc, exec, s[2:3]
	s_waitcnt lgkmcnt(0)
	v_cvt_f32_f64_e32 v10, s[6:7]
	s_cbranch_vccz .LBB22_32
.LBB22_30:
	s_andn2_b64 vcc, exec, s[4:5]
	s_cbranch_vccz .LBB22_33
	s_branch .LBB22_79
.LBB22_31:
	v_mbcnt_lo_u32_b32 v3, -1, 0
	v_mbcnt_hi_u32_b32 v3, -1, v3
	v_and_b32_e32 v6, 0x78, v3
	v_add_u32_e32 v6, 8, v6
	v_xor_b32_e32 v8, 4, v3
	v_cmp_lt_i32_e32 vcc, v8, v6
	v_xor_b32_e32 v9, 2, v3
	s_nop 0
	v_cndmask_b32_e32 v8, v3, v8, vcc
	v_lshlrev_b32_e32 v8, 2, v8
	ds_bpermute_b32 v8, v8, v7
	v_cmp_lt_i32_e32 vcc, v9, v6
	s_waitcnt lgkmcnt(0)
	v_add_f32_e32 v7, v7, v8
	v_cndmask_b32_e32 v8, v3, v9, vcc
	v_lshlrev_b32_e32 v8, 2, v8
	ds_bpermute_b32 v8, v8, v7
	v_xor_b32_e32 v9, 1, v3
	v_cmp_lt_i32_e32 vcc, v9, v6
	s_waitcnt lgkmcnt(0)
	v_add_f32_e32 v7, v7, v8
	v_cndmask_b32_e32 v3, v3, v9, vcc
	v_lshlrev_b32_e32 v3, 2, v3
	ds_bpermute_b32 v3, v3, v7
	s_waitcnt lgkmcnt(0)
	v_add_f32_e32 v7, v7, v3
	s_load_dwordx2 s[6:7], s[0:1], 0x40
	s_andn2_b64 vcc, exec, s[2:3]
	s_waitcnt lgkmcnt(0)
	v_cvt_f32_f64_e32 v10, s[6:7]
	s_cbranch_vccnz .LBB22_30
.LBB22_32:
	v_cmp_lt_f32_e32 vcc, 0, v7
	s_nop 1
	v_cndmask_b32_e32 v3, 1.0, v7, vcc
	v_div_scale_f32 v6, s[2:3], v3, v3, v10
	v_rcp_f32_e32 v7, v6
	s_nop 0
	v_fma_f32 v8, -v6, v7, 1.0
	v_fmac_f32_e32 v7, v8, v7
	v_div_scale_f32 v8, vcc, v10, v3, v10
	v_mul_f32_e32 v9, v8, v7
	v_fma_f32 v11, -v6, v9, v8
	v_fmac_f32_e32 v9, v11, v7
	v_fma_f32 v6, -v6, v9, v8
	v_div_fmas_f32 v6, v6, v7, v9
	v_div_fixup_f32 v10, v6, v3, v10
	s_andn2_b64 vcc, exec, s[4:5]
	s_cbranch_vccnz .LBB22_79
.LBB22_33:
	s_load_dwordx2 s[4:5], s[0:1], 0x10
	v_mov_b32_e32 v3, 0
	v_or_b32_e32 v11, 4, v3
	v_or_b32_e32 v13, 8, v3
	;; [unrolled: 1-line block ×6, first 2 shown]
	s_cmp_lt_u32 s20, 4
	s_mov_b32 s6, 0
	s_cbranch_scc1 .LBB22_68
; %bb.34:
	v_ashrrev_i32_e32 v3, 31, v2
	s_and_b32 s6, s20, 0x7ffffffc
	s_waitcnt lgkmcnt(0)
	v_lshl_add_u64 v[6:7], v[2:3], 2, s[4:5]
	s_mov_b32 s7, 0
	s_mov_b64 s[8:9], 0
	s_branch .LBB22_36
.LBB22_35:                              ;   in Loop: Header=BB22_36 Depth=1
	s_or_b64 exec, exec, s[2:3]
	s_add_i32 s7, s7, 4
	s_add_u32 s8, s8, 16
	s_addc_u32 s9, s9, 0
	s_cmp_eq_u32 s6, s7
	s_cbranch_scc1 .LBB22_68
.LBB22_36:                              ; =>This Inner Loop Header: Depth=1
	v_lshl_add_u64 v[8:9], v[4:5], 0, s[8:9]
	global_load_dword v18, v[8:9], off
	v_mov_b32_e32 v3, 0
	s_waitcnt vmcnt(0)
	v_cmp_eq_u32_e32 vcc, v18, v12
	v_cmp_ne_u32_e64 s[0:1], v18, v12
	s_and_saveexec_b64 s[12:13], s[0:1]
	s_cbranch_execz .LBB22_42
; %bb.37:                               ;   in Loop: Header=BB22_36 Depth=1
	v_cmp_eq_u32_e64 s[0:1], v18, v15
	v_cmp_ne_u32_e64 s[2:3], v18, v15
	v_mov_b32_e32 v3, v11
	s_and_saveexec_b64 s[14:15], s[2:3]
	s_cbranch_execz .LBB22_41
; %bb.38:                               ;   in Loop: Header=BB22_36 Depth=1
	v_cmp_eq_u32_e64 s[16:17], v18, v16
	v_cmp_ne_u32_e64 s[2:3], v18, v16
	v_mov_b32_e32 v3, v13
	s_and_saveexec_b64 s[18:19], s[2:3]
	s_xor_b64 s[18:19], exec, s[18:19]
; %bb.39:                               ;   in Loop: Header=BB22_36 Depth=1
	v_cmp_eq_u32_e64 s[2:3], v18, v17
	s_andn2_b64 s[16:17], s[16:17], exec
	s_and_b64 s[2:3], s[2:3], exec
	s_or_b64 s[16:17], s[16:17], s[2:3]
	v_mov_b32_e32 v3, v14
; %bb.40:                               ;   in Loop: Header=BB22_36 Depth=1
	s_or_b64 exec, exec, s[18:19]
	s_andn2_b64 s[0:1], s[0:1], exec
	s_and_b64 s[2:3], s[16:17], exec
	s_or_b64 s[0:1], s[0:1], s[2:3]
.LBB22_41:                              ;   in Loop: Header=BB22_36 Depth=1
	s_or_b64 exec, exec, s[14:15]
	s_andn2_b64 s[2:3], vcc, exec
	s_and_b64 s[0:1], s[0:1], exec
	s_or_b64 vcc, s[2:3], s[0:1]
.LBB22_42:                              ;   in Loop: Header=BB22_36 Depth=1
	s_or_b64 exec, exec, s[12:13]
	s_and_saveexec_b64 s[0:1], vcc
	s_cbranch_execz .LBB22_44
; %bb.43:                               ;   in Loop: Header=BB22_36 Depth=1
	scratch_load_dword v3, v3, off
	v_add_u32_e32 v18, s7, v2
	v_ashrrev_i32_e32 v19, 31, v18
	v_lshl_add_u64 v[18:19], v[18:19], 2, s[4:5]
	s_waitcnt vmcnt(0)
	v_mul_f32_e32 v3, v10, v3
	global_store_dword v[18:19], v3, off
.LBB22_44:                              ;   in Loop: Header=BB22_36 Depth=1
	s_or_b64 exec, exec, s[0:1]
	global_load_dword v18, v[8:9], off offset:4
	v_mov_b32_e32 v3, 0
	s_waitcnt vmcnt(0)
	v_cmp_eq_u32_e64 s[0:1], v18, v12
	v_cmp_ne_u32_e32 vcc, v18, v12
	s_and_saveexec_b64 s[2:3], vcc
	s_cbranch_execz .LBB22_50
; %bb.45:                               ;   in Loop: Header=BB22_36 Depth=1
	v_cmp_eq_u32_e64 s[12:13], v18, v15
	v_cmp_ne_u32_e32 vcc, v18, v15
	v_mov_b32_e32 v3, v11
	s_and_saveexec_b64 s[14:15], vcc
	s_cbranch_execz .LBB22_49
; %bb.46:                               ;   in Loop: Header=BB22_36 Depth=1
	v_cmp_eq_u32_e64 s[16:17], v18, v16
	v_cmp_ne_u32_e32 vcc, v18, v16
	v_mov_b32_e32 v3, v13
	s_and_saveexec_b64 s[18:19], vcc
; %bb.47:                               ;   in Loop: Header=BB22_36 Depth=1
	v_cmp_eq_u32_e32 vcc, v18, v17
	s_andn2_b64 s[16:17], s[16:17], exec
	s_and_b64 s[22:23], vcc, exec
	s_or_b64 s[16:17], s[16:17], s[22:23]
	v_mov_b32_e32 v3, v14
; %bb.48:                               ;   in Loop: Header=BB22_36 Depth=1
	s_or_b64 exec, exec, s[18:19]
	s_andn2_b64 s[12:13], s[12:13], exec
	s_and_b64 s[16:17], s[16:17], exec
	s_or_b64 s[12:13], s[12:13], s[16:17]
.LBB22_49:                              ;   in Loop: Header=BB22_36 Depth=1
	s_or_b64 exec, exec, s[14:15]
	s_andn2_b64 s[0:1], s[0:1], exec
	s_and_b64 s[12:13], s[12:13], exec
	s_or_b64 s[0:1], s[0:1], s[12:13]
.LBB22_50:                              ;   in Loop: Header=BB22_36 Depth=1
	s_or_b64 exec, exec, s[2:3]
	s_and_saveexec_b64 s[2:3], s[0:1]
	s_cbranch_execz .LBB22_52
; %bb.51:                               ;   in Loop: Header=BB22_36 Depth=1
	scratch_load_dword v3, v3, off
	v_lshl_add_u64 v[18:19], v[6:7], 0, s[8:9]
	s_waitcnt vmcnt(0)
	v_mul_f32_e32 v3, v10, v3
	global_store_dword v[18:19], v3, off offset:4
.LBB22_52:                              ;   in Loop: Header=BB22_36 Depth=1
	s_or_b64 exec, exec, s[2:3]
	global_load_dword v18, v[8:9], off offset:8
	v_mov_b32_e32 v3, 0
	s_waitcnt vmcnt(0)
	v_cmp_eq_u32_e64 s[0:1], v18, v12
	v_cmp_ne_u32_e32 vcc, v18, v12
	s_and_saveexec_b64 s[2:3], vcc
	s_cbranch_execz .LBB22_58
; %bb.53:                               ;   in Loop: Header=BB22_36 Depth=1
	v_cmp_eq_u32_e64 s[12:13], v18, v15
	v_cmp_ne_u32_e32 vcc, v18, v15
	v_mov_b32_e32 v3, v11
	s_and_saveexec_b64 s[14:15], vcc
	s_cbranch_execz .LBB22_57
; %bb.54:                               ;   in Loop: Header=BB22_36 Depth=1
	v_cmp_eq_u32_e64 s[16:17], v18, v16
	v_cmp_ne_u32_e32 vcc, v18, v16
	v_mov_b32_e32 v3, v13
	s_and_saveexec_b64 s[18:19], vcc
; %bb.55:                               ;   in Loop: Header=BB22_36 Depth=1
	v_cmp_eq_u32_e32 vcc, v18, v17
	s_andn2_b64 s[16:17], s[16:17], exec
	s_and_b64 s[22:23], vcc, exec
	s_or_b64 s[16:17], s[16:17], s[22:23]
	v_mov_b32_e32 v3, v14
; %bb.56:                               ;   in Loop: Header=BB22_36 Depth=1
	s_or_b64 exec, exec, s[18:19]
	s_andn2_b64 s[12:13], s[12:13], exec
	s_and_b64 s[16:17], s[16:17], exec
	s_or_b64 s[12:13], s[12:13], s[16:17]
.LBB22_57:                              ;   in Loop: Header=BB22_36 Depth=1
	s_or_b64 exec, exec, s[14:15]
	s_andn2_b64 s[0:1], s[0:1], exec
	s_and_b64 s[12:13], s[12:13], exec
	s_or_b64 s[0:1], s[0:1], s[12:13]
.LBB22_58:                              ;   in Loop: Header=BB22_36 Depth=1
	s_or_b64 exec, exec, s[2:3]
	s_and_saveexec_b64 s[2:3], s[0:1]
	s_cbranch_execz .LBB22_60
; %bb.59:                               ;   in Loop: Header=BB22_36 Depth=1
	scratch_load_dword v3, v3, off
	v_lshl_add_u64 v[18:19], v[6:7], 0, s[8:9]
	s_waitcnt vmcnt(0)
	v_mul_f32_e32 v3, v10, v3
	global_store_dword v[18:19], v3, off offset:8
.LBB22_60:                              ;   in Loop: Header=BB22_36 Depth=1
	s_or_b64 exec, exec, s[2:3]
	global_load_dword v8, v[8:9], off offset:12
	v_mov_b32_e32 v3, 0
	s_waitcnt vmcnt(0)
	v_cmp_eq_u32_e64 s[0:1], v8, v12
	v_cmp_ne_u32_e32 vcc, v8, v12
	s_and_saveexec_b64 s[2:3], vcc
	s_cbranch_execz .LBB22_66
; %bb.61:                               ;   in Loop: Header=BB22_36 Depth=1
	v_cmp_eq_u32_e64 s[12:13], v8, v15
	v_cmp_ne_u32_e32 vcc, v8, v15
	v_mov_b32_e32 v3, v11
	s_and_saveexec_b64 s[14:15], vcc
	s_cbranch_execz .LBB22_65
; %bb.62:                               ;   in Loop: Header=BB22_36 Depth=1
	v_cmp_eq_u32_e64 s[16:17], v8, v16
	v_cmp_ne_u32_e32 vcc, v8, v16
	v_mov_b32_e32 v3, v13
	s_and_saveexec_b64 s[18:19], vcc
; %bb.63:                               ;   in Loop: Header=BB22_36 Depth=1
	v_cmp_eq_u32_e32 vcc, v8, v17
	s_andn2_b64 s[16:17], s[16:17], exec
	s_and_b64 s[22:23], vcc, exec
	s_or_b64 s[16:17], s[16:17], s[22:23]
	v_mov_b32_e32 v3, v14
; %bb.64:                               ;   in Loop: Header=BB22_36 Depth=1
	s_or_b64 exec, exec, s[18:19]
	s_andn2_b64 s[12:13], s[12:13], exec
	s_and_b64 s[16:17], s[16:17], exec
	s_or_b64 s[12:13], s[12:13], s[16:17]
.LBB22_65:                              ;   in Loop: Header=BB22_36 Depth=1
	s_or_b64 exec, exec, s[14:15]
	s_andn2_b64 s[0:1], s[0:1], exec
	s_and_b64 s[12:13], s[12:13], exec
	s_or_b64 s[0:1], s[0:1], s[12:13]
.LBB22_66:                              ;   in Loop: Header=BB22_36 Depth=1
	s_or_b64 exec, exec, s[2:3]
	s_and_saveexec_b64 s[2:3], s[0:1]
	s_cbranch_execz .LBB22_35
; %bb.67:                               ;   in Loop: Header=BB22_36 Depth=1
	scratch_load_dword v3, v3, off
	v_lshl_add_u64 v[8:9], v[6:7], 0, s[8:9]
	s_waitcnt vmcnt(0)
	v_mul_f32_e32 v3, v10, v3
	global_store_dword v[8:9], v3, off offset:12
	s_branch .LBB22_35
.LBB22_68:
	s_and_b32 s14, s20, 3
	s_cmp_eq_u32 s14, 0
	s_mov_b32 s7, 0
	s_cbranch_scc1 .LBB22_79
; %bb.69:
	s_lshl_b64 s[0:1], s[6:7], 2
	s_add_u32 s0, s10, s0
	s_addc_u32 s1, s11, s1
	v_add_u32_e32 v2, s6, v2
	v_lshl_add_u64 v[0:1], v[0:1], 2, s[0:1]
	s_branch .LBB22_71
.LBB22_70:                              ;   in Loop: Header=BB22_71 Depth=1
	s_or_b64 exec, exec, s[2:3]
	s_add_i32 s14, s14, -1
	v_add_u32_e32 v2, 1, v2
	s_cmp_lg_u32 s14, 0
	v_lshl_add_u64 v[0:1], v[0:1], 0, 4
	s_cbranch_scc0 .LBB22_79
.LBB22_71:                              ; =>This Inner Loop Header: Depth=1
	global_load_dword v4, v[0:1], off
	v_mov_b32_e32 v3, 0
	s_waitcnt vmcnt(0)
	v_cmp_eq_u32_e64 s[0:1], v4, v12
	v_cmp_ne_u32_e32 vcc, v4, v12
	s_and_saveexec_b64 s[2:3], vcc
	s_cbranch_execz .LBB22_77
; %bb.72:                               ;   in Loop: Header=BB22_71 Depth=1
	v_cmp_eq_u32_e64 s[6:7], v4, v15
	v_cmp_ne_u32_e32 vcc, v4, v15
	v_mov_b32_e32 v3, v11
	s_and_saveexec_b64 s[8:9], vcc
	s_cbranch_execz .LBB22_76
; %bb.73:                               ;   in Loop: Header=BB22_71 Depth=1
	v_cmp_eq_u32_e64 s[10:11], v4, v16
	v_cmp_ne_u32_e32 vcc, v4, v16
	v_mov_b32_e32 v3, v13
	s_and_saveexec_b64 s[12:13], vcc
; %bb.74:                               ;   in Loop: Header=BB22_71 Depth=1
	v_cmp_eq_u32_e32 vcc, v4, v17
	s_andn2_b64 s[10:11], s[10:11], exec
	s_and_b64 s[16:17], vcc, exec
	s_or_b64 s[10:11], s[10:11], s[16:17]
	v_mov_b32_e32 v3, v14
; %bb.75:                               ;   in Loop: Header=BB22_71 Depth=1
	s_or_b64 exec, exec, s[12:13]
	s_andn2_b64 s[6:7], s[6:7], exec
	s_and_b64 s[10:11], s[10:11], exec
	s_or_b64 s[6:7], s[6:7], s[10:11]
.LBB22_76:                              ;   in Loop: Header=BB22_71 Depth=1
	s_or_b64 exec, exec, s[8:9]
	s_andn2_b64 s[0:1], s[0:1], exec
	s_and_b64 s[6:7], s[6:7], exec
	s_or_b64 s[0:1], s[0:1], s[6:7]
.LBB22_77:                              ;   in Loop: Header=BB22_71 Depth=1
	s_or_b64 exec, exec, s[2:3]
	s_and_saveexec_b64 s[2:3], s[0:1]
	s_cbranch_execz .LBB22_70
; %bb.78:                               ;   in Loop: Header=BB22_71 Depth=1
	scratch_load_dword v4, v3, off
	v_ashrrev_i32_e32 v3, 31, v2
	s_waitcnt vmcnt(0)
	v_mul_f32_e32 v6, v10, v4
	s_waitcnt lgkmcnt(0)
	v_lshl_add_u64 v[4:5], v[2:3], 2, s[4:5]
	global_store_dword v[4:5], v6, off
	s_branch .LBB22_70
.LBB22_79:
	s_endpgm
	.section	.rodata,"a",@progbits
	.p2align	6, 0x0
	.amdhsa_kernel _ZN4vllm3moe22topkGatingSoftplusSqrtILi4ELi32ELi4ELi16ELi32ELb1EifEEvPKT6_PKbPfiPT5_PiiiibdPKfPKS8_SE_
		.amdhsa_group_segment_fixed_size 0
		.amdhsa_private_segment_fixed_size 32
		.amdhsa_kernarg_size 96
		.amdhsa_user_sgpr_count 2
		.amdhsa_user_sgpr_dispatch_ptr 0
		.amdhsa_user_sgpr_queue_ptr 0
		.amdhsa_user_sgpr_kernarg_segment_ptr 1
		.amdhsa_user_sgpr_dispatch_id 0
		.amdhsa_user_sgpr_kernarg_preload_length 0
		.amdhsa_user_sgpr_kernarg_preload_offset 0
		.amdhsa_user_sgpr_private_segment_size 0
		.amdhsa_uses_dynamic_stack 0
		.amdhsa_enable_private_segment 1
		.amdhsa_system_sgpr_workgroup_id_x 1
		.amdhsa_system_sgpr_workgroup_id_y 0
		.amdhsa_system_sgpr_workgroup_id_z 0
		.amdhsa_system_sgpr_workgroup_info 0
		.amdhsa_system_vgpr_workitem_id 1
		.amdhsa_next_free_vgpr 25
		.amdhsa_next_free_sgpr 24
		.amdhsa_accum_offset 28
		.amdhsa_reserve_vcc 1
		.amdhsa_float_round_mode_32 0
		.amdhsa_float_round_mode_16_64 0
		.amdhsa_float_denorm_mode_32 3
		.amdhsa_float_denorm_mode_16_64 3
		.amdhsa_dx10_clamp 1
		.amdhsa_ieee_mode 1
		.amdhsa_fp16_overflow 0
		.amdhsa_tg_split 0
		.amdhsa_exception_fp_ieee_invalid_op 0
		.amdhsa_exception_fp_denorm_src 0
		.amdhsa_exception_fp_ieee_div_zero 0
		.amdhsa_exception_fp_ieee_overflow 0
		.amdhsa_exception_fp_ieee_underflow 0
		.amdhsa_exception_fp_ieee_inexact 0
		.amdhsa_exception_int_div_zero 0
	.end_amdhsa_kernel
	.section	.text._ZN4vllm3moe22topkGatingSoftplusSqrtILi4ELi32ELi4ELi16ELi32ELb1EifEEvPKT6_PKbPfiPT5_PiiiibdPKfPKS8_SE_,"axG",@progbits,_ZN4vllm3moe22topkGatingSoftplusSqrtILi4ELi32ELi4ELi16ELi32ELb1EifEEvPKT6_PKbPfiPT5_PiiiibdPKfPKS8_SE_,comdat
.Lfunc_end22:
	.size	_ZN4vllm3moe22topkGatingSoftplusSqrtILi4ELi32ELi4ELi16ELi32ELb1EifEEvPKT6_PKbPfiPT5_PiiiibdPKfPKS8_SE_, .Lfunc_end22-_ZN4vllm3moe22topkGatingSoftplusSqrtILi4ELi32ELi4ELi16ELi32ELb1EifEEvPKT6_PKbPfiPT5_PiiiibdPKfPKS8_SE_
                                        ; -- End function
	.section	.AMDGPU.csdata,"",@progbits
; Kernel info:
; codeLenInByte = 3420
; NumSgprs: 30
; NumVgprs: 25
; NumAgprs: 0
; TotalNumVgprs: 25
; ScratchSize: 32
; MemoryBound: 0
; FloatMode: 240
; IeeeMode: 1
; LDSByteSize: 0 bytes/workgroup (compile time only)
; SGPRBlocks: 3
; VGPRBlocks: 3
; NumSGPRsForWavesPerEU: 30
; NumVGPRsForWavesPerEU: 25
; AccumOffset: 28
; Occupancy: 8
; WaveLimiterHint : 1
; COMPUTE_PGM_RSRC2:SCRATCH_EN: 1
; COMPUTE_PGM_RSRC2:USER_SGPR: 2
; COMPUTE_PGM_RSRC2:TRAP_HANDLER: 0
; COMPUTE_PGM_RSRC2:TGID_X_EN: 1
; COMPUTE_PGM_RSRC2:TGID_Y_EN: 0
; COMPUTE_PGM_RSRC2:TGID_Z_EN: 0
; COMPUTE_PGM_RSRC2:TIDIG_COMP_CNT: 1
; COMPUTE_PGM_RSRC3_GFX90A:ACCUM_OFFSET: 6
; COMPUTE_PGM_RSRC3_GFX90A:TG_SPLIT: 0
	.section	.text._ZN4vllm3moe22topkGatingSoftplusSqrtILi4ELi32ELi4ELi16ELi32ELb0EifEEvPKT6_PKbPfiPT5_PiiiibdPKfPKS8_SE_,"axG",@progbits,_ZN4vllm3moe22topkGatingSoftplusSqrtILi4ELi32ELi4ELi16ELi32ELb0EifEEvPKT6_PKbPfiPT5_PiiiibdPKfPKS8_SE_,comdat
	.protected	_ZN4vllm3moe22topkGatingSoftplusSqrtILi4ELi32ELi4ELi16ELi32ELb0EifEEvPKT6_PKbPfiPT5_PiiiibdPKfPKS8_SE_ ; -- Begin function _ZN4vllm3moe22topkGatingSoftplusSqrtILi4ELi32ELi4ELi16ELi32ELb0EifEEvPKT6_PKbPfiPT5_PiiiibdPKfPKS8_SE_
	.globl	_ZN4vllm3moe22topkGatingSoftplusSqrtILi4ELi32ELi4ELi16ELi32ELb0EifEEvPKT6_PKbPfiPT5_PiiiibdPKfPKS8_SE_
	.p2align	8
	.type	_ZN4vllm3moe22topkGatingSoftplusSqrtILi4ELi32ELi4ELi16ELi32ELb0EifEEvPKT6_PKbPfiPT5_PiiiibdPKfPKS8_SE_,@function
_ZN4vllm3moe22topkGatingSoftplusSqrtILi4ELi32ELi4ELi16ELi32ELb0EifEEvPKT6_PKbPfiPT5_PiiiibdPKfPKS8_SE_: ; @_ZN4vllm3moe22topkGatingSoftplusSqrtILi4ELi32ELi4ELi16ELi32ELb0EifEEvPKT6_PKbPfiPT5_PiiiibdPKfPKS8_SE_
; %bb.0:
	s_load_dword s30, s[2:3], 0x18
	v_and_b32_e32 v1, 0x3ff, v0
	v_bfe_u32 v4, v0, 10, 10
	s_lshl_b32 s4, s4, 4
	v_lshlrev_b32_e32 v2, 2, v4
	v_lshrrev_b32_e32 v3, 3, v1
	v_add3_u32 v2, s4, v2, v3
	s_waitcnt lgkmcnt(0)
	v_cmp_gt_i32_e32 vcc, s30, v2
	s_and_saveexec_b64 s[4:5], vcc
	s_cbranch_execz .LBB23_47
; %bb.1:
	s_load_dwordx4 s[4:7], s[2:3], 0x0
	s_load_dwordx2 s[20:21], s[2:3], 0x10
	s_waitcnt lgkmcnt(0)
	s_cmp_eq_u64 s[6:7], 0
	s_cbranch_scc1 .LBB23_3
; %bb.2:
	v_ashrrev_i32_e32 v3, 31, v2
	v_lshl_add_u64 v[6:7], s[6:7], 0, v[2:3]
	global_load_ubyte v3, v[6:7], off
	s_waitcnt vmcnt(0)
	v_and_b32_e32 v3, 1, v3
	v_cmp_eq_u32_e32 vcc, 1, v3
	s_xor_b64 s[6:7], vcc, -1
	s_orn2_b64 s[22:23], s[6:7], exec
	s_branch .LBB23_4
.LBB23_3:
	s_mov_b64 s[22:23], -1
.LBB23_4:
	v_lshlrev_b32_e32 v8, 5, v2
	v_mov_b32_e32 v6, s4
	v_mov_b32_e32 v7, s5
	v_ashrrev_i32_e32 v9, 31, v8
	v_and_b32_e32 v3, 7, v1
	v_lshl_add_u64 v[6:7], v[8:9], 2, v[6:7]
	v_mov_b32_e32 v9, 0
	v_lshlrev_b32_e32 v8, 4, v3
	v_lshl_add_u64 v[6:7], v[6:7], 0, v[8:9]
	global_load_dwordx4 v[6:9], v[6:7], off
	s_load_dwordx2 s[4:5], s[0:1], 0x4
	s_load_dwordx4 s[8:11], s[2:3], 0x40
	v_bfe_u32 v0, v0, 20, 10
	s_mov_b32 s16, 0x800000
	s_mov_b32 s13, 0x3f317217
	s_waitcnt lgkmcnt(0)
	s_lshr_b32 s0, s4, 16
	v_mul_u32_u24_e32 v4, s5, v4
	s_mul_i32 s0, s0, s5
	v_mad_u32_u24 v1, s0, v1, v4
	v_add_lshl_u32 v4, v1, v0, 4
	s_mov_b32 s14, 0x7f800000
	s_mov_b32 s12, 0x41a00000
	s_mov_b32 s15, 0xf800000
	s_cmp_lg_u64 s[10:11], 0
	v_mov_b32_e32 v1, 0x260
	s_cselect_b64 s[6:7], -1, 0
	s_and_b64 s[0:1], exec, s[6:7]
	s_waitcnt vmcnt(0)
	ds_write_b128 v4, v[6:9]
	ds_read_b32 v8, v4
	v_mov_b32_e32 v6, 0x4f800000
	v_mov_b32_e32 v7, 0x41b17218
	s_waitcnt lgkmcnt(0)
	v_mul_f32_e32 v0, 0x3fb8aa3b, v8
	v_exp_f32_e32 v0, v0
	s_nop 0
	v_add_f32_e32 v0, 1.0, v0
	v_cmp_gt_f32_e32 vcc, s16, v0
	s_nop 1
	v_cndmask_b32_e32 v5, 1.0, v6, vcc
	v_mul_f32_e32 v0, v0, v5
	v_log_f32_e32 v9, v0
	v_cndmask_b32_e32 v10, 0, v7, vcc
	v_lshlrev_b32_e32 v5, 2, v3
	v_lshlrev_b32_e32 v0, 2, v5
	v_mul_f32_e32 v11, 0x3f317217, v9
	v_fma_f32 v11, v9, s13, -v11
	v_fmac_f32_e32 v11, 0x3377d1cf, v9
	v_fmac_f32_e32 v11, 0x3f317217, v9
	v_cmp_lt_f32_e64 vcc, |v9|, s14
	s_nop 1
	v_cndmask_b32_e32 v9, v9, v11, vcc
	v_sub_f32_e32 v9, v9, v10
	v_cmp_lt_f32_e32 vcc, s12, v8
	s_nop 1
	v_cndmask_b32_e32 v8, v9, v8, vcc
	v_mul_f32_e32 v9, 0x4f800000, v8
	v_cmp_gt_f32_e32 vcc, s15, v8
	s_nop 1
	v_cndmask_b32_e32 v8, v8, v9, vcc
	v_sqrt_f32_e32 v9, v8
	s_nop 0
	v_add_u32_e32 v10, -1, v9
	v_add_u32_e32 v11, 1, v9
	v_fma_f32 v12, -v10, v9, v8
	v_fma_f32 v13, -v11, v9, v8
	v_cmp_ge_f32_e64 s[4:5], 0, v12
	s_nop 1
	v_cndmask_b32_e64 v9, v9, v10, s[4:5]
	v_cmp_lt_f32_e64 s[4:5], 0, v13
	s_nop 1
	v_cndmask_b32_e64 v9, v9, v11, s[4:5]
	v_mul_f32_e32 v10, 0x37800000, v9
	v_cndmask_b32_e32 v9, v9, v10, vcc
	v_cmp_class_f32_e32 vcc, v8, v1
	s_nop 1
	v_cndmask_b32_e32 v8, v9, v8, vcc
	s_mov_b64 vcc, s[0:1]
	s_cbranch_vccz .LBB23_6
; %bb.5:
	global_load_dword v9, v0, s[10:11]
	s_waitcnt vmcnt(0)
	v_add_f32_e32 v8, v8, v9
.LBB23_6:
	ds_read_b32 v9, v4 offset:4
	ds_write_b32 v4, v8
	s_waitcnt lgkmcnt(1)
	v_mul_f32_e32 v10, 0x3fb8aa3b, v9
	v_exp_f32_e32 v10, v10
	s_nop 0
	v_add_f32_e32 v10, 1.0, v10
	v_cmp_gt_f32_e32 vcc, s16, v10
	s_nop 1
	v_cndmask_b32_e32 v6, 1.0, v6, vcc
	v_mul_f32_e32 v6, v10, v6
	v_log_f32_e32 v6, v6
	v_cndmask_b32_e32 v7, 0, v7, vcc
	v_mul_f32_e32 v8, 0x3f317217, v6
	v_fma_f32 v8, v6, s13, -v8
	v_fmac_f32_e32 v8, 0x3377d1cf, v6
	v_fmac_f32_e32 v8, 0x3f317217, v6
	v_cmp_lt_f32_e64 vcc, |v6|, s14
	s_nop 1
	v_cndmask_b32_e32 v6, v6, v8, vcc
	v_sub_f32_e32 v6, v6, v7
	v_cmp_lt_f32_e32 vcc, s12, v9
	v_cndmask_b32_e64 v8, 0, 1, s[6:7]
	v_cmp_ne_u32_e64 s[0:1], 1, v8
	v_cndmask_b32_e32 v6, v6, v9, vcc
	v_mul_f32_e32 v7, 0x4f800000, v6
	v_cmp_gt_f32_e64 s[4:5], s15, v6
	s_andn2_b64 vcc, exec, s[6:7]
	s_nop 0
	v_cndmask_b32_e64 v6, v6, v7, s[4:5]
	v_sqrt_f32_e32 v7, v6
	s_nop 0
	v_add_u32_e32 v8, -1, v7
	v_add_u32_e32 v9, 1, v7
	v_fma_f32 v10, -v8, v7, v6
	v_fma_f32 v11, -v9, v7, v6
	v_cmp_ge_f32_e64 s[6:7], 0, v10
	s_nop 1
	v_cndmask_b32_e64 v7, v7, v8, s[6:7]
	v_cmp_lt_f32_e64 s[6:7], 0, v11
	s_nop 1
	v_cndmask_b32_e64 v7, v7, v9, s[6:7]
	v_mul_f32_e32 v8, 0x37800000, v7
	v_cndmask_b32_e64 v7, v7, v8, s[4:5]
	v_cmp_class_f32_e64 s[4:5], v6, v1
	s_nop 1
	v_cndmask_b32_e64 v1, v7, v6, s[4:5]
	s_cbranch_vccnz .LBB23_8
; %bb.7:
	global_load_dword v6, v0, s[10:11] offset:4
	s_waitcnt vmcnt(0)
	v_add_f32_e32 v1, v1, v6
.LBB23_8:
	ds_read_b32 v8, v4 offset:8
	s_mov_b32 s12, 0x800000
	s_mov_b32 s7, 0x3f317217
	;; [unrolled: 1-line block ×4, first 2 shown]
	s_waitcnt lgkmcnt(0)
	v_mul_f32_e32 v6, 0x3fb8aa3b, v8
	v_exp_f32_e32 v7, v6
	v_mov_b32_e32 v6, 0x4f800000
	s_mov_b32 s14, 0xf800000
	ds_write_b32 v4, v1 offset:4
	v_add_f32_e32 v7, 1.0, v7
	v_cmp_gt_f32_e32 vcc, s12, v7
	s_nop 1
	v_cndmask_b32_e32 v9, 1.0, v6, vcc
	v_mul_f32_e32 v7, v7, v9
	v_log_f32_e32 v9, v7
	v_mov_b32_e32 v7, 0x41b17218
	v_cndmask_b32_e32 v10, 0, v7, vcc
	v_mul_f32_e32 v11, 0x3f317217, v9
	v_fma_f32 v11, v9, s7, -v11
	v_fmac_f32_e32 v11, 0x3377d1cf, v9
	v_fmac_f32_e32 v11, 0x3f317217, v9
	v_cmp_lt_f32_e64 vcc, |v9|, s13
	s_nop 1
	v_cndmask_b32_e32 v9, v9, v11, vcc
	v_sub_f32_e32 v9, v9, v10
	v_cmp_lt_f32_e32 vcc, s6, v8
	s_nop 1
	v_cndmask_b32_e32 v8, v9, v8, vcc
	v_mul_f32_e32 v9, 0x4f800000, v8
	v_cmp_gt_f32_e32 vcc, s14, v8
	s_nop 1
	v_cndmask_b32_e32 v8, v8, v9, vcc
	v_sqrt_f32_e32 v9, v8
	s_nop 0
	v_add_u32_e32 v1, -1, v9
	v_fma_f32 v10, -v1, v9, v8
	v_cmp_ge_f32_e64 s[4:5], 0, v10
	v_add_u32_e32 v10, 1, v9
	s_nop 0
	v_cndmask_b32_e64 v1, v9, v1, s[4:5]
	v_fma_f32 v9, -v10, v9, v8
	v_cmp_lt_f32_e64 s[4:5], 0, v9
	s_nop 1
	v_cndmask_b32_e64 v1, v1, v10, s[4:5]
	v_mul_f32_e32 v9, 0x37800000, v1
	v_cndmask_b32_e32 v9, v1, v9, vcc
	v_mov_b32_e32 v1, 0x260
	v_cmp_class_f32_e64 s[4:5], v8, v1
	s_and_b64 vcc, exec, s[0:1]
	s_nop 0
	v_cndmask_b32_e64 v8, v9, v8, s[4:5]
	s_cbranch_vccnz .LBB23_10
; %bb.9:
	global_load_dword v9, v0, s[10:11] offset:8
	s_waitcnt vmcnt(0)
	v_add_f32_e32 v8, v8, v9
.LBB23_10:
	ds_read_b32 v9, v4 offset:12
	ds_write_b32 v4, v8 offset:8
	s_waitcnt lgkmcnt(1)
	v_mul_f32_e32 v10, 0x3fb8aa3b, v9
	v_exp_f32_e32 v10, v10
	s_nop 0
	v_add_f32_e32 v10, 1.0, v10
	v_cmp_gt_f32_e32 vcc, s12, v10
	s_nop 1
	v_cndmask_b32_e32 v6, 1.0, v6, vcc
	v_mul_f32_e32 v6, v10, v6
	v_log_f32_e32 v6, v6
	v_cndmask_b32_e32 v7, 0, v7, vcc
	v_mul_f32_e32 v10, 0x3f317217, v6
	v_fma_f32 v10, v6, s7, -v10
	v_fmac_f32_e32 v10, 0x3377d1cf, v6
	v_fmac_f32_e32 v10, 0x3f317217, v6
	v_cmp_lt_f32_e64 vcc, |v6|, s13
	s_nop 1
	v_cndmask_b32_e32 v6, v6, v10, vcc
	v_sub_f32_e32 v6, v6, v7
	v_cmp_lt_f32_e32 vcc, s6, v9
	s_nop 1
	v_cndmask_b32_e32 v6, v6, v9, vcc
	v_mul_f32_e32 v7, 0x4f800000, v6
	v_cmp_gt_f32_e64 s[4:5], s14, v6
	s_and_b64 vcc, exec, s[0:1]
	s_nop 0
	v_cndmask_b32_e64 v6, v6, v7, s[4:5]
	v_sqrt_f32_e32 v7, v6
	s_nop 0
	v_add_u32_e32 v8, -1, v7
	v_add_u32_e32 v9, 1, v7
	v_fma_f32 v10, -v8, v7, v6
	v_fma_f32 v11, -v9, v7, v6
	v_cmp_ge_f32_e64 s[6:7], 0, v10
	s_nop 1
	v_cndmask_b32_e64 v7, v7, v8, s[6:7]
	v_cmp_lt_f32_e64 s[6:7], 0, v11
	s_nop 1
	v_cndmask_b32_e64 v7, v7, v9, s[6:7]
	v_mul_f32_e32 v8, 0x37800000, v7
	v_cndmask_b32_e64 v7, v7, v8, s[4:5]
	v_cmp_class_f32_e64 s[4:5], v6, v1
	s_nop 1
	v_cndmask_b32_e64 v1, v7, v6, s[4:5]
	s_cbranch_vccnz .LBB23_12
; %bb.11:
	global_load_dword v0, v0, s[10:11] offset:12
	s_waitcnt vmcnt(0)
	v_add_f32_e32 v1, v1, v0
.LBB23_12:
	s_load_dwordx4 s[12:15], s[2:3], 0x30
	s_mov_b32 s31, 0
	v_cmp_eq_u32_e64 s[6:7], 0, v3
	ds_write_b32 v4, v1 offset:12
	s_waitcnt lgkmcnt(0)
	s_bitcmp1_b32 s15, 0
	s_cselect_b64 s[4:5], -1, 0
	s_cmp_gt_i32 s12, 0
	s_cselect_b64 s[24:25], -1, 0
	s_and_b64 vcc, exec, s[24:25]
	s_cbranch_vccz .LBB23_33
; %bb.13:
	v_mbcnt_lo_u32_b32 v0, -1, 0
	v_mbcnt_hi_u32_b32 v0, -1, v0
	v_and_b32_e32 v1, 0x78, v0
	v_add_u32_e32 v1, 8, v1
	v_xor_b32_e32 v6, 4, v0
	v_cmp_lt_i32_e32 vcc, v6, v1
	s_load_dwordx4 s[16:19], s[2:3], 0x20
	v_mul_lo_u32 v7, v2, s12
	v_cndmask_b32_e32 v6, v0, v6, vcc
	v_lshlrev_b32_e32 v8, 2, v6
	v_xor_b32_e32 v6, 2, v0
	v_cmp_lt_i32_e32 vcc, v6, v1
	v_mov_b32_e32 v11, 0xc61c4000
	v_mov_b32_e32 v12, v2
	v_cndmask_b32_e32 v6, v0, v6, vcc
	v_lshlrev_b32_e32 v9, 2, v6
	v_xor_b32_e32 v6, 1, v0
	v_cmp_lt_i32_e32 vcc, v6, v1
	s_nop 1
	v_cndmask_b32_e32 v0, v0, v6, vcc
	v_lshlrev_b32_e32 v10, 2, v0
	v_mov_b32_e32 v6, 0
	s_branch .LBB23_15
.LBB23_14:                              ;   in Loop: Header=BB23_15 Depth=1
	s_or_b64 exec, exec, s[2:3]
	s_cmp_eq_u32 s12, s31
	v_add_u32_e32 v12, s30, v12
	s_cbranch_scc1 .LBB23_34
.LBB23_15:                              ; =>This Inner Loop Header: Depth=1
	ds_read_b128 v[14:17], v4
	s_waitcnt lgkmcnt(0)
	v_cmp_gt_f32_e32 vcc, v15, v14
	s_nop 1
	v_cndmask_b32_e32 v1, v14, v15, vcc
	v_cndmask_b32_e64 v0, 0, 1, vcc
	v_cmp_gt_f32_e32 vcc, v16, v1
	s_nop 1
	v_cndmask_b32_e32 v1, v1, v16, vcc
	v_cndmask_b32_e64 v0, v0, 2, vcc
	v_cmp_gt_f32_e32 vcc, v17, v1
	s_nop 1
	v_cndmask_b32_e64 v0, v0, 3, vcc
	v_cndmask_b32_e32 v13, v1, v17, vcc
	ds_bpermute_b32 v1, v8, v13
	v_or_b32_e32 v0, v5, v0
	ds_bpermute_b32 v14, v8, v0
	s_waitcnt lgkmcnt(1)
	v_cmp_lt_f32_e64 s[26:27], v13, v1
	v_cmp_nlt_f32_e32 vcc, v13, v1
	s_and_saveexec_b64 s[28:29], vcc
	s_cbranch_execz .LBB23_17
; %bb.16:                               ;   in Loop: Header=BB23_15 Depth=1
	v_cmp_eq_f32_e32 vcc, v13, v1
	s_waitcnt lgkmcnt(0)
	v_cmp_lt_i32_e64 s[2:3], v14, v0
	s_and_b64 s[2:3], vcc, s[2:3]
	s_andn2_b64 s[26:27], s[26:27], exec
	s_and_b64 s[2:3], s[2:3], exec
	s_or_b64 s[26:27], s[26:27], s[2:3]
.LBB23_17:                              ;   in Loop: Header=BB23_15 Depth=1
	s_or_b64 exec, exec, s[28:29]
	s_and_saveexec_b64 s[2:3], s[26:27]
	s_cbranch_execz .LBB23_19
; %bb.18:                               ;   in Loop: Header=BB23_15 Depth=1
	v_mov_b32_e32 v13, v1
	s_waitcnt lgkmcnt(0)
	v_mov_b32_e32 v0, v14
.LBB23_19:                              ;   in Loop: Header=BB23_15 Depth=1
	s_or_b64 exec, exec, s[2:3]
	ds_bpermute_b32 v1, v9, v13
	s_waitcnt lgkmcnt(1)
	ds_bpermute_b32 v14, v9, v0
	s_waitcnt lgkmcnt(1)
	v_cmp_lt_f32_e64 s[26:27], v13, v1
	v_cmp_nlt_f32_e32 vcc, v13, v1
	s_and_saveexec_b64 s[28:29], vcc
	s_cbranch_execz .LBB23_21
; %bb.20:                               ;   in Loop: Header=BB23_15 Depth=1
	v_cmp_eq_f32_e32 vcc, v13, v1
	s_waitcnt lgkmcnt(0)
	v_cmp_lt_i32_e64 s[2:3], v14, v0
	s_and_b64 s[2:3], vcc, s[2:3]
	s_andn2_b64 s[26:27], s[26:27], exec
	s_and_b64 s[2:3], s[2:3], exec
	s_or_b64 s[26:27], s[26:27], s[2:3]
.LBB23_21:                              ;   in Loop: Header=BB23_15 Depth=1
	s_or_b64 exec, exec, s[28:29]
	s_and_saveexec_b64 s[2:3], s[26:27]
	s_cbranch_execz .LBB23_23
; %bb.22:                               ;   in Loop: Header=BB23_15 Depth=1
	v_mov_b32_e32 v13, v1
	s_waitcnt lgkmcnt(0)
	v_mov_b32_e32 v0, v14
.LBB23_23:                              ;   in Loop: Header=BB23_15 Depth=1
	s_or_b64 exec, exec, s[2:3]
	ds_bpermute_b32 v1, v10, v13
	s_waitcnt lgkmcnt(1)
	ds_bpermute_b32 v14, v10, v0
	s_waitcnt lgkmcnt(1)
	v_cmp_lt_f32_e64 s[26:27], v13, v1
	v_cmp_nlt_f32_e32 vcc, v13, v1
	s_and_saveexec_b64 s[28:29], vcc
	s_cbranch_execnz .LBB23_26
; %bb.24:                               ;   in Loop: Header=BB23_15 Depth=1
	s_or_b64 exec, exec, s[28:29]
	s_and_saveexec_b64 s[2:3], s[26:27]
	s_cbranch_execnz .LBB23_27
.LBB23_25:                              ;   in Loop: Header=BB23_15 Depth=1
	s_or_b64 exec, exec, s[2:3]
	s_and_saveexec_b64 s[26:27], s[6:7]
	s_cbranch_execnz .LBB23_28
	s_branch .LBB23_31
.LBB23_26:                              ;   in Loop: Header=BB23_15 Depth=1
	v_cmp_eq_f32_e32 vcc, v13, v1
	s_waitcnt lgkmcnt(0)
	v_cmp_lt_i32_e64 s[2:3], v14, v0
	s_and_b64 s[2:3], vcc, s[2:3]
	s_andn2_b64 s[26:27], s[26:27], exec
	s_and_b64 s[2:3], s[2:3], exec
	s_or_b64 s[26:27], s[26:27], s[2:3]
	s_or_b64 exec, exec, s[28:29]
	s_and_saveexec_b64 s[2:3], s[26:27]
	s_cbranch_execz .LBB23_25
.LBB23_27:                              ;   in Loop: Header=BB23_15 Depth=1
	s_waitcnt lgkmcnt(0)
	v_mov_b32_e32 v0, v14
	v_mov_b32_e32 v13, v1
	s_or_b64 exec, exec, s[2:3]
	s_and_saveexec_b64 s[26:27], s[6:7]
	s_cbranch_execz .LBB23_31
.LBB23_28:                              ;   in Loop: Header=BB23_15 Depth=1
	s_and_b64 vcc, exec, s[0:1]
	s_cbranch_vccnz .LBB23_30
; %bb.29:                               ;   in Loop: Header=BB23_15 Depth=1
	v_ashrrev_i32_e32 v1, 31, v0
	s_waitcnt lgkmcnt(0)
	v_lshl_add_u64 v[14:15], v[0:1], 2, s[10:11]
	global_load_dword v1, v[14:15], off
	s_waitcnt vmcnt(0)
	v_sub_f32_e32 v13, v13, v1
.LBB23_30:                              ;   in Loop: Header=BB23_15 Depth=1
	s_waitcnt lgkmcnt(0)
	v_add_u32_e32 v14, s31, v7
	v_cmp_le_i32_e32 vcc, s13, v0
	v_cmp_gt_i32_e64 s[2:3], s14, v0
	v_ashrrev_i32_e32 v15, 31, v14
	s_and_b64 s[2:3], vcc, s[2:3]
	v_lshlrev_b64 v[14:15], 2, v[14:15]
	v_lshl_add_u64 v[16:17], s[20:21], 0, v[14:15]
	v_subrev_u32_e32 v1, s13, v0
	s_and_b64 vcc, s[22:23], s[2:3]
	global_store_dword v[16:17], v13, off
	v_cndmask_b32_e32 v1, 32, v1, vcc
	v_lshl_add_u64 v[16:17], s[16:17], 0, v[14:15]
	global_store_dword v[16:17], v1, off
	v_add_f32_e32 v1, v6, v13
	v_lshl_add_u64 v[14:15], s[18:19], 0, v[14:15]
	v_cndmask_b32_e64 v6, v6, v1, s[4:5]
	global_store_dword v[14:15], v12, off
.LBB23_31:                              ;   in Loop: Header=BB23_15 Depth=1
	s_or_b64 exec, exec, s[26:27]
	v_ashrrev_i32_e32 v13, 31, v0
	v_lshrrev_b32_e32 v1, 30, v13
	v_add_u32_e32 v1, v0, v1
	v_ashrrev_i32_e32 v1, 2, v1
	s_waitcnt lgkmcnt(0)
	v_lshrrev_b32_e32 v14, 29, v1
	v_add_u32_e32 v14, v1, v14
	s_add_i32 s31, s31, 1
	v_and_b32_e32 v14, -8, v14
	s_cmp_lt_i32 s31, s12
	v_sub_u32_e32 v14, v1, v14
	s_cselect_b64 s[2:3], -1, 0
	v_cmp_eq_u32_e32 vcc, v3, v14
	s_and_b64 s[26:27], s[2:3], vcc
	s_and_saveexec_b64 s[2:3], s[26:27]
	s_cbranch_execz .LBB23_14
; %bb.32:                               ;   in Loop: Header=BB23_15 Depth=1
	v_lshrrev_b32_e32 v13, 27, v13
	v_add_u32_e32 v13, v0, v13
	v_lshlrev_b32_e32 v1, 2, v1
	v_ashrrev_i32_e32 v13, 5, v13
	v_sub_u32_e32 v0, v0, v1
	v_lshl_add_u32 v0, v13, 2, v0
	v_lshl_add_u32 v0, v0, 2, v4
	ds_write_b32 v0, v11
	s_branch .LBB23_14
.LBB23_33:
	v_mov_b32_e32 v6, 0
.LBB23_34:
	v_cmp_eq_u32_e32 vcc, 0, v3
	s_and_b64 exec, exec, vcc
	s_cbranch_execz .LBB23_47
; %bb.35:
	s_andn2_b64 vcc, exec, s[4:5]
	v_cvt_f32_f64_e32 v0, s[8:9]
	s_cbranch_vccnz .LBB23_37
; %bb.36:
	v_cmp_lt_f32_e32 vcc, 0, v6
	s_nop 1
	v_cndmask_b32_e32 v1, 1.0, v6, vcc
	v_div_scale_f32 v3, s[0:1], v1, v1, v0
	v_rcp_f32_e32 v4, v3
	s_nop 0
	v_fma_f32 v5, -v3, v4, 1.0
	v_fmac_f32_e32 v4, v5, v4
	v_div_scale_f32 v5, vcc, v0, v1, v0
	v_mul_f32_e32 v6, v5, v4
	v_fma_f32 v7, -v3, v6, v5
	v_fmac_f32_e32 v6, v7, v4
	v_fma_f32 v3, -v3, v6, v5
	v_div_fmas_f32 v3, v3, v4, v6
	v_div_fixup_f32 v0, v3, v1, v0
.LBB23_37:
	s_andn2_b64 vcc, exec, s[24:25]
	s_cbranch_vccnz .LBB23_47
; %bb.38:
	v_mul_lo_u32 v2, v2, s12
	s_cmp_gt_u32 s12, 3
	v_ashrrev_i32_e32 v3, 31, v2
	s_cbranch_scc0 .LBB23_42
; %bb.39:
	s_and_b32 s0, s12, 0x7ffffffc
	v_lshl_add_u64 v[4:5], v[2:3], 2, s[20:21]
	v_mov_b32_e32 v1, v0
	v_lshl_add_u64 v[4:5], v[4:5], 0, 8
	s_mov_b32 s1, s0
.LBB23_40:                              ; =>This Inner Loop Header: Depth=1
	global_load_dwordx4 v[6:9], v[4:5], off offset:-8
	s_add_i32 s1, s1, -4
	s_cmp_lg_u32 s1, 0
	s_waitcnt vmcnt(0)
	v_pk_mul_f32 v[6:7], v[0:1], v[6:7]
	v_pk_mul_f32 v[8:9], v[0:1], v[8:9]
	global_store_dwordx4 v[4:5], v[6:9], off offset:-8
	v_lshl_add_u64 v[4:5], v[4:5], 0, 16
	s_cbranch_scc1 .LBB23_40
; %bb.41:
	s_cmp_lg_u32 s0, s12
	s_cselect_b64 s[2:3], -1, 0
	s_branch .LBB23_44
.LBB23_42:
	s_mov_b64 s[2:3], 0
                                        ; implicit-def: $sgpr0
	s_cbranch_execz .LBB23_44
; %bb.43:
	s_mov_b64 s[2:3], -1
	s_mov_b32 s0, 0
.LBB23_44:
	s_andn2_b64 vcc, exec, s[2:3]
	s_cbranch_vccnz .LBB23_47
; %bb.45:
	s_mov_b32 s1, 0
	v_lshl_add_u64 v[2:3], v[2:3], 0, s[0:1]
	s_sub_i32 s2, s12, s0
	v_lshl_add_u64 v[2:3], v[2:3], 2, s[20:21]
.LBB23_46:                              ; =>This Inner Loop Header: Depth=1
	global_load_dword v1, v[2:3], off
	s_add_i32 s2, s2, -1
	s_cmp_lg_u32 s2, 0
	s_waitcnt vmcnt(0)
	v_mul_f32_e32 v1, v0, v1
	global_store_dword v[2:3], v1, off
	v_lshl_add_u64 v[2:3], v[2:3], 0, 4
	s_cbranch_scc1 .LBB23_46
.LBB23_47:
	s_endpgm
	.section	.rodata,"a",@progbits
	.p2align	6, 0x0
	.amdhsa_kernel _ZN4vllm3moe22topkGatingSoftplusSqrtILi4ELi32ELi4ELi16ELi32ELb0EifEEvPKT6_PKbPfiPT5_PiiiibdPKfPKS8_SE_
		.amdhsa_group_segment_fixed_size 2048
		.amdhsa_private_segment_fixed_size 0
		.amdhsa_kernarg_size 96
		.amdhsa_user_sgpr_count 4
		.amdhsa_user_sgpr_dispatch_ptr 1
		.amdhsa_user_sgpr_queue_ptr 0
		.amdhsa_user_sgpr_kernarg_segment_ptr 1
		.amdhsa_user_sgpr_dispatch_id 0
		.amdhsa_user_sgpr_kernarg_preload_length 0
		.amdhsa_user_sgpr_kernarg_preload_offset 0
		.amdhsa_user_sgpr_private_segment_size 0
		.amdhsa_uses_dynamic_stack 0
		.amdhsa_enable_private_segment 0
		.amdhsa_system_sgpr_workgroup_id_x 1
		.amdhsa_system_sgpr_workgroup_id_y 0
		.amdhsa_system_sgpr_workgroup_id_z 0
		.amdhsa_system_sgpr_workgroup_info 0
		.amdhsa_system_vgpr_workitem_id 2
		.amdhsa_next_free_vgpr 18
		.amdhsa_next_free_sgpr 32
		.amdhsa_accum_offset 20
		.amdhsa_reserve_vcc 1
		.amdhsa_float_round_mode_32 0
		.amdhsa_float_round_mode_16_64 0
		.amdhsa_float_denorm_mode_32 3
		.amdhsa_float_denorm_mode_16_64 3
		.amdhsa_dx10_clamp 1
		.amdhsa_ieee_mode 1
		.amdhsa_fp16_overflow 0
		.amdhsa_tg_split 0
		.amdhsa_exception_fp_ieee_invalid_op 0
		.amdhsa_exception_fp_denorm_src 0
		.amdhsa_exception_fp_ieee_div_zero 0
		.amdhsa_exception_fp_ieee_overflow 0
		.amdhsa_exception_fp_ieee_underflow 0
		.amdhsa_exception_fp_ieee_inexact 0
		.amdhsa_exception_int_div_zero 0
	.end_amdhsa_kernel
	.section	.text._ZN4vllm3moe22topkGatingSoftplusSqrtILi4ELi32ELi4ELi16ELi32ELb0EifEEvPKT6_PKbPfiPT5_PiiiibdPKfPKS8_SE_,"axG",@progbits,_ZN4vllm3moe22topkGatingSoftplusSqrtILi4ELi32ELi4ELi16ELi32ELb0EifEEvPKT6_PKbPfiPT5_PiiiibdPKfPKS8_SE_,comdat
.Lfunc_end23:
	.size	_ZN4vllm3moe22topkGatingSoftplusSqrtILi4ELi32ELi4ELi16ELi32ELb0EifEEvPKT6_PKbPfiPT5_PiiiibdPKfPKS8_SE_, .Lfunc_end23-_ZN4vllm3moe22topkGatingSoftplusSqrtILi4ELi32ELi4ELi16ELi32ELb0EifEEvPKT6_PKbPfiPT5_PiiiibdPKfPKS8_SE_
                                        ; -- End function
	.section	.AMDGPU.csdata,"",@progbits
; Kernel info:
; codeLenInByte = 2736
; NumSgprs: 38
; NumVgprs: 18
; NumAgprs: 0
; TotalNumVgprs: 18
; ScratchSize: 0
; MemoryBound: 0
; FloatMode: 240
; IeeeMode: 1
; LDSByteSize: 2048 bytes/workgroup (compile time only)
; SGPRBlocks: 4
; VGPRBlocks: 2
; NumSGPRsForWavesPerEU: 38
; NumVGPRsForWavesPerEU: 18
; AccumOffset: 20
; Occupancy: 8
; WaveLimiterHint : 0
; COMPUTE_PGM_RSRC2:SCRATCH_EN: 0
; COMPUTE_PGM_RSRC2:USER_SGPR: 4
; COMPUTE_PGM_RSRC2:TRAP_HANDLER: 0
; COMPUTE_PGM_RSRC2:TGID_X_EN: 1
; COMPUTE_PGM_RSRC2:TGID_Y_EN: 0
; COMPUTE_PGM_RSRC2:TGID_Z_EN: 0
; COMPUTE_PGM_RSRC2:TIDIG_COMP_CNT: 2
; COMPUTE_PGM_RSRC3_GFX90A:ACCUM_OFFSET: 4
; COMPUTE_PGM_RSRC3_GFX90A:TG_SPLIT: 0
	.section	.text._ZN4vllm3moe22topkGatingSoftplusSqrtILi4ELi64ELi4ELi16ELi64ELb1EifEEvPKT6_PKbPfiPT5_PiiiibdPKfPKS8_SE_,"axG",@progbits,_ZN4vllm3moe22topkGatingSoftplusSqrtILi4ELi64ELi4ELi16ELi64ELb1EifEEvPKT6_PKbPfiPT5_PiiiibdPKfPKS8_SE_,comdat
	.protected	_ZN4vllm3moe22topkGatingSoftplusSqrtILi4ELi64ELi4ELi16ELi64ELb1EifEEvPKT6_PKbPfiPT5_PiiiibdPKfPKS8_SE_ ; -- Begin function _ZN4vllm3moe22topkGatingSoftplusSqrtILi4ELi64ELi4ELi16ELi64ELb1EifEEvPKT6_PKbPfiPT5_PiiiibdPKfPKS8_SE_
	.globl	_ZN4vllm3moe22topkGatingSoftplusSqrtILi4ELi64ELi4ELi16ELi64ELb1EifEEvPKT6_PKbPfiPT5_PiiiibdPKfPKS8_SE_
	.p2align	8
	.type	_ZN4vllm3moe22topkGatingSoftplusSqrtILi4ELi64ELi4ELi16ELi64ELb1EifEEvPKT6_PKbPfiPT5_PiiiibdPKfPKS8_SE_,@function
_ZN4vllm3moe22topkGatingSoftplusSqrtILi4ELi64ELi4ELi16ELi64ELb1EifEEvPKT6_PKbPfiPT5_PiiiibdPKfPKS8_SE_: ; @_ZN4vllm3moe22topkGatingSoftplusSqrtILi4ELi64ELi4ELi16ELi64ELb1EifEEvPKT6_PKbPfiPT5_PiiiibdPKfPKS8_SE_
; %bb.0:
	s_load_dword s3, s[0:1], 0x18
	v_bfe_u32 v1, v0, 10, 10
	v_and_b32_e32 v8, 0x3ff, v0
	s_lshl_b32 s2, s2, 4
	v_lshlrev_b32_e32 v1, 2, v1
	v_lshrrev_b32_e32 v0, 4, v8
	v_add3_u32 v2, s2, v1, v0
	s_waitcnt lgkmcnt(0)
	v_cmp_gt_i32_e32 vcc, s3, v2
	s_and_saveexec_b64 s[2:3], vcc
	s_cbranch_execz .LBB24_79
; %bb.1:
	s_load_dwordx2 s[2:3], s[0:1], 0x0
	s_load_dword s20, s[0:1], 0x30
	s_load_dwordx4 s[8:11], s[0:1], 0x50
	v_lshlrev_b32_e32 v0, 6, v2
	v_lshlrev_b32_e32 v3, 2, v8
	v_ashrrev_i32_e32 v1, 31, v0
	v_and_b32_e32 v12, 60, v3
	s_waitcnt lgkmcnt(0)
	v_lshl_add_u64 v[0:1], v[0:1], 2, s[2:3]
	v_lshlrev_b32_e32 v6, 2, v12
	v_mov_b32_e32 v7, 0
	v_lshl_add_u64 v[0:1], v[0:1], 0, v[6:7]
	global_load_dwordx4 v[14:17], v[0:1], off
	v_mov_b32_e32 v0, s8
	v_mov_b32_e32 v1, s9
	v_ashrrev_i32_e32 v3, 31, v2
	v_lshl_add_u64 v[0:1], v[2:3], 2, v[0:1]
	global_load_dword v0, v[0:1], off
	s_mov_b32 s6, 0x800000
	v_mov_b32_e32 v3, 0x4f800000
	s_mov_b32 s12, 0x3f317217
	s_mov_b32 s13, 0x7f800000
	v_mov_b32_e32 v6, 0x41b17218
	s_mov_b32 s9, 0x41a00000
	s_mov_b32 s14, 0xf800000
	v_mov_b32_e32 v9, 0x260
	s_cmp_gt_i32 s20, 0
	s_mov_b32 s8, 0
	v_mul_lo_u32 v2, v2, s20
	s_waitcnt vmcnt(1)
	v_mul_f32_e32 v1, 0x3fb8aa3b, v14
	v_mul_f32_e32 v5, 0x3fb8aa3b, v15
	v_exp_f32_e32 v4, v1
	v_exp_f32_e32 v5, v5
	v_mul_f32_e32 v10, 0x3fb8aa3b, v16
	v_mul_f32_e32 v11, 0x3fb8aa3b, v17
	v_exp_f32_e32 v10, v10
	v_exp_f32_e32 v11, v11
	v_pk_add_f32 v[4:5], v[4:5], 1.0 op_sel_hi:[1,0]
	s_waitcnt vmcnt(0)
	v_mul_lo_u32 v0, v0, s20
	v_cmp_gt_f32_e32 vcc, s6, v5
	v_pk_add_f32 v[10:11], v[10:11], 1.0 op_sel_hi:[1,0]
	v_cmp_gt_f32_e64 s[2:3], s6, v4
	v_cndmask_b32_e32 v13, 1.0, v3, vcc
	v_cmp_gt_f32_e64 s[4:5], s6, v11
	v_cndmask_b32_e64 v18, 1.0, v3, s[2:3]
	v_mul_f32_e32 v5, v5, v13
	v_cndmask_b32_e64 v19, 1.0, v3, s[4:5]
	v_cmp_gt_f32_e64 s[6:7], s6, v10
	v_mul_f32_e32 v4, v4, v18
	v_log_f32_e32 v5, v5
	v_cndmask_b32_e64 v3, 1.0, v3, s[6:7]
	v_mul_f32_e32 v11, v11, v19
	v_log_f32_e32 v4, v4
	v_mul_f32_e32 v3, v10, v3
	v_log_f32_e32 v10, v11
	v_mul_f32_e32 v11, 0x3f317217, v5
	v_mul_f32_e32 v20, 0x3f317217, v4
	v_fma_f32 v11, v5, s12, -v11
	v_mul_f32_e32 v21, 0x3f317217, v10
	v_fma_f32 v20, v4, s12, -v20
	v_fmac_f32_e32 v11, 0x3377d1cf, v5
	v_cndmask_b32_e32 v13, 0, v6, vcc
	v_fma_f32 v21, v10, s12, -v21
	v_fmac_f32_e32 v20, 0x3377d1cf, v4
	v_fmac_f32_e32 v11, 0x3f317217, v5
	v_cmp_lt_f32_e64 vcc, |v5|, s13
	v_fmac_f32_e32 v21, 0x3377d1cf, v10
	v_fmac_f32_e32 v20, 0x3f317217, v4
	v_cndmask_b32_e32 v5, v5, v11, vcc
	v_cmp_lt_f32_e64 vcc, |v4|, s13
	v_cndmask_b32_e64 v18, 0, v6, s[2:3]
	v_fmac_f32_e32 v21, 0x3f317217, v10
	v_cndmask_b32_e32 v4, v4, v20, vcc
	v_cmp_lt_f32_e64 vcc, |v10|, s13
	v_sub_f32_e32 v4, v4, v18
	v_sub_f32_e32 v5, v5, v13
	v_cndmask_b32_e32 v10, v10, v21, vcc
	v_cmp_lt_f32_e32 vcc, s9, v14
	v_cndmask_b32_e64 v19, 0, v6, s[4:5]
	v_log_f32_e32 v3, v3
	v_cndmask_b32_e32 v4, v4, v14, vcc
	v_cmp_lt_f32_e32 vcc, s9, v15
	v_mul_f32_e32 v13, 0x4f800000, v4
	v_cmp_gt_f32_e64 s[2:3], s14, v4
	v_cndmask_b32_e32 v5, v5, v15, vcc
	v_mul_f32_e32 v11, 0x4f800000, v5
	v_cmp_gt_f32_e32 vcc, s14, v5
	v_cndmask_b32_e64 v4, v4, v13, s[2:3]
	v_sqrt_f32_e32 v13, v4
	v_cndmask_b32_e32 v5, v5, v11, vcc
	v_sqrt_f32_e32 v11, v5
	v_sub_f32_e32 v10, v10, v19
	v_add_u32_e32 v18, -1, v13
	v_fma_f32 v23, -v18, v13, v4
	v_add_u32_e32 v14, -1, v11
	v_fma_f32 v20, -v14, v11, v5
	v_add_u32_e32 v15, 1, v11
	v_cmp_ge_f32_e64 s[4:5], 0, v20
	v_add_u32_e32 v19, 1, v13
	v_fma_f32 v21, -v15, v11, v5
	v_cndmask_b32_e64 v11, v11, v14, s[4:5]
	v_cmp_ge_f32_e64 s[4:5], 0, v23
	v_fma_f32 v24, -v19, v13, v4
	v_mul_f32_e32 v22, 0x3f317217, v3
	v_cndmask_b32_e64 v13, v13, v18, s[4:5]
	v_cmp_lt_f32_e64 s[4:5], 0, v21
	v_fma_f32 v22, v3, s12, -v22
	v_fmac_f32_e32 v22, 0x3377d1cf, v3
	v_cndmask_b32_e64 v11, v11, v15, s[4:5]
	v_cmp_lt_f32_e64 s[4:5], 0, v24
	v_mul_f32_e32 v14, 0x37800000, v11
	v_cndmask_b32_e32 v11, v11, v14, vcc
	v_cndmask_b32_e64 v13, v13, v19, s[4:5]
	v_mul_f32_e32 v15, 0x37800000, v13
	v_cmp_class_f32_e32 vcc, v5, v9
	v_cndmask_b32_e64 v13, v13, v15, s[2:3]
	v_fmac_f32_e32 v22, 0x3f317217, v3
	v_cndmask_b32_e32 v15, v11, v5, vcc
	v_cmp_class_f32_e32 vcc, v4, v9
	v_cmp_lt_f32_e64 s[2:3], s9, v16
	v_ashrrev_i32_e32 v1, 31, v0
	v_cndmask_b32_e32 v14, v13, v4, vcc
	v_cmp_lt_f32_e64 vcc, |v3|, s13
	v_cndmask_b32_e64 v4, 0, v6, s[6:7]
	s_cselect_b64 s[4:5], -1, 0
	v_cndmask_b32_e32 v3, v3, v22, vcc
	v_cmp_lt_f32_e32 vcc, s9, v17
	v_sub_f32_e32 v3, v3, v4
	v_cndmask_b32_e64 v3, v3, v16, s[2:3]
	v_cndmask_b32_e32 v5, v10, v17, vcc
	v_mul_f32_e32 v6, 0x4f800000, v5
	v_cmp_gt_f32_e32 vcc, s14, v5
	s_cmp_lt_i32 s20, 1
	s_nop 0
	v_cndmask_b32_e32 v5, v5, v6, vcc
	v_sqrt_f32_e32 v6, v5
	s_nop 0
	v_add_u32_e32 v4, -1, v6
	v_fma_f32 v10, -v4, v6, v5
	v_cmp_ge_f32_e64 s[2:3], 0, v10
	v_add_u32_e32 v10, 1, v6
	s_nop 0
	v_cndmask_b32_e64 v4, v6, v4, s[2:3]
	v_fma_f32 v6, -v10, v6, v5
	v_cmp_lt_f32_e64 s[2:3], 0, v6
	s_nop 1
	v_cndmask_b32_e64 v4, v4, v10, s[2:3]
	v_mul_f32_e32 v10, 0x4f800000, v3
	v_cmp_gt_f32_e64 s[2:3], s14, v3
	v_mul_f32_e32 v6, 0x37800000, v4
	v_cndmask_b32_e32 v4, v4, v6, vcc
	v_cndmask_b32_e64 v3, v3, v10, s[2:3]
	v_sqrt_f32_e32 v10, v3
	v_cmp_class_f32_e32 vcc, v5, v9
	s_nop 1
	v_cndmask_b32_e32 v17, v4, v5, vcc
	v_add_u32_e32 v4, -1, v10
	v_fma_f32 v5, -v4, v10, v3
	v_cmp_ge_f32_e32 vcc, 0, v5
	v_add_u32_e32 v5, 1, v10
	v_fma_f32 v6, -v5, v10, v3
	v_cndmask_b32_e32 v4, v10, v4, vcc
	v_cmp_lt_f32_e32 vcc, 0, v6
	s_nop 1
	v_cndmask_b32_e32 v4, v4, v5, vcc
	v_mul_f32_e32 v5, 0x37800000, v4
	v_cndmask_b32_e64 v4, v4, v5, s[2:3]
	v_cmp_class_f32_e32 vcc, v3, v9
	s_nop 1
	v_cndmask_b32_e32 v16, v4, v3, vcc
	v_lshl_add_u64 v[4:5], v[0:1], 2, s[10:11]
	scratch_store_dwordx4 off, v[14:17], off
	s_cbranch_scc1 .LBB24_28
; %bb.2:
	s_load_dwordx2 s[6:7], s[0:1], 0x20
	s_cmp_lt_u32 s20, 4
	v_and_b32_e32 v6, 15, v8
	s_cbranch_scc1 .LBB24_21
; %bb.3:
	v_lshlrev_b32_e32 v7, 2, v6
	s_mov_b32 s13, 0
	s_and_b32 s8, s20, 0x7ffffffc
	v_ashrrev_i32_e32 v3, 31, v2
	v_sub_u32_e32 v13, 0, v7
	v_mov_b32_e32 v7, 0
	s_mov_b32 s12, s13
	s_branch .LBB24_5
.LBB24_4:                               ;   in Loop: Header=BB24_5 Depth=1
	s_or_b64 exec, exec, s[14:15]
	s_add_i32 s12, s12, 4
	s_cmp_eq_u32 s12, s8
	s_cbranch_scc1 .LBB24_21
.LBB24_5:                               ; =>This Loop Header: Depth=1
                                        ;     Child Loop BB24_7 Depth 2
                                        ;     Child Loop BB24_11 Depth 2
	;; [unrolled: 1-line block ×4, first 2 shown]
	v_lshl_add_u64 v[8:9], s[12:13], 2, v[4:5]
	global_load_dword v14, v[8:9], off
	v_add_u32_e32 v10, s12, v2
	v_ashrrev_i32_e32 v11, 31, v10
	v_mov_b32_e32 v15, 0
	s_mov_b64 s[14:15], 0
	s_waitcnt lgkmcnt(0)
	v_lshl_add_u64 v[10:11], v[10:11], 2, s[6:7]
	s_mov_b32 s9, 0
	s_waitcnt vmcnt(0)
	v_add_u32_e32 v16, v13, v14
	s_branch .LBB24_7
.LBB24_6:                               ;   in Loop: Header=BB24_7 Depth=2
	s_or_b64 exec, exec, s[16:17]
	s_add_i32 s18, s9, 1
	s_cmp_gt_u32 s9, 2
	s_cselect_b64 s[2:3], -1, 0
	s_xor_b64 s[16:17], vcc, -1
	s_or_b64 s[2:3], s[16:17], s[2:3]
	s_and_b64 s[2:3], exec, s[2:3]
	v_add_u32_e32 v15, 4, v15
	s_or_b64 s[14:15], s[2:3], s[14:15]
	s_mov_b32 s9, s18
	s_andn2_b64 exec, exec, s[14:15]
	s_cbranch_execz .LBB24_9
.LBB24_7:                               ;   Parent Loop BB24_5 Depth=1
                                        ; =>  This Inner Loop Header: Depth=2
	v_cmp_ne_u32_e32 vcc, s9, v16
	v_cmp_eq_u32_e64 s[2:3], s9, v16
	s_and_saveexec_b64 s[16:17], s[2:3]
	s_cbranch_execz .LBB24_6
; %bb.8:                                ;   in Loop: Header=BB24_7 Depth=2
	scratch_load_dword v17, v15, off
	s_waitcnt vmcnt(0)
	v_add_f32_e32 v7, v7, v17
	global_store_dword v[10:11], v14, off
	s_branch .LBB24_6
.LBB24_9:                               ;   in Loop: Header=BB24_5 Depth=1
	s_or_b64 exec, exec, s[14:15]
	global_load_dword v14, v[8:9], off offset:4
	s_ashr_i32 s3, s12, 31
	s_mov_b32 s2, s12
	v_lshl_add_u64 v[10:11], s[2:3], 0, v[2:3]
	v_mov_b32_e32 v15, 0
	s_mov_b32 s9, 0
	v_lshl_add_u64 v[10:11], v[10:11], 2, s[6:7]
	s_mov_b64 s[14:15], 0
	s_waitcnt vmcnt(0)
	v_add_u32_e32 v16, v13, v14
	s_branch .LBB24_11
.LBB24_10:                              ;   in Loop: Header=BB24_11 Depth=2
	s_or_b64 exec, exec, s[16:17]
	s_add_i32 s18, s9, 1
	s_cmp_gt_u32 s9, 2
	s_cselect_b64 s[2:3], -1, 0
	s_xor_b64 s[16:17], vcc, -1
	s_or_b64 s[2:3], s[16:17], s[2:3]
	s_and_b64 s[2:3], exec, s[2:3]
	v_add_u32_e32 v15, 4, v15
	s_or_b64 s[14:15], s[2:3], s[14:15]
	s_mov_b32 s9, s18
	s_andn2_b64 exec, exec, s[14:15]
	s_cbranch_execz .LBB24_13
.LBB24_11:                              ;   Parent Loop BB24_5 Depth=1
                                        ; =>  This Inner Loop Header: Depth=2
	v_cmp_ne_u32_e32 vcc, s9, v16
	v_cmp_eq_u32_e64 s[2:3], s9, v16
	s_and_saveexec_b64 s[16:17], s[2:3]
	s_cbranch_execz .LBB24_10
; %bb.12:                               ;   in Loop: Header=BB24_11 Depth=2
	scratch_load_dword v17, v15, off
	s_waitcnt vmcnt(0)
	v_add_f32_e32 v7, v7, v17
	global_store_dword v[10:11], v14, off offset:4
	s_branch .LBB24_10
.LBB24_13:                              ;   in Loop: Header=BB24_5 Depth=1
	s_or_b64 exec, exec, s[14:15]
	global_load_dword v14, v[8:9], off offset:8
	v_mov_b32_e32 v15, 0
	s_mov_b32 s9, 0
	s_mov_b64 s[14:15], 0
	s_waitcnt vmcnt(0)
	v_add_u32_e32 v16, v13, v14
	s_branch .LBB24_15
.LBB24_14:                              ;   in Loop: Header=BB24_15 Depth=2
	s_or_b64 exec, exec, s[16:17]
	s_add_i32 s18, s9, 1
	s_cmp_gt_u32 s9, 2
	s_cselect_b64 s[2:3], -1, 0
	s_xor_b64 s[16:17], vcc, -1
	s_or_b64 s[2:3], s[16:17], s[2:3]
	s_and_b64 s[2:3], exec, s[2:3]
	v_add_u32_e32 v15, 4, v15
	s_or_b64 s[14:15], s[2:3], s[14:15]
	s_mov_b32 s9, s18
	s_andn2_b64 exec, exec, s[14:15]
	s_cbranch_execz .LBB24_17
.LBB24_15:                              ;   Parent Loop BB24_5 Depth=1
                                        ; =>  This Inner Loop Header: Depth=2
	v_cmp_ne_u32_e32 vcc, s9, v16
	v_cmp_eq_u32_e64 s[2:3], s9, v16
	s_and_saveexec_b64 s[16:17], s[2:3]
	s_cbranch_execz .LBB24_14
; %bb.16:                               ;   in Loop: Header=BB24_15 Depth=2
	scratch_load_dword v17, v15, off
	s_waitcnt vmcnt(0)
	v_add_f32_e32 v7, v7, v17
	global_store_dword v[10:11], v14, off offset:8
	s_branch .LBB24_14
.LBB24_17:                              ;   in Loop: Header=BB24_5 Depth=1
	s_or_b64 exec, exec, s[14:15]
	global_load_dword v8, v[8:9], off offset:12
	v_mov_b32_e32 v9, 0
	s_mov_b32 s9, 0
	s_mov_b64 s[14:15], 0
	s_waitcnt vmcnt(0)
	v_add_u32_e32 v14, v13, v8
	s_branch .LBB24_19
.LBB24_18:                              ;   in Loop: Header=BB24_19 Depth=2
	s_or_b64 exec, exec, s[16:17]
	s_add_i32 s18, s9, 1
	s_cmp_gt_u32 s9, 2
	s_cselect_b64 s[2:3], -1, 0
	s_xor_b64 s[16:17], vcc, -1
	s_or_b64 s[2:3], s[16:17], s[2:3]
	s_and_b64 s[2:3], exec, s[2:3]
	v_add_u32_e32 v9, 4, v9
	s_or_b64 s[14:15], s[2:3], s[14:15]
	s_mov_b32 s9, s18
	s_andn2_b64 exec, exec, s[14:15]
	s_cbranch_execz .LBB24_4
.LBB24_19:                              ;   Parent Loop BB24_5 Depth=1
                                        ; =>  This Inner Loop Header: Depth=2
	v_cmp_ne_u32_e32 vcc, s9, v14
	v_cmp_eq_u32_e64 s[2:3], s9, v14
	s_and_saveexec_b64 s[16:17], s[2:3]
	s_cbranch_execz .LBB24_18
; %bb.20:                               ;   in Loop: Header=BB24_19 Depth=2
	scratch_load_dword v15, v9, off
	s_waitcnt vmcnt(0)
	v_add_f32_e32 v7, v7, v15
	global_store_dword v[10:11], v8, off offset:12
	s_branch .LBB24_18
.LBB24_21:
	s_and_b32 s16, s20, 3
	s_cmp_eq_u32 s16, 0
	s_mov_b32 s9, 0
	s_cbranch_scc1 .LBB24_28
; %bb.22:
	v_lshlrev_b32_e32 v3, 2, v6
	v_sub_u32_e32 v3, 0, v3
	s_mov_b32 s17, s9
	s_branch .LBB24_24
.LBB24_23:                              ;   in Loop: Header=BB24_24 Depth=1
	s_or_b64 exec, exec, s[12:13]
	s_add_i32 s8, s8, 1
	s_add_i32 s17, s17, 1
	s_cmp_lg_u32 s17, s16
	s_cbranch_scc0 .LBB24_28
.LBB24_24:                              ; =>This Loop Header: Depth=1
                                        ;     Child Loop BB24_26 Depth 2
	v_lshl_add_u64 v[8:9], s[8:9], 2, v[4:5]
	global_load_dword v6, v[8:9], off
	v_add_u32_e32 v8, s8, v2
	v_ashrrev_i32_e32 v9, 31, v8
	v_mov_b32_e32 v10, 0
	s_mov_b32 s18, 0
	s_waitcnt lgkmcnt(0)
	v_lshl_add_u64 v[8:9], v[8:9], 2, s[6:7]
	s_mov_b64 s[12:13], 0
	s_waitcnt vmcnt(0)
	v_add_u32_e32 v11, v3, v6
	s_branch .LBB24_26
.LBB24_25:                              ;   in Loop: Header=BB24_26 Depth=2
	s_or_b64 exec, exec, s[14:15]
	s_add_i32 s19, s18, 1
	s_cmp_gt_u32 s18, 2
	s_cselect_b64 s[2:3], -1, 0
	s_xor_b64 s[14:15], vcc, -1
	s_or_b64 s[2:3], s[14:15], s[2:3]
	s_and_b64 s[2:3], exec, s[2:3]
	v_add_u32_e32 v10, 4, v10
	s_or_b64 s[12:13], s[2:3], s[12:13]
	s_mov_b32 s18, s19
	s_andn2_b64 exec, exec, s[12:13]
	s_cbranch_execz .LBB24_23
.LBB24_26:                              ;   Parent Loop BB24_24 Depth=1
                                        ; =>  This Inner Loop Header: Depth=2
	v_cmp_ne_u32_e32 vcc, s18, v11
	v_cmp_eq_u32_e64 s[2:3], s18, v11
	s_and_saveexec_b64 s[14:15], s[2:3]
	s_cbranch_execz .LBB24_25
; %bb.27:                               ;   in Loop: Header=BB24_26 Depth=2
	scratch_load_dword v13, v10, off
	s_waitcnt vmcnt(0)
	v_add_f32_e32 v7, v7, v13
	global_store_dword v[8:9], v6, off
	s_branch .LBB24_25
.LBB24_28:
	s_waitcnt lgkmcnt(0)
	s_load_dword s6, s[0:1], 0x3c
	s_waitcnt lgkmcnt(0)
	s_bitcmp1_b32 s6, 0
	s_cselect_b64 s[2:3], -1, 0
	s_bitcmp0_b32 s6, 0
	s_cbranch_scc0 .LBB24_31
; %bb.29:
	s_load_dwordx2 s[6:7], s[0:1], 0x40
	s_andn2_b64 vcc, exec, s[2:3]
	s_waitcnt lgkmcnt(0)
	v_cvt_f32_f64_e32 v10, s[6:7]
	s_cbranch_vccz .LBB24_32
.LBB24_30:
	s_andn2_b64 vcc, exec, s[4:5]
	s_cbranch_vccz .LBB24_33
	s_branch .LBB24_79
.LBB24_31:
	v_mbcnt_lo_u32_b32 v3, -1, 0
	v_mbcnt_hi_u32_b32 v3, -1, v3
	v_and_b32_e32 v6, 0x70, v3
	v_add_u32_e32 v6, 16, v6
	v_xor_b32_e32 v8, 8, v3
	v_cmp_lt_i32_e32 vcc, v8, v6
	v_xor_b32_e32 v9, 4, v3
	s_nop 0
	v_cndmask_b32_e32 v8, v3, v8, vcc
	v_lshlrev_b32_e32 v8, 2, v8
	ds_bpermute_b32 v8, v8, v7
	v_cmp_lt_i32_e32 vcc, v9, v6
	s_waitcnt lgkmcnt(0)
	v_add_f32_e32 v7, v7, v8
	v_cndmask_b32_e32 v8, v3, v9, vcc
	v_lshlrev_b32_e32 v8, 2, v8
	ds_bpermute_b32 v8, v8, v7
	v_xor_b32_e32 v9, 2, v3
	v_cmp_lt_i32_e32 vcc, v9, v6
	s_waitcnt lgkmcnt(0)
	v_add_f32_e32 v7, v7, v8
	v_cndmask_b32_e32 v8, v3, v9, vcc
	v_lshlrev_b32_e32 v8, 2, v8
	ds_bpermute_b32 v8, v8, v7
	v_xor_b32_e32 v9, 1, v3
	v_cmp_lt_i32_e32 vcc, v9, v6
	s_waitcnt lgkmcnt(0)
	v_add_f32_e32 v7, v7, v8
	v_cndmask_b32_e32 v3, v3, v9, vcc
	v_lshlrev_b32_e32 v3, 2, v3
	ds_bpermute_b32 v3, v3, v7
	s_waitcnt lgkmcnt(0)
	v_add_f32_e32 v7, v7, v3
	s_load_dwordx2 s[6:7], s[0:1], 0x40
	s_andn2_b64 vcc, exec, s[2:3]
	s_waitcnt lgkmcnt(0)
	v_cvt_f32_f64_e32 v10, s[6:7]
	s_cbranch_vccnz .LBB24_30
.LBB24_32:
	v_cmp_lt_f32_e32 vcc, 0, v7
	s_nop 1
	v_cndmask_b32_e32 v3, 1.0, v7, vcc
	v_div_scale_f32 v6, s[2:3], v3, v3, v10
	v_rcp_f32_e32 v7, v6
	s_nop 0
	v_fma_f32 v8, -v6, v7, 1.0
	v_fmac_f32_e32 v7, v8, v7
	v_div_scale_f32 v8, vcc, v10, v3, v10
	v_mul_f32_e32 v9, v8, v7
	v_fma_f32 v11, -v6, v9, v8
	v_fmac_f32_e32 v9, v11, v7
	v_fma_f32 v6, -v6, v9, v8
	v_div_fmas_f32 v6, v6, v7, v9
	v_div_fixup_f32 v10, v6, v3, v10
	s_andn2_b64 vcc, exec, s[4:5]
	s_cbranch_vccnz .LBB24_79
.LBB24_33:
	s_load_dwordx2 s[4:5], s[0:1], 0x10
	v_mov_b32_e32 v3, 0
	v_or_b32_e32 v11, 4, v3
	v_or_b32_e32 v13, 8, v3
	;; [unrolled: 1-line block ×6, first 2 shown]
	s_cmp_lt_u32 s20, 4
	s_mov_b32 s6, 0
	s_cbranch_scc1 .LBB24_68
; %bb.34:
	v_ashrrev_i32_e32 v3, 31, v2
	s_and_b32 s6, s20, 0x7ffffffc
	s_waitcnt lgkmcnt(0)
	v_lshl_add_u64 v[6:7], v[2:3], 2, s[4:5]
	s_mov_b32 s7, 0
	s_mov_b64 s[8:9], 0
	s_branch .LBB24_36
.LBB24_35:                              ;   in Loop: Header=BB24_36 Depth=1
	s_or_b64 exec, exec, s[2:3]
	s_add_i32 s7, s7, 4
	s_add_u32 s8, s8, 16
	s_addc_u32 s9, s9, 0
	s_cmp_eq_u32 s6, s7
	s_cbranch_scc1 .LBB24_68
.LBB24_36:                              ; =>This Inner Loop Header: Depth=1
	v_lshl_add_u64 v[8:9], v[4:5], 0, s[8:9]
	global_load_dword v18, v[8:9], off
	v_mov_b32_e32 v3, 0
	s_waitcnt vmcnt(0)
	v_cmp_eq_u32_e32 vcc, v18, v12
	v_cmp_ne_u32_e64 s[0:1], v18, v12
	s_and_saveexec_b64 s[12:13], s[0:1]
	s_cbranch_execz .LBB24_42
; %bb.37:                               ;   in Loop: Header=BB24_36 Depth=1
	v_cmp_eq_u32_e64 s[0:1], v18, v15
	v_cmp_ne_u32_e64 s[2:3], v18, v15
	v_mov_b32_e32 v3, v11
	s_and_saveexec_b64 s[14:15], s[2:3]
	s_cbranch_execz .LBB24_41
; %bb.38:                               ;   in Loop: Header=BB24_36 Depth=1
	v_cmp_eq_u32_e64 s[16:17], v18, v16
	v_cmp_ne_u32_e64 s[2:3], v18, v16
	v_mov_b32_e32 v3, v13
	s_and_saveexec_b64 s[18:19], s[2:3]
	s_xor_b64 s[18:19], exec, s[18:19]
; %bb.39:                               ;   in Loop: Header=BB24_36 Depth=1
	v_cmp_eq_u32_e64 s[2:3], v18, v17
	s_andn2_b64 s[16:17], s[16:17], exec
	s_and_b64 s[2:3], s[2:3], exec
	s_or_b64 s[16:17], s[16:17], s[2:3]
	v_mov_b32_e32 v3, v14
; %bb.40:                               ;   in Loop: Header=BB24_36 Depth=1
	s_or_b64 exec, exec, s[18:19]
	s_andn2_b64 s[0:1], s[0:1], exec
	s_and_b64 s[2:3], s[16:17], exec
	s_or_b64 s[0:1], s[0:1], s[2:3]
.LBB24_41:                              ;   in Loop: Header=BB24_36 Depth=1
	s_or_b64 exec, exec, s[14:15]
	s_andn2_b64 s[2:3], vcc, exec
	s_and_b64 s[0:1], s[0:1], exec
	s_or_b64 vcc, s[2:3], s[0:1]
.LBB24_42:                              ;   in Loop: Header=BB24_36 Depth=1
	s_or_b64 exec, exec, s[12:13]
	s_and_saveexec_b64 s[0:1], vcc
	s_cbranch_execz .LBB24_44
; %bb.43:                               ;   in Loop: Header=BB24_36 Depth=1
	scratch_load_dword v3, v3, off
	v_add_u32_e32 v18, s7, v2
	v_ashrrev_i32_e32 v19, 31, v18
	v_lshl_add_u64 v[18:19], v[18:19], 2, s[4:5]
	s_waitcnt vmcnt(0)
	v_mul_f32_e32 v3, v10, v3
	global_store_dword v[18:19], v3, off
.LBB24_44:                              ;   in Loop: Header=BB24_36 Depth=1
	s_or_b64 exec, exec, s[0:1]
	global_load_dword v18, v[8:9], off offset:4
	v_mov_b32_e32 v3, 0
	s_waitcnt vmcnt(0)
	v_cmp_eq_u32_e64 s[0:1], v18, v12
	v_cmp_ne_u32_e32 vcc, v18, v12
	s_and_saveexec_b64 s[2:3], vcc
	s_cbranch_execz .LBB24_50
; %bb.45:                               ;   in Loop: Header=BB24_36 Depth=1
	v_cmp_eq_u32_e64 s[12:13], v18, v15
	v_cmp_ne_u32_e32 vcc, v18, v15
	v_mov_b32_e32 v3, v11
	s_and_saveexec_b64 s[14:15], vcc
	s_cbranch_execz .LBB24_49
; %bb.46:                               ;   in Loop: Header=BB24_36 Depth=1
	v_cmp_eq_u32_e64 s[16:17], v18, v16
	v_cmp_ne_u32_e32 vcc, v18, v16
	v_mov_b32_e32 v3, v13
	s_and_saveexec_b64 s[18:19], vcc
; %bb.47:                               ;   in Loop: Header=BB24_36 Depth=1
	v_cmp_eq_u32_e32 vcc, v18, v17
	s_andn2_b64 s[16:17], s[16:17], exec
	s_and_b64 s[22:23], vcc, exec
	s_or_b64 s[16:17], s[16:17], s[22:23]
	v_mov_b32_e32 v3, v14
; %bb.48:                               ;   in Loop: Header=BB24_36 Depth=1
	s_or_b64 exec, exec, s[18:19]
	s_andn2_b64 s[12:13], s[12:13], exec
	s_and_b64 s[16:17], s[16:17], exec
	s_or_b64 s[12:13], s[12:13], s[16:17]
.LBB24_49:                              ;   in Loop: Header=BB24_36 Depth=1
	s_or_b64 exec, exec, s[14:15]
	s_andn2_b64 s[0:1], s[0:1], exec
	s_and_b64 s[12:13], s[12:13], exec
	s_or_b64 s[0:1], s[0:1], s[12:13]
.LBB24_50:                              ;   in Loop: Header=BB24_36 Depth=1
	s_or_b64 exec, exec, s[2:3]
	s_and_saveexec_b64 s[2:3], s[0:1]
	s_cbranch_execz .LBB24_52
; %bb.51:                               ;   in Loop: Header=BB24_36 Depth=1
	scratch_load_dword v3, v3, off
	v_lshl_add_u64 v[18:19], v[6:7], 0, s[8:9]
	s_waitcnt vmcnt(0)
	v_mul_f32_e32 v3, v10, v3
	global_store_dword v[18:19], v3, off offset:4
.LBB24_52:                              ;   in Loop: Header=BB24_36 Depth=1
	s_or_b64 exec, exec, s[2:3]
	global_load_dword v18, v[8:9], off offset:8
	v_mov_b32_e32 v3, 0
	s_waitcnt vmcnt(0)
	v_cmp_eq_u32_e64 s[0:1], v18, v12
	v_cmp_ne_u32_e32 vcc, v18, v12
	s_and_saveexec_b64 s[2:3], vcc
	s_cbranch_execz .LBB24_58
; %bb.53:                               ;   in Loop: Header=BB24_36 Depth=1
	v_cmp_eq_u32_e64 s[12:13], v18, v15
	v_cmp_ne_u32_e32 vcc, v18, v15
	v_mov_b32_e32 v3, v11
	s_and_saveexec_b64 s[14:15], vcc
	s_cbranch_execz .LBB24_57
; %bb.54:                               ;   in Loop: Header=BB24_36 Depth=1
	v_cmp_eq_u32_e64 s[16:17], v18, v16
	v_cmp_ne_u32_e32 vcc, v18, v16
	v_mov_b32_e32 v3, v13
	s_and_saveexec_b64 s[18:19], vcc
; %bb.55:                               ;   in Loop: Header=BB24_36 Depth=1
	v_cmp_eq_u32_e32 vcc, v18, v17
	s_andn2_b64 s[16:17], s[16:17], exec
	s_and_b64 s[22:23], vcc, exec
	s_or_b64 s[16:17], s[16:17], s[22:23]
	v_mov_b32_e32 v3, v14
; %bb.56:                               ;   in Loop: Header=BB24_36 Depth=1
	s_or_b64 exec, exec, s[18:19]
	s_andn2_b64 s[12:13], s[12:13], exec
	s_and_b64 s[16:17], s[16:17], exec
	s_or_b64 s[12:13], s[12:13], s[16:17]
.LBB24_57:                              ;   in Loop: Header=BB24_36 Depth=1
	s_or_b64 exec, exec, s[14:15]
	s_andn2_b64 s[0:1], s[0:1], exec
	s_and_b64 s[12:13], s[12:13], exec
	s_or_b64 s[0:1], s[0:1], s[12:13]
.LBB24_58:                              ;   in Loop: Header=BB24_36 Depth=1
	s_or_b64 exec, exec, s[2:3]
	s_and_saveexec_b64 s[2:3], s[0:1]
	s_cbranch_execz .LBB24_60
; %bb.59:                               ;   in Loop: Header=BB24_36 Depth=1
	scratch_load_dword v3, v3, off
	v_lshl_add_u64 v[18:19], v[6:7], 0, s[8:9]
	s_waitcnt vmcnt(0)
	v_mul_f32_e32 v3, v10, v3
	global_store_dword v[18:19], v3, off offset:8
.LBB24_60:                              ;   in Loop: Header=BB24_36 Depth=1
	s_or_b64 exec, exec, s[2:3]
	global_load_dword v8, v[8:9], off offset:12
	v_mov_b32_e32 v3, 0
	s_waitcnt vmcnt(0)
	v_cmp_eq_u32_e64 s[0:1], v8, v12
	v_cmp_ne_u32_e32 vcc, v8, v12
	s_and_saveexec_b64 s[2:3], vcc
	s_cbranch_execz .LBB24_66
; %bb.61:                               ;   in Loop: Header=BB24_36 Depth=1
	v_cmp_eq_u32_e64 s[12:13], v8, v15
	v_cmp_ne_u32_e32 vcc, v8, v15
	v_mov_b32_e32 v3, v11
	s_and_saveexec_b64 s[14:15], vcc
	s_cbranch_execz .LBB24_65
; %bb.62:                               ;   in Loop: Header=BB24_36 Depth=1
	v_cmp_eq_u32_e64 s[16:17], v8, v16
	v_cmp_ne_u32_e32 vcc, v8, v16
	v_mov_b32_e32 v3, v13
	s_and_saveexec_b64 s[18:19], vcc
; %bb.63:                               ;   in Loop: Header=BB24_36 Depth=1
	v_cmp_eq_u32_e32 vcc, v8, v17
	s_andn2_b64 s[16:17], s[16:17], exec
	s_and_b64 s[22:23], vcc, exec
	s_or_b64 s[16:17], s[16:17], s[22:23]
	v_mov_b32_e32 v3, v14
; %bb.64:                               ;   in Loop: Header=BB24_36 Depth=1
	s_or_b64 exec, exec, s[18:19]
	s_andn2_b64 s[12:13], s[12:13], exec
	s_and_b64 s[16:17], s[16:17], exec
	s_or_b64 s[12:13], s[12:13], s[16:17]
.LBB24_65:                              ;   in Loop: Header=BB24_36 Depth=1
	s_or_b64 exec, exec, s[14:15]
	s_andn2_b64 s[0:1], s[0:1], exec
	s_and_b64 s[12:13], s[12:13], exec
	s_or_b64 s[0:1], s[0:1], s[12:13]
.LBB24_66:                              ;   in Loop: Header=BB24_36 Depth=1
	s_or_b64 exec, exec, s[2:3]
	s_and_saveexec_b64 s[2:3], s[0:1]
	s_cbranch_execz .LBB24_35
; %bb.67:                               ;   in Loop: Header=BB24_36 Depth=1
	scratch_load_dword v3, v3, off
	v_lshl_add_u64 v[8:9], v[6:7], 0, s[8:9]
	s_waitcnt vmcnt(0)
	v_mul_f32_e32 v3, v10, v3
	global_store_dword v[8:9], v3, off offset:12
	s_branch .LBB24_35
.LBB24_68:
	s_and_b32 s14, s20, 3
	s_cmp_eq_u32 s14, 0
	s_mov_b32 s7, 0
	s_cbranch_scc1 .LBB24_79
; %bb.69:
	s_lshl_b64 s[0:1], s[6:7], 2
	s_add_u32 s0, s10, s0
	s_addc_u32 s1, s11, s1
	v_add_u32_e32 v2, s6, v2
	v_lshl_add_u64 v[0:1], v[0:1], 2, s[0:1]
	s_branch .LBB24_71
.LBB24_70:                              ;   in Loop: Header=BB24_71 Depth=1
	s_or_b64 exec, exec, s[2:3]
	s_add_i32 s14, s14, -1
	v_add_u32_e32 v2, 1, v2
	s_cmp_lg_u32 s14, 0
	v_lshl_add_u64 v[0:1], v[0:1], 0, 4
	s_cbranch_scc0 .LBB24_79
.LBB24_71:                              ; =>This Inner Loop Header: Depth=1
	global_load_dword v4, v[0:1], off
	v_mov_b32_e32 v3, 0
	s_waitcnt vmcnt(0)
	v_cmp_eq_u32_e64 s[0:1], v4, v12
	v_cmp_ne_u32_e32 vcc, v4, v12
	s_and_saveexec_b64 s[2:3], vcc
	s_cbranch_execz .LBB24_77
; %bb.72:                               ;   in Loop: Header=BB24_71 Depth=1
	v_cmp_eq_u32_e64 s[6:7], v4, v15
	v_cmp_ne_u32_e32 vcc, v4, v15
	v_mov_b32_e32 v3, v11
	s_and_saveexec_b64 s[8:9], vcc
	s_cbranch_execz .LBB24_76
; %bb.73:                               ;   in Loop: Header=BB24_71 Depth=1
	v_cmp_eq_u32_e64 s[10:11], v4, v16
	v_cmp_ne_u32_e32 vcc, v4, v16
	v_mov_b32_e32 v3, v13
	s_and_saveexec_b64 s[12:13], vcc
; %bb.74:                               ;   in Loop: Header=BB24_71 Depth=1
	v_cmp_eq_u32_e32 vcc, v4, v17
	s_andn2_b64 s[10:11], s[10:11], exec
	s_and_b64 s[16:17], vcc, exec
	s_or_b64 s[10:11], s[10:11], s[16:17]
	v_mov_b32_e32 v3, v14
; %bb.75:                               ;   in Loop: Header=BB24_71 Depth=1
	s_or_b64 exec, exec, s[12:13]
	s_andn2_b64 s[6:7], s[6:7], exec
	s_and_b64 s[10:11], s[10:11], exec
	s_or_b64 s[6:7], s[6:7], s[10:11]
.LBB24_76:                              ;   in Loop: Header=BB24_71 Depth=1
	s_or_b64 exec, exec, s[8:9]
	s_andn2_b64 s[0:1], s[0:1], exec
	s_and_b64 s[6:7], s[6:7], exec
	s_or_b64 s[0:1], s[0:1], s[6:7]
.LBB24_77:                              ;   in Loop: Header=BB24_71 Depth=1
	s_or_b64 exec, exec, s[2:3]
	s_and_saveexec_b64 s[2:3], s[0:1]
	s_cbranch_execz .LBB24_70
; %bb.78:                               ;   in Loop: Header=BB24_71 Depth=1
	scratch_load_dword v4, v3, off
	v_ashrrev_i32_e32 v3, 31, v2
	s_waitcnt vmcnt(0)
	v_mul_f32_e32 v6, v10, v4
	s_waitcnt lgkmcnt(0)
	v_lshl_add_u64 v[4:5], v[2:3], 2, s[4:5]
	global_store_dword v[4:5], v6, off
	s_branch .LBB24_70
.LBB24_79:
	s_endpgm
	.section	.rodata,"a",@progbits
	.p2align	6, 0x0
	.amdhsa_kernel _ZN4vllm3moe22topkGatingSoftplusSqrtILi4ELi64ELi4ELi16ELi64ELb1EifEEvPKT6_PKbPfiPT5_PiiiibdPKfPKS8_SE_
		.amdhsa_group_segment_fixed_size 0
		.amdhsa_private_segment_fixed_size 32
		.amdhsa_kernarg_size 96
		.amdhsa_user_sgpr_count 2
		.amdhsa_user_sgpr_dispatch_ptr 0
		.amdhsa_user_sgpr_queue_ptr 0
		.amdhsa_user_sgpr_kernarg_segment_ptr 1
		.amdhsa_user_sgpr_dispatch_id 0
		.amdhsa_user_sgpr_kernarg_preload_length 0
		.amdhsa_user_sgpr_kernarg_preload_offset 0
		.amdhsa_user_sgpr_private_segment_size 0
		.amdhsa_uses_dynamic_stack 0
		.amdhsa_enable_private_segment 1
		.amdhsa_system_sgpr_workgroup_id_x 1
		.amdhsa_system_sgpr_workgroup_id_y 0
		.amdhsa_system_sgpr_workgroup_id_z 0
		.amdhsa_system_sgpr_workgroup_info 0
		.amdhsa_system_vgpr_workitem_id 1
		.amdhsa_next_free_vgpr 25
		.amdhsa_next_free_sgpr 24
		.amdhsa_accum_offset 28
		.amdhsa_reserve_vcc 1
		.amdhsa_float_round_mode_32 0
		.amdhsa_float_round_mode_16_64 0
		.amdhsa_float_denorm_mode_32 3
		.amdhsa_float_denorm_mode_16_64 3
		.amdhsa_dx10_clamp 1
		.amdhsa_ieee_mode 1
		.amdhsa_fp16_overflow 0
		.amdhsa_tg_split 0
		.amdhsa_exception_fp_ieee_invalid_op 0
		.amdhsa_exception_fp_denorm_src 0
		.amdhsa_exception_fp_ieee_div_zero 0
		.amdhsa_exception_fp_ieee_overflow 0
		.amdhsa_exception_fp_ieee_underflow 0
		.amdhsa_exception_fp_ieee_inexact 0
		.amdhsa_exception_int_div_zero 0
	.end_amdhsa_kernel
	.section	.text._ZN4vllm3moe22topkGatingSoftplusSqrtILi4ELi64ELi4ELi16ELi64ELb1EifEEvPKT6_PKbPfiPT5_PiiiibdPKfPKS8_SE_,"axG",@progbits,_ZN4vllm3moe22topkGatingSoftplusSqrtILi4ELi64ELi4ELi16ELi64ELb1EifEEvPKT6_PKbPfiPT5_PiiiibdPKfPKS8_SE_,comdat
.Lfunc_end24:
	.size	_ZN4vllm3moe22topkGatingSoftplusSqrtILi4ELi64ELi4ELi16ELi64ELb1EifEEvPKT6_PKbPfiPT5_PiiiibdPKfPKS8_SE_, .Lfunc_end24-_ZN4vllm3moe22topkGatingSoftplusSqrtILi4ELi64ELi4ELi16ELi64ELb1EifEEvPKT6_PKbPfiPT5_PiiiibdPKfPKS8_SE_
                                        ; -- End function
	.section	.AMDGPU.csdata,"",@progbits
; Kernel info:
; codeLenInByte = 3452
; NumSgprs: 30
; NumVgprs: 25
; NumAgprs: 0
; TotalNumVgprs: 25
; ScratchSize: 32
; MemoryBound: 0
; FloatMode: 240
; IeeeMode: 1
; LDSByteSize: 0 bytes/workgroup (compile time only)
; SGPRBlocks: 3
; VGPRBlocks: 3
; NumSGPRsForWavesPerEU: 30
; NumVGPRsForWavesPerEU: 25
; AccumOffset: 28
; Occupancy: 8
; WaveLimiterHint : 1
; COMPUTE_PGM_RSRC2:SCRATCH_EN: 1
; COMPUTE_PGM_RSRC2:USER_SGPR: 2
; COMPUTE_PGM_RSRC2:TRAP_HANDLER: 0
; COMPUTE_PGM_RSRC2:TGID_X_EN: 1
; COMPUTE_PGM_RSRC2:TGID_Y_EN: 0
; COMPUTE_PGM_RSRC2:TGID_Z_EN: 0
; COMPUTE_PGM_RSRC2:TIDIG_COMP_CNT: 1
; COMPUTE_PGM_RSRC3_GFX90A:ACCUM_OFFSET: 6
; COMPUTE_PGM_RSRC3_GFX90A:TG_SPLIT: 0
	.section	.text._ZN4vllm3moe22topkGatingSoftplusSqrtILi4ELi64ELi4ELi16ELi64ELb0EifEEvPKT6_PKbPfiPT5_PiiiibdPKfPKS8_SE_,"axG",@progbits,_ZN4vllm3moe22topkGatingSoftplusSqrtILi4ELi64ELi4ELi16ELi64ELb0EifEEvPKT6_PKbPfiPT5_PiiiibdPKfPKS8_SE_,comdat
	.protected	_ZN4vllm3moe22topkGatingSoftplusSqrtILi4ELi64ELi4ELi16ELi64ELb0EifEEvPKT6_PKbPfiPT5_PiiiibdPKfPKS8_SE_ ; -- Begin function _ZN4vllm3moe22topkGatingSoftplusSqrtILi4ELi64ELi4ELi16ELi64ELb0EifEEvPKT6_PKbPfiPT5_PiiiibdPKfPKS8_SE_
	.globl	_ZN4vllm3moe22topkGatingSoftplusSqrtILi4ELi64ELi4ELi16ELi64ELb0EifEEvPKT6_PKbPfiPT5_PiiiibdPKfPKS8_SE_
	.p2align	8
	.type	_ZN4vllm3moe22topkGatingSoftplusSqrtILi4ELi64ELi4ELi16ELi64ELb0EifEEvPKT6_PKbPfiPT5_PiiiibdPKfPKS8_SE_,@function
_ZN4vllm3moe22topkGatingSoftplusSqrtILi4ELi64ELi4ELi16ELi64ELb0EifEEvPKT6_PKbPfiPT5_PiiiibdPKfPKS8_SE_: ; @_ZN4vllm3moe22topkGatingSoftplusSqrtILi4ELi64ELi4ELi16ELi64ELb0EifEEvPKT6_PKbPfiPT5_PiiiibdPKfPKS8_SE_
; %bb.0:
	s_load_dword s30, s[2:3], 0x18
	v_and_b32_e32 v1, 0x3ff, v0
	v_bfe_u32 v4, v0, 10, 10
	s_lshl_b32 s4, s4, 4
	v_lshlrev_b32_e32 v2, 2, v4
	v_lshrrev_b32_e32 v3, 4, v1
	v_add3_u32 v2, s4, v2, v3
	s_waitcnt lgkmcnt(0)
	v_cmp_gt_i32_e32 vcc, s30, v2
	s_and_saveexec_b64 s[4:5], vcc
	s_cbranch_execz .LBB25_51
; %bb.1:
	s_load_dwordx4 s[4:7], s[2:3], 0x0
	s_load_dwordx2 s[20:21], s[2:3], 0x10
	s_waitcnt lgkmcnt(0)
	s_cmp_eq_u64 s[6:7], 0
	s_cbranch_scc1 .LBB25_3
; %bb.2:
	v_ashrrev_i32_e32 v3, 31, v2
	v_lshl_add_u64 v[6:7], s[6:7], 0, v[2:3]
	global_load_ubyte v3, v[6:7], off
	s_waitcnt vmcnt(0)
	v_and_b32_e32 v3, 1, v3
	v_cmp_eq_u32_e32 vcc, 1, v3
	s_xor_b64 s[6:7], vcc, -1
	s_orn2_b64 s[22:23], s[6:7], exec
	s_branch .LBB25_4
.LBB25_3:
	s_mov_b64 s[22:23], -1
.LBB25_4:
	v_lshlrev_b32_e32 v8, 6, v2
	v_mov_b32_e32 v6, s4
	v_mov_b32_e32 v7, s5
	v_ashrrev_i32_e32 v9, 31, v8
	v_and_b32_e32 v3, 15, v1
	v_lshl_add_u64 v[6:7], v[8:9], 2, v[6:7]
	v_mov_b32_e32 v9, 0
	v_lshlrev_b32_e32 v8, 4, v3
	v_lshl_add_u64 v[6:7], v[6:7], 0, v[8:9]
	global_load_dwordx4 v[6:9], v[6:7], off
	s_load_dwordx2 s[4:5], s[0:1], 0x4
	s_load_dwordx4 s[8:11], s[2:3], 0x40
	v_bfe_u32 v0, v0, 20, 10
	s_mov_b32 s16, 0x800000
	s_mov_b32 s13, 0x3f317217
	s_waitcnt lgkmcnt(0)
	s_lshr_b32 s0, s4, 16
	s_mul_i32 s0, s0, s5
	v_mul_lo_u32 v1, s0, v1
	v_mad_u32_u24 v1, v4, s5, v1
	v_add_lshl_u32 v4, v1, v0, 4
	s_mov_b32 s14, 0x7f800000
	s_mov_b32 s12, 0x41a00000
	;; [unrolled: 1-line block ×3, first 2 shown]
	s_cmp_lg_u64 s[10:11], 0
	v_mov_b32_e32 v1, 0x260
	s_cselect_b64 s[6:7], -1, 0
	s_and_b64 s[0:1], exec, s[6:7]
	s_waitcnt vmcnt(0)
	ds_write_b128 v4, v[6:9]
	ds_read_b32 v8, v4
	v_mov_b32_e32 v6, 0x4f800000
	v_mov_b32_e32 v7, 0x41b17218
	s_waitcnt lgkmcnt(0)
	v_mul_f32_e32 v0, 0x3fb8aa3b, v8
	v_exp_f32_e32 v0, v0
	s_nop 0
	v_add_f32_e32 v0, 1.0, v0
	v_cmp_gt_f32_e32 vcc, s16, v0
	s_nop 1
	v_cndmask_b32_e32 v5, 1.0, v6, vcc
	v_mul_f32_e32 v0, v0, v5
	v_log_f32_e32 v9, v0
	v_cndmask_b32_e32 v10, 0, v7, vcc
	v_lshlrev_b32_e32 v5, 2, v3
	v_lshlrev_b32_e32 v0, 2, v5
	v_mul_f32_e32 v11, 0x3f317217, v9
	v_fma_f32 v11, v9, s13, -v11
	v_fmac_f32_e32 v11, 0x3377d1cf, v9
	v_fmac_f32_e32 v11, 0x3f317217, v9
	v_cmp_lt_f32_e64 vcc, |v9|, s14
	s_nop 1
	v_cndmask_b32_e32 v9, v9, v11, vcc
	v_sub_f32_e32 v9, v9, v10
	v_cmp_lt_f32_e32 vcc, s12, v8
	s_nop 1
	v_cndmask_b32_e32 v8, v9, v8, vcc
	v_mul_f32_e32 v9, 0x4f800000, v8
	v_cmp_gt_f32_e32 vcc, s15, v8
	s_nop 1
	v_cndmask_b32_e32 v8, v8, v9, vcc
	v_sqrt_f32_e32 v9, v8
	s_nop 0
	v_add_u32_e32 v10, -1, v9
	v_add_u32_e32 v11, 1, v9
	v_fma_f32 v12, -v10, v9, v8
	v_fma_f32 v13, -v11, v9, v8
	v_cmp_ge_f32_e64 s[4:5], 0, v12
	s_nop 1
	v_cndmask_b32_e64 v9, v9, v10, s[4:5]
	v_cmp_lt_f32_e64 s[4:5], 0, v13
	s_nop 1
	v_cndmask_b32_e64 v9, v9, v11, s[4:5]
	v_mul_f32_e32 v10, 0x37800000, v9
	v_cndmask_b32_e32 v9, v9, v10, vcc
	v_cmp_class_f32_e32 vcc, v8, v1
	s_nop 1
	v_cndmask_b32_e32 v8, v9, v8, vcc
	s_mov_b64 vcc, s[0:1]
	s_cbranch_vccz .LBB25_6
; %bb.5:
	global_load_dword v9, v0, s[10:11]
	s_waitcnt vmcnt(0)
	v_add_f32_e32 v8, v8, v9
.LBB25_6:
	ds_read_b32 v9, v4 offset:4
	ds_write_b32 v4, v8
	s_waitcnt lgkmcnt(1)
	v_mul_f32_e32 v10, 0x3fb8aa3b, v9
	v_exp_f32_e32 v10, v10
	s_nop 0
	v_add_f32_e32 v10, 1.0, v10
	v_cmp_gt_f32_e32 vcc, s16, v10
	s_nop 1
	v_cndmask_b32_e32 v6, 1.0, v6, vcc
	v_mul_f32_e32 v6, v10, v6
	v_log_f32_e32 v6, v6
	v_cndmask_b32_e32 v7, 0, v7, vcc
	v_mul_f32_e32 v8, 0x3f317217, v6
	v_fma_f32 v8, v6, s13, -v8
	v_fmac_f32_e32 v8, 0x3377d1cf, v6
	v_fmac_f32_e32 v8, 0x3f317217, v6
	v_cmp_lt_f32_e64 vcc, |v6|, s14
	s_nop 1
	v_cndmask_b32_e32 v6, v6, v8, vcc
	v_sub_f32_e32 v6, v6, v7
	v_cmp_lt_f32_e32 vcc, s12, v9
	v_cndmask_b32_e64 v8, 0, 1, s[6:7]
	v_cmp_ne_u32_e64 s[0:1], 1, v8
	v_cndmask_b32_e32 v6, v6, v9, vcc
	v_mul_f32_e32 v7, 0x4f800000, v6
	v_cmp_gt_f32_e64 s[4:5], s15, v6
	s_andn2_b64 vcc, exec, s[6:7]
	s_nop 0
	v_cndmask_b32_e64 v6, v6, v7, s[4:5]
	v_sqrt_f32_e32 v7, v6
	s_nop 0
	v_add_u32_e32 v8, -1, v7
	v_add_u32_e32 v9, 1, v7
	v_fma_f32 v10, -v8, v7, v6
	v_fma_f32 v11, -v9, v7, v6
	v_cmp_ge_f32_e64 s[6:7], 0, v10
	s_nop 1
	v_cndmask_b32_e64 v7, v7, v8, s[6:7]
	v_cmp_lt_f32_e64 s[6:7], 0, v11
	s_nop 1
	v_cndmask_b32_e64 v7, v7, v9, s[6:7]
	v_mul_f32_e32 v8, 0x37800000, v7
	v_cndmask_b32_e64 v7, v7, v8, s[4:5]
	v_cmp_class_f32_e64 s[4:5], v6, v1
	s_nop 1
	v_cndmask_b32_e64 v1, v7, v6, s[4:5]
	s_cbranch_vccnz .LBB25_8
; %bb.7:
	global_load_dword v6, v0, s[10:11] offset:4
	s_waitcnt vmcnt(0)
	v_add_f32_e32 v1, v1, v6
.LBB25_8:
	ds_read_b32 v8, v4 offset:8
	s_mov_b32 s12, 0x800000
	s_mov_b32 s7, 0x3f317217
	s_mov_b32 s13, 0x7f800000
	s_mov_b32 s6, 0x41a00000
	s_waitcnt lgkmcnt(0)
	v_mul_f32_e32 v6, 0x3fb8aa3b, v8
	v_exp_f32_e32 v7, v6
	v_mov_b32_e32 v6, 0x4f800000
	s_mov_b32 s14, 0xf800000
	ds_write_b32 v4, v1 offset:4
	v_add_f32_e32 v7, 1.0, v7
	v_cmp_gt_f32_e32 vcc, s12, v7
	s_nop 1
	v_cndmask_b32_e32 v9, 1.0, v6, vcc
	v_mul_f32_e32 v7, v7, v9
	v_log_f32_e32 v9, v7
	v_mov_b32_e32 v7, 0x41b17218
	v_cndmask_b32_e32 v10, 0, v7, vcc
	v_mul_f32_e32 v11, 0x3f317217, v9
	v_fma_f32 v11, v9, s7, -v11
	v_fmac_f32_e32 v11, 0x3377d1cf, v9
	v_fmac_f32_e32 v11, 0x3f317217, v9
	v_cmp_lt_f32_e64 vcc, |v9|, s13
	s_nop 1
	v_cndmask_b32_e32 v9, v9, v11, vcc
	v_sub_f32_e32 v9, v9, v10
	v_cmp_lt_f32_e32 vcc, s6, v8
	s_nop 1
	v_cndmask_b32_e32 v8, v9, v8, vcc
	v_mul_f32_e32 v9, 0x4f800000, v8
	v_cmp_gt_f32_e32 vcc, s14, v8
	s_nop 1
	v_cndmask_b32_e32 v8, v8, v9, vcc
	v_sqrt_f32_e32 v9, v8
	s_nop 0
	v_add_u32_e32 v1, -1, v9
	v_fma_f32 v10, -v1, v9, v8
	v_cmp_ge_f32_e64 s[4:5], 0, v10
	v_add_u32_e32 v10, 1, v9
	s_nop 0
	v_cndmask_b32_e64 v1, v9, v1, s[4:5]
	v_fma_f32 v9, -v10, v9, v8
	v_cmp_lt_f32_e64 s[4:5], 0, v9
	s_nop 1
	v_cndmask_b32_e64 v1, v1, v10, s[4:5]
	v_mul_f32_e32 v9, 0x37800000, v1
	v_cndmask_b32_e32 v9, v1, v9, vcc
	v_mov_b32_e32 v1, 0x260
	v_cmp_class_f32_e64 s[4:5], v8, v1
	s_and_b64 vcc, exec, s[0:1]
	s_nop 0
	v_cndmask_b32_e64 v8, v9, v8, s[4:5]
	s_cbranch_vccnz .LBB25_10
; %bb.9:
	global_load_dword v9, v0, s[10:11] offset:8
	s_waitcnt vmcnt(0)
	v_add_f32_e32 v8, v8, v9
.LBB25_10:
	ds_read_b32 v9, v4 offset:12
	ds_write_b32 v4, v8 offset:8
	s_waitcnt lgkmcnt(1)
	v_mul_f32_e32 v10, 0x3fb8aa3b, v9
	v_exp_f32_e32 v10, v10
	s_nop 0
	v_add_f32_e32 v10, 1.0, v10
	v_cmp_gt_f32_e32 vcc, s12, v10
	s_nop 1
	v_cndmask_b32_e32 v6, 1.0, v6, vcc
	v_mul_f32_e32 v6, v10, v6
	v_log_f32_e32 v6, v6
	v_cndmask_b32_e32 v7, 0, v7, vcc
	v_mul_f32_e32 v10, 0x3f317217, v6
	v_fma_f32 v10, v6, s7, -v10
	v_fmac_f32_e32 v10, 0x3377d1cf, v6
	v_fmac_f32_e32 v10, 0x3f317217, v6
	v_cmp_lt_f32_e64 vcc, |v6|, s13
	s_nop 1
	v_cndmask_b32_e32 v6, v6, v10, vcc
	v_sub_f32_e32 v6, v6, v7
	v_cmp_lt_f32_e32 vcc, s6, v9
	s_nop 1
	v_cndmask_b32_e32 v6, v6, v9, vcc
	v_mul_f32_e32 v7, 0x4f800000, v6
	v_cmp_gt_f32_e64 s[4:5], s14, v6
	s_and_b64 vcc, exec, s[0:1]
	s_nop 0
	v_cndmask_b32_e64 v6, v6, v7, s[4:5]
	v_sqrt_f32_e32 v7, v6
	s_nop 0
	v_add_u32_e32 v8, -1, v7
	v_add_u32_e32 v9, 1, v7
	v_fma_f32 v10, -v8, v7, v6
	v_fma_f32 v11, -v9, v7, v6
	v_cmp_ge_f32_e64 s[6:7], 0, v10
	s_nop 1
	v_cndmask_b32_e64 v7, v7, v8, s[6:7]
	v_cmp_lt_f32_e64 s[6:7], 0, v11
	s_nop 1
	v_cndmask_b32_e64 v7, v7, v9, s[6:7]
	v_mul_f32_e32 v8, 0x37800000, v7
	v_cndmask_b32_e64 v7, v7, v8, s[4:5]
	v_cmp_class_f32_e64 s[4:5], v6, v1
	s_nop 1
	v_cndmask_b32_e64 v1, v7, v6, s[4:5]
	s_cbranch_vccnz .LBB25_12
; %bb.11:
	global_load_dword v0, v0, s[10:11] offset:12
	s_waitcnt vmcnt(0)
	v_add_f32_e32 v1, v1, v0
.LBB25_12:
	s_load_dwordx4 s[12:15], s[2:3], 0x30
	s_mov_b32 s31, 0
	v_cmp_eq_u32_e64 s[6:7], 0, v3
	ds_write_b32 v4, v1 offset:12
	s_waitcnt lgkmcnt(0)
	s_bitcmp1_b32 s15, 0
	s_cselect_b64 s[4:5], -1, 0
	s_cmp_gt_i32 s12, 0
	s_cselect_b64 s[24:25], -1, 0
	s_and_b64 vcc, exec, s[24:25]
	s_cbranch_vccz .LBB25_37
; %bb.13:
	v_mbcnt_lo_u32_b32 v0, -1, 0
	v_mbcnt_hi_u32_b32 v0, -1, v0
	v_and_b32_e32 v1, 0x70, v0
	v_add_u32_e32 v1, 16, v1
	v_xor_b32_e32 v6, 8, v0
	v_cmp_lt_i32_e32 vcc, v6, v1
	s_load_dwordx4 s[16:19], s[2:3], 0x20
	v_mul_lo_u32 v7, v2, s12
	v_cndmask_b32_e32 v6, v0, v6, vcc
	v_lshlrev_b32_e32 v8, 2, v6
	v_xor_b32_e32 v6, 4, v0
	v_cmp_lt_i32_e32 vcc, v6, v1
	v_mov_b32_e32 v12, 0xc61c4000
	v_mov_b32_e32 v13, v2
	v_cndmask_b32_e32 v6, v0, v6, vcc
	v_lshlrev_b32_e32 v9, 2, v6
	v_xor_b32_e32 v6, 2, v0
	v_cmp_lt_i32_e32 vcc, v6, v1
	s_nop 1
	v_cndmask_b32_e32 v6, v0, v6, vcc
	v_lshlrev_b32_e32 v10, 2, v6
	v_xor_b32_e32 v6, 1, v0
	v_cmp_lt_i32_e32 vcc, v6, v1
	s_nop 1
	v_cndmask_b32_e32 v0, v0, v6, vcc
	v_lshlrev_b32_e32 v11, 2, v0
	v_mov_b32_e32 v6, 0
	s_branch .LBB25_15
.LBB25_14:                              ;   in Loop: Header=BB25_15 Depth=1
	s_or_b64 exec, exec, s[2:3]
	s_cmp_eq_u32 s12, s31
	v_add_u32_e32 v13, s30, v13
	s_cbranch_scc1 .LBB25_38
.LBB25_15:                              ; =>This Inner Loop Header: Depth=1
	ds_read_b128 v[14:17], v4
	s_waitcnt lgkmcnt(0)
	v_cmp_gt_f32_e32 vcc, v15, v14
	s_nop 1
	v_cndmask_b32_e32 v1, v14, v15, vcc
	v_cndmask_b32_e64 v0, 0, 1, vcc
	v_cmp_gt_f32_e32 vcc, v16, v1
	s_nop 1
	v_cndmask_b32_e32 v1, v1, v16, vcc
	v_cndmask_b32_e64 v0, v0, 2, vcc
	v_cmp_gt_f32_e32 vcc, v17, v1
	s_nop 1
	v_cndmask_b32_e64 v0, v0, 3, vcc
	v_cndmask_b32_e32 v14, v1, v17, vcc
	ds_bpermute_b32 v1, v8, v14
	v_or_b32_e32 v0, v5, v0
	ds_bpermute_b32 v15, v8, v0
	s_waitcnt lgkmcnt(1)
	v_cmp_lt_f32_e64 s[26:27], v14, v1
	v_cmp_nlt_f32_e32 vcc, v14, v1
	s_and_saveexec_b64 s[28:29], vcc
	s_cbranch_execz .LBB25_17
; %bb.16:                               ;   in Loop: Header=BB25_15 Depth=1
	v_cmp_eq_f32_e32 vcc, v14, v1
	s_waitcnt lgkmcnt(0)
	v_cmp_lt_i32_e64 s[2:3], v15, v0
	s_and_b64 s[2:3], vcc, s[2:3]
	s_andn2_b64 s[26:27], s[26:27], exec
	s_and_b64 s[2:3], s[2:3], exec
	s_or_b64 s[26:27], s[26:27], s[2:3]
.LBB25_17:                              ;   in Loop: Header=BB25_15 Depth=1
	s_or_b64 exec, exec, s[28:29]
	s_and_saveexec_b64 s[2:3], s[26:27]
	s_cbranch_execz .LBB25_19
; %bb.18:                               ;   in Loop: Header=BB25_15 Depth=1
	v_mov_b32_e32 v14, v1
	s_waitcnt lgkmcnt(0)
	v_mov_b32_e32 v0, v15
.LBB25_19:                              ;   in Loop: Header=BB25_15 Depth=1
	s_or_b64 exec, exec, s[2:3]
	ds_bpermute_b32 v1, v9, v14
	s_waitcnt lgkmcnt(1)
	ds_bpermute_b32 v15, v9, v0
	s_waitcnt lgkmcnt(1)
	v_cmp_lt_f32_e64 s[26:27], v14, v1
	v_cmp_nlt_f32_e32 vcc, v14, v1
	s_and_saveexec_b64 s[28:29], vcc
	s_cbranch_execz .LBB25_21
; %bb.20:                               ;   in Loop: Header=BB25_15 Depth=1
	v_cmp_eq_f32_e32 vcc, v14, v1
	s_waitcnt lgkmcnt(0)
	v_cmp_lt_i32_e64 s[2:3], v15, v0
	s_and_b64 s[2:3], vcc, s[2:3]
	s_andn2_b64 s[26:27], s[26:27], exec
	s_and_b64 s[2:3], s[2:3], exec
	s_or_b64 s[26:27], s[26:27], s[2:3]
.LBB25_21:                              ;   in Loop: Header=BB25_15 Depth=1
	s_or_b64 exec, exec, s[28:29]
	s_and_saveexec_b64 s[2:3], s[26:27]
	s_cbranch_execz .LBB25_23
; %bb.22:                               ;   in Loop: Header=BB25_15 Depth=1
	v_mov_b32_e32 v14, v1
	s_waitcnt lgkmcnt(0)
	v_mov_b32_e32 v0, v15
.LBB25_23:                              ;   in Loop: Header=BB25_15 Depth=1
	s_or_b64 exec, exec, s[2:3]
	ds_bpermute_b32 v1, v10, v14
	s_waitcnt lgkmcnt(1)
	;; [unrolled: 26-line block ×3, first 2 shown]
	ds_bpermute_b32 v15, v11, v0
	s_waitcnt lgkmcnt(1)
	v_cmp_lt_f32_e64 s[26:27], v14, v1
	v_cmp_nlt_f32_e32 vcc, v14, v1
	s_and_saveexec_b64 s[28:29], vcc
	s_cbranch_execnz .LBB25_30
; %bb.28:                               ;   in Loop: Header=BB25_15 Depth=1
	s_or_b64 exec, exec, s[28:29]
	s_and_saveexec_b64 s[2:3], s[26:27]
	s_cbranch_execnz .LBB25_31
.LBB25_29:                              ;   in Loop: Header=BB25_15 Depth=1
	s_or_b64 exec, exec, s[2:3]
	s_and_saveexec_b64 s[26:27], s[6:7]
	s_cbranch_execnz .LBB25_32
	s_branch .LBB25_35
.LBB25_30:                              ;   in Loop: Header=BB25_15 Depth=1
	v_cmp_eq_f32_e32 vcc, v14, v1
	s_waitcnt lgkmcnt(0)
	v_cmp_lt_i32_e64 s[2:3], v15, v0
	s_and_b64 s[2:3], vcc, s[2:3]
	s_andn2_b64 s[26:27], s[26:27], exec
	s_and_b64 s[2:3], s[2:3], exec
	s_or_b64 s[26:27], s[26:27], s[2:3]
	s_or_b64 exec, exec, s[28:29]
	s_and_saveexec_b64 s[2:3], s[26:27]
	s_cbranch_execz .LBB25_29
.LBB25_31:                              ;   in Loop: Header=BB25_15 Depth=1
	s_waitcnt lgkmcnt(0)
	v_mov_b32_e32 v0, v15
	v_mov_b32_e32 v14, v1
	s_or_b64 exec, exec, s[2:3]
	s_and_saveexec_b64 s[26:27], s[6:7]
	s_cbranch_execz .LBB25_35
.LBB25_32:                              ;   in Loop: Header=BB25_15 Depth=1
	s_and_b64 vcc, exec, s[0:1]
	s_cbranch_vccnz .LBB25_34
; %bb.33:                               ;   in Loop: Header=BB25_15 Depth=1
	v_ashrrev_i32_e32 v1, 31, v0
	v_lshl_add_u64 v[16:17], v[0:1], 2, s[10:11]
	global_load_dword v1, v[16:17], off
	s_waitcnt vmcnt(0)
	v_sub_f32_e32 v14, v14, v1
.LBB25_34:                              ;   in Loop: Header=BB25_15 Depth=1
	v_add_u32_e32 v16, s31, v7
	v_cmp_le_i32_e32 vcc, s13, v0
	v_cmp_gt_i32_e64 s[2:3], s14, v0
	v_ashrrev_i32_e32 v17, 31, v16
	s_and_b64 s[2:3], vcc, s[2:3]
	v_lshlrev_b64 v[16:17], 2, v[16:17]
	v_lshl_add_u64 v[18:19], s[20:21], 0, v[16:17]
	v_subrev_u32_e32 v1, s13, v0
	s_and_b64 vcc, s[22:23], s[2:3]
	global_store_dword v[18:19], v14, off
	v_cndmask_b32_e32 v1, 64, v1, vcc
	v_lshl_add_u64 v[18:19], s[16:17], 0, v[16:17]
	global_store_dword v[18:19], v1, off
	v_add_f32_e32 v1, v6, v14
	v_lshl_add_u64 v[16:17], s[18:19], 0, v[16:17]
	v_cndmask_b32_e64 v6, v6, v1, s[4:5]
	global_store_dword v[16:17], v13, off
.LBB25_35:                              ;   in Loop: Header=BB25_15 Depth=1
	s_or_b64 exec, exec, s[26:27]
	v_ashrrev_i32_e32 v14, 31, v0
	v_lshrrev_b32_e32 v1, 30, v14
	s_waitcnt lgkmcnt(0)
	v_add_u32_e32 v15, v0, v1
	v_ashrrev_i32_e32 v1, 2, v15
	v_ashrrev_i32_e32 v15, 31, v15
	v_lshrrev_b32_e32 v15, 28, v15
	v_add_u32_e32 v15, v1, v15
	s_add_i32 s31, s31, 1
	v_and_b32_e32 v15, -16, v15
	s_cmp_lt_i32 s31, s12
	v_sub_u32_e32 v15, v1, v15
	s_cselect_b64 s[2:3], -1, 0
	v_cmp_eq_u32_e32 vcc, v3, v15
	s_and_b64 s[26:27], s[2:3], vcc
	s_and_saveexec_b64 s[2:3], s[26:27]
	s_cbranch_execz .LBB25_14
; %bb.36:                               ;   in Loop: Header=BB25_15 Depth=1
	v_lshrrev_b32_e32 v14, 26, v14
	v_add_u32_e32 v14, v0, v14
	v_lshlrev_b32_e32 v1, 2, v1
	v_ashrrev_i32_e32 v14, 6, v14
	v_sub_u32_e32 v0, v0, v1
	v_lshl_add_u32 v0, v14, 2, v0
	v_lshl_add_u32 v0, v0, 2, v4
	ds_write_b32 v0, v12
	s_branch .LBB25_14
.LBB25_37:
	v_mov_b32_e32 v6, 0
.LBB25_38:
	v_cmp_eq_u32_e32 vcc, 0, v3
	s_and_b64 exec, exec, vcc
	s_cbranch_execz .LBB25_51
; %bb.39:
	s_andn2_b64 vcc, exec, s[4:5]
	v_cvt_f32_f64_e32 v0, s[8:9]
	s_cbranch_vccnz .LBB25_41
; %bb.40:
	v_cmp_lt_f32_e32 vcc, 0, v6
	s_nop 1
	v_cndmask_b32_e32 v1, 1.0, v6, vcc
	v_div_scale_f32 v3, s[0:1], v1, v1, v0
	v_rcp_f32_e32 v4, v3
	s_nop 0
	v_fma_f32 v5, -v3, v4, 1.0
	v_fmac_f32_e32 v4, v5, v4
	v_div_scale_f32 v5, vcc, v0, v1, v0
	v_mul_f32_e32 v6, v5, v4
	v_fma_f32 v7, -v3, v6, v5
	v_fmac_f32_e32 v6, v7, v4
	v_fma_f32 v3, -v3, v6, v5
	v_div_fmas_f32 v3, v3, v4, v6
	v_div_fixup_f32 v0, v3, v1, v0
.LBB25_41:
	s_andn2_b64 vcc, exec, s[24:25]
	s_cbranch_vccnz .LBB25_51
; %bb.42:
	v_mul_lo_u32 v2, v2, s12
	s_cmp_gt_u32 s12, 3
	v_ashrrev_i32_e32 v3, 31, v2
	s_cbranch_scc0 .LBB25_46
; %bb.43:
	s_and_b32 s0, s12, 0x7ffffffc
	v_lshl_add_u64 v[4:5], v[2:3], 2, s[20:21]
	v_mov_b32_e32 v1, v0
	v_lshl_add_u64 v[4:5], v[4:5], 0, 8
	s_mov_b32 s1, s0
.LBB25_44:                              ; =>This Inner Loop Header: Depth=1
	global_load_dwordx4 v[6:9], v[4:5], off offset:-8
	s_add_i32 s1, s1, -4
	s_cmp_lg_u32 s1, 0
	s_waitcnt vmcnt(0)
	v_pk_mul_f32 v[6:7], v[0:1], v[6:7]
	v_pk_mul_f32 v[8:9], v[0:1], v[8:9]
	global_store_dwordx4 v[4:5], v[6:9], off offset:-8
	v_lshl_add_u64 v[4:5], v[4:5], 0, 16
	s_cbranch_scc1 .LBB25_44
; %bb.45:
	s_cmp_lg_u32 s0, s12
	s_cselect_b64 s[2:3], -1, 0
	s_branch .LBB25_48
.LBB25_46:
	s_mov_b64 s[2:3], 0
                                        ; implicit-def: $sgpr0
	s_cbranch_execz .LBB25_48
; %bb.47:
	s_mov_b64 s[2:3], -1
	s_mov_b32 s0, 0
.LBB25_48:
	s_andn2_b64 vcc, exec, s[2:3]
	s_cbranch_vccnz .LBB25_51
; %bb.49:
	s_mov_b32 s1, 0
	v_lshl_add_u64 v[2:3], v[2:3], 0, s[0:1]
	s_sub_i32 s2, s12, s0
	v_lshl_add_u64 v[2:3], v[2:3], 2, s[20:21]
.LBB25_50:                              ; =>This Inner Loop Header: Depth=1
	global_load_dword v1, v[2:3], off
	s_add_i32 s2, s2, -1
	s_cmp_lg_u32 s2, 0
	s_waitcnt vmcnt(0)
	v_mul_f32_e32 v1, v0, v1
	global_store_dword v[2:3], v1, off
	v_lshl_add_u64 v[2:3], v[2:3], 0, 4
	s_cbranch_scc1 .LBB25_50
.LBB25_51:
	s_endpgm
	.section	.rodata,"a",@progbits
	.p2align	6, 0x0
	.amdhsa_kernel _ZN4vllm3moe22topkGatingSoftplusSqrtILi4ELi64ELi4ELi16ELi64ELb0EifEEvPKT6_PKbPfiPT5_PiiiibdPKfPKS8_SE_
		.amdhsa_group_segment_fixed_size 4096
		.amdhsa_private_segment_fixed_size 0
		.amdhsa_kernarg_size 96
		.amdhsa_user_sgpr_count 4
		.amdhsa_user_sgpr_dispatch_ptr 1
		.amdhsa_user_sgpr_queue_ptr 0
		.amdhsa_user_sgpr_kernarg_segment_ptr 1
		.amdhsa_user_sgpr_dispatch_id 0
		.amdhsa_user_sgpr_kernarg_preload_length 0
		.amdhsa_user_sgpr_kernarg_preload_offset 0
		.amdhsa_user_sgpr_private_segment_size 0
		.amdhsa_uses_dynamic_stack 0
		.amdhsa_enable_private_segment 0
		.amdhsa_system_sgpr_workgroup_id_x 1
		.amdhsa_system_sgpr_workgroup_id_y 0
		.amdhsa_system_sgpr_workgroup_id_z 0
		.amdhsa_system_sgpr_workgroup_info 0
		.amdhsa_system_vgpr_workitem_id 2
		.amdhsa_next_free_vgpr 20
		.amdhsa_next_free_sgpr 32
		.amdhsa_accum_offset 20
		.amdhsa_reserve_vcc 1
		.amdhsa_float_round_mode_32 0
		.amdhsa_float_round_mode_16_64 0
		.amdhsa_float_denorm_mode_32 3
		.amdhsa_float_denorm_mode_16_64 3
		.amdhsa_dx10_clamp 1
		.amdhsa_ieee_mode 1
		.amdhsa_fp16_overflow 0
		.amdhsa_tg_split 0
		.amdhsa_exception_fp_ieee_invalid_op 0
		.amdhsa_exception_fp_denorm_src 0
		.amdhsa_exception_fp_ieee_div_zero 0
		.amdhsa_exception_fp_ieee_overflow 0
		.amdhsa_exception_fp_ieee_underflow 0
		.amdhsa_exception_fp_ieee_inexact 0
		.amdhsa_exception_int_div_zero 0
	.end_amdhsa_kernel
	.section	.text._ZN4vllm3moe22topkGatingSoftplusSqrtILi4ELi64ELi4ELi16ELi64ELb0EifEEvPKT6_PKbPfiPT5_PiiiibdPKfPKS8_SE_,"axG",@progbits,_ZN4vllm3moe22topkGatingSoftplusSqrtILi4ELi64ELi4ELi16ELi64ELb0EifEEvPKT6_PKbPfiPT5_PiiiibdPKfPKS8_SE_,comdat
.Lfunc_end25:
	.size	_ZN4vllm3moe22topkGatingSoftplusSqrtILi4ELi64ELi4ELi16ELi64ELb0EifEEvPKT6_PKbPfiPT5_PiiiibdPKfPKS8_SE_, .Lfunc_end25-_ZN4vllm3moe22topkGatingSoftplusSqrtILi4ELi64ELi4ELi16ELi64ELb0EifEEvPKT6_PKbPfiPT5_PiiiibdPKfPKS8_SE_
                                        ; -- End function
	.section	.AMDGPU.csdata,"",@progbits
; Kernel info:
; codeLenInByte = 2860
; NumSgprs: 38
; NumVgprs: 20
; NumAgprs: 0
; TotalNumVgprs: 20
; ScratchSize: 0
; MemoryBound: 0
; FloatMode: 240
; IeeeMode: 1
; LDSByteSize: 4096 bytes/workgroup (compile time only)
; SGPRBlocks: 4
; VGPRBlocks: 2
; NumSGPRsForWavesPerEU: 38
; NumVGPRsForWavesPerEU: 20
; AccumOffset: 20
; Occupancy: 8
; WaveLimiterHint : 0
; COMPUTE_PGM_RSRC2:SCRATCH_EN: 0
; COMPUTE_PGM_RSRC2:USER_SGPR: 4
; COMPUTE_PGM_RSRC2:TRAP_HANDLER: 0
; COMPUTE_PGM_RSRC2:TGID_X_EN: 1
; COMPUTE_PGM_RSRC2:TGID_Y_EN: 0
; COMPUTE_PGM_RSRC2:TGID_Z_EN: 0
; COMPUTE_PGM_RSRC2:TIDIG_COMP_CNT: 2
; COMPUTE_PGM_RSRC3_GFX90A:ACCUM_OFFSET: 4
; COMPUTE_PGM_RSRC3_GFX90A:TG_SPLIT: 0
	.section	.text._ZN4vllm3moe22topkGatingSoftplusSqrtILi4ELi64ELi4ELi16ELi32ELb1EifEEvPKT6_PKbPfiPT5_PiiiibdPKfPKS8_SE_,"axG",@progbits,_ZN4vllm3moe22topkGatingSoftplusSqrtILi4ELi64ELi4ELi16ELi32ELb1EifEEvPKT6_PKbPfiPT5_PiiiibdPKfPKS8_SE_,comdat
	.protected	_ZN4vllm3moe22topkGatingSoftplusSqrtILi4ELi64ELi4ELi16ELi32ELb1EifEEvPKT6_PKbPfiPT5_PiiiibdPKfPKS8_SE_ ; -- Begin function _ZN4vllm3moe22topkGatingSoftplusSqrtILi4ELi64ELi4ELi16ELi32ELb1EifEEvPKT6_PKbPfiPT5_PiiiibdPKfPKS8_SE_
	.globl	_ZN4vllm3moe22topkGatingSoftplusSqrtILi4ELi64ELi4ELi16ELi32ELb1EifEEvPKT6_PKbPfiPT5_PiiiibdPKfPKS8_SE_
	.p2align	8
	.type	_ZN4vllm3moe22topkGatingSoftplusSqrtILi4ELi64ELi4ELi16ELi32ELb1EifEEvPKT6_PKbPfiPT5_PiiiibdPKfPKS8_SE_,@function
_ZN4vllm3moe22topkGatingSoftplusSqrtILi4ELi64ELi4ELi16ELi32ELb1EifEEvPKT6_PKbPfiPT5_PiiiibdPKfPKS8_SE_: ; @_ZN4vllm3moe22topkGatingSoftplusSqrtILi4ELi64ELi4ELi16ELi32ELb1EifEEvPKT6_PKbPfiPT5_PiiiibdPKfPKS8_SE_
; %bb.0:
	s_load_dword s3, s[0:1], 0x18
	v_bfe_u32 v1, v0, 10, 10
	v_and_b32_e32 v8, 0x3ff, v0
	s_lshl_b32 s2, s2, 3
	v_lshlrev_b32_e32 v1, 1, v1
	v_lshrrev_b32_e32 v0, 4, v8
	v_add3_u32 v2, s2, v1, v0
	s_waitcnt lgkmcnt(0)
	v_cmp_gt_i32_e32 vcc, s3, v2
	s_and_saveexec_b64 s[2:3], vcc
	s_cbranch_execz .LBB26_79
; %bb.1:
	s_load_dwordx2 s[2:3], s[0:1], 0x0
	s_load_dword s20, s[0:1], 0x30
	s_load_dwordx4 s[8:11], s[0:1], 0x50
	v_lshlrev_b32_e32 v0, 6, v2
	v_lshlrev_b32_e32 v3, 2, v8
	v_ashrrev_i32_e32 v1, 31, v0
	v_and_b32_e32 v12, 60, v3
	s_waitcnt lgkmcnt(0)
	v_lshl_add_u64 v[0:1], v[0:1], 2, s[2:3]
	v_lshlrev_b32_e32 v6, 2, v12
	v_mov_b32_e32 v7, 0
	v_lshl_add_u64 v[0:1], v[0:1], 0, v[6:7]
	global_load_dwordx4 v[14:17], v[0:1], off
	v_mov_b32_e32 v0, s8
	v_mov_b32_e32 v1, s9
	v_ashrrev_i32_e32 v3, 31, v2
	v_lshl_add_u64 v[0:1], v[2:3], 2, v[0:1]
	global_load_dword v0, v[0:1], off
	s_mov_b32 s6, 0x800000
	v_mov_b32_e32 v3, 0x4f800000
	s_mov_b32 s12, 0x3f317217
	s_mov_b32 s13, 0x7f800000
	v_mov_b32_e32 v6, 0x41b17218
	s_mov_b32 s9, 0x41a00000
	s_mov_b32 s14, 0xf800000
	v_mov_b32_e32 v9, 0x260
	s_cmp_gt_i32 s20, 0
	s_mov_b32 s8, 0
	v_mul_lo_u32 v2, v2, s20
	s_waitcnt vmcnt(1)
	v_mul_f32_e32 v1, 0x3fb8aa3b, v14
	v_mul_f32_e32 v5, 0x3fb8aa3b, v15
	v_exp_f32_e32 v4, v1
	v_exp_f32_e32 v5, v5
	v_mul_f32_e32 v10, 0x3fb8aa3b, v16
	v_mul_f32_e32 v11, 0x3fb8aa3b, v17
	v_exp_f32_e32 v10, v10
	v_exp_f32_e32 v11, v11
	v_pk_add_f32 v[4:5], v[4:5], 1.0 op_sel_hi:[1,0]
	s_waitcnt vmcnt(0)
	v_mul_lo_u32 v0, v0, s20
	v_cmp_gt_f32_e32 vcc, s6, v5
	v_pk_add_f32 v[10:11], v[10:11], 1.0 op_sel_hi:[1,0]
	v_cmp_gt_f32_e64 s[2:3], s6, v4
	v_cndmask_b32_e32 v13, 1.0, v3, vcc
	v_cmp_gt_f32_e64 s[4:5], s6, v11
	v_cndmask_b32_e64 v18, 1.0, v3, s[2:3]
	v_mul_f32_e32 v5, v5, v13
	v_cndmask_b32_e64 v19, 1.0, v3, s[4:5]
	v_cmp_gt_f32_e64 s[6:7], s6, v10
	v_mul_f32_e32 v4, v4, v18
	v_log_f32_e32 v5, v5
	v_cndmask_b32_e64 v3, 1.0, v3, s[6:7]
	v_mul_f32_e32 v11, v11, v19
	v_log_f32_e32 v4, v4
	v_mul_f32_e32 v3, v10, v3
	v_log_f32_e32 v10, v11
	v_mul_f32_e32 v11, 0x3f317217, v5
	v_mul_f32_e32 v20, 0x3f317217, v4
	v_fma_f32 v11, v5, s12, -v11
	v_mul_f32_e32 v21, 0x3f317217, v10
	v_fma_f32 v20, v4, s12, -v20
	v_fmac_f32_e32 v11, 0x3377d1cf, v5
	v_cndmask_b32_e32 v13, 0, v6, vcc
	v_fma_f32 v21, v10, s12, -v21
	v_fmac_f32_e32 v20, 0x3377d1cf, v4
	v_fmac_f32_e32 v11, 0x3f317217, v5
	v_cmp_lt_f32_e64 vcc, |v5|, s13
	v_fmac_f32_e32 v21, 0x3377d1cf, v10
	v_fmac_f32_e32 v20, 0x3f317217, v4
	v_cndmask_b32_e32 v5, v5, v11, vcc
	v_cmp_lt_f32_e64 vcc, |v4|, s13
	v_cndmask_b32_e64 v18, 0, v6, s[2:3]
	v_fmac_f32_e32 v21, 0x3f317217, v10
	v_cndmask_b32_e32 v4, v4, v20, vcc
	v_cmp_lt_f32_e64 vcc, |v10|, s13
	v_sub_f32_e32 v4, v4, v18
	v_sub_f32_e32 v5, v5, v13
	v_cndmask_b32_e32 v10, v10, v21, vcc
	v_cmp_lt_f32_e32 vcc, s9, v14
	v_cndmask_b32_e64 v19, 0, v6, s[4:5]
	v_log_f32_e32 v3, v3
	v_cndmask_b32_e32 v4, v4, v14, vcc
	v_cmp_lt_f32_e32 vcc, s9, v15
	v_mul_f32_e32 v13, 0x4f800000, v4
	v_cmp_gt_f32_e64 s[2:3], s14, v4
	v_cndmask_b32_e32 v5, v5, v15, vcc
	v_mul_f32_e32 v11, 0x4f800000, v5
	v_cmp_gt_f32_e32 vcc, s14, v5
	v_cndmask_b32_e64 v4, v4, v13, s[2:3]
	v_sqrt_f32_e32 v13, v4
	v_cndmask_b32_e32 v5, v5, v11, vcc
	v_sqrt_f32_e32 v11, v5
	v_sub_f32_e32 v10, v10, v19
	v_add_u32_e32 v18, -1, v13
	v_fma_f32 v23, -v18, v13, v4
	v_add_u32_e32 v14, -1, v11
	v_fma_f32 v20, -v14, v11, v5
	v_add_u32_e32 v15, 1, v11
	v_cmp_ge_f32_e64 s[4:5], 0, v20
	v_add_u32_e32 v19, 1, v13
	v_fma_f32 v21, -v15, v11, v5
	v_cndmask_b32_e64 v11, v11, v14, s[4:5]
	v_cmp_ge_f32_e64 s[4:5], 0, v23
	v_fma_f32 v24, -v19, v13, v4
	v_mul_f32_e32 v22, 0x3f317217, v3
	v_cndmask_b32_e64 v13, v13, v18, s[4:5]
	v_cmp_lt_f32_e64 s[4:5], 0, v21
	v_fma_f32 v22, v3, s12, -v22
	v_fmac_f32_e32 v22, 0x3377d1cf, v3
	v_cndmask_b32_e64 v11, v11, v15, s[4:5]
	v_cmp_lt_f32_e64 s[4:5], 0, v24
	v_mul_f32_e32 v14, 0x37800000, v11
	v_cndmask_b32_e32 v11, v11, v14, vcc
	v_cndmask_b32_e64 v13, v13, v19, s[4:5]
	v_mul_f32_e32 v15, 0x37800000, v13
	v_cmp_class_f32_e32 vcc, v5, v9
	v_cndmask_b32_e64 v13, v13, v15, s[2:3]
	v_fmac_f32_e32 v22, 0x3f317217, v3
	v_cndmask_b32_e32 v15, v11, v5, vcc
	v_cmp_class_f32_e32 vcc, v4, v9
	v_cmp_lt_f32_e64 s[2:3], s9, v16
	v_ashrrev_i32_e32 v1, 31, v0
	v_cndmask_b32_e32 v14, v13, v4, vcc
	v_cmp_lt_f32_e64 vcc, |v3|, s13
	v_cndmask_b32_e64 v4, 0, v6, s[6:7]
	s_cselect_b64 s[4:5], -1, 0
	v_cndmask_b32_e32 v3, v3, v22, vcc
	v_cmp_lt_f32_e32 vcc, s9, v17
	v_sub_f32_e32 v3, v3, v4
	v_cndmask_b32_e64 v3, v3, v16, s[2:3]
	v_cndmask_b32_e32 v5, v10, v17, vcc
	v_mul_f32_e32 v6, 0x4f800000, v5
	v_cmp_gt_f32_e32 vcc, s14, v5
	s_cmp_lt_i32 s20, 1
	s_nop 0
	v_cndmask_b32_e32 v5, v5, v6, vcc
	v_sqrt_f32_e32 v6, v5
	s_nop 0
	v_add_u32_e32 v4, -1, v6
	v_fma_f32 v10, -v4, v6, v5
	v_cmp_ge_f32_e64 s[2:3], 0, v10
	v_add_u32_e32 v10, 1, v6
	s_nop 0
	v_cndmask_b32_e64 v4, v6, v4, s[2:3]
	v_fma_f32 v6, -v10, v6, v5
	v_cmp_lt_f32_e64 s[2:3], 0, v6
	s_nop 1
	v_cndmask_b32_e64 v4, v4, v10, s[2:3]
	v_mul_f32_e32 v10, 0x4f800000, v3
	v_cmp_gt_f32_e64 s[2:3], s14, v3
	v_mul_f32_e32 v6, 0x37800000, v4
	v_cndmask_b32_e32 v4, v4, v6, vcc
	v_cndmask_b32_e64 v3, v3, v10, s[2:3]
	v_sqrt_f32_e32 v10, v3
	v_cmp_class_f32_e32 vcc, v5, v9
	s_nop 1
	v_cndmask_b32_e32 v17, v4, v5, vcc
	v_add_u32_e32 v4, -1, v10
	v_fma_f32 v5, -v4, v10, v3
	v_cmp_ge_f32_e32 vcc, 0, v5
	v_add_u32_e32 v5, 1, v10
	v_fma_f32 v6, -v5, v10, v3
	v_cndmask_b32_e32 v4, v10, v4, vcc
	v_cmp_lt_f32_e32 vcc, 0, v6
	s_nop 1
	v_cndmask_b32_e32 v4, v4, v5, vcc
	v_mul_f32_e32 v5, 0x37800000, v4
	v_cndmask_b32_e64 v4, v4, v5, s[2:3]
	v_cmp_class_f32_e32 vcc, v3, v9
	s_nop 1
	v_cndmask_b32_e32 v16, v4, v3, vcc
	v_lshl_add_u64 v[4:5], v[0:1], 2, s[10:11]
	scratch_store_dwordx4 off, v[14:17], off
	s_cbranch_scc1 .LBB26_28
; %bb.2:
	s_load_dwordx2 s[6:7], s[0:1], 0x20
	s_cmp_lt_u32 s20, 4
	v_and_b32_e32 v6, 15, v8
	s_cbranch_scc1 .LBB26_21
; %bb.3:
	v_lshlrev_b32_e32 v7, 2, v6
	s_mov_b32 s13, 0
	s_and_b32 s8, s20, 0x7ffffffc
	v_ashrrev_i32_e32 v3, 31, v2
	v_sub_u32_e32 v13, 0, v7
	v_mov_b32_e32 v7, 0
	s_mov_b32 s12, s13
	s_branch .LBB26_5
.LBB26_4:                               ;   in Loop: Header=BB26_5 Depth=1
	s_or_b64 exec, exec, s[14:15]
	s_add_i32 s12, s12, 4
	s_cmp_eq_u32 s12, s8
	s_cbranch_scc1 .LBB26_21
.LBB26_5:                               ; =>This Loop Header: Depth=1
                                        ;     Child Loop BB26_7 Depth 2
                                        ;     Child Loop BB26_11 Depth 2
	;; [unrolled: 1-line block ×4, first 2 shown]
	v_lshl_add_u64 v[8:9], s[12:13], 2, v[4:5]
	global_load_dword v14, v[8:9], off
	v_add_u32_e32 v10, s12, v2
	v_ashrrev_i32_e32 v11, 31, v10
	v_mov_b32_e32 v15, 0
	s_mov_b64 s[14:15], 0
	s_waitcnt lgkmcnt(0)
	v_lshl_add_u64 v[10:11], v[10:11], 2, s[6:7]
	s_mov_b32 s9, 0
	s_waitcnt vmcnt(0)
	v_add_u32_e32 v16, v13, v14
	s_branch .LBB26_7
.LBB26_6:                               ;   in Loop: Header=BB26_7 Depth=2
	s_or_b64 exec, exec, s[16:17]
	s_add_i32 s18, s9, 1
	s_cmp_gt_u32 s9, 2
	s_cselect_b64 s[2:3], -1, 0
	s_xor_b64 s[16:17], vcc, -1
	s_or_b64 s[2:3], s[16:17], s[2:3]
	s_and_b64 s[2:3], exec, s[2:3]
	v_add_u32_e32 v15, 4, v15
	s_or_b64 s[14:15], s[2:3], s[14:15]
	s_mov_b32 s9, s18
	s_andn2_b64 exec, exec, s[14:15]
	s_cbranch_execz .LBB26_9
.LBB26_7:                               ;   Parent Loop BB26_5 Depth=1
                                        ; =>  This Inner Loop Header: Depth=2
	v_cmp_ne_u32_e32 vcc, s9, v16
	v_cmp_eq_u32_e64 s[2:3], s9, v16
	s_and_saveexec_b64 s[16:17], s[2:3]
	s_cbranch_execz .LBB26_6
; %bb.8:                                ;   in Loop: Header=BB26_7 Depth=2
	scratch_load_dword v17, v15, off
	s_waitcnt vmcnt(0)
	v_add_f32_e32 v7, v7, v17
	global_store_dword v[10:11], v14, off
	s_branch .LBB26_6
.LBB26_9:                               ;   in Loop: Header=BB26_5 Depth=1
	s_or_b64 exec, exec, s[14:15]
	global_load_dword v14, v[8:9], off offset:4
	s_ashr_i32 s3, s12, 31
	s_mov_b32 s2, s12
	v_lshl_add_u64 v[10:11], s[2:3], 0, v[2:3]
	v_mov_b32_e32 v15, 0
	s_mov_b32 s9, 0
	v_lshl_add_u64 v[10:11], v[10:11], 2, s[6:7]
	s_mov_b64 s[14:15], 0
	s_waitcnt vmcnt(0)
	v_add_u32_e32 v16, v13, v14
	s_branch .LBB26_11
.LBB26_10:                              ;   in Loop: Header=BB26_11 Depth=2
	s_or_b64 exec, exec, s[16:17]
	s_add_i32 s18, s9, 1
	s_cmp_gt_u32 s9, 2
	s_cselect_b64 s[2:3], -1, 0
	s_xor_b64 s[16:17], vcc, -1
	s_or_b64 s[2:3], s[16:17], s[2:3]
	s_and_b64 s[2:3], exec, s[2:3]
	v_add_u32_e32 v15, 4, v15
	s_or_b64 s[14:15], s[2:3], s[14:15]
	s_mov_b32 s9, s18
	s_andn2_b64 exec, exec, s[14:15]
	s_cbranch_execz .LBB26_13
.LBB26_11:                              ;   Parent Loop BB26_5 Depth=1
                                        ; =>  This Inner Loop Header: Depth=2
	v_cmp_ne_u32_e32 vcc, s9, v16
	v_cmp_eq_u32_e64 s[2:3], s9, v16
	s_and_saveexec_b64 s[16:17], s[2:3]
	s_cbranch_execz .LBB26_10
; %bb.12:                               ;   in Loop: Header=BB26_11 Depth=2
	scratch_load_dword v17, v15, off
	s_waitcnt vmcnt(0)
	v_add_f32_e32 v7, v7, v17
	global_store_dword v[10:11], v14, off offset:4
	s_branch .LBB26_10
.LBB26_13:                              ;   in Loop: Header=BB26_5 Depth=1
	s_or_b64 exec, exec, s[14:15]
	global_load_dword v14, v[8:9], off offset:8
	v_mov_b32_e32 v15, 0
	s_mov_b32 s9, 0
	s_mov_b64 s[14:15], 0
	s_waitcnt vmcnt(0)
	v_add_u32_e32 v16, v13, v14
	s_branch .LBB26_15
.LBB26_14:                              ;   in Loop: Header=BB26_15 Depth=2
	s_or_b64 exec, exec, s[16:17]
	s_add_i32 s18, s9, 1
	s_cmp_gt_u32 s9, 2
	s_cselect_b64 s[2:3], -1, 0
	s_xor_b64 s[16:17], vcc, -1
	s_or_b64 s[2:3], s[16:17], s[2:3]
	s_and_b64 s[2:3], exec, s[2:3]
	v_add_u32_e32 v15, 4, v15
	s_or_b64 s[14:15], s[2:3], s[14:15]
	s_mov_b32 s9, s18
	s_andn2_b64 exec, exec, s[14:15]
	s_cbranch_execz .LBB26_17
.LBB26_15:                              ;   Parent Loop BB26_5 Depth=1
                                        ; =>  This Inner Loop Header: Depth=2
	v_cmp_ne_u32_e32 vcc, s9, v16
	v_cmp_eq_u32_e64 s[2:3], s9, v16
	s_and_saveexec_b64 s[16:17], s[2:3]
	s_cbranch_execz .LBB26_14
; %bb.16:                               ;   in Loop: Header=BB26_15 Depth=2
	scratch_load_dword v17, v15, off
	s_waitcnt vmcnt(0)
	v_add_f32_e32 v7, v7, v17
	global_store_dword v[10:11], v14, off offset:8
	s_branch .LBB26_14
.LBB26_17:                              ;   in Loop: Header=BB26_5 Depth=1
	s_or_b64 exec, exec, s[14:15]
	global_load_dword v8, v[8:9], off offset:12
	v_mov_b32_e32 v9, 0
	s_mov_b32 s9, 0
	s_mov_b64 s[14:15], 0
	s_waitcnt vmcnt(0)
	v_add_u32_e32 v14, v13, v8
	s_branch .LBB26_19
.LBB26_18:                              ;   in Loop: Header=BB26_19 Depth=2
	s_or_b64 exec, exec, s[16:17]
	s_add_i32 s18, s9, 1
	s_cmp_gt_u32 s9, 2
	s_cselect_b64 s[2:3], -1, 0
	s_xor_b64 s[16:17], vcc, -1
	s_or_b64 s[2:3], s[16:17], s[2:3]
	s_and_b64 s[2:3], exec, s[2:3]
	v_add_u32_e32 v9, 4, v9
	s_or_b64 s[14:15], s[2:3], s[14:15]
	s_mov_b32 s9, s18
	s_andn2_b64 exec, exec, s[14:15]
	s_cbranch_execz .LBB26_4
.LBB26_19:                              ;   Parent Loop BB26_5 Depth=1
                                        ; =>  This Inner Loop Header: Depth=2
	v_cmp_ne_u32_e32 vcc, s9, v14
	v_cmp_eq_u32_e64 s[2:3], s9, v14
	s_and_saveexec_b64 s[16:17], s[2:3]
	s_cbranch_execz .LBB26_18
; %bb.20:                               ;   in Loop: Header=BB26_19 Depth=2
	scratch_load_dword v15, v9, off
	s_waitcnt vmcnt(0)
	v_add_f32_e32 v7, v7, v15
	global_store_dword v[10:11], v8, off offset:12
	s_branch .LBB26_18
.LBB26_21:
	s_and_b32 s16, s20, 3
	s_cmp_eq_u32 s16, 0
	s_mov_b32 s9, 0
	s_cbranch_scc1 .LBB26_28
; %bb.22:
	v_lshlrev_b32_e32 v3, 2, v6
	v_sub_u32_e32 v3, 0, v3
	s_mov_b32 s17, s9
	s_branch .LBB26_24
.LBB26_23:                              ;   in Loop: Header=BB26_24 Depth=1
	s_or_b64 exec, exec, s[12:13]
	s_add_i32 s8, s8, 1
	s_add_i32 s17, s17, 1
	s_cmp_lg_u32 s17, s16
	s_cbranch_scc0 .LBB26_28
.LBB26_24:                              ; =>This Loop Header: Depth=1
                                        ;     Child Loop BB26_26 Depth 2
	v_lshl_add_u64 v[8:9], s[8:9], 2, v[4:5]
	global_load_dword v6, v[8:9], off
	v_add_u32_e32 v8, s8, v2
	v_ashrrev_i32_e32 v9, 31, v8
	v_mov_b32_e32 v10, 0
	s_mov_b32 s18, 0
	s_waitcnt lgkmcnt(0)
	v_lshl_add_u64 v[8:9], v[8:9], 2, s[6:7]
	s_mov_b64 s[12:13], 0
	s_waitcnt vmcnt(0)
	v_add_u32_e32 v11, v3, v6
	s_branch .LBB26_26
.LBB26_25:                              ;   in Loop: Header=BB26_26 Depth=2
	s_or_b64 exec, exec, s[14:15]
	s_add_i32 s19, s18, 1
	s_cmp_gt_u32 s18, 2
	s_cselect_b64 s[2:3], -1, 0
	s_xor_b64 s[14:15], vcc, -1
	s_or_b64 s[2:3], s[14:15], s[2:3]
	s_and_b64 s[2:3], exec, s[2:3]
	v_add_u32_e32 v10, 4, v10
	s_or_b64 s[12:13], s[2:3], s[12:13]
	s_mov_b32 s18, s19
	s_andn2_b64 exec, exec, s[12:13]
	s_cbranch_execz .LBB26_23
.LBB26_26:                              ;   Parent Loop BB26_24 Depth=1
                                        ; =>  This Inner Loop Header: Depth=2
	v_cmp_ne_u32_e32 vcc, s18, v11
	v_cmp_eq_u32_e64 s[2:3], s18, v11
	s_and_saveexec_b64 s[14:15], s[2:3]
	s_cbranch_execz .LBB26_25
; %bb.27:                               ;   in Loop: Header=BB26_26 Depth=2
	scratch_load_dword v13, v10, off
	s_waitcnt vmcnt(0)
	v_add_f32_e32 v7, v7, v13
	global_store_dword v[8:9], v6, off
	s_branch .LBB26_25
.LBB26_28:
	s_waitcnt lgkmcnt(0)
	s_load_dword s6, s[0:1], 0x3c
	s_waitcnt lgkmcnt(0)
	s_bitcmp1_b32 s6, 0
	s_cselect_b64 s[2:3], -1, 0
	s_bitcmp0_b32 s6, 0
	s_cbranch_scc0 .LBB26_31
; %bb.29:
	s_load_dwordx2 s[6:7], s[0:1], 0x40
	s_andn2_b64 vcc, exec, s[2:3]
	s_waitcnt lgkmcnt(0)
	v_cvt_f32_f64_e32 v10, s[6:7]
	s_cbranch_vccz .LBB26_32
.LBB26_30:
	s_andn2_b64 vcc, exec, s[4:5]
	s_cbranch_vccz .LBB26_33
	s_branch .LBB26_79
.LBB26_31:
	v_mbcnt_lo_u32_b32 v3, -1, 0
	v_mbcnt_hi_u32_b32 v3, -1, v3
	v_and_b32_e32 v6, 0x70, v3
	v_add_u32_e32 v6, 16, v6
	v_xor_b32_e32 v8, 8, v3
	v_cmp_lt_i32_e32 vcc, v8, v6
	v_xor_b32_e32 v9, 4, v3
	s_nop 0
	v_cndmask_b32_e32 v8, v3, v8, vcc
	v_lshlrev_b32_e32 v8, 2, v8
	ds_bpermute_b32 v8, v8, v7
	v_cmp_lt_i32_e32 vcc, v9, v6
	s_waitcnt lgkmcnt(0)
	v_add_f32_e32 v7, v7, v8
	v_cndmask_b32_e32 v8, v3, v9, vcc
	v_lshlrev_b32_e32 v8, 2, v8
	ds_bpermute_b32 v8, v8, v7
	v_xor_b32_e32 v9, 2, v3
	v_cmp_lt_i32_e32 vcc, v9, v6
	s_waitcnt lgkmcnt(0)
	v_add_f32_e32 v7, v7, v8
	v_cndmask_b32_e32 v8, v3, v9, vcc
	v_lshlrev_b32_e32 v8, 2, v8
	ds_bpermute_b32 v8, v8, v7
	v_xor_b32_e32 v9, 1, v3
	v_cmp_lt_i32_e32 vcc, v9, v6
	s_waitcnt lgkmcnt(0)
	v_add_f32_e32 v7, v7, v8
	v_cndmask_b32_e32 v3, v3, v9, vcc
	v_lshlrev_b32_e32 v3, 2, v3
	ds_bpermute_b32 v3, v3, v7
	s_waitcnt lgkmcnt(0)
	v_add_f32_e32 v7, v7, v3
	s_load_dwordx2 s[6:7], s[0:1], 0x40
	s_andn2_b64 vcc, exec, s[2:3]
	s_waitcnt lgkmcnt(0)
	v_cvt_f32_f64_e32 v10, s[6:7]
	s_cbranch_vccnz .LBB26_30
.LBB26_32:
	v_cmp_lt_f32_e32 vcc, 0, v7
	s_nop 1
	v_cndmask_b32_e32 v3, 1.0, v7, vcc
	v_div_scale_f32 v6, s[2:3], v3, v3, v10
	v_rcp_f32_e32 v7, v6
	s_nop 0
	v_fma_f32 v8, -v6, v7, 1.0
	v_fmac_f32_e32 v7, v8, v7
	v_div_scale_f32 v8, vcc, v10, v3, v10
	v_mul_f32_e32 v9, v8, v7
	v_fma_f32 v11, -v6, v9, v8
	v_fmac_f32_e32 v9, v11, v7
	v_fma_f32 v6, -v6, v9, v8
	v_div_fmas_f32 v6, v6, v7, v9
	v_div_fixup_f32 v10, v6, v3, v10
	s_andn2_b64 vcc, exec, s[4:5]
	s_cbranch_vccnz .LBB26_79
.LBB26_33:
	s_load_dwordx2 s[4:5], s[0:1], 0x10
	v_mov_b32_e32 v3, 0
	v_or_b32_e32 v11, 4, v3
	v_or_b32_e32 v13, 8, v3
	;; [unrolled: 1-line block ×6, first 2 shown]
	s_cmp_lt_u32 s20, 4
	s_mov_b32 s6, 0
	s_cbranch_scc1 .LBB26_68
; %bb.34:
	v_ashrrev_i32_e32 v3, 31, v2
	s_and_b32 s6, s20, 0x7ffffffc
	s_waitcnt lgkmcnt(0)
	v_lshl_add_u64 v[6:7], v[2:3], 2, s[4:5]
	s_mov_b32 s7, 0
	s_mov_b64 s[8:9], 0
	s_branch .LBB26_36
.LBB26_35:                              ;   in Loop: Header=BB26_36 Depth=1
	s_or_b64 exec, exec, s[2:3]
	s_add_i32 s7, s7, 4
	s_add_u32 s8, s8, 16
	s_addc_u32 s9, s9, 0
	s_cmp_eq_u32 s6, s7
	s_cbranch_scc1 .LBB26_68
.LBB26_36:                              ; =>This Inner Loop Header: Depth=1
	v_lshl_add_u64 v[8:9], v[4:5], 0, s[8:9]
	global_load_dword v18, v[8:9], off
	v_mov_b32_e32 v3, 0
	s_waitcnt vmcnt(0)
	v_cmp_eq_u32_e32 vcc, v18, v12
	v_cmp_ne_u32_e64 s[0:1], v18, v12
	s_and_saveexec_b64 s[12:13], s[0:1]
	s_cbranch_execz .LBB26_42
; %bb.37:                               ;   in Loop: Header=BB26_36 Depth=1
	v_cmp_eq_u32_e64 s[0:1], v18, v15
	v_cmp_ne_u32_e64 s[2:3], v18, v15
	v_mov_b32_e32 v3, v11
	s_and_saveexec_b64 s[14:15], s[2:3]
	s_cbranch_execz .LBB26_41
; %bb.38:                               ;   in Loop: Header=BB26_36 Depth=1
	v_cmp_eq_u32_e64 s[16:17], v18, v16
	v_cmp_ne_u32_e64 s[2:3], v18, v16
	v_mov_b32_e32 v3, v13
	s_and_saveexec_b64 s[18:19], s[2:3]
	s_xor_b64 s[18:19], exec, s[18:19]
; %bb.39:                               ;   in Loop: Header=BB26_36 Depth=1
	v_cmp_eq_u32_e64 s[2:3], v18, v17
	s_andn2_b64 s[16:17], s[16:17], exec
	s_and_b64 s[2:3], s[2:3], exec
	s_or_b64 s[16:17], s[16:17], s[2:3]
	v_mov_b32_e32 v3, v14
; %bb.40:                               ;   in Loop: Header=BB26_36 Depth=1
	s_or_b64 exec, exec, s[18:19]
	s_andn2_b64 s[0:1], s[0:1], exec
	s_and_b64 s[2:3], s[16:17], exec
	s_or_b64 s[0:1], s[0:1], s[2:3]
.LBB26_41:                              ;   in Loop: Header=BB26_36 Depth=1
	s_or_b64 exec, exec, s[14:15]
	s_andn2_b64 s[2:3], vcc, exec
	s_and_b64 s[0:1], s[0:1], exec
	s_or_b64 vcc, s[2:3], s[0:1]
.LBB26_42:                              ;   in Loop: Header=BB26_36 Depth=1
	s_or_b64 exec, exec, s[12:13]
	s_and_saveexec_b64 s[0:1], vcc
	s_cbranch_execz .LBB26_44
; %bb.43:                               ;   in Loop: Header=BB26_36 Depth=1
	scratch_load_dword v3, v3, off
	v_add_u32_e32 v18, s7, v2
	v_ashrrev_i32_e32 v19, 31, v18
	v_lshl_add_u64 v[18:19], v[18:19], 2, s[4:5]
	s_waitcnt vmcnt(0)
	v_mul_f32_e32 v3, v10, v3
	global_store_dword v[18:19], v3, off
.LBB26_44:                              ;   in Loop: Header=BB26_36 Depth=1
	s_or_b64 exec, exec, s[0:1]
	global_load_dword v18, v[8:9], off offset:4
	v_mov_b32_e32 v3, 0
	s_waitcnt vmcnt(0)
	v_cmp_eq_u32_e64 s[0:1], v18, v12
	v_cmp_ne_u32_e32 vcc, v18, v12
	s_and_saveexec_b64 s[2:3], vcc
	s_cbranch_execz .LBB26_50
; %bb.45:                               ;   in Loop: Header=BB26_36 Depth=1
	v_cmp_eq_u32_e64 s[12:13], v18, v15
	v_cmp_ne_u32_e32 vcc, v18, v15
	v_mov_b32_e32 v3, v11
	s_and_saveexec_b64 s[14:15], vcc
	s_cbranch_execz .LBB26_49
; %bb.46:                               ;   in Loop: Header=BB26_36 Depth=1
	v_cmp_eq_u32_e64 s[16:17], v18, v16
	v_cmp_ne_u32_e32 vcc, v18, v16
	v_mov_b32_e32 v3, v13
	s_and_saveexec_b64 s[18:19], vcc
; %bb.47:                               ;   in Loop: Header=BB26_36 Depth=1
	v_cmp_eq_u32_e32 vcc, v18, v17
	s_andn2_b64 s[16:17], s[16:17], exec
	s_and_b64 s[22:23], vcc, exec
	s_or_b64 s[16:17], s[16:17], s[22:23]
	v_mov_b32_e32 v3, v14
; %bb.48:                               ;   in Loop: Header=BB26_36 Depth=1
	s_or_b64 exec, exec, s[18:19]
	s_andn2_b64 s[12:13], s[12:13], exec
	s_and_b64 s[16:17], s[16:17], exec
	s_or_b64 s[12:13], s[12:13], s[16:17]
.LBB26_49:                              ;   in Loop: Header=BB26_36 Depth=1
	s_or_b64 exec, exec, s[14:15]
	s_andn2_b64 s[0:1], s[0:1], exec
	s_and_b64 s[12:13], s[12:13], exec
	s_or_b64 s[0:1], s[0:1], s[12:13]
.LBB26_50:                              ;   in Loop: Header=BB26_36 Depth=1
	s_or_b64 exec, exec, s[2:3]
	s_and_saveexec_b64 s[2:3], s[0:1]
	s_cbranch_execz .LBB26_52
; %bb.51:                               ;   in Loop: Header=BB26_36 Depth=1
	scratch_load_dword v3, v3, off
	v_lshl_add_u64 v[18:19], v[6:7], 0, s[8:9]
	s_waitcnt vmcnt(0)
	v_mul_f32_e32 v3, v10, v3
	global_store_dword v[18:19], v3, off offset:4
.LBB26_52:                              ;   in Loop: Header=BB26_36 Depth=1
	s_or_b64 exec, exec, s[2:3]
	global_load_dword v18, v[8:9], off offset:8
	v_mov_b32_e32 v3, 0
	s_waitcnt vmcnt(0)
	v_cmp_eq_u32_e64 s[0:1], v18, v12
	v_cmp_ne_u32_e32 vcc, v18, v12
	s_and_saveexec_b64 s[2:3], vcc
	s_cbranch_execz .LBB26_58
; %bb.53:                               ;   in Loop: Header=BB26_36 Depth=1
	v_cmp_eq_u32_e64 s[12:13], v18, v15
	v_cmp_ne_u32_e32 vcc, v18, v15
	v_mov_b32_e32 v3, v11
	s_and_saveexec_b64 s[14:15], vcc
	s_cbranch_execz .LBB26_57
; %bb.54:                               ;   in Loop: Header=BB26_36 Depth=1
	v_cmp_eq_u32_e64 s[16:17], v18, v16
	v_cmp_ne_u32_e32 vcc, v18, v16
	v_mov_b32_e32 v3, v13
	s_and_saveexec_b64 s[18:19], vcc
; %bb.55:                               ;   in Loop: Header=BB26_36 Depth=1
	v_cmp_eq_u32_e32 vcc, v18, v17
	s_andn2_b64 s[16:17], s[16:17], exec
	s_and_b64 s[22:23], vcc, exec
	s_or_b64 s[16:17], s[16:17], s[22:23]
	v_mov_b32_e32 v3, v14
; %bb.56:                               ;   in Loop: Header=BB26_36 Depth=1
	s_or_b64 exec, exec, s[18:19]
	s_andn2_b64 s[12:13], s[12:13], exec
	s_and_b64 s[16:17], s[16:17], exec
	s_or_b64 s[12:13], s[12:13], s[16:17]
.LBB26_57:                              ;   in Loop: Header=BB26_36 Depth=1
	s_or_b64 exec, exec, s[14:15]
	s_andn2_b64 s[0:1], s[0:1], exec
	s_and_b64 s[12:13], s[12:13], exec
	s_or_b64 s[0:1], s[0:1], s[12:13]
.LBB26_58:                              ;   in Loop: Header=BB26_36 Depth=1
	s_or_b64 exec, exec, s[2:3]
	s_and_saveexec_b64 s[2:3], s[0:1]
	s_cbranch_execz .LBB26_60
; %bb.59:                               ;   in Loop: Header=BB26_36 Depth=1
	scratch_load_dword v3, v3, off
	v_lshl_add_u64 v[18:19], v[6:7], 0, s[8:9]
	s_waitcnt vmcnt(0)
	v_mul_f32_e32 v3, v10, v3
	global_store_dword v[18:19], v3, off offset:8
.LBB26_60:                              ;   in Loop: Header=BB26_36 Depth=1
	s_or_b64 exec, exec, s[2:3]
	global_load_dword v8, v[8:9], off offset:12
	v_mov_b32_e32 v3, 0
	s_waitcnt vmcnt(0)
	v_cmp_eq_u32_e64 s[0:1], v8, v12
	v_cmp_ne_u32_e32 vcc, v8, v12
	s_and_saveexec_b64 s[2:3], vcc
	s_cbranch_execz .LBB26_66
; %bb.61:                               ;   in Loop: Header=BB26_36 Depth=1
	v_cmp_eq_u32_e64 s[12:13], v8, v15
	v_cmp_ne_u32_e32 vcc, v8, v15
	v_mov_b32_e32 v3, v11
	s_and_saveexec_b64 s[14:15], vcc
	s_cbranch_execz .LBB26_65
; %bb.62:                               ;   in Loop: Header=BB26_36 Depth=1
	v_cmp_eq_u32_e64 s[16:17], v8, v16
	v_cmp_ne_u32_e32 vcc, v8, v16
	v_mov_b32_e32 v3, v13
	s_and_saveexec_b64 s[18:19], vcc
; %bb.63:                               ;   in Loop: Header=BB26_36 Depth=1
	v_cmp_eq_u32_e32 vcc, v8, v17
	s_andn2_b64 s[16:17], s[16:17], exec
	s_and_b64 s[22:23], vcc, exec
	s_or_b64 s[16:17], s[16:17], s[22:23]
	v_mov_b32_e32 v3, v14
; %bb.64:                               ;   in Loop: Header=BB26_36 Depth=1
	s_or_b64 exec, exec, s[18:19]
	s_andn2_b64 s[12:13], s[12:13], exec
	s_and_b64 s[16:17], s[16:17], exec
	s_or_b64 s[12:13], s[12:13], s[16:17]
.LBB26_65:                              ;   in Loop: Header=BB26_36 Depth=1
	s_or_b64 exec, exec, s[14:15]
	s_andn2_b64 s[0:1], s[0:1], exec
	s_and_b64 s[12:13], s[12:13], exec
	s_or_b64 s[0:1], s[0:1], s[12:13]
.LBB26_66:                              ;   in Loop: Header=BB26_36 Depth=1
	s_or_b64 exec, exec, s[2:3]
	s_and_saveexec_b64 s[2:3], s[0:1]
	s_cbranch_execz .LBB26_35
; %bb.67:                               ;   in Loop: Header=BB26_36 Depth=1
	scratch_load_dword v3, v3, off
	v_lshl_add_u64 v[8:9], v[6:7], 0, s[8:9]
	s_waitcnt vmcnt(0)
	v_mul_f32_e32 v3, v10, v3
	global_store_dword v[8:9], v3, off offset:12
	s_branch .LBB26_35
.LBB26_68:
	s_and_b32 s14, s20, 3
	s_cmp_eq_u32 s14, 0
	s_mov_b32 s7, 0
	s_cbranch_scc1 .LBB26_79
; %bb.69:
	s_lshl_b64 s[0:1], s[6:7], 2
	s_add_u32 s0, s10, s0
	s_addc_u32 s1, s11, s1
	v_add_u32_e32 v2, s6, v2
	v_lshl_add_u64 v[0:1], v[0:1], 2, s[0:1]
	s_branch .LBB26_71
.LBB26_70:                              ;   in Loop: Header=BB26_71 Depth=1
	s_or_b64 exec, exec, s[2:3]
	s_add_i32 s14, s14, -1
	v_add_u32_e32 v2, 1, v2
	s_cmp_lg_u32 s14, 0
	v_lshl_add_u64 v[0:1], v[0:1], 0, 4
	s_cbranch_scc0 .LBB26_79
.LBB26_71:                              ; =>This Inner Loop Header: Depth=1
	global_load_dword v4, v[0:1], off
	v_mov_b32_e32 v3, 0
	s_waitcnt vmcnt(0)
	v_cmp_eq_u32_e64 s[0:1], v4, v12
	v_cmp_ne_u32_e32 vcc, v4, v12
	s_and_saveexec_b64 s[2:3], vcc
	s_cbranch_execz .LBB26_77
; %bb.72:                               ;   in Loop: Header=BB26_71 Depth=1
	v_cmp_eq_u32_e64 s[6:7], v4, v15
	v_cmp_ne_u32_e32 vcc, v4, v15
	v_mov_b32_e32 v3, v11
	s_and_saveexec_b64 s[8:9], vcc
	s_cbranch_execz .LBB26_76
; %bb.73:                               ;   in Loop: Header=BB26_71 Depth=1
	v_cmp_eq_u32_e64 s[10:11], v4, v16
	v_cmp_ne_u32_e32 vcc, v4, v16
	v_mov_b32_e32 v3, v13
	s_and_saveexec_b64 s[12:13], vcc
; %bb.74:                               ;   in Loop: Header=BB26_71 Depth=1
	v_cmp_eq_u32_e32 vcc, v4, v17
	s_andn2_b64 s[10:11], s[10:11], exec
	s_and_b64 s[16:17], vcc, exec
	s_or_b64 s[10:11], s[10:11], s[16:17]
	v_mov_b32_e32 v3, v14
; %bb.75:                               ;   in Loop: Header=BB26_71 Depth=1
	s_or_b64 exec, exec, s[12:13]
	s_andn2_b64 s[6:7], s[6:7], exec
	s_and_b64 s[10:11], s[10:11], exec
	s_or_b64 s[6:7], s[6:7], s[10:11]
.LBB26_76:                              ;   in Loop: Header=BB26_71 Depth=1
	s_or_b64 exec, exec, s[8:9]
	s_andn2_b64 s[0:1], s[0:1], exec
	s_and_b64 s[6:7], s[6:7], exec
	s_or_b64 s[0:1], s[0:1], s[6:7]
.LBB26_77:                              ;   in Loop: Header=BB26_71 Depth=1
	s_or_b64 exec, exec, s[2:3]
	s_and_saveexec_b64 s[2:3], s[0:1]
	s_cbranch_execz .LBB26_70
; %bb.78:                               ;   in Loop: Header=BB26_71 Depth=1
	scratch_load_dword v4, v3, off
	v_ashrrev_i32_e32 v3, 31, v2
	s_waitcnt vmcnt(0)
	v_mul_f32_e32 v6, v10, v4
	s_waitcnt lgkmcnt(0)
	v_lshl_add_u64 v[4:5], v[2:3], 2, s[4:5]
	global_store_dword v[4:5], v6, off
	s_branch .LBB26_70
.LBB26_79:
	s_endpgm
	.section	.rodata,"a",@progbits
	.p2align	6, 0x0
	.amdhsa_kernel _ZN4vllm3moe22topkGatingSoftplusSqrtILi4ELi64ELi4ELi16ELi32ELb1EifEEvPKT6_PKbPfiPT5_PiiiibdPKfPKS8_SE_
		.amdhsa_group_segment_fixed_size 0
		.amdhsa_private_segment_fixed_size 32
		.amdhsa_kernarg_size 96
		.amdhsa_user_sgpr_count 2
		.amdhsa_user_sgpr_dispatch_ptr 0
		.amdhsa_user_sgpr_queue_ptr 0
		.amdhsa_user_sgpr_kernarg_segment_ptr 1
		.amdhsa_user_sgpr_dispatch_id 0
		.amdhsa_user_sgpr_kernarg_preload_length 0
		.amdhsa_user_sgpr_kernarg_preload_offset 0
		.amdhsa_user_sgpr_private_segment_size 0
		.amdhsa_uses_dynamic_stack 0
		.amdhsa_enable_private_segment 1
		.amdhsa_system_sgpr_workgroup_id_x 1
		.amdhsa_system_sgpr_workgroup_id_y 0
		.amdhsa_system_sgpr_workgroup_id_z 0
		.amdhsa_system_sgpr_workgroup_info 0
		.amdhsa_system_vgpr_workitem_id 1
		.amdhsa_next_free_vgpr 25
		.amdhsa_next_free_sgpr 24
		.amdhsa_accum_offset 28
		.amdhsa_reserve_vcc 1
		.amdhsa_float_round_mode_32 0
		.amdhsa_float_round_mode_16_64 0
		.amdhsa_float_denorm_mode_32 3
		.amdhsa_float_denorm_mode_16_64 3
		.amdhsa_dx10_clamp 1
		.amdhsa_ieee_mode 1
		.amdhsa_fp16_overflow 0
		.amdhsa_tg_split 0
		.amdhsa_exception_fp_ieee_invalid_op 0
		.amdhsa_exception_fp_denorm_src 0
		.amdhsa_exception_fp_ieee_div_zero 0
		.amdhsa_exception_fp_ieee_overflow 0
		.amdhsa_exception_fp_ieee_underflow 0
		.amdhsa_exception_fp_ieee_inexact 0
		.amdhsa_exception_int_div_zero 0
	.end_amdhsa_kernel
	.section	.text._ZN4vllm3moe22topkGatingSoftplusSqrtILi4ELi64ELi4ELi16ELi32ELb1EifEEvPKT6_PKbPfiPT5_PiiiibdPKfPKS8_SE_,"axG",@progbits,_ZN4vllm3moe22topkGatingSoftplusSqrtILi4ELi64ELi4ELi16ELi32ELb1EifEEvPKT6_PKbPfiPT5_PiiiibdPKfPKS8_SE_,comdat
.Lfunc_end26:
	.size	_ZN4vllm3moe22topkGatingSoftplusSqrtILi4ELi64ELi4ELi16ELi32ELb1EifEEvPKT6_PKbPfiPT5_PiiiibdPKfPKS8_SE_, .Lfunc_end26-_ZN4vllm3moe22topkGatingSoftplusSqrtILi4ELi64ELi4ELi16ELi32ELb1EifEEvPKT6_PKbPfiPT5_PiiiibdPKfPKS8_SE_
                                        ; -- End function
	.section	.AMDGPU.csdata,"",@progbits
; Kernel info:
; codeLenInByte = 3452
; NumSgprs: 30
; NumVgprs: 25
; NumAgprs: 0
; TotalNumVgprs: 25
; ScratchSize: 32
; MemoryBound: 0
; FloatMode: 240
; IeeeMode: 1
; LDSByteSize: 0 bytes/workgroup (compile time only)
; SGPRBlocks: 3
; VGPRBlocks: 3
; NumSGPRsForWavesPerEU: 30
; NumVGPRsForWavesPerEU: 25
; AccumOffset: 28
; Occupancy: 8
; WaveLimiterHint : 1
; COMPUTE_PGM_RSRC2:SCRATCH_EN: 1
; COMPUTE_PGM_RSRC2:USER_SGPR: 2
; COMPUTE_PGM_RSRC2:TRAP_HANDLER: 0
; COMPUTE_PGM_RSRC2:TGID_X_EN: 1
; COMPUTE_PGM_RSRC2:TGID_Y_EN: 0
; COMPUTE_PGM_RSRC2:TGID_Z_EN: 0
; COMPUTE_PGM_RSRC2:TIDIG_COMP_CNT: 1
; COMPUTE_PGM_RSRC3_GFX90A:ACCUM_OFFSET: 6
; COMPUTE_PGM_RSRC3_GFX90A:TG_SPLIT: 0
	.section	.text._ZN4vllm3moe22topkGatingSoftplusSqrtILi4ELi64ELi4ELi16ELi32ELb0EifEEvPKT6_PKbPfiPT5_PiiiibdPKfPKS8_SE_,"axG",@progbits,_ZN4vllm3moe22topkGatingSoftplusSqrtILi4ELi64ELi4ELi16ELi32ELb0EifEEvPKT6_PKbPfiPT5_PiiiibdPKfPKS8_SE_,comdat
	.protected	_ZN4vllm3moe22topkGatingSoftplusSqrtILi4ELi64ELi4ELi16ELi32ELb0EifEEvPKT6_PKbPfiPT5_PiiiibdPKfPKS8_SE_ ; -- Begin function _ZN4vllm3moe22topkGatingSoftplusSqrtILi4ELi64ELi4ELi16ELi32ELb0EifEEvPKT6_PKbPfiPT5_PiiiibdPKfPKS8_SE_
	.globl	_ZN4vllm3moe22topkGatingSoftplusSqrtILi4ELi64ELi4ELi16ELi32ELb0EifEEvPKT6_PKbPfiPT5_PiiiibdPKfPKS8_SE_
	.p2align	8
	.type	_ZN4vllm3moe22topkGatingSoftplusSqrtILi4ELi64ELi4ELi16ELi32ELb0EifEEvPKT6_PKbPfiPT5_PiiiibdPKfPKS8_SE_,@function
_ZN4vllm3moe22topkGatingSoftplusSqrtILi4ELi64ELi4ELi16ELi32ELb0EifEEvPKT6_PKbPfiPT5_PiiiibdPKfPKS8_SE_: ; @_ZN4vllm3moe22topkGatingSoftplusSqrtILi4ELi64ELi4ELi16ELi32ELb0EifEEvPKT6_PKbPfiPT5_PiiiibdPKfPKS8_SE_
; %bb.0:
	s_load_dword s30, s[2:3], 0x18
	v_and_b32_e32 v1, 0x3ff, v0
	v_bfe_u32 v4, v0, 10, 10
	s_lshl_b32 s4, s4, 3
	v_lshlrev_b32_e32 v2, 1, v4
	v_lshrrev_b32_e32 v3, 4, v1
	v_add3_u32 v2, s4, v2, v3
	s_waitcnt lgkmcnt(0)
	v_cmp_gt_i32_e32 vcc, s30, v2
	s_and_saveexec_b64 s[4:5], vcc
	s_cbranch_execz .LBB27_51
; %bb.1:
	s_load_dwordx4 s[4:7], s[2:3], 0x0
	s_load_dwordx2 s[20:21], s[2:3], 0x10
	s_waitcnt lgkmcnt(0)
	s_cmp_eq_u64 s[6:7], 0
	s_cbranch_scc1 .LBB27_3
; %bb.2:
	v_ashrrev_i32_e32 v3, 31, v2
	v_lshl_add_u64 v[6:7], s[6:7], 0, v[2:3]
	global_load_ubyte v3, v[6:7], off
	s_waitcnt vmcnt(0)
	v_and_b32_e32 v3, 1, v3
	v_cmp_eq_u32_e32 vcc, 1, v3
	s_xor_b64 s[6:7], vcc, -1
	s_orn2_b64 s[22:23], s[6:7], exec
	s_branch .LBB27_4
.LBB27_3:
	s_mov_b64 s[22:23], -1
.LBB27_4:
	v_lshlrev_b32_e32 v8, 6, v2
	v_mov_b32_e32 v6, s4
	v_mov_b32_e32 v7, s5
	v_ashrrev_i32_e32 v9, 31, v8
	v_and_b32_e32 v3, 15, v1
	v_lshl_add_u64 v[6:7], v[8:9], 2, v[6:7]
	v_mov_b32_e32 v9, 0
	v_lshlrev_b32_e32 v8, 4, v3
	v_lshl_add_u64 v[6:7], v[6:7], 0, v[8:9]
	global_load_dwordx4 v[6:9], v[6:7], off
	s_load_dwordx2 s[4:5], s[0:1], 0x4
	s_load_dwordx4 s[8:11], s[2:3], 0x40
	v_bfe_u32 v0, v0, 20, 10
	s_mov_b32 s16, 0x800000
	s_mov_b32 s13, 0x3f317217
	s_waitcnt lgkmcnt(0)
	s_lshr_b32 s0, s4, 16
	v_mul_u32_u24_e32 v4, s5, v4
	s_mul_i32 s0, s0, s5
	v_mad_u32_u24 v1, s0, v1, v4
	v_add_lshl_u32 v4, v1, v0, 4
	s_mov_b32 s14, 0x7f800000
	s_mov_b32 s12, 0x41a00000
	;; [unrolled: 1-line block ×3, first 2 shown]
	s_cmp_lg_u64 s[10:11], 0
	v_mov_b32_e32 v1, 0x260
	s_cselect_b64 s[6:7], -1, 0
	s_and_b64 s[0:1], exec, s[6:7]
	s_waitcnt vmcnt(0)
	ds_write_b128 v4, v[6:9]
	ds_read_b32 v8, v4
	v_mov_b32_e32 v6, 0x4f800000
	v_mov_b32_e32 v7, 0x41b17218
	s_waitcnt lgkmcnt(0)
	v_mul_f32_e32 v0, 0x3fb8aa3b, v8
	v_exp_f32_e32 v0, v0
	s_nop 0
	v_add_f32_e32 v0, 1.0, v0
	v_cmp_gt_f32_e32 vcc, s16, v0
	s_nop 1
	v_cndmask_b32_e32 v5, 1.0, v6, vcc
	v_mul_f32_e32 v0, v0, v5
	v_log_f32_e32 v9, v0
	v_cndmask_b32_e32 v10, 0, v7, vcc
	v_lshlrev_b32_e32 v5, 2, v3
	v_lshlrev_b32_e32 v0, 2, v5
	v_mul_f32_e32 v11, 0x3f317217, v9
	v_fma_f32 v11, v9, s13, -v11
	v_fmac_f32_e32 v11, 0x3377d1cf, v9
	v_fmac_f32_e32 v11, 0x3f317217, v9
	v_cmp_lt_f32_e64 vcc, |v9|, s14
	s_nop 1
	v_cndmask_b32_e32 v9, v9, v11, vcc
	v_sub_f32_e32 v9, v9, v10
	v_cmp_lt_f32_e32 vcc, s12, v8
	s_nop 1
	v_cndmask_b32_e32 v8, v9, v8, vcc
	v_mul_f32_e32 v9, 0x4f800000, v8
	v_cmp_gt_f32_e32 vcc, s15, v8
	s_nop 1
	v_cndmask_b32_e32 v8, v8, v9, vcc
	v_sqrt_f32_e32 v9, v8
	s_nop 0
	v_add_u32_e32 v10, -1, v9
	v_add_u32_e32 v11, 1, v9
	v_fma_f32 v12, -v10, v9, v8
	v_fma_f32 v13, -v11, v9, v8
	v_cmp_ge_f32_e64 s[4:5], 0, v12
	s_nop 1
	v_cndmask_b32_e64 v9, v9, v10, s[4:5]
	v_cmp_lt_f32_e64 s[4:5], 0, v13
	s_nop 1
	v_cndmask_b32_e64 v9, v9, v11, s[4:5]
	v_mul_f32_e32 v10, 0x37800000, v9
	v_cndmask_b32_e32 v9, v9, v10, vcc
	v_cmp_class_f32_e32 vcc, v8, v1
	s_nop 1
	v_cndmask_b32_e32 v8, v9, v8, vcc
	s_mov_b64 vcc, s[0:1]
	s_cbranch_vccz .LBB27_6
; %bb.5:
	global_load_dword v9, v0, s[10:11]
	s_waitcnt vmcnt(0)
	v_add_f32_e32 v8, v8, v9
.LBB27_6:
	ds_read_b32 v9, v4 offset:4
	ds_write_b32 v4, v8
	s_waitcnt lgkmcnt(1)
	v_mul_f32_e32 v10, 0x3fb8aa3b, v9
	v_exp_f32_e32 v10, v10
	s_nop 0
	v_add_f32_e32 v10, 1.0, v10
	v_cmp_gt_f32_e32 vcc, s16, v10
	s_nop 1
	v_cndmask_b32_e32 v6, 1.0, v6, vcc
	v_mul_f32_e32 v6, v10, v6
	v_log_f32_e32 v6, v6
	v_cndmask_b32_e32 v7, 0, v7, vcc
	v_mul_f32_e32 v8, 0x3f317217, v6
	v_fma_f32 v8, v6, s13, -v8
	v_fmac_f32_e32 v8, 0x3377d1cf, v6
	v_fmac_f32_e32 v8, 0x3f317217, v6
	v_cmp_lt_f32_e64 vcc, |v6|, s14
	s_nop 1
	v_cndmask_b32_e32 v6, v6, v8, vcc
	v_sub_f32_e32 v6, v6, v7
	v_cmp_lt_f32_e32 vcc, s12, v9
	v_cndmask_b32_e64 v8, 0, 1, s[6:7]
	v_cmp_ne_u32_e64 s[0:1], 1, v8
	v_cndmask_b32_e32 v6, v6, v9, vcc
	v_mul_f32_e32 v7, 0x4f800000, v6
	v_cmp_gt_f32_e64 s[4:5], s15, v6
	s_andn2_b64 vcc, exec, s[6:7]
	s_nop 0
	v_cndmask_b32_e64 v6, v6, v7, s[4:5]
	v_sqrt_f32_e32 v7, v6
	s_nop 0
	v_add_u32_e32 v8, -1, v7
	v_add_u32_e32 v9, 1, v7
	v_fma_f32 v10, -v8, v7, v6
	v_fma_f32 v11, -v9, v7, v6
	v_cmp_ge_f32_e64 s[6:7], 0, v10
	s_nop 1
	v_cndmask_b32_e64 v7, v7, v8, s[6:7]
	v_cmp_lt_f32_e64 s[6:7], 0, v11
	s_nop 1
	v_cndmask_b32_e64 v7, v7, v9, s[6:7]
	v_mul_f32_e32 v8, 0x37800000, v7
	v_cndmask_b32_e64 v7, v7, v8, s[4:5]
	v_cmp_class_f32_e64 s[4:5], v6, v1
	s_nop 1
	v_cndmask_b32_e64 v1, v7, v6, s[4:5]
	s_cbranch_vccnz .LBB27_8
; %bb.7:
	global_load_dword v6, v0, s[10:11] offset:4
	s_waitcnt vmcnt(0)
	v_add_f32_e32 v1, v1, v6
.LBB27_8:
	ds_read_b32 v8, v4 offset:8
	s_mov_b32 s12, 0x800000
	s_mov_b32 s7, 0x3f317217
	;; [unrolled: 1-line block ×4, first 2 shown]
	s_waitcnt lgkmcnt(0)
	v_mul_f32_e32 v6, 0x3fb8aa3b, v8
	v_exp_f32_e32 v7, v6
	v_mov_b32_e32 v6, 0x4f800000
	s_mov_b32 s14, 0xf800000
	ds_write_b32 v4, v1 offset:4
	v_add_f32_e32 v7, 1.0, v7
	v_cmp_gt_f32_e32 vcc, s12, v7
	s_nop 1
	v_cndmask_b32_e32 v9, 1.0, v6, vcc
	v_mul_f32_e32 v7, v7, v9
	v_log_f32_e32 v9, v7
	v_mov_b32_e32 v7, 0x41b17218
	v_cndmask_b32_e32 v10, 0, v7, vcc
	v_mul_f32_e32 v11, 0x3f317217, v9
	v_fma_f32 v11, v9, s7, -v11
	v_fmac_f32_e32 v11, 0x3377d1cf, v9
	v_fmac_f32_e32 v11, 0x3f317217, v9
	v_cmp_lt_f32_e64 vcc, |v9|, s13
	s_nop 1
	v_cndmask_b32_e32 v9, v9, v11, vcc
	v_sub_f32_e32 v9, v9, v10
	v_cmp_lt_f32_e32 vcc, s6, v8
	s_nop 1
	v_cndmask_b32_e32 v8, v9, v8, vcc
	v_mul_f32_e32 v9, 0x4f800000, v8
	v_cmp_gt_f32_e32 vcc, s14, v8
	s_nop 1
	v_cndmask_b32_e32 v8, v8, v9, vcc
	v_sqrt_f32_e32 v9, v8
	s_nop 0
	v_add_u32_e32 v1, -1, v9
	v_fma_f32 v10, -v1, v9, v8
	v_cmp_ge_f32_e64 s[4:5], 0, v10
	v_add_u32_e32 v10, 1, v9
	s_nop 0
	v_cndmask_b32_e64 v1, v9, v1, s[4:5]
	v_fma_f32 v9, -v10, v9, v8
	v_cmp_lt_f32_e64 s[4:5], 0, v9
	s_nop 1
	v_cndmask_b32_e64 v1, v1, v10, s[4:5]
	v_mul_f32_e32 v9, 0x37800000, v1
	v_cndmask_b32_e32 v9, v1, v9, vcc
	v_mov_b32_e32 v1, 0x260
	v_cmp_class_f32_e64 s[4:5], v8, v1
	s_and_b64 vcc, exec, s[0:1]
	s_nop 0
	v_cndmask_b32_e64 v8, v9, v8, s[4:5]
	s_cbranch_vccnz .LBB27_10
; %bb.9:
	global_load_dword v9, v0, s[10:11] offset:8
	s_waitcnt vmcnt(0)
	v_add_f32_e32 v8, v8, v9
.LBB27_10:
	ds_read_b32 v9, v4 offset:12
	ds_write_b32 v4, v8 offset:8
	s_waitcnt lgkmcnt(1)
	v_mul_f32_e32 v10, 0x3fb8aa3b, v9
	v_exp_f32_e32 v10, v10
	s_nop 0
	v_add_f32_e32 v10, 1.0, v10
	v_cmp_gt_f32_e32 vcc, s12, v10
	s_nop 1
	v_cndmask_b32_e32 v6, 1.0, v6, vcc
	v_mul_f32_e32 v6, v10, v6
	v_log_f32_e32 v6, v6
	v_cndmask_b32_e32 v7, 0, v7, vcc
	v_mul_f32_e32 v10, 0x3f317217, v6
	v_fma_f32 v10, v6, s7, -v10
	v_fmac_f32_e32 v10, 0x3377d1cf, v6
	v_fmac_f32_e32 v10, 0x3f317217, v6
	v_cmp_lt_f32_e64 vcc, |v6|, s13
	s_nop 1
	v_cndmask_b32_e32 v6, v6, v10, vcc
	v_sub_f32_e32 v6, v6, v7
	v_cmp_lt_f32_e32 vcc, s6, v9
	s_nop 1
	v_cndmask_b32_e32 v6, v6, v9, vcc
	v_mul_f32_e32 v7, 0x4f800000, v6
	v_cmp_gt_f32_e64 s[4:5], s14, v6
	s_and_b64 vcc, exec, s[0:1]
	s_nop 0
	v_cndmask_b32_e64 v6, v6, v7, s[4:5]
	v_sqrt_f32_e32 v7, v6
	s_nop 0
	v_add_u32_e32 v8, -1, v7
	v_add_u32_e32 v9, 1, v7
	v_fma_f32 v10, -v8, v7, v6
	v_fma_f32 v11, -v9, v7, v6
	v_cmp_ge_f32_e64 s[6:7], 0, v10
	s_nop 1
	v_cndmask_b32_e64 v7, v7, v8, s[6:7]
	v_cmp_lt_f32_e64 s[6:7], 0, v11
	s_nop 1
	v_cndmask_b32_e64 v7, v7, v9, s[6:7]
	v_mul_f32_e32 v8, 0x37800000, v7
	v_cndmask_b32_e64 v7, v7, v8, s[4:5]
	v_cmp_class_f32_e64 s[4:5], v6, v1
	s_nop 1
	v_cndmask_b32_e64 v1, v7, v6, s[4:5]
	s_cbranch_vccnz .LBB27_12
; %bb.11:
	global_load_dword v0, v0, s[10:11] offset:12
	s_waitcnt vmcnt(0)
	v_add_f32_e32 v1, v1, v0
.LBB27_12:
	s_load_dwordx4 s[12:15], s[2:3], 0x30
	s_mov_b32 s31, 0
	v_cmp_eq_u32_e64 s[6:7], 0, v3
	ds_write_b32 v4, v1 offset:12
	s_waitcnt lgkmcnt(0)
	s_bitcmp1_b32 s15, 0
	s_cselect_b64 s[4:5], -1, 0
	s_cmp_gt_i32 s12, 0
	s_cselect_b64 s[24:25], -1, 0
	s_and_b64 vcc, exec, s[24:25]
	s_cbranch_vccz .LBB27_37
; %bb.13:
	v_mbcnt_lo_u32_b32 v0, -1, 0
	v_mbcnt_hi_u32_b32 v0, -1, v0
	v_and_b32_e32 v1, 0x70, v0
	v_add_u32_e32 v1, 16, v1
	v_xor_b32_e32 v6, 8, v0
	v_cmp_lt_i32_e32 vcc, v6, v1
	s_load_dwordx4 s[16:19], s[2:3], 0x20
	v_mul_lo_u32 v7, v2, s12
	v_cndmask_b32_e32 v6, v0, v6, vcc
	v_lshlrev_b32_e32 v8, 2, v6
	v_xor_b32_e32 v6, 4, v0
	v_cmp_lt_i32_e32 vcc, v6, v1
	v_mov_b32_e32 v12, 0xc61c4000
	v_mov_b32_e32 v13, v2
	v_cndmask_b32_e32 v6, v0, v6, vcc
	v_lshlrev_b32_e32 v9, 2, v6
	v_xor_b32_e32 v6, 2, v0
	v_cmp_lt_i32_e32 vcc, v6, v1
	s_nop 1
	v_cndmask_b32_e32 v6, v0, v6, vcc
	v_lshlrev_b32_e32 v10, 2, v6
	v_xor_b32_e32 v6, 1, v0
	v_cmp_lt_i32_e32 vcc, v6, v1
	s_nop 1
	v_cndmask_b32_e32 v0, v0, v6, vcc
	v_lshlrev_b32_e32 v11, 2, v0
	v_mov_b32_e32 v6, 0
	s_branch .LBB27_15
.LBB27_14:                              ;   in Loop: Header=BB27_15 Depth=1
	s_or_b64 exec, exec, s[2:3]
	s_cmp_eq_u32 s12, s31
	v_add_u32_e32 v13, s30, v13
	s_cbranch_scc1 .LBB27_38
.LBB27_15:                              ; =>This Inner Loop Header: Depth=1
	ds_read_b128 v[14:17], v4
	s_waitcnt lgkmcnt(0)
	v_cmp_gt_f32_e32 vcc, v15, v14
	s_nop 1
	v_cndmask_b32_e32 v1, v14, v15, vcc
	v_cndmask_b32_e64 v0, 0, 1, vcc
	v_cmp_gt_f32_e32 vcc, v16, v1
	s_nop 1
	v_cndmask_b32_e32 v1, v1, v16, vcc
	v_cndmask_b32_e64 v0, v0, 2, vcc
	v_cmp_gt_f32_e32 vcc, v17, v1
	s_nop 1
	v_cndmask_b32_e64 v0, v0, 3, vcc
	v_cndmask_b32_e32 v14, v1, v17, vcc
	ds_bpermute_b32 v1, v8, v14
	v_or_b32_e32 v0, v5, v0
	ds_bpermute_b32 v15, v8, v0
	s_waitcnt lgkmcnt(1)
	v_cmp_lt_f32_e64 s[26:27], v14, v1
	v_cmp_nlt_f32_e32 vcc, v14, v1
	s_and_saveexec_b64 s[28:29], vcc
	s_cbranch_execz .LBB27_17
; %bb.16:                               ;   in Loop: Header=BB27_15 Depth=1
	v_cmp_eq_f32_e32 vcc, v14, v1
	s_waitcnt lgkmcnt(0)
	v_cmp_lt_i32_e64 s[2:3], v15, v0
	s_and_b64 s[2:3], vcc, s[2:3]
	s_andn2_b64 s[26:27], s[26:27], exec
	s_and_b64 s[2:3], s[2:3], exec
	s_or_b64 s[26:27], s[26:27], s[2:3]
.LBB27_17:                              ;   in Loop: Header=BB27_15 Depth=1
	s_or_b64 exec, exec, s[28:29]
	s_and_saveexec_b64 s[2:3], s[26:27]
	s_cbranch_execz .LBB27_19
; %bb.18:                               ;   in Loop: Header=BB27_15 Depth=1
	v_mov_b32_e32 v14, v1
	s_waitcnt lgkmcnt(0)
	v_mov_b32_e32 v0, v15
.LBB27_19:                              ;   in Loop: Header=BB27_15 Depth=1
	s_or_b64 exec, exec, s[2:3]
	ds_bpermute_b32 v1, v9, v14
	s_waitcnt lgkmcnt(1)
	ds_bpermute_b32 v15, v9, v0
	s_waitcnt lgkmcnt(1)
	v_cmp_lt_f32_e64 s[26:27], v14, v1
	v_cmp_nlt_f32_e32 vcc, v14, v1
	s_and_saveexec_b64 s[28:29], vcc
	s_cbranch_execz .LBB27_21
; %bb.20:                               ;   in Loop: Header=BB27_15 Depth=1
	v_cmp_eq_f32_e32 vcc, v14, v1
	s_waitcnt lgkmcnt(0)
	v_cmp_lt_i32_e64 s[2:3], v15, v0
	s_and_b64 s[2:3], vcc, s[2:3]
	s_andn2_b64 s[26:27], s[26:27], exec
	s_and_b64 s[2:3], s[2:3], exec
	s_or_b64 s[26:27], s[26:27], s[2:3]
.LBB27_21:                              ;   in Loop: Header=BB27_15 Depth=1
	s_or_b64 exec, exec, s[28:29]
	s_and_saveexec_b64 s[2:3], s[26:27]
	s_cbranch_execz .LBB27_23
; %bb.22:                               ;   in Loop: Header=BB27_15 Depth=1
	v_mov_b32_e32 v14, v1
	s_waitcnt lgkmcnt(0)
	v_mov_b32_e32 v0, v15
.LBB27_23:                              ;   in Loop: Header=BB27_15 Depth=1
	s_or_b64 exec, exec, s[2:3]
	ds_bpermute_b32 v1, v10, v14
	s_waitcnt lgkmcnt(1)
	;; [unrolled: 26-line block ×3, first 2 shown]
	ds_bpermute_b32 v15, v11, v0
	s_waitcnt lgkmcnt(1)
	v_cmp_lt_f32_e64 s[26:27], v14, v1
	v_cmp_nlt_f32_e32 vcc, v14, v1
	s_and_saveexec_b64 s[28:29], vcc
	s_cbranch_execnz .LBB27_30
; %bb.28:                               ;   in Loop: Header=BB27_15 Depth=1
	s_or_b64 exec, exec, s[28:29]
	s_and_saveexec_b64 s[2:3], s[26:27]
	s_cbranch_execnz .LBB27_31
.LBB27_29:                              ;   in Loop: Header=BB27_15 Depth=1
	s_or_b64 exec, exec, s[2:3]
	s_and_saveexec_b64 s[26:27], s[6:7]
	s_cbranch_execnz .LBB27_32
	s_branch .LBB27_35
.LBB27_30:                              ;   in Loop: Header=BB27_15 Depth=1
	v_cmp_eq_f32_e32 vcc, v14, v1
	s_waitcnt lgkmcnt(0)
	v_cmp_lt_i32_e64 s[2:3], v15, v0
	s_and_b64 s[2:3], vcc, s[2:3]
	s_andn2_b64 s[26:27], s[26:27], exec
	s_and_b64 s[2:3], s[2:3], exec
	s_or_b64 s[26:27], s[26:27], s[2:3]
	s_or_b64 exec, exec, s[28:29]
	s_and_saveexec_b64 s[2:3], s[26:27]
	s_cbranch_execz .LBB27_29
.LBB27_31:                              ;   in Loop: Header=BB27_15 Depth=1
	s_waitcnt lgkmcnt(0)
	v_mov_b32_e32 v0, v15
	v_mov_b32_e32 v14, v1
	s_or_b64 exec, exec, s[2:3]
	s_and_saveexec_b64 s[26:27], s[6:7]
	s_cbranch_execz .LBB27_35
.LBB27_32:                              ;   in Loop: Header=BB27_15 Depth=1
	s_and_b64 vcc, exec, s[0:1]
	s_cbranch_vccnz .LBB27_34
; %bb.33:                               ;   in Loop: Header=BB27_15 Depth=1
	v_ashrrev_i32_e32 v1, 31, v0
	v_lshl_add_u64 v[16:17], v[0:1], 2, s[10:11]
	global_load_dword v1, v[16:17], off
	s_waitcnt vmcnt(0)
	v_sub_f32_e32 v14, v14, v1
.LBB27_34:                              ;   in Loop: Header=BB27_15 Depth=1
	v_add_u32_e32 v16, s31, v7
	v_cmp_le_i32_e32 vcc, s13, v0
	v_cmp_gt_i32_e64 s[2:3], s14, v0
	v_ashrrev_i32_e32 v17, 31, v16
	s_and_b64 s[2:3], vcc, s[2:3]
	v_lshlrev_b64 v[16:17], 2, v[16:17]
	v_lshl_add_u64 v[18:19], s[20:21], 0, v[16:17]
	v_subrev_u32_e32 v1, s13, v0
	s_and_b64 vcc, s[22:23], s[2:3]
	global_store_dword v[18:19], v14, off
	v_cndmask_b32_e32 v1, 64, v1, vcc
	v_lshl_add_u64 v[18:19], s[16:17], 0, v[16:17]
	global_store_dword v[18:19], v1, off
	v_add_f32_e32 v1, v6, v14
	v_lshl_add_u64 v[16:17], s[18:19], 0, v[16:17]
	v_cndmask_b32_e64 v6, v6, v1, s[4:5]
	global_store_dword v[16:17], v13, off
.LBB27_35:                              ;   in Loop: Header=BB27_15 Depth=1
	s_or_b64 exec, exec, s[26:27]
	v_ashrrev_i32_e32 v14, 31, v0
	v_lshrrev_b32_e32 v1, 30, v14
	s_waitcnt lgkmcnt(0)
	v_add_u32_e32 v15, v0, v1
	v_ashrrev_i32_e32 v1, 2, v15
	v_ashrrev_i32_e32 v15, 31, v15
	v_lshrrev_b32_e32 v15, 28, v15
	v_add_u32_e32 v15, v1, v15
	s_add_i32 s31, s31, 1
	v_and_b32_e32 v15, -16, v15
	s_cmp_lt_i32 s31, s12
	v_sub_u32_e32 v15, v1, v15
	s_cselect_b64 s[2:3], -1, 0
	v_cmp_eq_u32_e32 vcc, v3, v15
	s_and_b64 s[26:27], s[2:3], vcc
	s_and_saveexec_b64 s[2:3], s[26:27]
	s_cbranch_execz .LBB27_14
; %bb.36:                               ;   in Loop: Header=BB27_15 Depth=1
	v_lshrrev_b32_e32 v14, 26, v14
	v_add_u32_e32 v14, v0, v14
	v_lshlrev_b32_e32 v1, 2, v1
	v_ashrrev_i32_e32 v14, 6, v14
	v_sub_u32_e32 v0, v0, v1
	v_lshl_add_u32 v0, v14, 2, v0
	v_lshl_add_u32 v0, v0, 2, v4
	ds_write_b32 v0, v12
	s_branch .LBB27_14
.LBB27_37:
	v_mov_b32_e32 v6, 0
.LBB27_38:
	v_cmp_eq_u32_e32 vcc, 0, v3
	s_and_b64 exec, exec, vcc
	s_cbranch_execz .LBB27_51
; %bb.39:
	s_andn2_b64 vcc, exec, s[4:5]
	v_cvt_f32_f64_e32 v0, s[8:9]
	s_cbranch_vccnz .LBB27_41
; %bb.40:
	v_cmp_lt_f32_e32 vcc, 0, v6
	s_nop 1
	v_cndmask_b32_e32 v1, 1.0, v6, vcc
	v_div_scale_f32 v3, s[0:1], v1, v1, v0
	v_rcp_f32_e32 v4, v3
	s_nop 0
	v_fma_f32 v5, -v3, v4, 1.0
	v_fmac_f32_e32 v4, v5, v4
	v_div_scale_f32 v5, vcc, v0, v1, v0
	v_mul_f32_e32 v6, v5, v4
	v_fma_f32 v7, -v3, v6, v5
	v_fmac_f32_e32 v6, v7, v4
	v_fma_f32 v3, -v3, v6, v5
	v_div_fmas_f32 v3, v3, v4, v6
	v_div_fixup_f32 v0, v3, v1, v0
.LBB27_41:
	s_andn2_b64 vcc, exec, s[24:25]
	s_cbranch_vccnz .LBB27_51
; %bb.42:
	v_mul_lo_u32 v2, v2, s12
	s_cmp_gt_u32 s12, 3
	v_ashrrev_i32_e32 v3, 31, v2
	s_cbranch_scc0 .LBB27_46
; %bb.43:
	s_and_b32 s0, s12, 0x7ffffffc
	v_lshl_add_u64 v[4:5], v[2:3], 2, s[20:21]
	v_mov_b32_e32 v1, v0
	v_lshl_add_u64 v[4:5], v[4:5], 0, 8
	s_mov_b32 s1, s0
.LBB27_44:                              ; =>This Inner Loop Header: Depth=1
	global_load_dwordx4 v[6:9], v[4:5], off offset:-8
	s_add_i32 s1, s1, -4
	s_cmp_lg_u32 s1, 0
	s_waitcnt vmcnt(0)
	v_pk_mul_f32 v[6:7], v[0:1], v[6:7]
	v_pk_mul_f32 v[8:9], v[0:1], v[8:9]
	global_store_dwordx4 v[4:5], v[6:9], off offset:-8
	v_lshl_add_u64 v[4:5], v[4:5], 0, 16
	s_cbranch_scc1 .LBB27_44
; %bb.45:
	s_cmp_lg_u32 s0, s12
	s_cselect_b64 s[2:3], -1, 0
	s_branch .LBB27_48
.LBB27_46:
	s_mov_b64 s[2:3], 0
                                        ; implicit-def: $sgpr0
	s_cbranch_execz .LBB27_48
; %bb.47:
	s_mov_b64 s[2:3], -1
	s_mov_b32 s0, 0
.LBB27_48:
	s_andn2_b64 vcc, exec, s[2:3]
	s_cbranch_vccnz .LBB27_51
; %bb.49:
	s_mov_b32 s1, 0
	v_lshl_add_u64 v[2:3], v[2:3], 0, s[0:1]
	s_sub_i32 s2, s12, s0
	v_lshl_add_u64 v[2:3], v[2:3], 2, s[20:21]
.LBB27_50:                              ; =>This Inner Loop Header: Depth=1
	global_load_dword v1, v[2:3], off
	s_add_i32 s2, s2, -1
	s_cmp_lg_u32 s2, 0
	s_waitcnt vmcnt(0)
	v_mul_f32_e32 v1, v0, v1
	global_store_dword v[2:3], v1, off
	v_lshl_add_u64 v[2:3], v[2:3], 0, 4
	s_cbranch_scc1 .LBB27_50
.LBB27_51:
	s_endpgm
	.section	.rodata,"a",@progbits
	.p2align	6, 0x0
	.amdhsa_kernel _ZN4vllm3moe22topkGatingSoftplusSqrtILi4ELi64ELi4ELi16ELi32ELb0EifEEvPKT6_PKbPfiPT5_PiiiibdPKfPKS8_SE_
		.amdhsa_group_segment_fixed_size 2048
		.amdhsa_private_segment_fixed_size 0
		.amdhsa_kernarg_size 96
		.amdhsa_user_sgpr_count 4
		.amdhsa_user_sgpr_dispatch_ptr 1
		.amdhsa_user_sgpr_queue_ptr 0
		.amdhsa_user_sgpr_kernarg_segment_ptr 1
		.amdhsa_user_sgpr_dispatch_id 0
		.amdhsa_user_sgpr_kernarg_preload_length 0
		.amdhsa_user_sgpr_kernarg_preload_offset 0
		.amdhsa_user_sgpr_private_segment_size 0
		.amdhsa_uses_dynamic_stack 0
		.amdhsa_enable_private_segment 0
		.amdhsa_system_sgpr_workgroup_id_x 1
		.amdhsa_system_sgpr_workgroup_id_y 0
		.amdhsa_system_sgpr_workgroup_id_z 0
		.amdhsa_system_sgpr_workgroup_info 0
		.amdhsa_system_vgpr_workitem_id 2
		.amdhsa_next_free_vgpr 20
		.amdhsa_next_free_sgpr 32
		.amdhsa_accum_offset 20
		.amdhsa_reserve_vcc 1
		.amdhsa_float_round_mode_32 0
		.amdhsa_float_round_mode_16_64 0
		.amdhsa_float_denorm_mode_32 3
		.amdhsa_float_denorm_mode_16_64 3
		.amdhsa_dx10_clamp 1
		.amdhsa_ieee_mode 1
		.amdhsa_fp16_overflow 0
		.amdhsa_tg_split 0
		.amdhsa_exception_fp_ieee_invalid_op 0
		.amdhsa_exception_fp_denorm_src 0
		.amdhsa_exception_fp_ieee_div_zero 0
		.amdhsa_exception_fp_ieee_overflow 0
		.amdhsa_exception_fp_ieee_underflow 0
		.amdhsa_exception_fp_ieee_inexact 0
		.amdhsa_exception_int_div_zero 0
	.end_amdhsa_kernel
	.section	.text._ZN4vllm3moe22topkGatingSoftplusSqrtILi4ELi64ELi4ELi16ELi32ELb0EifEEvPKT6_PKbPfiPT5_PiiiibdPKfPKS8_SE_,"axG",@progbits,_ZN4vllm3moe22topkGatingSoftplusSqrtILi4ELi64ELi4ELi16ELi32ELb0EifEEvPKT6_PKbPfiPT5_PiiiibdPKfPKS8_SE_,comdat
.Lfunc_end27:
	.size	_ZN4vllm3moe22topkGatingSoftplusSqrtILi4ELi64ELi4ELi16ELi32ELb0EifEEvPKT6_PKbPfiPT5_PiiiibdPKfPKS8_SE_, .Lfunc_end27-_ZN4vllm3moe22topkGatingSoftplusSqrtILi4ELi64ELi4ELi16ELi32ELb0EifEEvPKT6_PKbPfiPT5_PiiiibdPKfPKS8_SE_
                                        ; -- End function
	.section	.AMDGPU.csdata,"",@progbits
; Kernel info:
; codeLenInByte = 2856
; NumSgprs: 38
; NumVgprs: 20
; NumAgprs: 0
; TotalNumVgprs: 20
; ScratchSize: 0
; MemoryBound: 0
; FloatMode: 240
; IeeeMode: 1
; LDSByteSize: 2048 bytes/workgroup (compile time only)
; SGPRBlocks: 4
; VGPRBlocks: 2
; NumSGPRsForWavesPerEU: 38
; NumVGPRsForWavesPerEU: 20
; AccumOffset: 20
; Occupancy: 8
; WaveLimiterHint : 0
; COMPUTE_PGM_RSRC2:SCRATCH_EN: 0
; COMPUTE_PGM_RSRC2:USER_SGPR: 4
; COMPUTE_PGM_RSRC2:TRAP_HANDLER: 0
; COMPUTE_PGM_RSRC2:TGID_X_EN: 1
; COMPUTE_PGM_RSRC2:TGID_Y_EN: 0
; COMPUTE_PGM_RSRC2:TGID_Z_EN: 0
; COMPUTE_PGM_RSRC2:TIDIG_COMP_CNT: 2
; COMPUTE_PGM_RSRC3_GFX90A:ACCUM_OFFSET: 4
; COMPUTE_PGM_RSRC3_GFX90A:TG_SPLIT: 0
	.section	.text._ZN4vllm3moe22topkGatingSoftplusSqrtILi4ELi128ELi4ELi16ELi64ELb1EifEEvPKT6_PKbPfiPT5_PiiiibdPKfPKS8_SE_,"axG",@progbits,_ZN4vllm3moe22topkGatingSoftplusSqrtILi4ELi128ELi4ELi16ELi64ELb1EifEEvPKT6_PKbPfiPT5_PiiiibdPKfPKS8_SE_,comdat
	.protected	_ZN4vllm3moe22topkGatingSoftplusSqrtILi4ELi128ELi4ELi16ELi64ELb1EifEEvPKT6_PKbPfiPT5_PiiiibdPKfPKS8_SE_ ; -- Begin function _ZN4vllm3moe22topkGatingSoftplusSqrtILi4ELi128ELi4ELi16ELi64ELb1EifEEvPKT6_PKbPfiPT5_PiiiibdPKfPKS8_SE_
	.globl	_ZN4vllm3moe22topkGatingSoftplusSqrtILi4ELi128ELi4ELi16ELi64ELb1EifEEvPKT6_PKbPfiPT5_PiiiibdPKfPKS8_SE_
	.p2align	8
	.type	_ZN4vllm3moe22topkGatingSoftplusSqrtILi4ELi128ELi4ELi16ELi64ELb1EifEEvPKT6_PKbPfiPT5_PiiiibdPKfPKS8_SE_,@function
_ZN4vllm3moe22topkGatingSoftplusSqrtILi4ELi128ELi4ELi16ELi64ELb1EifEEvPKT6_PKbPfiPT5_PiiiibdPKfPKS8_SE_: ; @_ZN4vllm3moe22topkGatingSoftplusSqrtILi4ELi128ELi4ELi16ELi64ELb1EifEEvPKT6_PKbPfiPT5_PiiiibdPKfPKS8_SE_
; %bb.0:
	s_load_dword s3, s[0:1], 0x18
	v_bfe_u32 v1, v0, 10, 10
	v_and_b32_e32 v8, 0x3ff, v0
	s_lshl_b32 s2, s2, 3
	v_lshlrev_b32_e32 v1, 1, v1
	v_lshrrev_b32_e32 v0, 5, v8
	v_add3_u32 v2, s2, v1, v0
	s_waitcnt lgkmcnt(0)
	v_cmp_gt_i32_e32 vcc, s3, v2
	s_and_saveexec_b64 s[2:3], vcc
	s_cbranch_execz .LBB28_79
; %bb.1:
	s_load_dwordx2 s[2:3], s[0:1], 0x0
	s_load_dword s20, s[0:1], 0x30
	s_load_dwordx4 s[8:11], s[0:1], 0x50
	v_lshlrev_b32_e32 v0, 7, v2
	v_lshlrev_b32_e32 v3, 2, v8
	v_ashrrev_i32_e32 v1, 31, v0
	v_and_b32_e32 v12, 0x7c, v3
	s_waitcnt lgkmcnt(0)
	v_lshl_add_u64 v[0:1], v[0:1], 2, s[2:3]
	v_lshlrev_b32_e32 v6, 2, v12
	v_mov_b32_e32 v7, 0
	v_lshl_add_u64 v[0:1], v[0:1], 0, v[6:7]
	global_load_dwordx4 v[14:17], v[0:1], off
	v_mov_b32_e32 v0, s8
	v_mov_b32_e32 v1, s9
	v_ashrrev_i32_e32 v3, 31, v2
	v_lshl_add_u64 v[0:1], v[2:3], 2, v[0:1]
	global_load_dword v0, v[0:1], off
	s_mov_b32 s6, 0x800000
	v_mov_b32_e32 v3, 0x4f800000
	s_mov_b32 s12, 0x3f317217
	s_mov_b32 s13, 0x7f800000
	v_mov_b32_e32 v6, 0x41b17218
	s_mov_b32 s9, 0x41a00000
	s_mov_b32 s14, 0xf800000
	v_mov_b32_e32 v9, 0x260
	s_cmp_gt_i32 s20, 0
	s_mov_b32 s8, 0
	v_mul_lo_u32 v2, v2, s20
	s_waitcnt vmcnt(1)
	v_mul_f32_e32 v1, 0x3fb8aa3b, v14
	v_mul_f32_e32 v5, 0x3fb8aa3b, v15
	v_exp_f32_e32 v4, v1
	v_exp_f32_e32 v5, v5
	v_mul_f32_e32 v10, 0x3fb8aa3b, v16
	v_mul_f32_e32 v11, 0x3fb8aa3b, v17
	v_exp_f32_e32 v10, v10
	v_exp_f32_e32 v11, v11
	v_pk_add_f32 v[4:5], v[4:5], 1.0 op_sel_hi:[1,0]
	s_waitcnt vmcnt(0)
	v_mul_lo_u32 v0, v0, s20
	v_cmp_gt_f32_e32 vcc, s6, v5
	v_pk_add_f32 v[10:11], v[10:11], 1.0 op_sel_hi:[1,0]
	v_cmp_gt_f32_e64 s[2:3], s6, v4
	v_cndmask_b32_e32 v13, 1.0, v3, vcc
	v_cmp_gt_f32_e64 s[4:5], s6, v11
	v_cndmask_b32_e64 v18, 1.0, v3, s[2:3]
	v_mul_f32_e32 v5, v5, v13
	v_cndmask_b32_e64 v19, 1.0, v3, s[4:5]
	v_cmp_gt_f32_e64 s[6:7], s6, v10
	v_mul_f32_e32 v4, v4, v18
	v_log_f32_e32 v5, v5
	v_cndmask_b32_e64 v3, 1.0, v3, s[6:7]
	v_mul_f32_e32 v11, v11, v19
	v_log_f32_e32 v4, v4
	v_mul_f32_e32 v3, v10, v3
	v_log_f32_e32 v10, v11
	v_mul_f32_e32 v11, 0x3f317217, v5
	v_mul_f32_e32 v20, 0x3f317217, v4
	v_fma_f32 v11, v5, s12, -v11
	v_mul_f32_e32 v21, 0x3f317217, v10
	v_fma_f32 v20, v4, s12, -v20
	v_fmac_f32_e32 v11, 0x3377d1cf, v5
	v_cndmask_b32_e32 v13, 0, v6, vcc
	v_fma_f32 v21, v10, s12, -v21
	v_fmac_f32_e32 v20, 0x3377d1cf, v4
	v_fmac_f32_e32 v11, 0x3f317217, v5
	v_cmp_lt_f32_e64 vcc, |v5|, s13
	v_fmac_f32_e32 v21, 0x3377d1cf, v10
	v_fmac_f32_e32 v20, 0x3f317217, v4
	v_cndmask_b32_e32 v5, v5, v11, vcc
	v_cmp_lt_f32_e64 vcc, |v4|, s13
	v_cndmask_b32_e64 v18, 0, v6, s[2:3]
	v_fmac_f32_e32 v21, 0x3f317217, v10
	v_cndmask_b32_e32 v4, v4, v20, vcc
	v_cmp_lt_f32_e64 vcc, |v10|, s13
	v_sub_f32_e32 v4, v4, v18
	v_sub_f32_e32 v5, v5, v13
	v_cndmask_b32_e32 v10, v10, v21, vcc
	v_cmp_lt_f32_e32 vcc, s9, v14
	v_cndmask_b32_e64 v19, 0, v6, s[4:5]
	v_log_f32_e32 v3, v3
	v_cndmask_b32_e32 v4, v4, v14, vcc
	v_cmp_lt_f32_e32 vcc, s9, v15
	v_mul_f32_e32 v13, 0x4f800000, v4
	v_cmp_gt_f32_e64 s[2:3], s14, v4
	v_cndmask_b32_e32 v5, v5, v15, vcc
	v_mul_f32_e32 v11, 0x4f800000, v5
	v_cmp_gt_f32_e32 vcc, s14, v5
	v_cndmask_b32_e64 v4, v4, v13, s[2:3]
	v_sqrt_f32_e32 v13, v4
	v_cndmask_b32_e32 v5, v5, v11, vcc
	v_sqrt_f32_e32 v11, v5
	v_sub_f32_e32 v10, v10, v19
	v_add_u32_e32 v18, -1, v13
	v_fma_f32 v23, -v18, v13, v4
	v_add_u32_e32 v14, -1, v11
	v_fma_f32 v20, -v14, v11, v5
	v_add_u32_e32 v15, 1, v11
	v_cmp_ge_f32_e64 s[4:5], 0, v20
	v_add_u32_e32 v19, 1, v13
	v_fma_f32 v21, -v15, v11, v5
	v_cndmask_b32_e64 v11, v11, v14, s[4:5]
	v_cmp_ge_f32_e64 s[4:5], 0, v23
	v_fma_f32 v24, -v19, v13, v4
	v_mul_f32_e32 v22, 0x3f317217, v3
	v_cndmask_b32_e64 v13, v13, v18, s[4:5]
	v_cmp_lt_f32_e64 s[4:5], 0, v21
	v_fma_f32 v22, v3, s12, -v22
	v_fmac_f32_e32 v22, 0x3377d1cf, v3
	v_cndmask_b32_e64 v11, v11, v15, s[4:5]
	v_cmp_lt_f32_e64 s[4:5], 0, v24
	v_mul_f32_e32 v14, 0x37800000, v11
	v_cndmask_b32_e32 v11, v11, v14, vcc
	v_cndmask_b32_e64 v13, v13, v19, s[4:5]
	v_mul_f32_e32 v15, 0x37800000, v13
	v_cmp_class_f32_e32 vcc, v5, v9
	v_cndmask_b32_e64 v13, v13, v15, s[2:3]
	v_fmac_f32_e32 v22, 0x3f317217, v3
	v_cndmask_b32_e32 v15, v11, v5, vcc
	v_cmp_class_f32_e32 vcc, v4, v9
	v_cmp_lt_f32_e64 s[2:3], s9, v16
	v_ashrrev_i32_e32 v1, 31, v0
	v_cndmask_b32_e32 v14, v13, v4, vcc
	v_cmp_lt_f32_e64 vcc, |v3|, s13
	v_cndmask_b32_e64 v4, 0, v6, s[6:7]
	s_cselect_b64 s[4:5], -1, 0
	v_cndmask_b32_e32 v3, v3, v22, vcc
	v_cmp_lt_f32_e32 vcc, s9, v17
	v_sub_f32_e32 v3, v3, v4
	v_cndmask_b32_e64 v3, v3, v16, s[2:3]
	v_cndmask_b32_e32 v5, v10, v17, vcc
	v_mul_f32_e32 v6, 0x4f800000, v5
	v_cmp_gt_f32_e32 vcc, s14, v5
	s_cmp_lt_i32 s20, 1
	s_nop 0
	v_cndmask_b32_e32 v5, v5, v6, vcc
	v_sqrt_f32_e32 v6, v5
	s_nop 0
	v_add_u32_e32 v4, -1, v6
	v_fma_f32 v10, -v4, v6, v5
	v_cmp_ge_f32_e64 s[2:3], 0, v10
	v_add_u32_e32 v10, 1, v6
	s_nop 0
	v_cndmask_b32_e64 v4, v6, v4, s[2:3]
	v_fma_f32 v6, -v10, v6, v5
	v_cmp_lt_f32_e64 s[2:3], 0, v6
	s_nop 1
	v_cndmask_b32_e64 v4, v4, v10, s[2:3]
	v_mul_f32_e32 v10, 0x4f800000, v3
	v_cmp_gt_f32_e64 s[2:3], s14, v3
	v_mul_f32_e32 v6, 0x37800000, v4
	v_cndmask_b32_e32 v4, v4, v6, vcc
	v_cndmask_b32_e64 v3, v3, v10, s[2:3]
	v_sqrt_f32_e32 v10, v3
	v_cmp_class_f32_e32 vcc, v5, v9
	s_nop 1
	v_cndmask_b32_e32 v17, v4, v5, vcc
	v_add_u32_e32 v4, -1, v10
	v_fma_f32 v5, -v4, v10, v3
	v_cmp_ge_f32_e32 vcc, 0, v5
	v_add_u32_e32 v5, 1, v10
	v_fma_f32 v6, -v5, v10, v3
	v_cndmask_b32_e32 v4, v10, v4, vcc
	v_cmp_lt_f32_e32 vcc, 0, v6
	s_nop 1
	v_cndmask_b32_e32 v4, v4, v5, vcc
	v_mul_f32_e32 v5, 0x37800000, v4
	v_cndmask_b32_e64 v4, v4, v5, s[2:3]
	v_cmp_class_f32_e32 vcc, v3, v9
	s_nop 1
	v_cndmask_b32_e32 v16, v4, v3, vcc
	v_lshl_add_u64 v[4:5], v[0:1], 2, s[10:11]
	scratch_store_dwordx4 off, v[14:17], off
	s_cbranch_scc1 .LBB28_28
; %bb.2:
	s_load_dwordx2 s[6:7], s[0:1], 0x20
	s_cmp_lt_u32 s20, 4
	v_and_b32_e32 v6, 31, v8
	s_cbranch_scc1 .LBB28_21
; %bb.3:
	v_lshlrev_b32_e32 v7, 2, v6
	s_mov_b32 s13, 0
	s_and_b32 s8, s20, 0x7ffffffc
	v_ashrrev_i32_e32 v3, 31, v2
	v_sub_u32_e32 v13, 0, v7
	v_mov_b32_e32 v7, 0
	s_mov_b32 s12, s13
	s_branch .LBB28_5
.LBB28_4:                               ;   in Loop: Header=BB28_5 Depth=1
	s_or_b64 exec, exec, s[14:15]
	s_add_i32 s12, s12, 4
	s_cmp_eq_u32 s12, s8
	s_cbranch_scc1 .LBB28_21
.LBB28_5:                               ; =>This Loop Header: Depth=1
                                        ;     Child Loop BB28_7 Depth 2
                                        ;     Child Loop BB28_11 Depth 2
	;; [unrolled: 1-line block ×4, first 2 shown]
	v_lshl_add_u64 v[8:9], s[12:13], 2, v[4:5]
	global_load_dword v14, v[8:9], off
	v_add_u32_e32 v10, s12, v2
	v_ashrrev_i32_e32 v11, 31, v10
	v_mov_b32_e32 v15, 0
	s_mov_b64 s[14:15], 0
	s_waitcnt lgkmcnt(0)
	v_lshl_add_u64 v[10:11], v[10:11], 2, s[6:7]
	s_mov_b32 s9, 0
	s_waitcnt vmcnt(0)
	v_add_u32_e32 v16, v13, v14
	s_branch .LBB28_7
.LBB28_6:                               ;   in Loop: Header=BB28_7 Depth=2
	s_or_b64 exec, exec, s[16:17]
	s_add_i32 s18, s9, 1
	s_cmp_gt_u32 s9, 2
	s_cselect_b64 s[2:3], -1, 0
	s_xor_b64 s[16:17], vcc, -1
	s_or_b64 s[2:3], s[16:17], s[2:3]
	s_and_b64 s[2:3], exec, s[2:3]
	v_add_u32_e32 v15, 4, v15
	s_or_b64 s[14:15], s[2:3], s[14:15]
	s_mov_b32 s9, s18
	s_andn2_b64 exec, exec, s[14:15]
	s_cbranch_execz .LBB28_9
.LBB28_7:                               ;   Parent Loop BB28_5 Depth=1
                                        ; =>  This Inner Loop Header: Depth=2
	v_cmp_ne_u32_e32 vcc, s9, v16
	v_cmp_eq_u32_e64 s[2:3], s9, v16
	s_and_saveexec_b64 s[16:17], s[2:3]
	s_cbranch_execz .LBB28_6
; %bb.8:                                ;   in Loop: Header=BB28_7 Depth=2
	scratch_load_dword v17, v15, off
	s_waitcnt vmcnt(0)
	v_add_f32_e32 v7, v7, v17
	global_store_dword v[10:11], v14, off
	s_branch .LBB28_6
.LBB28_9:                               ;   in Loop: Header=BB28_5 Depth=1
	s_or_b64 exec, exec, s[14:15]
	global_load_dword v14, v[8:9], off offset:4
	s_ashr_i32 s3, s12, 31
	s_mov_b32 s2, s12
	v_lshl_add_u64 v[10:11], s[2:3], 0, v[2:3]
	v_mov_b32_e32 v15, 0
	s_mov_b32 s9, 0
	v_lshl_add_u64 v[10:11], v[10:11], 2, s[6:7]
	s_mov_b64 s[14:15], 0
	s_waitcnt vmcnt(0)
	v_add_u32_e32 v16, v13, v14
	s_branch .LBB28_11
.LBB28_10:                              ;   in Loop: Header=BB28_11 Depth=2
	s_or_b64 exec, exec, s[16:17]
	s_add_i32 s18, s9, 1
	s_cmp_gt_u32 s9, 2
	s_cselect_b64 s[2:3], -1, 0
	s_xor_b64 s[16:17], vcc, -1
	s_or_b64 s[2:3], s[16:17], s[2:3]
	s_and_b64 s[2:3], exec, s[2:3]
	v_add_u32_e32 v15, 4, v15
	s_or_b64 s[14:15], s[2:3], s[14:15]
	s_mov_b32 s9, s18
	s_andn2_b64 exec, exec, s[14:15]
	s_cbranch_execz .LBB28_13
.LBB28_11:                              ;   Parent Loop BB28_5 Depth=1
                                        ; =>  This Inner Loop Header: Depth=2
	v_cmp_ne_u32_e32 vcc, s9, v16
	v_cmp_eq_u32_e64 s[2:3], s9, v16
	s_and_saveexec_b64 s[16:17], s[2:3]
	s_cbranch_execz .LBB28_10
; %bb.12:                               ;   in Loop: Header=BB28_11 Depth=2
	scratch_load_dword v17, v15, off
	s_waitcnt vmcnt(0)
	v_add_f32_e32 v7, v7, v17
	global_store_dword v[10:11], v14, off offset:4
	s_branch .LBB28_10
.LBB28_13:                              ;   in Loop: Header=BB28_5 Depth=1
	s_or_b64 exec, exec, s[14:15]
	global_load_dword v14, v[8:9], off offset:8
	v_mov_b32_e32 v15, 0
	s_mov_b32 s9, 0
	s_mov_b64 s[14:15], 0
	s_waitcnt vmcnt(0)
	v_add_u32_e32 v16, v13, v14
	s_branch .LBB28_15
.LBB28_14:                              ;   in Loop: Header=BB28_15 Depth=2
	s_or_b64 exec, exec, s[16:17]
	s_add_i32 s18, s9, 1
	s_cmp_gt_u32 s9, 2
	s_cselect_b64 s[2:3], -1, 0
	s_xor_b64 s[16:17], vcc, -1
	s_or_b64 s[2:3], s[16:17], s[2:3]
	s_and_b64 s[2:3], exec, s[2:3]
	v_add_u32_e32 v15, 4, v15
	s_or_b64 s[14:15], s[2:3], s[14:15]
	s_mov_b32 s9, s18
	s_andn2_b64 exec, exec, s[14:15]
	s_cbranch_execz .LBB28_17
.LBB28_15:                              ;   Parent Loop BB28_5 Depth=1
                                        ; =>  This Inner Loop Header: Depth=2
	v_cmp_ne_u32_e32 vcc, s9, v16
	v_cmp_eq_u32_e64 s[2:3], s9, v16
	s_and_saveexec_b64 s[16:17], s[2:3]
	s_cbranch_execz .LBB28_14
; %bb.16:                               ;   in Loop: Header=BB28_15 Depth=2
	scratch_load_dword v17, v15, off
	s_waitcnt vmcnt(0)
	v_add_f32_e32 v7, v7, v17
	global_store_dword v[10:11], v14, off offset:8
	s_branch .LBB28_14
.LBB28_17:                              ;   in Loop: Header=BB28_5 Depth=1
	s_or_b64 exec, exec, s[14:15]
	global_load_dword v8, v[8:9], off offset:12
	v_mov_b32_e32 v9, 0
	s_mov_b32 s9, 0
	s_mov_b64 s[14:15], 0
	s_waitcnt vmcnt(0)
	v_add_u32_e32 v14, v13, v8
	s_branch .LBB28_19
.LBB28_18:                              ;   in Loop: Header=BB28_19 Depth=2
	s_or_b64 exec, exec, s[16:17]
	s_add_i32 s18, s9, 1
	s_cmp_gt_u32 s9, 2
	s_cselect_b64 s[2:3], -1, 0
	s_xor_b64 s[16:17], vcc, -1
	s_or_b64 s[2:3], s[16:17], s[2:3]
	s_and_b64 s[2:3], exec, s[2:3]
	v_add_u32_e32 v9, 4, v9
	s_or_b64 s[14:15], s[2:3], s[14:15]
	s_mov_b32 s9, s18
	s_andn2_b64 exec, exec, s[14:15]
	s_cbranch_execz .LBB28_4
.LBB28_19:                              ;   Parent Loop BB28_5 Depth=1
                                        ; =>  This Inner Loop Header: Depth=2
	v_cmp_ne_u32_e32 vcc, s9, v14
	v_cmp_eq_u32_e64 s[2:3], s9, v14
	s_and_saveexec_b64 s[16:17], s[2:3]
	s_cbranch_execz .LBB28_18
; %bb.20:                               ;   in Loop: Header=BB28_19 Depth=2
	scratch_load_dword v15, v9, off
	s_waitcnt vmcnt(0)
	v_add_f32_e32 v7, v7, v15
	global_store_dword v[10:11], v8, off offset:12
	s_branch .LBB28_18
.LBB28_21:
	s_and_b32 s16, s20, 3
	s_cmp_eq_u32 s16, 0
	s_mov_b32 s9, 0
	s_cbranch_scc1 .LBB28_28
; %bb.22:
	v_lshlrev_b32_e32 v3, 2, v6
	v_sub_u32_e32 v3, 0, v3
	s_mov_b32 s17, s9
	s_branch .LBB28_24
.LBB28_23:                              ;   in Loop: Header=BB28_24 Depth=1
	s_or_b64 exec, exec, s[12:13]
	s_add_i32 s8, s8, 1
	s_add_i32 s17, s17, 1
	s_cmp_lg_u32 s17, s16
	s_cbranch_scc0 .LBB28_28
.LBB28_24:                              ; =>This Loop Header: Depth=1
                                        ;     Child Loop BB28_26 Depth 2
	v_lshl_add_u64 v[8:9], s[8:9], 2, v[4:5]
	global_load_dword v6, v[8:9], off
	v_add_u32_e32 v8, s8, v2
	v_ashrrev_i32_e32 v9, 31, v8
	v_mov_b32_e32 v10, 0
	s_mov_b32 s18, 0
	s_waitcnt lgkmcnt(0)
	v_lshl_add_u64 v[8:9], v[8:9], 2, s[6:7]
	s_mov_b64 s[12:13], 0
	s_waitcnt vmcnt(0)
	v_add_u32_e32 v11, v3, v6
	s_branch .LBB28_26
.LBB28_25:                              ;   in Loop: Header=BB28_26 Depth=2
	s_or_b64 exec, exec, s[14:15]
	s_add_i32 s19, s18, 1
	s_cmp_gt_u32 s18, 2
	s_cselect_b64 s[2:3], -1, 0
	s_xor_b64 s[14:15], vcc, -1
	s_or_b64 s[2:3], s[14:15], s[2:3]
	s_and_b64 s[2:3], exec, s[2:3]
	v_add_u32_e32 v10, 4, v10
	s_or_b64 s[12:13], s[2:3], s[12:13]
	s_mov_b32 s18, s19
	s_andn2_b64 exec, exec, s[12:13]
	s_cbranch_execz .LBB28_23
.LBB28_26:                              ;   Parent Loop BB28_24 Depth=1
                                        ; =>  This Inner Loop Header: Depth=2
	v_cmp_ne_u32_e32 vcc, s18, v11
	v_cmp_eq_u32_e64 s[2:3], s18, v11
	s_and_saveexec_b64 s[14:15], s[2:3]
	s_cbranch_execz .LBB28_25
; %bb.27:                               ;   in Loop: Header=BB28_26 Depth=2
	scratch_load_dword v13, v10, off
	s_waitcnt vmcnt(0)
	v_add_f32_e32 v7, v7, v13
	global_store_dword v[8:9], v6, off
	s_branch .LBB28_25
.LBB28_28:
	s_waitcnt lgkmcnt(0)
	s_load_dword s6, s[0:1], 0x3c
	s_waitcnt lgkmcnt(0)
	s_bitcmp1_b32 s6, 0
	s_cselect_b64 s[2:3], -1, 0
	s_bitcmp0_b32 s6, 0
	s_cbranch_scc0 .LBB28_31
; %bb.29:
	s_load_dwordx2 s[6:7], s[0:1], 0x40
	s_andn2_b64 vcc, exec, s[2:3]
	s_waitcnt lgkmcnt(0)
	v_cvt_f32_f64_e32 v10, s[6:7]
	s_cbranch_vccz .LBB28_32
.LBB28_30:
	s_andn2_b64 vcc, exec, s[4:5]
	s_cbranch_vccz .LBB28_33
	s_branch .LBB28_79
.LBB28_31:
	v_mbcnt_lo_u32_b32 v3, -1, 0
	v_mbcnt_hi_u32_b32 v3, -1, v3
	v_and_b32_e32 v6, 0x60, v3
	v_add_u32_e32 v6, 32, v6
	v_xor_b32_e32 v8, 16, v3
	v_cmp_lt_i32_e32 vcc, v8, v6
	v_xor_b32_e32 v9, 8, v3
	s_nop 0
	v_cndmask_b32_e32 v8, v3, v8, vcc
	v_lshlrev_b32_e32 v8, 2, v8
	ds_bpermute_b32 v8, v8, v7
	v_cmp_lt_i32_e32 vcc, v9, v6
	s_waitcnt lgkmcnt(0)
	v_add_f32_e32 v7, v7, v8
	v_cndmask_b32_e32 v8, v3, v9, vcc
	v_lshlrev_b32_e32 v8, 2, v8
	ds_bpermute_b32 v8, v8, v7
	v_xor_b32_e32 v9, 4, v3
	v_cmp_lt_i32_e32 vcc, v9, v6
	s_waitcnt lgkmcnt(0)
	v_add_f32_e32 v7, v7, v8
	v_cndmask_b32_e32 v8, v3, v9, vcc
	v_lshlrev_b32_e32 v8, 2, v8
	ds_bpermute_b32 v8, v8, v7
	v_xor_b32_e32 v9, 2, v3
	v_cmp_lt_i32_e32 vcc, v9, v6
	s_waitcnt lgkmcnt(0)
	v_add_f32_e32 v7, v7, v8
	v_cndmask_b32_e32 v8, v3, v9, vcc
	v_lshlrev_b32_e32 v8, 2, v8
	ds_bpermute_b32 v8, v8, v7
	v_xor_b32_e32 v9, 1, v3
	v_cmp_lt_i32_e32 vcc, v9, v6
	s_waitcnt lgkmcnt(0)
	v_add_f32_e32 v7, v7, v8
	v_cndmask_b32_e32 v3, v3, v9, vcc
	v_lshlrev_b32_e32 v3, 2, v3
	ds_bpermute_b32 v3, v3, v7
	s_waitcnt lgkmcnt(0)
	v_add_f32_e32 v7, v7, v3
	s_load_dwordx2 s[6:7], s[0:1], 0x40
	s_andn2_b64 vcc, exec, s[2:3]
	s_waitcnt lgkmcnt(0)
	v_cvt_f32_f64_e32 v10, s[6:7]
	s_cbranch_vccnz .LBB28_30
.LBB28_32:
	v_cmp_lt_f32_e32 vcc, 0, v7
	s_nop 1
	v_cndmask_b32_e32 v3, 1.0, v7, vcc
	v_div_scale_f32 v6, s[2:3], v3, v3, v10
	v_rcp_f32_e32 v7, v6
	s_nop 0
	v_fma_f32 v8, -v6, v7, 1.0
	v_fmac_f32_e32 v7, v8, v7
	v_div_scale_f32 v8, vcc, v10, v3, v10
	v_mul_f32_e32 v9, v8, v7
	v_fma_f32 v11, -v6, v9, v8
	v_fmac_f32_e32 v9, v11, v7
	v_fma_f32 v6, -v6, v9, v8
	v_div_fmas_f32 v6, v6, v7, v9
	v_div_fixup_f32 v10, v6, v3, v10
	s_andn2_b64 vcc, exec, s[4:5]
	s_cbranch_vccnz .LBB28_79
.LBB28_33:
	s_load_dwordx2 s[4:5], s[0:1], 0x10
	v_mov_b32_e32 v3, 0
	v_or_b32_e32 v11, 4, v3
	v_or_b32_e32 v13, 8, v3
	;; [unrolled: 1-line block ×6, first 2 shown]
	s_cmp_lt_u32 s20, 4
	s_mov_b32 s6, 0
	s_cbranch_scc1 .LBB28_68
; %bb.34:
	v_ashrrev_i32_e32 v3, 31, v2
	s_and_b32 s6, s20, 0x7ffffffc
	s_waitcnt lgkmcnt(0)
	v_lshl_add_u64 v[6:7], v[2:3], 2, s[4:5]
	s_mov_b32 s7, 0
	s_mov_b64 s[8:9], 0
	s_branch .LBB28_36
.LBB28_35:                              ;   in Loop: Header=BB28_36 Depth=1
	s_or_b64 exec, exec, s[2:3]
	s_add_i32 s7, s7, 4
	s_add_u32 s8, s8, 16
	s_addc_u32 s9, s9, 0
	s_cmp_eq_u32 s6, s7
	s_cbranch_scc1 .LBB28_68
.LBB28_36:                              ; =>This Inner Loop Header: Depth=1
	v_lshl_add_u64 v[8:9], v[4:5], 0, s[8:9]
	global_load_dword v18, v[8:9], off
	v_mov_b32_e32 v3, 0
	s_waitcnt vmcnt(0)
	v_cmp_eq_u32_e32 vcc, v18, v12
	v_cmp_ne_u32_e64 s[0:1], v18, v12
	s_and_saveexec_b64 s[12:13], s[0:1]
	s_cbranch_execz .LBB28_42
; %bb.37:                               ;   in Loop: Header=BB28_36 Depth=1
	v_cmp_eq_u32_e64 s[0:1], v18, v15
	v_cmp_ne_u32_e64 s[2:3], v18, v15
	v_mov_b32_e32 v3, v11
	s_and_saveexec_b64 s[14:15], s[2:3]
	s_cbranch_execz .LBB28_41
; %bb.38:                               ;   in Loop: Header=BB28_36 Depth=1
	v_cmp_eq_u32_e64 s[16:17], v18, v16
	v_cmp_ne_u32_e64 s[2:3], v18, v16
	v_mov_b32_e32 v3, v13
	s_and_saveexec_b64 s[18:19], s[2:3]
	s_xor_b64 s[18:19], exec, s[18:19]
; %bb.39:                               ;   in Loop: Header=BB28_36 Depth=1
	v_cmp_eq_u32_e64 s[2:3], v18, v17
	s_andn2_b64 s[16:17], s[16:17], exec
	s_and_b64 s[2:3], s[2:3], exec
	s_or_b64 s[16:17], s[16:17], s[2:3]
	v_mov_b32_e32 v3, v14
; %bb.40:                               ;   in Loop: Header=BB28_36 Depth=1
	s_or_b64 exec, exec, s[18:19]
	s_andn2_b64 s[0:1], s[0:1], exec
	s_and_b64 s[2:3], s[16:17], exec
	s_or_b64 s[0:1], s[0:1], s[2:3]
.LBB28_41:                              ;   in Loop: Header=BB28_36 Depth=1
	s_or_b64 exec, exec, s[14:15]
	s_andn2_b64 s[2:3], vcc, exec
	s_and_b64 s[0:1], s[0:1], exec
	s_or_b64 vcc, s[2:3], s[0:1]
.LBB28_42:                              ;   in Loop: Header=BB28_36 Depth=1
	s_or_b64 exec, exec, s[12:13]
	s_and_saveexec_b64 s[0:1], vcc
	s_cbranch_execz .LBB28_44
; %bb.43:                               ;   in Loop: Header=BB28_36 Depth=1
	scratch_load_dword v3, v3, off
	v_add_u32_e32 v18, s7, v2
	v_ashrrev_i32_e32 v19, 31, v18
	v_lshl_add_u64 v[18:19], v[18:19], 2, s[4:5]
	s_waitcnt vmcnt(0)
	v_mul_f32_e32 v3, v10, v3
	global_store_dword v[18:19], v3, off
.LBB28_44:                              ;   in Loop: Header=BB28_36 Depth=1
	s_or_b64 exec, exec, s[0:1]
	global_load_dword v18, v[8:9], off offset:4
	v_mov_b32_e32 v3, 0
	s_waitcnt vmcnt(0)
	v_cmp_eq_u32_e64 s[0:1], v18, v12
	v_cmp_ne_u32_e32 vcc, v18, v12
	s_and_saveexec_b64 s[2:3], vcc
	s_cbranch_execz .LBB28_50
; %bb.45:                               ;   in Loop: Header=BB28_36 Depth=1
	v_cmp_eq_u32_e64 s[12:13], v18, v15
	v_cmp_ne_u32_e32 vcc, v18, v15
	v_mov_b32_e32 v3, v11
	s_and_saveexec_b64 s[14:15], vcc
	s_cbranch_execz .LBB28_49
; %bb.46:                               ;   in Loop: Header=BB28_36 Depth=1
	v_cmp_eq_u32_e64 s[16:17], v18, v16
	v_cmp_ne_u32_e32 vcc, v18, v16
	v_mov_b32_e32 v3, v13
	s_and_saveexec_b64 s[18:19], vcc
; %bb.47:                               ;   in Loop: Header=BB28_36 Depth=1
	v_cmp_eq_u32_e32 vcc, v18, v17
	s_andn2_b64 s[16:17], s[16:17], exec
	s_and_b64 s[22:23], vcc, exec
	s_or_b64 s[16:17], s[16:17], s[22:23]
	v_mov_b32_e32 v3, v14
; %bb.48:                               ;   in Loop: Header=BB28_36 Depth=1
	s_or_b64 exec, exec, s[18:19]
	s_andn2_b64 s[12:13], s[12:13], exec
	s_and_b64 s[16:17], s[16:17], exec
	s_or_b64 s[12:13], s[12:13], s[16:17]
.LBB28_49:                              ;   in Loop: Header=BB28_36 Depth=1
	s_or_b64 exec, exec, s[14:15]
	s_andn2_b64 s[0:1], s[0:1], exec
	s_and_b64 s[12:13], s[12:13], exec
	s_or_b64 s[0:1], s[0:1], s[12:13]
.LBB28_50:                              ;   in Loop: Header=BB28_36 Depth=1
	s_or_b64 exec, exec, s[2:3]
	s_and_saveexec_b64 s[2:3], s[0:1]
	s_cbranch_execz .LBB28_52
; %bb.51:                               ;   in Loop: Header=BB28_36 Depth=1
	scratch_load_dword v3, v3, off
	v_lshl_add_u64 v[18:19], v[6:7], 0, s[8:9]
	s_waitcnt vmcnt(0)
	v_mul_f32_e32 v3, v10, v3
	global_store_dword v[18:19], v3, off offset:4
.LBB28_52:                              ;   in Loop: Header=BB28_36 Depth=1
	s_or_b64 exec, exec, s[2:3]
	global_load_dword v18, v[8:9], off offset:8
	v_mov_b32_e32 v3, 0
	s_waitcnt vmcnt(0)
	v_cmp_eq_u32_e64 s[0:1], v18, v12
	v_cmp_ne_u32_e32 vcc, v18, v12
	s_and_saveexec_b64 s[2:3], vcc
	s_cbranch_execz .LBB28_58
; %bb.53:                               ;   in Loop: Header=BB28_36 Depth=1
	v_cmp_eq_u32_e64 s[12:13], v18, v15
	v_cmp_ne_u32_e32 vcc, v18, v15
	v_mov_b32_e32 v3, v11
	s_and_saveexec_b64 s[14:15], vcc
	s_cbranch_execz .LBB28_57
; %bb.54:                               ;   in Loop: Header=BB28_36 Depth=1
	v_cmp_eq_u32_e64 s[16:17], v18, v16
	v_cmp_ne_u32_e32 vcc, v18, v16
	v_mov_b32_e32 v3, v13
	s_and_saveexec_b64 s[18:19], vcc
; %bb.55:                               ;   in Loop: Header=BB28_36 Depth=1
	v_cmp_eq_u32_e32 vcc, v18, v17
	s_andn2_b64 s[16:17], s[16:17], exec
	s_and_b64 s[22:23], vcc, exec
	s_or_b64 s[16:17], s[16:17], s[22:23]
	v_mov_b32_e32 v3, v14
; %bb.56:                               ;   in Loop: Header=BB28_36 Depth=1
	s_or_b64 exec, exec, s[18:19]
	s_andn2_b64 s[12:13], s[12:13], exec
	s_and_b64 s[16:17], s[16:17], exec
	s_or_b64 s[12:13], s[12:13], s[16:17]
.LBB28_57:                              ;   in Loop: Header=BB28_36 Depth=1
	s_or_b64 exec, exec, s[14:15]
	s_andn2_b64 s[0:1], s[0:1], exec
	s_and_b64 s[12:13], s[12:13], exec
	s_or_b64 s[0:1], s[0:1], s[12:13]
.LBB28_58:                              ;   in Loop: Header=BB28_36 Depth=1
	s_or_b64 exec, exec, s[2:3]
	s_and_saveexec_b64 s[2:3], s[0:1]
	s_cbranch_execz .LBB28_60
; %bb.59:                               ;   in Loop: Header=BB28_36 Depth=1
	scratch_load_dword v3, v3, off
	v_lshl_add_u64 v[18:19], v[6:7], 0, s[8:9]
	s_waitcnt vmcnt(0)
	v_mul_f32_e32 v3, v10, v3
	global_store_dword v[18:19], v3, off offset:8
.LBB28_60:                              ;   in Loop: Header=BB28_36 Depth=1
	s_or_b64 exec, exec, s[2:3]
	global_load_dword v8, v[8:9], off offset:12
	v_mov_b32_e32 v3, 0
	s_waitcnt vmcnt(0)
	v_cmp_eq_u32_e64 s[0:1], v8, v12
	v_cmp_ne_u32_e32 vcc, v8, v12
	s_and_saveexec_b64 s[2:3], vcc
	s_cbranch_execz .LBB28_66
; %bb.61:                               ;   in Loop: Header=BB28_36 Depth=1
	v_cmp_eq_u32_e64 s[12:13], v8, v15
	v_cmp_ne_u32_e32 vcc, v8, v15
	v_mov_b32_e32 v3, v11
	s_and_saveexec_b64 s[14:15], vcc
	s_cbranch_execz .LBB28_65
; %bb.62:                               ;   in Loop: Header=BB28_36 Depth=1
	v_cmp_eq_u32_e64 s[16:17], v8, v16
	v_cmp_ne_u32_e32 vcc, v8, v16
	v_mov_b32_e32 v3, v13
	s_and_saveexec_b64 s[18:19], vcc
; %bb.63:                               ;   in Loop: Header=BB28_36 Depth=1
	v_cmp_eq_u32_e32 vcc, v8, v17
	s_andn2_b64 s[16:17], s[16:17], exec
	s_and_b64 s[22:23], vcc, exec
	s_or_b64 s[16:17], s[16:17], s[22:23]
	v_mov_b32_e32 v3, v14
; %bb.64:                               ;   in Loop: Header=BB28_36 Depth=1
	s_or_b64 exec, exec, s[18:19]
	s_andn2_b64 s[12:13], s[12:13], exec
	s_and_b64 s[16:17], s[16:17], exec
	s_or_b64 s[12:13], s[12:13], s[16:17]
.LBB28_65:                              ;   in Loop: Header=BB28_36 Depth=1
	s_or_b64 exec, exec, s[14:15]
	s_andn2_b64 s[0:1], s[0:1], exec
	s_and_b64 s[12:13], s[12:13], exec
	s_or_b64 s[0:1], s[0:1], s[12:13]
.LBB28_66:                              ;   in Loop: Header=BB28_36 Depth=1
	s_or_b64 exec, exec, s[2:3]
	s_and_saveexec_b64 s[2:3], s[0:1]
	s_cbranch_execz .LBB28_35
; %bb.67:                               ;   in Loop: Header=BB28_36 Depth=1
	scratch_load_dword v3, v3, off
	v_lshl_add_u64 v[8:9], v[6:7], 0, s[8:9]
	s_waitcnt vmcnt(0)
	v_mul_f32_e32 v3, v10, v3
	global_store_dword v[8:9], v3, off offset:12
	s_branch .LBB28_35
.LBB28_68:
	s_and_b32 s14, s20, 3
	s_cmp_eq_u32 s14, 0
	s_mov_b32 s7, 0
	s_cbranch_scc1 .LBB28_79
; %bb.69:
	s_lshl_b64 s[0:1], s[6:7], 2
	s_add_u32 s0, s10, s0
	s_addc_u32 s1, s11, s1
	v_add_u32_e32 v2, s6, v2
	v_lshl_add_u64 v[0:1], v[0:1], 2, s[0:1]
	s_branch .LBB28_71
.LBB28_70:                              ;   in Loop: Header=BB28_71 Depth=1
	s_or_b64 exec, exec, s[2:3]
	s_add_i32 s14, s14, -1
	v_add_u32_e32 v2, 1, v2
	s_cmp_lg_u32 s14, 0
	v_lshl_add_u64 v[0:1], v[0:1], 0, 4
	s_cbranch_scc0 .LBB28_79
.LBB28_71:                              ; =>This Inner Loop Header: Depth=1
	global_load_dword v4, v[0:1], off
	v_mov_b32_e32 v3, 0
	s_waitcnt vmcnt(0)
	v_cmp_eq_u32_e64 s[0:1], v4, v12
	v_cmp_ne_u32_e32 vcc, v4, v12
	s_and_saveexec_b64 s[2:3], vcc
	s_cbranch_execz .LBB28_77
; %bb.72:                               ;   in Loop: Header=BB28_71 Depth=1
	v_cmp_eq_u32_e64 s[6:7], v4, v15
	v_cmp_ne_u32_e32 vcc, v4, v15
	v_mov_b32_e32 v3, v11
	s_and_saveexec_b64 s[8:9], vcc
	s_cbranch_execz .LBB28_76
; %bb.73:                               ;   in Loop: Header=BB28_71 Depth=1
	v_cmp_eq_u32_e64 s[10:11], v4, v16
	v_cmp_ne_u32_e32 vcc, v4, v16
	v_mov_b32_e32 v3, v13
	s_and_saveexec_b64 s[12:13], vcc
; %bb.74:                               ;   in Loop: Header=BB28_71 Depth=1
	v_cmp_eq_u32_e32 vcc, v4, v17
	s_andn2_b64 s[10:11], s[10:11], exec
	s_and_b64 s[16:17], vcc, exec
	s_or_b64 s[10:11], s[10:11], s[16:17]
	v_mov_b32_e32 v3, v14
; %bb.75:                               ;   in Loop: Header=BB28_71 Depth=1
	s_or_b64 exec, exec, s[12:13]
	s_andn2_b64 s[6:7], s[6:7], exec
	s_and_b64 s[10:11], s[10:11], exec
	s_or_b64 s[6:7], s[6:7], s[10:11]
.LBB28_76:                              ;   in Loop: Header=BB28_71 Depth=1
	s_or_b64 exec, exec, s[8:9]
	s_andn2_b64 s[0:1], s[0:1], exec
	s_and_b64 s[6:7], s[6:7], exec
	s_or_b64 s[0:1], s[0:1], s[6:7]
.LBB28_77:                              ;   in Loop: Header=BB28_71 Depth=1
	s_or_b64 exec, exec, s[2:3]
	s_and_saveexec_b64 s[2:3], s[0:1]
	s_cbranch_execz .LBB28_70
; %bb.78:                               ;   in Loop: Header=BB28_71 Depth=1
	scratch_load_dword v4, v3, off
	v_ashrrev_i32_e32 v3, 31, v2
	s_waitcnt vmcnt(0)
	v_mul_f32_e32 v6, v10, v4
	s_waitcnt lgkmcnt(0)
	v_lshl_add_u64 v[4:5], v[2:3], 2, s[4:5]
	global_store_dword v[4:5], v6, off
	s_branch .LBB28_70
.LBB28_79:
	s_endpgm
	.section	.rodata,"a",@progbits
	.p2align	6, 0x0
	.amdhsa_kernel _ZN4vllm3moe22topkGatingSoftplusSqrtILi4ELi128ELi4ELi16ELi64ELb1EifEEvPKT6_PKbPfiPT5_PiiiibdPKfPKS8_SE_
		.amdhsa_group_segment_fixed_size 0
		.amdhsa_private_segment_fixed_size 32
		.amdhsa_kernarg_size 96
		.amdhsa_user_sgpr_count 2
		.amdhsa_user_sgpr_dispatch_ptr 0
		.amdhsa_user_sgpr_queue_ptr 0
		.amdhsa_user_sgpr_kernarg_segment_ptr 1
		.amdhsa_user_sgpr_dispatch_id 0
		.amdhsa_user_sgpr_kernarg_preload_length 0
		.amdhsa_user_sgpr_kernarg_preload_offset 0
		.amdhsa_user_sgpr_private_segment_size 0
		.amdhsa_uses_dynamic_stack 0
		.amdhsa_enable_private_segment 1
		.amdhsa_system_sgpr_workgroup_id_x 1
		.amdhsa_system_sgpr_workgroup_id_y 0
		.amdhsa_system_sgpr_workgroup_id_z 0
		.amdhsa_system_sgpr_workgroup_info 0
		.amdhsa_system_vgpr_workitem_id 1
		.amdhsa_next_free_vgpr 25
		.amdhsa_next_free_sgpr 24
		.amdhsa_accum_offset 28
		.amdhsa_reserve_vcc 1
		.amdhsa_float_round_mode_32 0
		.amdhsa_float_round_mode_16_64 0
		.amdhsa_float_denorm_mode_32 3
		.amdhsa_float_denorm_mode_16_64 3
		.amdhsa_dx10_clamp 1
		.amdhsa_ieee_mode 1
		.amdhsa_fp16_overflow 0
		.amdhsa_tg_split 0
		.amdhsa_exception_fp_ieee_invalid_op 0
		.amdhsa_exception_fp_denorm_src 0
		.amdhsa_exception_fp_ieee_div_zero 0
		.amdhsa_exception_fp_ieee_overflow 0
		.amdhsa_exception_fp_ieee_underflow 0
		.amdhsa_exception_fp_ieee_inexact 0
		.amdhsa_exception_int_div_zero 0
	.end_amdhsa_kernel
	.section	.text._ZN4vllm3moe22topkGatingSoftplusSqrtILi4ELi128ELi4ELi16ELi64ELb1EifEEvPKT6_PKbPfiPT5_PiiiibdPKfPKS8_SE_,"axG",@progbits,_ZN4vllm3moe22topkGatingSoftplusSqrtILi4ELi128ELi4ELi16ELi64ELb1EifEEvPKT6_PKbPfiPT5_PiiiibdPKfPKS8_SE_,comdat
.Lfunc_end28:
	.size	_ZN4vllm3moe22topkGatingSoftplusSqrtILi4ELi128ELi4ELi16ELi64ELb1EifEEvPKT6_PKbPfiPT5_PiiiibdPKfPKS8_SE_, .Lfunc_end28-_ZN4vllm3moe22topkGatingSoftplusSqrtILi4ELi128ELi4ELi16ELi64ELb1EifEEvPKT6_PKbPfiPT5_PiiiibdPKfPKS8_SE_
                                        ; -- End function
	.section	.AMDGPU.csdata,"",@progbits
; Kernel info:
; codeLenInByte = 3488
; NumSgprs: 30
; NumVgprs: 25
; NumAgprs: 0
; TotalNumVgprs: 25
; ScratchSize: 32
; MemoryBound: 0
; FloatMode: 240
; IeeeMode: 1
; LDSByteSize: 0 bytes/workgroup (compile time only)
; SGPRBlocks: 3
; VGPRBlocks: 3
; NumSGPRsForWavesPerEU: 30
; NumVGPRsForWavesPerEU: 25
; AccumOffset: 28
; Occupancy: 8
; WaveLimiterHint : 1
; COMPUTE_PGM_RSRC2:SCRATCH_EN: 1
; COMPUTE_PGM_RSRC2:USER_SGPR: 2
; COMPUTE_PGM_RSRC2:TRAP_HANDLER: 0
; COMPUTE_PGM_RSRC2:TGID_X_EN: 1
; COMPUTE_PGM_RSRC2:TGID_Y_EN: 0
; COMPUTE_PGM_RSRC2:TGID_Z_EN: 0
; COMPUTE_PGM_RSRC2:TIDIG_COMP_CNT: 1
; COMPUTE_PGM_RSRC3_GFX90A:ACCUM_OFFSET: 6
; COMPUTE_PGM_RSRC3_GFX90A:TG_SPLIT: 0
	.section	.text._ZN4vllm3moe22topkGatingSoftplusSqrtILi4ELi128ELi4ELi16ELi64ELb0EifEEvPKT6_PKbPfiPT5_PiiiibdPKfPKS8_SE_,"axG",@progbits,_ZN4vllm3moe22topkGatingSoftplusSqrtILi4ELi128ELi4ELi16ELi64ELb0EifEEvPKT6_PKbPfiPT5_PiiiibdPKfPKS8_SE_,comdat
	.protected	_ZN4vllm3moe22topkGatingSoftplusSqrtILi4ELi128ELi4ELi16ELi64ELb0EifEEvPKT6_PKbPfiPT5_PiiiibdPKfPKS8_SE_ ; -- Begin function _ZN4vllm3moe22topkGatingSoftplusSqrtILi4ELi128ELi4ELi16ELi64ELb0EifEEvPKT6_PKbPfiPT5_PiiiibdPKfPKS8_SE_
	.globl	_ZN4vllm3moe22topkGatingSoftplusSqrtILi4ELi128ELi4ELi16ELi64ELb0EifEEvPKT6_PKbPfiPT5_PiiiibdPKfPKS8_SE_
	.p2align	8
	.type	_ZN4vllm3moe22topkGatingSoftplusSqrtILi4ELi128ELi4ELi16ELi64ELb0EifEEvPKT6_PKbPfiPT5_PiiiibdPKfPKS8_SE_,@function
_ZN4vllm3moe22topkGatingSoftplusSqrtILi4ELi128ELi4ELi16ELi64ELb0EifEEvPKT6_PKbPfiPT5_PiiiibdPKfPKS8_SE_: ; @_ZN4vllm3moe22topkGatingSoftplusSqrtILi4ELi128ELi4ELi16ELi64ELb0EifEEvPKT6_PKbPfiPT5_PiiiibdPKfPKS8_SE_
; %bb.0:
	s_load_dword s30, s[2:3], 0x18
	v_and_b32_e32 v1, 0x3ff, v0
	v_bfe_u32 v4, v0, 10, 10
	s_lshl_b32 s4, s4, 3
	v_lshlrev_b32_e32 v2, 1, v4
	v_lshrrev_b32_e32 v3, 5, v1
	v_add3_u32 v2, s4, v2, v3
	s_waitcnt lgkmcnt(0)
	v_cmp_gt_i32_e32 vcc, s30, v2
	s_and_saveexec_b64 s[4:5], vcc
	s_cbranch_execz .LBB29_55
; %bb.1:
	s_load_dwordx4 s[4:7], s[2:3], 0x0
	s_load_dwordx2 s[20:21], s[2:3], 0x10
	s_waitcnt lgkmcnt(0)
	s_cmp_eq_u64 s[6:7], 0
	s_cbranch_scc1 .LBB29_3
; %bb.2:
	v_ashrrev_i32_e32 v3, 31, v2
	v_lshl_add_u64 v[6:7], s[6:7], 0, v[2:3]
	global_load_ubyte v3, v[6:7], off
	s_waitcnt vmcnt(0)
	v_and_b32_e32 v3, 1, v3
	v_cmp_eq_u32_e32 vcc, 1, v3
	s_xor_b64 s[6:7], vcc, -1
	s_orn2_b64 s[22:23], s[6:7], exec
	s_branch .LBB29_4
.LBB29_3:
	s_mov_b64 s[22:23], -1
.LBB29_4:
	v_lshlrev_b32_e32 v8, 7, v2
	v_mov_b32_e32 v6, s4
	v_mov_b32_e32 v7, s5
	v_ashrrev_i32_e32 v9, 31, v8
	v_and_b32_e32 v3, 31, v1
	v_lshl_add_u64 v[6:7], v[8:9], 2, v[6:7]
	v_mov_b32_e32 v9, 0
	v_lshlrev_b32_e32 v8, 4, v3
	v_lshl_add_u64 v[6:7], v[6:7], 0, v[8:9]
	global_load_dwordx4 v[6:9], v[6:7], off
	s_load_dwordx2 s[4:5], s[0:1], 0x4
	s_load_dwordx4 s[8:11], s[2:3], 0x40
	v_bfe_u32 v0, v0, 20, 10
	s_mov_b32 s16, 0x800000
	s_mov_b32 s13, 0x3f317217
	s_waitcnt lgkmcnt(0)
	s_lshr_b32 s0, s4, 16
	s_mul_i32 s0, s0, s5
	v_mul_lo_u32 v1, s0, v1
	v_mad_u32_u24 v1, v4, s5, v1
	v_add_lshl_u32 v4, v1, v0, 4
	s_mov_b32 s14, 0x7f800000
	s_mov_b32 s12, 0x41a00000
	;; [unrolled: 1-line block ×3, first 2 shown]
	s_cmp_lg_u64 s[10:11], 0
	v_mov_b32_e32 v1, 0x260
	s_cselect_b64 s[6:7], -1, 0
	s_and_b64 s[0:1], exec, s[6:7]
	s_waitcnt vmcnt(0)
	ds_write_b128 v4, v[6:9]
	ds_read_b32 v8, v4
	v_mov_b32_e32 v6, 0x4f800000
	v_mov_b32_e32 v7, 0x41b17218
	s_waitcnt lgkmcnt(0)
	v_mul_f32_e32 v0, 0x3fb8aa3b, v8
	v_exp_f32_e32 v0, v0
	s_nop 0
	v_add_f32_e32 v0, 1.0, v0
	v_cmp_gt_f32_e32 vcc, s16, v0
	s_nop 1
	v_cndmask_b32_e32 v5, 1.0, v6, vcc
	v_mul_f32_e32 v0, v0, v5
	v_log_f32_e32 v9, v0
	v_cndmask_b32_e32 v10, 0, v7, vcc
	v_lshlrev_b32_e32 v5, 2, v3
	v_lshlrev_b32_e32 v0, 2, v5
	v_mul_f32_e32 v11, 0x3f317217, v9
	v_fma_f32 v11, v9, s13, -v11
	v_fmac_f32_e32 v11, 0x3377d1cf, v9
	v_fmac_f32_e32 v11, 0x3f317217, v9
	v_cmp_lt_f32_e64 vcc, |v9|, s14
	s_nop 1
	v_cndmask_b32_e32 v9, v9, v11, vcc
	v_sub_f32_e32 v9, v9, v10
	v_cmp_lt_f32_e32 vcc, s12, v8
	s_nop 1
	v_cndmask_b32_e32 v8, v9, v8, vcc
	v_mul_f32_e32 v9, 0x4f800000, v8
	v_cmp_gt_f32_e32 vcc, s15, v8
	s_nop 1
	v_cndmask_b32_e32 v8, v8, v9, vcc
	v_sqrt_f32_e32 v9, v8
	s_nop 0
	v_add_u32_e32 v10, -1, v9
	v_add_u32_e32 v11, 1, v9
	v_fma_f32 v12, -v10, v9, v8
	v_fma_f32 v13, -v11, v9, v8
	v_cmp_ge_f32_e64 s[4:5], 0, v12
	s_nop 1
	v_cndmask_b32_e64 v9, v9, v10, s[4:5]
	v_cmp_lt_f32_e64 s[4:5], 0, v13
	s_nop 1
	v_cndmask_b32_e64 v9, v9, v11, s[4:5]
	v_mul_f32_e32 v10, 0x37800000, v9
	v_cndmask_b32_e32 v9, v9, v10, vcc
	v_cmp_class_f32_e32 vcc, v8, v1
	s_nop 1
	v_cndmask_b32_e32 v8, v9, v8, vcc
	s_mov_b64 vcc, s[0:1]
	s_cbranch_vccz .LBB29_6
; %bb.5:
	global_load_dword v9, v0, s[10:11]
	s_waitcnt vmcnt(0)
	v_add_f32_e32 v8, v8, v9
.LBB29_6:
	ds_read_b32 v9, v4 offset:4
	ds_write_b32 v4, v8
	s_waitcnt lgkmcnt(1)
	v_mul_f32_e32 v10, 0x3fb8aa3b, v9
	v_exp_f32_e32 v10, v10
	s_nop 0
	v_add_f32_e32 v10, 1.0, v10
	v_cmp_gt_f32_e32 vcc, s16, v10
	s_nop 1
	v_cndmask_b32_e32 v6, 1.0, v6, vcc
	v_mul_f32_e32 v6, v10, v6
	v_log_f32_e32 v6, v6
	v_cndmask_b32_e32 v7, 0, v7, vcc
	v_mul_f32_e32 v8, 0x3f317217, v6
	v_fma_f32 v8, v6, s13, -v8
	v_fmac_f32_e32 v8, 0x3377d1cf, v6
	v_fmac_f32_e32 v8, 0x3f317217, v6
	v_cmp_lt_f32_e64 vcc, |v6|, s14
	s_nop 1
	v_cndmask_b32_e32 v6, v6, v8, vcc
	v_sub_f32_e32 v6, v6, v7
	v_cmp_lt_f32_e32 vcc, s12, v9
	v_cndmask_b32_e64 v8, 0, 1, s[6:7]
	v_cmp_ne_u32_e64 s[0:1], 1, v8
	v_cndmask_b32_e32 v6, v6, v9, vcc
	v_mul_f32_e32 v7, 0x4f800000, v6
	v_cmp_gt_f32_e64 s[4:5], s15, v6
	s_andn2_b64 vcc, exec, s[6:7]
	s_nop 0
	v_cndmask_b32_e64 v6, v6, v7, s[4:5]
	v_sqrt_f32_e32 v7, v6
	s_nop 0
	v_add_u32_e32 v8, -1, v7
	v_add_u32_e32 v9, 1, v7
	v_fma_f32 v10, -v8, v7, v6
	v_fma_f32 v11, -v9, v7, v6
	v_cmp_ge_f32_e64 s[6:7], 0, v10
	s_nop 1
	v_cndmask_b32_e64 v7, v7, v8, s[6:7]
	v_cmp_lt_f32_e64 s[6:7], 0, v11
	s_nop 1
	v_cndmask_b32_e64 v7, v7, v9, s[6:7]
	v_mul_f32_e32 v8, 0x37800000, v7
	v_cndmask_b32_e64 v7, v7, v8, s[4:5]
	v_cmp_class_f32_e64 s[4:5], v6, v1
	s_nop 1
	v_cndmask_b32_e64 v1, v7, v6, s[4:5]
	s_cbranch_vccnz .LBB29_8
; %bb.7:
	global_load_dword v6, v0, s[10:11] offset:4
	s_waitcnt vmcnt(0)
	v_add_f32_e32 v1, v1, v6
.LBB29_8:
	ds_read_b32 v8, v4 offset:8
	s_mov_b32 s12, 0x800000
	s_mov_b32 s7, 0x3f317217
	;; [unrolled: 1-line block ×4, first 2 shown]
	s_waitcnt lgkmcnt(0)
	v_mul_f32_e32 v6, 0x3fb8aa3b, v8
	v_exp_f32_e32 v7, v6
	v_mov_b32_e32 v6, 0x4f800000
	s_mov_b32 s14, 0xf800000
	ds_write_b32 v4, v1 offset:4
	v_add_f32_e32 v7, 1.0, v7
	v_cmp_gt_f32_e32 vcc, s12, v7
	s_nop 1
	v_cndmask_b32_e32 v9, 1.0, v6, vcc
	v_mul_f32_e32 v7, v7, v9
	v_log_f32_e32 v9, v7
	v_mov_b32_e32 v7, 0x41b17218
	v_cndmask_b32_e32 v10, 0, v7, vcc
	v_mul_f32_e32 v11, 0x3f317217, v9
	v_fma_f32 v11, v9, s7, -v11
	v_fmac_f32_e32 v11, 0x3377d1cf, v9
	v_fmac_f32_e32 v11, 0x3f317217, v9
	v_cmp_lt_f32_e64 vcc, |v9|, s13
	s_nop 1
	v_cndmask_b32_e32 v9, v9, v11, vcc
	v_sub_f32_e32 v9, v9, v10
	v_cmp_lt_f32_e32 vcc, s6, v8
	s_nop 1
	v_cndmask_b32_e32 v8, v9, v8, vcc
	v_mul_f32_e32 v9, 0x4f800000, v8
	v_cmp_gt_f32_e32 vcc, s14, v8
	s_nop 1
	v_cndmask_b32_e32 v8, v8, v9, vcc
	v_sqrt_f32_e32 v9, v8
	s_nop 0
	v_add_u32_e32 v1, -1, v9
	v_fma_f32 v10, -v1, v9, v8
	v_cmp_ge_f32_e64 s[4:5], 0, v10
	v_add_u32_e32 v10, 1, v9
	s_nop 0
	v_cndmask_b32_e64 v1, v9, v1, s[4:5]
	v_fma_f32 v9, -v10, v9, v8
	v_cmp_lt_f32_e64 s[4:5], 0, v9
	s_nop 1
	v_cndmask_b32_e64 v1, v1, v10, s[4:5]
	v_mul_f32_e32 v9, 0x37800000, v1
	v_cndmask_b32_e32 v9, v1, v9, vcc
	v_mov_b32_e32 v1, 0x260
	v_cmp_class_f32_e64 s[4:5], v8, v1
	s_and_b64 vcc, exec, s[0:1]
	s_nop 0
	v_cndmask_b32_e64 v8, v9, v8, s[4:5]
	s_cbranch_vccnz .LBB29_10
; %bb.9:
	global_load_dword v9, v0, s[10:11] offset:8
	s_waitcnt vmcnt(0)
	v_add_f32_e32 v8, v8, v9
.LBB29_10:
	ds_read_b32 v9, v4 offset:12
	ds_write_b32 v4, v8 offset:8
	s_waitcnt lgkmcnt(1)
	v_mul_f32_e32 v10, 0x3fb8aa3b, v9
	v_exp_f32_e32 v10, v10
	s_nop 0
	v_add_f32_e32 v10, 1.0, v10
	v_cmp_gt_f32_e32 vcc, s12, v10
	s_nop 1
	v_cndmask_b32_e32 v6, 1.0, v6, vcc
	v_mul_f32_e32 v6, v10, v6
	v_log_f32_e32 v6, v6
	v_cndmask_b32_e32 v7, 0, v7, vcc
	v_mul_f32_e32 v10, 0x3f317217, v6
	v_fma_f32 v10, v6, s7, -v10
	v_fmac_f32_e32 v10, 0x3377d1cf, v6
	v_fmac_f32_e32 v10, 0x3f317217, v6
	v_cmp_lt_f32_e64 vcc, |v6|, s13
	s_nop 1
	v_cndmask_b32_e32 v6, v6, v10, vcc
	v_sub_f32_e32 v6, v6, v7
	v_cmp_lt_f32_e32 vcc, s6, v9
	s_nop 1
	v_cndmask_b32_e32 v6, v6, v9, vcc
	v_mul_f32_e32 v7, 0x4f800000, v6
	v_cmp_gt_f32_e64 s[4:5], s14, v6
	s_and_b64 vcc, exec, s[0:1]
	s_nop 0
	v_cndmask_b32_e64 v6, v6, v7, s[4:5]
	v_sqrt_f32_e32 v7, v6
	s_nop 0
	v_add_u32_e32 v8, -1, v7
	v_add_u32_e32 v9, 1, v7
	v_fma_f32 v10, -v8, v7, v6
	v_fma_f32 v11, -v9, v7, v6
	v_cmp_ge_f32_e64 s[6:7], 0, v10
	s_nop 1
	v_cndmask_b32_e64 v7, v7, v8, s[6:7]
	v_cmp_lt_f32_e64 s[6:7], 0, v11
	s_nop 1
	v_cndmask_b32_e64 v7, v7, v9, s[6:7]
	v_mul_f32_e32 v8, 0x37800000, v7
	v_cndmask_b32_e64 v7, v7, v8, s[4:5]
	v_cmp_class_f32_e64 s[4:5], v6, v1
	s_nop 1
	v_cndmask_b32_e64 v1, v7, v6, s[4:5]
	s_cbranch_vccnz .LBB29_12
; %bb.11:
	global_load_dword v0, v0, s[10:11] offset:12
	s_waitcnt vmcnt(0)
	v_add_f32_e32 v1, v1, v0
.LBB29_12:
	s_load_dwordx4 s[12:15], s[2:3], 0x30
	s_mov_b32 s31, 0
	v_cmp_eq_u32_e64 s[6:7], 0, v3
	ds_write_b32 v4, v1 offset:12
	s_waitcnt lgkmcnt(0)
	s_bitcmp1_b32 s15, 0
	s_cselect_b64 s[4:5], -1, 0
	s_cmp_gt_i32 s12, 0
	s_cselect_b64 s[24:25], -1, 0
	s_and_b64 vcc, exec, s[24:25]
	s_cbranch_vccz .LBB29_41
; %bb.13:
	v_mbcnt_lo_u32_b32 v0, -1, 0
	v_mbcnt_hi_u32_b32 v0, -1, v0
	v_and_b32_e32 v1, 0x60, v0
	v_add_u32_e32 v1, 32, v1
	v_xor_b32_e32 v6, 16, v0
	v_cmp_lt_i32_e32 vcc, v6, v1
	s_load_dwordx4 s[16:19], s[2:3], 0x20
	v_mul_lo_u32 v7, v2, s12
	v_cndmask_b32_e32 v6, v0, v6, vcc
	v_lshlrev_b32_e32 v8, 2, v6
	v_xor_b32_e32 v6, 8, v0
	v_cmp_lt_i32_e32 vcc, v6, v1
	v_mov_b32_e32 v13, 0xc61c4000
	v_mov_b32_e32 v14, 0x80
	v_cndmask_b32_e32 v6, v0, v6, vcc
	v_lshlrev_b32_e32 v9, 2, v6
	v_xor_b32_e32 v6, 4, v0
	v_cmp_lt_i32_e32 vcc, v6, v1
	v_mov_b32_e32 v15, v2
	s_nop 0
	v_cndmask_b32_e32 v6, v0, v6, vcc
	v_lshlrev_b32_e32 v10, 2, v6
	v_xor_b32_e32 v6, 2, v0
	v_cmp_lt_i32_e32 vcc, v6, v1
	s_nop 1
	v_cndmask_b32_e32 v6, v0, v6, vcc
	v_lshlrev_b32_e32 v11, 2, v6
	v_xor_b32_e32 v6, 1, v0
	v_cmp_lt_i32_e32 vcc, v6, v1
	s_nop 1
	v_cndmask_b32_e32 v0, v0, v6, vcc
	v_lshlrev_b32_e32 v12, 2, v0
	v_mov_b32_e32 v6, 0
	s_branch .LBB29_15
.LBB29_14:                              ;   in Loop: Header=BB29_15 Depth=1
	s_or_b64 exec, exec, s[2:3]
	s_cmp_eq_u32 s12, s31
	v_add_u32_e32 v15, s30, v15
	s_cbranch_scc1 .LBB29_42
.LBB29_15:                              ; =>This Inner Loop Header: Depth=1
	ds_read_b128 v[16:19], v4
	s_waitcnt lgkmcnt(0)
	v_cmp_gt_f32_e32 vcc, v17, v16
	s_nop 1
	v_cndmask_b32_e32 v1, v16, v17, vcc
	v_cndmask_b32_e64 v0, 0, 1, vcc
	v_cmp_gt_f32_e32 vcc, v18, v1
	s_nop 1
	v_cndmask_b32_e32 v1, v1, v18, vcc
	v_cndmask_b32_e64 v0, v0, 2, vcc
	v_cmp_gt_f32_e32 vcc, v19, v1
	s_nop 1
	v_cndmask_b32_e64 v0, v0, 3, vcc
	v_cndmask_b32_e32 v16, v1, v19, vcc
	ds_bpermute_b32 v1, v8, v16
	v_or_b32_e32 v0, v5, v0
	ds_bpermute_b32 v17, v8, v0
	s_waitcnt lgkmcnt(1)
	v_cmp_lt_f32_e64 s[26:27], v16, v1
	v_cmp_nlt_f32_e32 vcc, v16, v1
	s_and_saveexec_b64 s[28:29], vcc
	s_cbranch_execz .LBB29_17
; %bb.16:                               ;   in Loop: Header=BB29_15 Depth=1
	v_cmp_eq_f32_e32 vcc, v16, v1
	s_waitcnt lgkmcnt(0)
	v_cmp_lt_i32_e64 s[2:3], v17, v0
	s_and_b64 s[2:3], vcc, s[2:3]
	s_andn2_b64 s[26:27], s[26:27], exec
	s_and_b64 s[2:3], s[2:3], exec
	s_or_b64 s[26:27], s[26:27], s[2:3]
.LBB29_17:                              ;   in Loop: Header=BB29_15 Depth=1
	s_or_b64 exec, exec, s[28:29]
	s_and_saveexec_b64 s[2:3], s[26:27]
	s_cbranch_execz .LBB29_19
; %bb.18:                               ;   in Loop: Header=BB29_15 Depth=1
	v_mov_b32_e32 v16, v1
	s_waitcnt lgkmcnt(0)
	v_mov_b32_e32 v0, v17
.LBB29_19:                              ;   in Loop: Header=BB29_15 Depth=1
	s_or_b64 exec, exec, s[2:3]
	ds_bpermute_b32 v1, v9, v16
	s_waitcnt lgkmcnt(1)
	ds_bpermute_b32 v17, v9, v0
	s_waitcnt lgkmcnt(1)
	v_cmp_lt_f32_e64 s[26:27], v16, v1
	v_cmp_nlt_f32_e32 vcc, v16, v1
	s_and_saveexec_b64 s[28:29], vcc
	s_cbranch_execz .LBB29_21
; %bb.20:                               ;   in Loop: Header=BB29_15 Depth=1
	v_cmp_eq_f32_e32 vcc, v16, v1
	s_waitcnt lgkmcnt(0)
	v_cmp_lt_i32_e64 s[2:3], v17, v0
	s_and_b64 s[2:3], vcc, s[2:3]
	s_andn2_b64 s[26:27], s[26:27], exec
	s_and_b64 s[2:3], s[2:3], exec
	s_or_b64 s[26:27], s[26:27], s[2:3]
.LBB29_21:                              ;   in Loop: Header=BB29_15 Depth=1
	s_or_b64 exec, exec, s[28:29]
	s_and_saveexec_b64 s[2:3], s[26:27]
	s_cbranch_execz .LBB29_23
; %bb.22:                               ;   in Loop: Header=BB29_15 Depth=1
	v_mov_b32_e32 v16, v1
	s_waitcnt lgkmcnt(0)
	v_mov_b32_e32 v0, v17
.LBB29_23:                              ;   in Loop: Header=BB29_15 Depth=1
	s_or_b64 exec, exec, s[2:3]
	ds_bpermute_b32 v1, v10, v16
	s_waitcnt lgkmcnt(1)
	;; [unrolled: 26-line block ×4, first 2 shown]
	ds_bpermute_b32 v17, v12, v0
	s_waitcnt lgkmcnt(1)
	v_cmp_lt_f32_e64 s[26:27], v16, v1
	v_cmp_nlt_f32_e32 vcc, v16, v1
	s_and_saveexec_b64 s[28:29], vcc
	s_cbranch_execnz .LBB29_34
; %bb.32:                               ;   in Loop: Header=BB29_15 Depth=1
	s_or_b64 exec, exec, s[28:29]
	s_and_saveexec_b64 s[2:3], s[26:27]
	s_cbranch_execnz .LBB29_35
.LBB29_33:                              ;   in Loop: Header=BB29_15 Depth=1
	s_or_b64 exec, exec, s[2:3]
	s_and_saveexec_b64 s[26:27], s[6:7]
	s_cbranch_execnz .LBB29_36
	s_branch .LBB29_39
.LBB29_34:                              ;   in Loop: Header=BB29_15 Depth=1
	v_cmp_eq_f32_e32 vcc, v16, v1
	s_waitcnt lgkmcnt(0)
	v_cmp_lt_i32_e64 s[2:3], v17, v0
	s_and_b64 s[2:3], vcc, s[2:3]
	s_andn2_b64 s[26:27], s[26:27], exec
	s_and_b64 s[2:3], s[2:3], exec
	s_or_b64 s[26:27], s[26:27], s[2:3]
	s_or_b64 exec, exec, s[28:29]
	s_and_saveexec_b64 s[2:3], s[26:27]
	s_cbranch_execz .LBB29_33
.LBB29_35:                              ;   in Loop: Header=BB29_15 Depth=1
	s_waitcnt lgkmcnt(0)
	v_mov_b32_e32 v0, v17
	v_mov_b32_e32 v16, v1
	s_or_b64 exec, exec, s[2:3]
	s_and_saveexec_b64 s[26:27], s[6:7]
	s_cbranch_execz .LBB29_39
.LBB29_36:                              ;   in Loop: Header=BB29_15 Depth=1
	s_and_b64 vcc, exec, s[0:1]
	s_cbranch_vccnz .LBB29_38
; %bb.37:                               ;   in Loop: Header=BB29_15 Depth=1
	v_ashrrev_i32_e32 v1, 31, v0
	v_lshl_add_u64 v[18:19], v[0:1], 2, s[10:11]
	global_load_dword v1, v[18:19], off
	s_waitcnt vmcnt(0)
	v_sub_f32_e32 v16, v16, v1
.LBB29_38:                              ;   in Loop: Header=BB29_15 Depth=1
	v_add_u32_e32 v18, s31, v7
	v_cmp_le_i32_e32 vcc, s13, v0
	v_cmp_gt_i32_e64 s[2:3], s14, v0
	v_ashrrev_i32_e32 v19, 31, v18
	s_and_b64 s[2:3], vcc, s[2:3]
	v_lshlrev_b64 v[18:19], 2, v[18:19]
	v_lshl_add_u64 v[20:21], s[20:21], 0, v[18:19]
	v_subrev_u32_e32 v1, s13, v0
	s_and_b64 vcc, s[22:23], s[2:3]
	global_store_dword v[20:21], v16, off
	v_cndmask_b32_e32 v1, v14, v1, vcc
	v_lshl_add_u64 v[20:21], s[16:17], 0, v[18:19]
	global_store_dword v[20:21], v1, off
	v_add_f32_e32 v1, v6, v16
	v_lshl_add_u64 v[18:19], s[18:19], 0, v[18:19]
	v_cndmask_b32_e64 v6, v6, v1, s[4:5]
	global_store_dword v[18:19], v15, off
.LBB29_39:                              ;   in Loop: Header=BB29_15 Depth=1
	s_or_b64 exec, exec, s[26:27]
	v_ashrrev_i32_e32 v16, 31, v0
	v_lshrrev_b32_e32 v1, 30, v16
	s_waitcnt lgkmcnt(0)
	v_add_u32_e32 v17, v0, v1
	v_ashrrev_i32_e32 v1, 2, v17
	v_ashrrev_i32_e32 v17, 31, v17
	v_lshrrev_b32_e32 v17, 27, v17
	v_add_u32_e32 v17, v1, v17
	s_add_i32 s31, s31, 1
	v_and_b32_e32 v17, 0xffffffe0, v17
	s_cmp_lt_i32 s31, s12
	v_sub_u32_e32 v17, v1, v17
	s_cselect_b64 s[2:3], -1, 0
	v_cmp_eq_u32_e32 vcc, v3, v17
	s_and_b64 s[26:27], s[2:3], vcc
	s_and_saveexec_b64 s[2:3], s[26:27]
	s_cbranch_execz .LBB29_14
; %bb.40:                               ;   in Loop: Header=BB29_15 Depth=1
	v_lshrrev_b32_e32 v16, 25, v16
	v_add_u32_e32 v16, v0, v16
	v_lshlrev_b32_e32 v1, 2, v1
	v_ashrrev_i32_e32 v16, 7, v16
	v_sub_u32_e32 v0, v0, v1
	v_lshl_add_u32 v0, v16, 2, v0
	v_lshl_add_u32 v0, v0, 2, v4
	ds_write_b32 v0, v13
	s_branch .LBB29_14
.LBB29_41:
	v_mov_b32_e32 v6, 0
.LBB29_42:
	v_cmp_eq_u32_e32 vcc, 0, v3
	s_and_b64 exec, exec, vcc
	s_cbranch_execz .LBB29_55
; %bb.43:
	s_andn2_b64 vcc, exec, s[4:5]
	v_cvt_f32_f64_e32 v0, s[8:9]
	s_cbranch_vccnz .LBB29_45
; %bb.44:
	v_cmp_lt_f32_e32 vcc, 0, v6
	s_nop 1
	v_cndmask_b32_e32 v1, 1.0, v6, vcc
	v_div_scale_f32 v3, s[0:1], v1, v1, v0
	v_rcp_f32_e32 v4, v3
	s_nop 0
	v_fma_f32 v5, -v3, v4, 1.0
	v_fmac_f32_e32 v4, v5, v4
	v_div_scale_f32 v5, vcc, v0, v1, v0
	v_mul_f32_e32 v6, v5, v4
	v_fma_f32 v7, -v3, v6, v5
	v_fmac_f32_e32 v6, v7, v4
	v_fma_f32 v3, -v3, v6, v5
	v_div_fmas_f32 v3, v3, v4, v6
	v_div_fixup_f32 v0, v3, v1, v0
.LBB29_45:
	s_andn2_b64 vcc, exec, s[24:25]
	s_cbranch_vccnz .LBB29_55
; %bb.46:
	v_mul_lo_u32 v2, v2, s12
	s_cmp_gt_u32 s12, 3
	v_ashrrev_i32_e32 v3, 31, v2
	s_cbranch_scc0 .LBB29_50
; %bb.47:
	s_and_b32 s0, s12, 0x7ffffffc
	v_lshl_add_u64 v[4:5], v[2:3], 2, s[20:21]
	v_mov_b32_e32 v1, v0
	v_lshl_add_u64 v[4:5], v[4:5], 0, 8
	s_mov_b32 s1, s0
.LBB29_48:                              ; =>This Inner Loop Header: Depth=1
	global_load_dwordx4 v[6:9], v[4:5], off offset:-8
	s_add_i32 s1, s1, -4
	s_cmp_lg_u32 s1, 0
	s_waitcnt vmcnt(0)
	v_pk_mul_f32 v[6:7], v[0:1], v[6:7]
	v_pk_mul_f32 v[8:9], v[0:1], v[8:9]
	global_store_dwordx4 v[4:5], v[6:9], off offset:-8
	v_lshl_add_u64 v[4:5], v[4:5], 0, 16
	s_cbranch_scc1 .LBB29_48
; %bb.49:
	s_cmp_lg_u32 s0, s12
	s_cselect_b64 s[2:3], -1, 0
	s_branch .LBB29_52
.LBB29_50:
	s_mov_b64 s[2:3], 0
                                        ; implicit-def: $sgpr0
	s_cbranch_execz .LBB29_52
; %bb.51:
	s_mov_b64 s[2:3], -1
	s_mov_b32 s0, 0
.LBB29_52:
	s_andn2_b64 vcc, exec, s[2:3]
	s_cbranch_vccnz .LBB29_55
; %bb.53:
	s_mov_b32 s1, 0
	v_lshl_add_u64 v[2:3], v[2:3], 0, s[0:1]
	s_sub_i32 s2, s12, s0
	v_lshl_add_u64 v[2:3], v[2:3], 2, s[20:21]
.LBB29_54:                              ; =>This Inner Loop Header: Depth=1
	global_load_dword v1, v[2:3], off
	s_add_i32 s2, s2, -1
	s_cmp_lg_u32 s2, 0
	s_waitcnt vmcnt(0)
	v_mul_f32_e32 v1, v0, v1
	global_store_dword v[2:3], v1, off
	v_lshl_add_u64 v[2:3], v[2:3], 0, 4
	s_cbranch_scc1 .LBB29_54
.LBB29_55:
	s_endpgm
	.section	.rodata,"a",@progbits
	.p2align	6, 0x0
	.amdhsa_kernel _ZN4vllm3moe22topkGatingSoftplusSqrtILi4ELi128ELi4ELi16ELi64ELb0EifEEvPKT6_PKbPfiPT5_PiiiibdPKfPKS8_SE_
		.amdhsa_group_segment_fixed_size 4096
		.amdhsa_private_segment_fixed_size 0
		.amdhsa_kernarg_size 96
		.amdhsa_user_sgpr_count 4
		.amdhsa_user_sgpr_dispatch_ptr 1
		.amdhsa_user_sgpr_queue_ptr 0
		.amdhsa_user_sgpr_kernarg_segment_ptr 1
		.amdhsa_user_sgpr_dispatch_id 0
		.amdhsa_user_sgpr_kernarg_preload_length 0
		.amdhsa_user_sgpr_kernarg_preload_offset 0
		.amdhsa_user_sgpr_private_segment_size 0
		.amdhsa_uses_dynamic_stack 0
		.amdhsa_enable_private_segment 0
		.amdhsa_system_sgpr_workgroup_id_x 1
		.amdhsa_system_sgpr_workgroup_id_y 0
		.amdhsa_system_sgpr_workgroup_id_z 0
		.amdhsa_system_sgpr_workgroup_info 0
		.amdhsa_system_vgpr_workitem_id 2
		.amdhsa_next_free_vgpr 22
		.amdhsa_next_free_sgpr 32
		.amdhsa_accum_offset 24
		.amdhsa_reserve_vcc 1
		.amdhsa_float_round_mode_32 0
		.amdhsa_float_round_mode_16_64 0
		.amdhsa_float_denorm_mode_32 3
		.amdhsa_float_denorm_mode_16_64 3
		.amdhsa_dx10_clamp 1
		.amdhsa_ieee_mode 1
		.amdhsa_fp16_overflow 0
		.amdhsa_tg_split 0
		.amdhsa_exception_fp_ieee_invalid_op 0
		.amdhsa_exception_fp_denorm_src 0
		.amdhsa_exception_fp_ieee_div_zero 0
		.amdhsa_exception_fp_ieee_overflow 0
		.amdhsa_exception_fp_ieee_underflow 0
		.amdhsa_exception_fp_ieee_inexact 0
		.amdhsa_exception_int_div_zero 0
	.end_amdhsa_kernel
	.section	.text._ZN4vllm3moe22topkGatingSoftplusSqrtILi4ELi128ELi4ELi16ELi64ELb0EifEEvPKT6_PKbPfiPT5_PiiiibdPKfPKS8_SE_,"axG",@progbits,_ZN4vllm3moe22topkGatingSoftplusSqrtILi4ELi128ELi4ELi16ELi64ELb0EifEEvPKT6_PKbPfiPT5_PiiiibdPKfPKS8_SE_,comdat
.Lfunc_end29:
	.size	_ZN4vllm3moe22topkGatingSoftplusSqrtILi4ELi128ELi4ELi16ELi64ELb0EifEEvPKT6_PKbPfiPT5_PiiiibdPKfPKS8_SE_, .Lfunc_end29-_ZN4vllm3moe22topkGatingSoftplusSqrtILi4ELi128ELi4ELi16ELi64ELb0EifEEvPKT6_PKbPfiPT5_PiiiibdPKfPKS8_SE_
                                        ; -- End function
	.section	.AMDGPU.csdata,"",@progbits
; Kernel info:
; codeLenInByte = 2996
; NumSgprs: 38
; NumVgprs: 22
; NumAgprs: 0
; TotalNumVgprs: 22
; ScratchSize: 0
; MemoryBound: 0
; FloatMode: 240
; IeeeMode: 1
; LDSByteSize: 4096 bytes/workgroup (compile time only)
; SGPRBlocks: 4
; VGPRBlocks: 2
; NumSGPRsForWavesPerEU: 38
; NumVGPRsForWavesPerEU: 22
; AccumOffset: 24
; Occupancy: 8
; WaveLimiterHint : 0
; COMPUTE_PGM_RSRC2:SCRATCH_EN: 0
; COMPUTE_PGM_RSRC2:USER_SGPR: 4
; COMPUTE_PGM_RSRC2:TRAP_HANDLER: 0
; COMPUTE_PGM_RSRC2:TGID_X_EN: 1
; COMPUTE_PGM_RSRC2:TGID_Y_EN: 0
; COMPUTE_PGM_RSRC2:TGID_Z_EN: 0
; COMPUTE_PGM_RSRC2:TIDIG_COMP_CNT: 2
; COMPUTE_PGM_RSRC3_GFX90A:ACCUM_OFFSET: 5
; COMPUTE_PGM_RSRC3_GFX90A:TG_SPLIT: 0
	.section	.text._ZN4vllm3moe22topkGatingSoftplusSqrtILi4ELi128ELi4ELi16ELi32ELb1EifEEvPKT6_PKbPfiPT5_PiiiibdPKfPKS8_SE_,"axG",@progbits,_ZN4vllm3moe22topkGatingSoftplusSqrtILi4ELi128ELi4ELi16ELi32ELb1EifEEvPKT6_PKbPfiPT5_PiiiibdPKfPKS8_SE_,comdat
	.protected	_ZN4vllm3moe22topkGatingSoftplusSqrtILi4ELi128ELi4ELi16ELi32ELb1EifEEvPKT6_PKbPfiPT5_PiiiibdPKfPKS8_SE_ ; -- Begin function _ZN4vllm3moe22topkGatingSoftplusSqrtILi4ELi128ELi4ELi16ELi32ELb1EifEEvPKT6_PKbPfiPT5_PiiiibdPKfPKS8_SE_
	.globl	_ZN4vllm3moe22topkGatingSoftplusSqrtILi4ELi128ELi4ELi16ELi32ELb1EifEEvPKT6_PKbPfiPT5_PiiiibdPKfPKS8_SE_
	.p2align	8
	.type	_ZN4vllm3moe22topkGatingSoftplusSqrtILi4ELi128ELi4ELi16ELi32ELb1EifEEvPKT6_PKbPfiPT5_PiiiibdPKfPKS8_SE_,@function
_ZN4vllm3moe22topkGatingSoftplusSqrtILi4ELi128ELi4ELi16ELi32ELb1EifEEvPKT6_PKbPfiPT5_PiiiibdPKfPKS8_SE_: ; @_ZN4vllm3moe22topkGatingSoftplusSqrtILi4ELi128ELi4ELi16ELi32ELb1EifEEvPKT6_PKbPfiPT5_PiiiibdPKfPKS8_SE_
; %bb.0:
	s_load_dword s3, s[0:1], 0x18
	v_and_b32_e32 v8, 0x3ff, v0
	s_lshl_b32 s2, s2, 2
	v_lshrrev_b32_e32 v1, 5, v8
	v_bfe_u32 v0, v0, 10, 10
	v_add3_u32 v2, s2, v0, v1
	s_waitcnt lgkmcnt(0)
	v_cmp_gt_i32_e32 vcc, s3, v2
	s_and_saveexec_b64 s[2:3], vcc
	s_cbranch_execz .LBB30_79
; %bb.1:
	s_load_dwordx2 s[2:3], s[0:1], 0x0
	s_load_dword s20, s[0:1], 0x30
	s_load_dwordx4 s[8:11], s[0:1], 0x50
	v_lshlrev_b32_e32 v0, 7, v2
	v_lshlrev_b32_e32 v3, 2, v8
	v_ashrrev_i32_e32 v1, 31, v0
	v_and_b32_e32 v12, 0x7c, v3
	s_waitcnt lgkmcnt(0)
	v_lshl_add_u64 v[0:1], v[0:1], 2, s[2:3]
	v_lshlrev_b32_e32 v6, 2, v12
	v_mov_b32_e32 v7, 0
	v_lshl_add_u64 v[0:1], v[0:1], 0, v[6:7]
	global_load_dwordx4 v[14:17], v[0:1], off
	v_mov_b32_e32 v0, s8
	v_mov_b32_e32 v1, s9
	v_ashrrev_i32_e32 v3, 31, v2
	v_lshl_add_u64 v[0:1], v[2:3], 2, v[0:1]
	global_load_dword v0, v[0:1], off
	s_mov_b32 s6, 0x800000
	v_mov_b32_e32 v3, 0x4f800000
	s_mov_b32 s12, 0x3f317217
	s_mov_b32 s13, 0x7f800000
	v_mov_b32_e32 v6, 0x41b17218
	s_mov_b32 s9, 0x41a00000
	s_mov_b32 s14, 0xf800000
	v_mov_b32_e32 v9, 0x260
	s_cmp_gt_i32 s20, 0
	s_mov_b32 s8, 0
	v_mul_lo_u32 v2, v2, s20
	s_waitcnt vmcnt(1)
	v_mul_f32_e32 v1, 0x3fb8aa3b, v14
	v_mul_f32_e32 v5, 0x3fb8aa3b, v15
	v_exp_f32_e32 v4, v1
	v_exp_f32_e32 v5, v5
	v_mul_f32_e32 v10, 0x3fb8aa3b, v16
	v_mul_f32_e32 v11, 0x3fb8aa3b, v17
	v_exp_f32_e32 v10, v10
	v_exp_f32_e32 v11, v11
	v_pk_add_f32 v[4:5], v[4:5], 1.0 op_sel_hi:[1,0]
	s_waitcnt vmcnt(0)
	v_mul_lo_u32 v0, v0, s20
	v_cmp_gt_f32_e32 vcc, s6, v5
	v_pk_add_f32 v[10:11], v[10:11], 1.0 op_sel_hi:[1,0]
	v_cmp_gt_f32_e64 s[2:3], s6, v4
	v_cndmask_b32_e32 v13, 1.0, v3, vcc
	v_cmp_gt_f32_e64 s[4:5], s6, v11
	v_cndmask_b32_e64 v18, 1.0, v3, s[2:3]
	v_mul_f32_e32 v5, v5, v13
	v_cndmask_b32_e64 v19, 1.0, v3, s[4:5]
	v_cmp_gt_f32_e64 s[6:7], s6, v10
	v_mul_f32_e32 v4, v4, v18
	v_log_f32_e32 v5, v5
	v_cndmask_b32_e64 v3, 1.0, v3, s[6:7]
	v_mul_f32_e32 v11, v11, v19
	v_log_f32_e32 v4, v4
	v_mul_f32_e32 v3, v10, v3
	v_log_f32_e32 v10, v11
	v_mul_f32_e32 v11, 0x3f317217, v5
	v_mul_f32_e32 v20, 0x3f317217, v4
	v_fma_f32 v11, v5, s12, -v11
	v_mul_f32_e32 v21, 0x3f317217, v10
	v_fma_f32 v20, v4, s12, -v20
	v_fmac_f32_e32 v11, 0x3377d1cf, v5
	v_cndmask_b32_e32 v13, 0, v6, vcc
	v_fma_f32 v21, v10, s12, -v21
	v_fmac_f32_e32 v20, 0x3377d1cf, v4
	v_fmac_f32_e32 v11, 0x3f317217, v5
	v_cmp_lt_f32_e64 vcc, |v5|, s13
	v_fmac_f32_e32 v21, 0x3377d1cf, v10
	v_fmac_f32_e32 v20, 0x3f317217, v4
	v_cndmask_b32_e32 v5, v5, v11, vcc
	v_cmp_lt_f32_e64 vcc, |v4|, s13
	v_cndmask_b32_e64 v18, 0, v6, s[2:3]
	v_fmac_f32_e32 v21, 0x3f317217, v10
	v_cndmask_b32_e32 v4, v4, v20, vcc
	v_cmp_lt_f32_e64 vcc, |v10|, s13
	v_sub_f32_e32 v4, v4, v18
	v_sub_f32_e32 v5, v5, v13
	v_cndmask_b32_e32 v10, v10, v21, vcc
	v_cmp_lt_f32_e32 vcc, s9, v14
	v_cndmask_b32_e64 v19, 0, v6, s[4:5]
	v_log_f32_e32 v3, v3
	v_cndmask_b32_e32 v4, v4, v14, vcc
	v_cmp_lt_f32_e32 vcc, s9, v15
	v_mul_f32_e32 v13, 0x4f800000, v4
	v_cmp_gt_f32_e64 s[2:3], s14, v4
	v_cndmask_b32_e32 v5, v5, v15, vcc
	v_mul_f32_e32 v11, 0x4f800000, v5
	v_cmp_gt_f32_e32 vcc, s14, v5
	v_cndmask_b32_e64 v4, v4, v13, s[2:3]
	v_sqrt_f32_e32 v13, v4
	v_cndmask_b32_e32 v5, v5, v11, vcc
	v_sqrt_f32_e32 v11, v5
	v_sub_f32_e32 v10, v10, v19
	v_add_u32_e32 v18, -1, v13
	v_fma_f32 v23, -v18, v13, v4
	v_add_u32_e32 v14, -1, v11
	v_fma_f32 v20, -v14, v11, v5
	v_add_u32_e32 v15, 1, v11
	v_cmp_ge_f32_e64 s[4:5], 0, v20
	v_add_u32_e32 v19, 1, v13
	v_fma_f32 v21, -v15, v11, v5
	v_cndmask_b32_e64 v11, v11, v14, s[4:5]
	v_cmp_ge_f32_e64 s[4:5], 0, v23
	v_fma_f32 v24, -v19, v13, v4
	v_mul_f32_e32 v22, 0x3f317217, v3
	v_cndmask_b32_e64 v13, v13, v18, s[4:5]
	v_cmp_lt_f32_e64 s[4:5], 0, v21
	v_fma_f32 v22, v3, s12, -v22
	v_fmac_f32_e32 v22, 0x3377d1cf, v3
	v_cndmask_b32_e64 v11, v11, v15, s[4:5]
	v_cmp_lt_f32_e64 s[4:5], 0, v24
	v_mul_f32_e32 v14, 0x37800000, v11
	v_cndmask_b32_e32 v11, v11, v14, vcc
	v_cndmask_b32_e64 v13, v13, v19, s[4:5]
	v_mul_f32_e32 v15, 0x37800000, v13
	v_cmp_class_f32_e32 vcc, v5, v9
	v_cndmask_b32_e64 v13, v13, v15, s[2:3]
	v_fmac_f32_e32 v22, 0x3f317217, v3
	v_cndmask_b32_e32 v15, v11, v5, vcc
	v_cmp_class_f32_e32 vcc, v4, v9
	v_cmp_lt_f32_e64 s[2:3], s9, v16
	v_ashrrev_i32_e32 v1, 31, v0
	v_cndmask_b32_e32 v14, v13, v4, vcc
	v_cmp_lt_f32_e64 vcc, |v3|, s13
	v_cndmask_b32_e64 v4, 0, v6, s[6:7]
	s_cselect_b64 s[4:5], -1, 0
	v_cndmask_b32_e32 v3, v3, v22, vcc
	v_cmp_lt_f32_e32 vcc, s9, v17
	v_sub_f32_e32 v3, v3, v4
	v_cndmask_b32_e64 v3, v3, v16, s[2:3]
	v_cndmask_b32_e32 v5, v10, v17, vcc
	v_mul_f32_e32 v6, 0x4f800000, v5
	v_cmp_gt_f32_e32 vcc, s14, v5
	s_cmp_lt_i32 s20, 1
	s_nop 0
	v_cndmask_b32_e32 v5, v5, v6, vcc
	v_sqrt_f32_e32 v6, v5
	s_nop 0
	v_add_u32_e32 v4, -1, v6
	v_fma_f32 v10, -v4, v6, v5
	v_cmp_ge_f32_e64 s[2:3], 0, v10
	v_add_u32_e32 v10, 1, v6
	s_nop 0
	v_cndmask_b32_e64 v4, v6, v4, s[2:3]
	v_fma_f32 v6, -v10, v6, v5
	v_cmp_lt_f32_e64 s[2:3], 0, v6
	s_nop 1
	v_cndmask_b32_e64 v4, v4, v10, s[2:3]
	v_mul_f32_e32 v10, 0x4f800000, v3
	v_cmp_gt_f32_e64 s[2:3], s14, v3
	v_mul_f32_e32 v6, 0x37800000, v4
	v_cndmask_b32_e32 v4, v4, v6, vcc
	v_cndmask_b32_e64 v3, v3, v10, s[2:3]
	v_sqrt_f32_e32 v10, v3
	v_cmp_class_f32_e32 vcc, v5, v9
	s_nop 1
	v_cndmask_b32_e32 v17, v4, v5, vcc
	v_add_u32_e32 v4, -1, v10
	v_fma_f32 v5, -v4, v10, v3
	v_cmp_ge_f32_e32 vcc, 0, v5
	v_add_u32_e32 v5, 1, v10
	v_fma_f32 v6, -v5, v10, v3
	v_cndmask_b32_e32 v4, v10, v4, vcc
	v_cmp_lt_f32_e32 vcc, 0, v6
	s_nop 1
	v_cndmask_b32_e32 v4, v4, v5, vcc
	v_mul_f32_e32 v5, 0x37800000, v4
	v_cndmask_b32_e64 v4, v4, v5, s[2:3]
	v_cmp_class_f32_e32 vcc, v3, v9
	s_nop 1
	v_cndmask_b32_e32 v16, v4, v3, vcc
	v_lshl_add_u64 v[4:5], v[0:1], 2, s[10:11]
	scratch_store_dwordx4 off, v[14:17], off
	s_cbranch_scc1 .LBB30_28
; %bb.2:
	s_load_dwordx2 s[6:7], s[0:1], 0x20
	s_cmp_lt_u32 s20, 4
	v_and_b32_e32 v6, 31, v8
	s_cbranch_scc1 .LBB30_21
; %bb.3:
	v_lshlrev_b32_e32 v7, 2, v6
	s_mov_b32 s13, 0
	s_and_b32 s8, s20, 0x7ffffffc
	v_ashrrev_i32_e32 v3, 31, v2
	v_sub_u32_e32 v13, 0, v7
	v_mov_b32_e32 v7, 0
	s_mov_b32 s12, s13
	s_branch .LBB30_5
.LBB30_4:                               ;   in Loop: Header=BB30_5 Depth=1
	s_or_b64 exec, exec, s[14:15]
	s_add_i32 s12, s12, 4
	s_cmp_eq_u32 s12, s8
	s_cbranch_scc1 .LBB30_21
.LBB30_5:                               ; =>This Loop Header: Depth=1
                                        ;     Child Loop BB30_7 Depth 2
                                        ;     Child Loop BB30_11 Depth 2
	;; [unrolled: 1-line block ×4, first 2 shown]
	v_lshl_add_u64 v[8:9], s[12:13], 2, v[4:5]
	global_load_dword v14, v[8:9], off
	v_add_u32_e32 v10, s12, v2
	v_ashrrev_i32_e32 v11, 31, v10
	v_mov_b32_e32 v15, 0
	s_mov_b64 s[14:15], 0
	s_waitcnt lgkmcnt(0)
	v_lshl_add_u64 v[10:11], v[10:11], 2, s[6:7]
	s_mov_b32 s9, 0
	s_waitcnt vmcnt(0)
	v_add_u32_e32 v16, v13, v14
	s_branch .LBB30_7
.LBB30_6:                               ;   in Loop: Header=BB30_7 Depth=2
	s_or_b64 exec, exec, s[16:17]
	s_add_i32 s18, s9, 1
	s_cmp_gt_u32 s9, 2
	s_cselect_b64 s[2:3], -1, 0
	s_xor_b64 s[16:17], vcc, -1
	s_or_b64 s[2:3], s[16:17], s[2:3]
	s_and_b64 s[2:3], exec, s[2:3]
	v_add_u32_e32 v15, 4, v15
	s_or_b64 s[14:15], s[2:3], s[14:15]
	s_mov_b32 s9, s18
	s_andn2_b64 exec, exec, s[14:15]
	s_cbranch_execz .LBB30_9
.LBB30_7:                               ;   Parent Loop BB30_5 Depth=1
                                        ; =>  This Inner Loop Header: Depth=2
	v_cmp_ne_u32_e32 vcc, s9, v16
	v_cmp_eq_u32_e64 s[2:3], s9, v16
	s_and_saveexec_b64 s[16:17], s[2:3]
	s_cbranch_execz .LBB30_6
; %bb.8:                                ;   in Loop: Header=BB30_7 Depth=2
	scratch_load_dword v17, v15, off
	s_waitcnt vmcnt(0)
	v_add_f32_e32 v7, v7, v17
	global_store_dword v[10:11], v14, off
	s_branch .LBB30_6
.LBB30_9:                               ;   in Loop: Header=BB30_5 Depth=1
	s_or_b64 exec, exec, s[14:15]
	global_load_dword v14, v[8:9], off offset:4
	s_ashr_i32 s3, s12, 31
	s_mov_b32 s2, s12
	v_lshl_add_u64 v[10:11], s[2:3], 0, v[2:3]
	v_mov_b32_e32 v15, 0
	s_mov_b32 s9, 0
	v_lshl_add_u64 v[10:11], v[10:11], 2, s[6:7]
	s_mov_b64 s[14:15], 0
	s_waitcnt vmcnt(0)
	v_add_u32_e32 v16, v13, v14
	s_branch .LBB30_11
.LBB30_10:                              ;   in Loop: Header=BB30_11 Depth=2
	s_or_b64 exec, exec, s[16:17]
	s_add_i32 s18, s9, 1
	s_cmp_gt_u32 s9, 2
	s_cselect_b64 s[2:3], -1, 0
	s_xor_b64 s[16:17], vcc, -1
	s_or_b64 s[2:3], s[16:17], s[2:3]
	s_and_b64 s[2:3], exec, s[2:3]
	v_add_u32_e32 v15, 4, v15
	s_or_b64 s[14:15], s[2:3], s[14:15]
	s_mov_b32 s9, s18
	s_andn2_b64 exec, exec, s[14:15]
	s_cbranch_execz .LBB30_13
.LBB30_11:                              ;   Parent Loop BB30_5 Depth=1
                                        ; =>  This Inner Loop Header: Depth=2
	v_cmp_ne_u32_e32 vcc, s9, v16
	v_cmp_eq_u32_e64 s[2:3], s9, v16
	s_and_saveexec_b64 s[16:17], s[2:3]
	s_cbranch_execz .LBB30_10
; %bb.12:                               ;   in Loop: Header=BB30_11 Depth=2
	scratch_load_dword v17, v15, off
	s_waitcnt vmcnt(0)
	v_add_f32_e32 v7, v7, v17
	global_store_dword v[10:11], v14, off offset:4
	s_branch .LBB30_10
.LBB30_13:                              ;   in Loop: Header=BB30_5 Depth=1
	s_or_b64 exec, exec, s[14:15]
	global_load_dword v14, v[8:9], off offset:8
	v_mov_b32_e32 v15, 0
	s_mov_b32 s9, 0
	s_mov_b64 s[14:15], 0
	s_waitcnt vmcnt(0)
	v_add_u32_e32 v16, v13, v14
	s_branch .LBB30_15
.LBB30_14:                              ;   in Loop: Header=BB30_15 Depth=2
	s_or_b64 exec, exec, s[16:17]
	s_add_i32 s18, s9, 1
	s_cmp_gt_u32 s9, 2
	s_cselect_b64 s[2:3], -1, 0
	s_xor_b64 s[16:17], vcc, -1
	s_or_b64 s[2:3], s[16:17], s[2:3]
	s_and_b64 s[2:3], exec, s[2:3]
	v_add_u32_e32 v15, 4, v15
	s_or_b64 s[14:15], s[2:3], s[14:15]
	s_mov_b32 s9, s18
	s_andn2_b64 exec, exec, s[14:15]
	s_cbranch_execz .LBB30_17
.LBB30_15:                              ;   Parent Loop BB30_5 Depth=1
                                        ; =>  This Inner Loop Header: Depth=2
	v_cmp_ne_u32_e32 vcc, s9, v16
	v_cmp_eq_u32_e64 s[2:3], s9, v16
	s_and_saveexec_b64 s[16:17], s[2:3]
	s_cbranch_execz .LBB30_14
; %bb.16:                               ;   in Loop: Header=BB30_15 Depth=2
	scratch_load_dword v17, v15, off
	s_waitcnt vmcnt(0)
	v_add_f32_e32 v7, v7, v17
	global_store_dword v[10:11], v14, off offset:8
	s_branch .LBB30_14
.LBB30_17:                              ;   in Loop: Header=BB30_5 Depth=1
	s_or_b64 exec, exec, s[14:15]
	global_load_dword v8, v[8:9], off offset:12
	v_mov_b32_e32 v9, 0
	s_mov_b32 s9, 0
	s_mov_b64 s[14:15], 0
	s_waitcnt vmcnt(0)
	v_add_u32_e32 v14, v13, v8
	s_branch .LBB30_19
.LBB30_18:                              ;   in Loop: Header=BB30_19 Depth=2
	s_or_b64 exec, exec, s[16:17]
	s_add_i32 s18, s9, 1
	s_cmp_gt_u32 s9, 2
	s_cselect_b64 s[2:3], -1, 0
	s_xor_b64 s[16:17], vcc, -1
	s_or_b64 s[2:3], s[16:17], s[2:3]
	s_and_b64 s[2:3], exec, s[2:3]
	v_add_u32_e32 v9, 4, v9
	s_or_b64 s[14:15], s[2:3], s[14:15]
	s_mov_b32 s9, s18
	s_andn2_b64 exec, exec, s[14:15]
	s_cbranch_execz .LBB30_4
.LBB30_19:                              ;   Parent Loop BB30_5 Depth=1
                                        ; =>  This Inner Loop Header: Depth=2
	v_cmp_ne_u32_e32 vcc, s9, v14
	v_cmp_eq_u32_e64 s[2:3], s9, v14
	s_and_saveexec_b64 s[16:17], s[2:3]
	s_cbranch_execz .LBB30_18
; %bb.20:                               ;   in Loop: Header=BB30_19 Depth=2
	scratch_load_dword v15, v9, off
	s_waitcnt vmcnt(0)
	v_add_f32_e32 v7, v7, v15
	global_store_dword v[10:11], v8, off offset:12
	s_branch .LBB30_18
.LBB30_21:
	s_and_b32 s16, s20, 3
	s_cmp_eq_u32 s16, 0
	s_mov_b32 s9, 0
	s_cbranch_scc1 .LBB30_28
; %bb.22:
	v_lshlrev_b32_e32 v3, 2, v6
	v_sub_u32_e32 v3, 0, v3
	s_mov_b32 s17, s9
	s_branch .LBB30_24
.LBB30_23:                              ;   in Loop: Header=BB30_24 Depth=1
	s_or_b64 exec, exec, s[12:13]
	s_add_i32 s8, s8, 1
	s_add_i32 s17, s17, 1
	s_cmp_lg_u32 s17, s16
	s_cbranch_scc0 .LBB30_28
.LBB30_24:                              ; =>This Loop Header: Depth=1
                                        ;     Child Loop BB30_26 Depth 2
	v_lshl_add_u64 v[8:9], s[8:9], 2, v[4:5]
	global_load_dword v6, v[8:9], off
	v_add_u32_e32 v8, s8, v2
	v_ashrrev_i32_e32 v9, 31, v8
	v_mov_b32_e32 v10, 0
	s_mov_b32 s18, 0
	s_waitcnt lgkmcnt(0)
	v_lshl_add_u64 v[8:9], v[8:9], 2, s[6:7]
	s_mov_b64 s[12:13], 0
	s_waitcnt vmcnt(0)
	v_add_u32_e32 v11, v3, v6
	s_branch .LBB30_26
.LBB30_25:                              ;   in Loop: Header=BB30_26 Depth=2
	s_or_b64 exec, exec, s[14:15]
	s_add_i32 s19, s18, 1
	s_cmp_gt_u32 s18, 2
	s_cselect_b64 s[2:3], -1, 0
	s_xor_b64 s[14:15], vcc, -1
	s_or_b64 s[2:3], s[14:15], s[2:3]
	s_and_b64 s[2:3], exec, s[2:3]
	v_add_u32_e32 v10, 4, v10
	s_or_b64 s[12:13], s[2:3], s[12:13]
	s_mov_b32 s18, s19
	s_andn2_b64 exec, exec, s[12:13]
	s_cbranch_execz .LBB30_23
.LBB30_26:                              ;   Parent Loop BB30_24 Depth=1
                                        ; =>  This Inner Loop Header: Depth=2
	v_cmp_ne_u32_e32 vcc, s18, v11
	v_cmp_eq_u32_e64 s[2:3], s18, v11
	s_and_saveexec_b64 s[14:15], s[2:3]
	s_cbranch_execz .LBB30_25
; %bb.27:                               ;   in Loop: Header=BB30_26 Depth=2
	scratch_load_dword v13, v10, off
	s_waitcnt vmcnt(0)
	v_add_f32_e32 v7, v7, v13
	global_store_dword v[8:9], v6, off
	s_branch .LBB30_25
.LBB30_28:
	s_waitcnt lgkmcnt(0)
	s_load_dword s6, s[0:1], 0x3c
	s_waitcnt lgkmcnt(0)
	s_bitcmp1_b32 s6, 0
	s_cselect_b64 s[2:3], -1, 0
	s_bitcmp0_b32 s6, 0
	s_cbranch_scc0 .LBB30_31
; %bb.29:
	s_load_dwordx2 s[6:7], s[0:1], 0x40
	s_andn2_b64 vcc, exec, s[2:3]
	s_waitcnt lgkmcnt(0)
	v_cvt_f32_f64_e32 v10, s[6:7]
	s_cbranch_vccz .LBB30_32
.LBB30_30:
	s_andn2_b64 vcc, exec, s[4:5]
	s_cbranch_vccz .LBB30_33
	s_branch .LBB30_79
.LBB30_31:
	v_mbcnt_lo_u32_b32 v3, -1, 0
	v_mbcnt_hi_u32_b32 v3, -1, v3
	v_and_b32_e32 v6, 0x60, v3
	v_add_u32_e32 v6, 32, v6
	v_xor_b32_e32 v8, 16, v3
	v_cmp_lt_i32_e32 vcc, v8, v6
	v_xor_b32_e32 v9, 8, v3
	s_nop 0
	v_cndmask_b32_e32 v8, v3, v8, vcc
	v_lshlrev_b32_e32 v8, 2, v8
	ds_bpermute_b32 v8, v8, v7
	v_cmp_lt_i32_e32 vcc, v9, v6
	s_waitcnt lgkmcnt(0)
	v_add_f32_e32 v7, v7, v8
	v_cndmask_b32_e32 v8, v3, v9, vcc
	v_lshlrev_b32_e32 v8, 2, v8
	ds_bpermute_b32 v8, v8, v7
	v_xor_b32_e32 v9, 4, v3
	v_cmp_lt_i32_e32 vcc, v9, v6
	s_waitcnt lgkmcnt(0)
	v_add_f32_e32 v7, v7, v8
	v_cndmask_b32_e32 v8, v3, v9, vcc
	v_lshlrev_b32_e32 v8, 2, v8
	ds_bpermute_b32 v8, v8, v7
	v_xor_b32_e32 v9, 2, v3
	;; [unrolled: 7-line block ×3, first 2 shown]
	v_cmp_lt_i32_e32 vcc, v9, v6
	s_waitcnt lgkmcnt(0)
	v_add_f32_e32 v7, v7, v8
	v_cndmask_b32_e32 v3, v3, v9, vcc
	v_lshlrev_b32_e32 v3, 2, v3
	ds_bpermute_b32 v3, v3, v7
	s_waitcnt lgkmcnt(0)
	v_add_f32_e32 v7, v7, v3
	s_load_dwordx2 s[6:7], s[0:1], 0x40
	s_andn2_b64 vcc, exec, s[2:3]
	s_waitcnt lgkmcnt(0)
	v_cvt_f32_f64_e32 v10, s[6:7]
	s_cbranch_vccnz .LBB30_30
.LBB30_32:
	v_cmp_lt_f32_e32 vcc, 0, v7
	s_nop 1
	v_cndmask_b32_e32 v3, 1.0, v7, vcc
	v_div_scale_f32 v6, s[2:3], v3, v3, v10
	v_rcp_f32_e32 v7, v6
	s_nop 0
	v_fma_f32 v8, -v6, v7, 1.0
	v_fmac_f32_e32 v7, v8, v7
	v_div_scale_f32 v8, vcc, v10, v3, v10
	v_mul_f32_e32 v9, v8, v7
	v_fma_f32 v11, -v6, v9, v8
	v_fmac_f32_e32 v9, v11, v7
	v_fma_f32 v6, -v6, v9, v8
	v_div_fmas_f32 v6, v6, v7, v9
	v_div_fixup_f32 v10, v6, v3, v10
	s_andn2_b64 vcc, exec, s[4:5]
	s_cbranch_vccnz .LBB30_79
.LBB30_33:
	s_load_dwordx2 s[4:5], s[0:1], 0x10
	v_mov_b32_e32 v3, 0
	v_or_b32_e32 v11, 4, v3
	v_or_b32_e32 v13, 8, v3
	;; [unrolled: 1-line block ×6, first 2 shown]
	s_cmp_lt_u32 s20, 4
	s_mov_b32 s6, 0
	s_cbranch_scc1 .LBB30_68
; %bb.34:
	v_ashrrev_i32_e32 v3, 31, v2
	s_and_b32 s6, s20, 0x7ffffffc
	s_waitcnt lgkmcnt(0)
	v_lshl_add_u64 v[6:7], v[2:3], 2, s[4:5]
	s_mov_b32 s7, 0
	s_mov_b64 s[8:9], 0
	s_branch .LBB30_36
.LBB30_35:                              ;   in Loop: Header=BB30_36 Depth=1
	s_or_b64 exec, exec, s[2:3]
	s_add_i32 s7, s7, 4
	s_add_u32 s8, s8, 16
	s_addc_u32 s9, s9, 0
	s_cmp_eq_u32 s6, s7
	s_cbranch_scc1 .LBB30_68
.LBB30_36:                              ; =>This Inner Loop Header: Depth=1
	v_lshl_add_u64 v[8:9], v[4:5], 0, s[8:9]
	global_load_dword v18, v[8:9], off
	v_mov_b32_e32 v3, 0
	s_waitcnt vmcnt(0)
	v_cmp_eq_u32_e32 vcc, v18, v12
	v_cmp_ne_u32_e64 s[0:1], v18, v12
	s_and_saveexec_b64 s[12:13], s[0:1]
	s_cbranch_execz .LBB30_42
; %bb.37:                               ;   in Loop: Header=BB30_36 Depth=1
	v_cmp_eq_u32_e64 s[0:1], v18, v15
	v_cmp_ne_u32_e64 s[2:3], v18, v15
	v_mov_b32_e32 v3, v11
	s_and_saveexec_b64 s[14:15], s[2:3]
	s_cbranch_execz .LBB30_41
; %bb.38:                               ;   in Loop: Header=BB30_36 Depth=1
	v_cmp_eq_u32_e64 s[16:17], v18, v16
	v_cmp_ne_u32_e64 s[2:3], v18, v16
	v_mov_b32_e32 v3, v13
	s_and_saveexec_b64 s[18:19], s[2:3]
	s_xor_b64 s[18:19], exec, s[18:19]
; %bb.39:                               ;   in Loop: Header=BB30_36 Depth=1
	v_cmp_eq_u32_e64 s[2:3], v18, v17
	s_andn2_b64 s[16:17], s[16:17], exec
	s_and_b64 s[2:3], s[2:3], exec
	s_or_b64 s[16:17], s[16:17], s[2:3]
	v_mov_b32_e32 v3, v14
; %bb.40:                               ;   in Loop: Header=BB30_36 Depth=1
	s_or_b64 exec, exec, s[18:19]
	s_andn2_b64 s[0:1], s[0:1], exec
	s_and_b64 s[2:3], s[16:17], exec
	s_or_b64 s[0:1], s[0:1], s[2:3]
.LBB30_41:                              ;   in Loop: Header=BB30_36 Depth=1
	s_or_b64 exec, exec, s[14:15]
	s_andn2_b64 s[2:3], vcc, exec
	s_and_b64 s[0:1], s[0:1], exec
	s_or_b64 vcc, s[2:3], s[0:1]
.LBB30_42:                              ;   in Loop: Header=BB30_36 Depth=1
	s_or_b64 exec, exec, s[12:13]
	s_and_saveexec_b64 s[0:1], vcc
	s_cbranch_execz .LBB30_44
; %bb.43:                               ;   in Loop: Header=BB30_36 Depth=1
	scratch_load_dword v3, v3, off
	v_add_u32_e32 v18, s7, v2
	v_ashrrev_i32_e32 v19, 31, v18
	v_lshl_add_u64 v[18:19], v[18:19], 2, s[4:5]
	s_waitcnt vmcnt(0)
	v_mul_f32_e32 v3, v10, v3
	global_store_dword v[18:19], v3, off
.LBB30_44:                              ;   in Loop: Header=BB30_36 Depth=1
	s_or_b64 exec, exec, s[0:1]
	global_load_dword v18, v[8:9], off offset:4
	v_mov_b32_e32 v3, 0
	s_waitcnt vmcnt(0)
	v_cmp_eq_u32_e64 s[0:1], v18, v12
	v_cmp_ne_u32_e32 vcc, v18, v12
	s_and_saveexec_b64 s[2:3], vcc
	s_cbranch_execz .LBB30_50
; %bb.45:                               ;   in Loop: Header=BB30_36 Depth=1
	v_cmp_eq_u32_e64 s[12:13], v18, v15
	v_cmp_ne_u32_e32 vcc, v18, v15
	v_mov_b32_e32 v3, v11
	s_and_saveexec_b64 s[14:15], vcc
	s_cbranch_execz .LBB30_49
; %bb.46:                               ;   in Loop: Header=BB30_36 Depth=1
	v_cmp_eq_u32_e64 s[16:17], v18, v16
	v_cmp_ne_u32_e32 vcc, v18, v16
	v_mov_b32_e32 v3, v13
	s_and_saveexec_b64 s[18:19], vcc
; %bb.47:                               ;   in Loop: Header=BB30_36 Depth=1
	v_cmp_eq_u32_e32 vcc, v18, v17
	s_andn2_b64 s[16:17], s[16:17], exec
	s_and_b64 s[22:23], vcc, exec
	s_or_b64 s[16:17], s[16:17], s[22:23]
	v_mov_b32_e32 v3, v14
; %bb.48:                               ;   in Loop: Header=BB30_36 Depth=1
	s_or_b64 exec, exec, s[18:19]
	s_andn2_b64 s[12:13], s[12:13], exec
	s_and_b64 s[16:17], s[16:17], exec
	s_or_b64 s[12:13], s[12:13], s[16:17]
.LBB30_49:                              ;   in Loop: Header=BB30_36 Depth=1
	s_or_b64 exec, exec, s[14:15]
	s_andn2_b64 s[0:1], s[0:1], exec
	s_and_b64 s[12:13], s[12:13], exec
	s_or_b64 s[0:1], s[0:1], s[12:13]
.LBB30_50:                              ;   in Loop: Header=BB30_36 Depth=1
	s_or_b64 exec, exec, s[2:3]
	s_and_saveexec_b64 s[2:3], s[0:1]
	s_cbranch_execz .LBB30_52
; %bb.51:                               ;   in Loop: Header=BB30_36 Depth=1
	scratch_load_dword v3, v3, off
	v_lshl_add_u64 v[18:19], v[6:7], 0, s[8:9]
	s_waitcnt vmcnt(0)
	v_mul_f32_e32 v3, v10, v3
	global_store_dword v[18:19], v3, off offset:4
.LBB30_52:                              ;   in Loop: Header=BB30_36 Depth=1
	s_or_b64 exec, exec, s[2:3]
	global_load_dword v18, v[8:9], off offset:8
	v_mov_b32_e32 v3, 0
	s_waitcnt vmcnt(0)
	v_cmp_eq_u32_e64 s[0:1], v18, v12
	v_cmp_ne_u32_e32 vcc, v18, v12
	s_and_saveexec_b64 s[2:3], vcc
	s_cbranch_execz .LBB30_58
; %bb.53:                               ;   in Loop: Header=BB30_36 Depth=1
	v_cmp_eq_u32_e64 s[12:13], v18, v15
	v_cmp_ne_u32_e32 vcc, v18, v15
	v_mov_b32_e32 v3, v11
	s_and_saveexec_b64 s[14:15], vcc
	s_cbranch_execz .LBB30_57
; %bb.54:                               ;   in Loop: Header=BB30_36 Depth=1
	v_cmp_eq_u32_e64 s[16:17], v18, v16
	v_cmp_ne_u32_e32 vcc, v18, v16
	v_mov_b32_e32 v3, v13
	s_and_saveexec_b64 s[18:19], vcc
; %bb.55:                               ;   in Loop: Header=BB30_36 Depth=1
	v_cmp_eq_u32_e32 vcc, v18, v17
	s_andn2_b64 s[16:17], s[16:17], exec
	s_and_b64 s[22:23], vcc, exec
	s_or_b64 s[16:17], s[16:17], s[22:23]
	v_mov_b32_e32 v3, v14
; %bb.56:                               ;   in Loop: Header=BB30_36 Depth=1
	s_or_b64 exec, exec, s[18:19]
	s_andn2_b64 s[12:13], s[12:13], exec
	s_and_b64 s[16:17], s[16:17], exec
	s_or_b64 s[12:13], s[12:13], s[16:17]
.LBB30_57:                              ;   in Loop: Header=BB30_36 Depth=1
	s_or_b64 exec, exec, s[14:15]
	s_andn2_b64 s[0:1], s[0:1], exec
	s_and_b64 s[12:13], s[12:13], exec
	s_or_b64 s[0:1], s[0:1], s[12:13]
.LBB30_58:                              ;   in Loop: Header=BB30_36 Depth=1
	s_or_b64 exec, exec, s[2:3]
	s_and_saveexec_b64 s[2:3], s[0:1]
	s_cbranch_execz .LBB30_60
; %bb.59:                               ;   in Loop: Header=BB30_36 Depth=1
	scratch_load_dword v3, v3, off
	v_lshl_add_u64 v[18:19], v[6:7], 0, s[8:9]
	s_waitcnt vmcnt(0)
	v_mul_f32_e32 v3, v10, v3
	global_store_dword v[18:19], v3, off offset:8
.LBB30_60:                              ;   in Loop: Header=BB30_36 Depth=1
	s_or_b64 exec, exec, s[2:3]
	global_load_dword v8, v[8:9], off offset:12
	v_mov_b32_e32 v3, 0
	s_waitcnt vmcnt(0)
	v_cmp_eq_u32_e64 s[0:1], v8, v12
	v_cmp_ne_u32_e32 vcc, v8, v12
	s_and_saveexec_b64 s[2:3], vcc
	s_cbranch_execz .LBB30_66
; %bb.61:                               ;   in Loop: Header=BB30_36 Depth=1
	v_cmp_eq_u32_e64 s[12:13], v8, v15
	v_cmp_ne_u32_e32 vcc, v8, v15
	v_mov_b32_e32 v3, v11
	s_and_saveexec_b64 s[14:15], vcc
	s_cbranch_execz .LBB30_65
; %bb.62:                               ;   in Loop: Header=BB30_36 Depth=1
	v_cmp_eq_u32_e64 s[16:17], v8, v16
	v_cmp_ne_u32_e32 vcc, v8, v16
	v_mov_b32_e32 v3, v13
	s_and_saveexec_b64 s[18:19], vcc
; %bb.63:                               ;   in Loop: Header=BB30_36 Depth=1
	v_cmp_eq_u32_e32 vcc, v8, v17
	s_andn2_b64 s[16:17], s[16:17], exec
	s_and_b64 s[22:23], vcc, exec
	s_or_b64 s[16:17], s[16:17], s[22:23]
	v_mov_b32_e32 v3, v14
; %bb.64:                               ;   in Loop: Header=BB30_36 Depth=1
	s_or_b64 exec, exec, s[18:19]
	s_andn2_b64 s[12:13], s[12:13], exec
	s_and_b64 s[16:17], s[16:17], exec
	s_or_b64 s[12:13], s[12:13], s[16:17]
.LBB30_65:                              ;   in Loop: Header=BB30_36 Depth=1
	s_or_b64 exec, exec, s[14:15]
	s_andn2_b64 s[0:1], s[0:1], exec
	s_and_b64 s[12:13], s[12:13], exec
	s_or_b64 s[0:1], s[0:1], s[12:13]
.LBB30_66:                              ;   in Loop: Header=BB30_36 Depth=1
	s_or_b64 exec, exec, s[2:3]
	s_and_saveexec_b64 s[2:3], s[0:1]
	s_cbranch_execz .LBB30_35
; %bb.67:                               ;   in Loop: Header=BB30_36 Depth=1
	scratch_load_dword v3, v3, off
	v_lshl_add_u64 v[8:9], v[6:7], 0, s[8:9]
	s_waitcnt vmcnt(0)
	v_mul_f32_e32 v3, v10, v3
	global_store_dword v[8:9], v3, off offset:12
	s_branch .LBB30_35
.LBB30_68:
	s_and_b32 s14, s20, 3
	s_cmp_eq_u32 s14, 0
	s_mov_b32 s7, 0
	s_cbranch_scc1 .LBB30_79
; %bb.69:
	s_lshl_b64 s[0:1], s[6:7], 2
	s_add_u32 s0, s10, s0
	s_addc_u32 s1, s11, s1
	v_add_u32_e32 v2, s6, v2
	v_lshl_add_u64 v[0:1], v[0:1], 2, s[0:1]
	s_branch .LBB30_71
.LBB30_70:                              ;   in Loop: Header=BB30_71 Depth=1
	s_or_b64 exec, exec, s[2:3]
	s_add_i32 s14, s14, -1
	v_add_u32_e32 v2, 1, v2
	s_cmp_lg_u32 s14, 0
	v_lshl_add_u64 v[0:1], v[0:1], 0, 4
	s_cbranch_scc0 .LBB30_79
.LBB30_71:                              ; =>This Inner Loop Header: Depth=1
	global_load_dword v4, v[0:1], off
	v_mov_b32_e32 v3, 0
	s_waitcnt vmcnt(0)
	v_cmp_eq_u32_e64 s[0:1], v4, v12
	v_cmp_ne_u32_e32 vcc, v4, v12
	s_and_saveexec_b64 s[2:3], vcc
	s_cbranch_execz .LBB30_77
; %bb.72:                               ;   in Loop: Header=BB30_71 Depth=1
	v_cmp_eq_u32_e64 s[6:7], v4, v15
	v_cmp_ne_u32_e32 vcc, v4, v15
	v_mov_b32_e32 v3, v11
	s_and_saveexec_b64 s[8:9], vcc
	s_cbranch_execz .LBB30_76
; %bb.73:                               ;   in Loop: Header=BB30_71 Depth=1
	v_cmp_eq_u32_e64 s[10:11], v4, v16
	v_cmp_ne_u32_e32 vcc, v4, v16
	v_mov_b32_e32 v3, v13
	s_and_saveexec_b64 s[12:13], vcc
; %bb.74:                               ;   in Loop: Header=BB30_71 Depth=1
	v_cmp_eq_u32_e32 vcc, v4, v17
	s_andn2_b64 s[10:11], s[10:11], exec
	s_and_b64 s[16:17], vcc, exec
	s_or_b64 s[10:11], s[10:11], s[16:17]
	v_mov_b32_e32 v3, v14
; %bb.75:                               ;   in Loop: Header=BB30_71 Depth=1
	s_or_b64 exec, exec, s[12:13]
	s_andn2_b64 s[6:7], s[6:7], exec
	s_and_b64 s[10:11], s[10:11], exec
	s_or_b64 s[6:7], s[6:7], s[10:11]
.LBB30_76:                              ;   in Loop: Header=BB30_71 Depth=1
	s_or_b64 exec, exec, s[8:9]
	s_andn2_b64 s[0:1], s[0:1], exec
	s_and_b64 s[6:7], s[6:7], exec
	s_or_b64 s[0:1], s[0:1], s[6:7]
.LBB30_77:                              ;   in Loop: Header=BB30_71 Depth=1
	s_or_b64 exec, exec, s[2:3]
	s_and_saveexec_b64 s[2:3], s[0:1]
	s_cbranch_execz .LBB30_70
; %bb.78:                               ;   in Loop: Header=BB30_71 Depth=1
	scratch_load_dword v4, v3, off
	v_ashrrev_i32_e32 v3, 31, v2
	s_waitcnt vmcnt(0)
	v_mul_f32_e32 v6, v10, v4
	s_waitcnt lgkmcnt(0)
	v_lshl_add_u64 v[4:5], v[2:3], 2, s[4:5]
	global_store_dword v[4:5], v6, off
	s_branch .LBB30_70
.LBB30_79:
	s_endpgm
	.section	.rodata,"a",@progbits
	.p2align	6, 0x0
	.amdhsa_kernel _ZN4vllm3moe22topkGatingSoftplusSqrtILi4ELi128ELi4ELi16ELi32ELb1EifEEvPKT6_PKbPfiPT5_PiiiibdPKfPKS8_SE_
		.amdhsa_group_segment_fixed_size 0
		.amdhsa_private_segment_fixed_size 32
		.amdhsa_kernarg_size 96
		.amdhsa_user_sgpr_count 2
		.amdhsa_user_sgpr_dispatch_ptr 0
		.amdhsa_user_sgpr_queue_ptr 0
		.amdhsa_user_sgpr_kernarg_segment_ptr 1
		.amdhsa_user_sgpr_dispatch_id 0
		.amdhsa_user_sgpr_kernarg_preload_length 0
		.amdhsa_user_sgpr_kernarg_preload_offset 0
		.amdhsa_user_sgpr_private_segment_size 0
		.amdhsa_uses_dynamic_stack 0
		.amdhsa_enable_private_segment 1
		.amdhsa_system_sgpr_workgroup_id_x 1
		.amdhsa_system_sgpr_workgroup_id_y 0
		.amdhsa_system_sgpr_workgroup_id_z 0
		.amdhsa_system_sgpr_workgroup_info 0
		.amdhsa_system_vgpr_workitem_id 1
		.amdhsa_next_free_vgpr 25
		.amdhsa_next_free_sgpr 24
		.amdhsa_accum_offset 28
		.amdhsa_reserve_vcc 1
		.amdhsa_float_round_mode_32 0
		.amdhsa_float_round_mode_16_64 0
		.amdhsa_float_denorm_mode_32 3
		.amdhsa_float_denorm_mode_16_64 3
		.amdhsa_dx10_clamp 1
		.amdhsa_ieee_mode 1
		.amdhsa_fp16_overflow 0
		.amdhsa_tg_split 0
		.amdhsa_exception_fp_ieee_invalid_op 0
		.amdhsa_exception_fp_denorm_src 0
		.amdhsa_exception_fp_ieee_div_zero 0
		.amdhsa_exception_fp_ieee_overflow 0
		.amdhsa_exception_fp_ieee_underflow 0
		.amdhsa_exception_fp_ieee_inexact 0
		.amdhsa_exception_int_div_zero 0
	.end_amdhsa_kernel
	.section	.text._ZN4vllm3moe22topkGatingSoftplusSqrtILi4ELi128ELi4ELi16ELi32ELb1EifEEvPKT6_PKbPfiPT5_PiiiibdPKfPKS8_SE_,"axG",@progbits,_ZN4vllm3moe22topkGatingSoftplusSqrtILi4ELi128ELi4ELi16ELi32ELb1EifEEvPKT6_PKbPfiPT5_PiiiibdPKfPKS8_SE_,comdat
.Lfunc_end30:
	.size	_ZN4vllm3moe22topkGatingSoftplusSqrtILi4ELi128ELi4ELi16ELi32ELb1EifEEvPKT6_PKbPfiPT5_PiiiibdPKfPKS8_SE_, .Lfunc_end30-_ZN4vllm3moe22topkGatingSoftplusSqrtILi4ELi128ELi4ELi16ELi32ELb1EifEEvPKT6_PKbPfiPT5_PiiiibdPKfPKS8_SE_
                                        ; -- End function
	.section	.AMDGPU.csdata,"",@progbits
; Kernel info:
; codeLenInByte = 3484
; NumSgprs: 30
; NumVgprs: 25
; NumAgprs: 0
; TotalNumVgprs: 25
; ScratchSize: 32
; MemoryBound: 0
; FloatMode: 240
; IeeeMode: 1
; LDSByteSize: 0 bytes/workgroup (compile time only)
; SGPRBlocks: 3
; VGPRBlocks: 3
; NumSGPRsForWavesPerEU: 30
; NumVGPRsForWavesPerEU: 25
; AccumOffset: 28
; Occupancy: 8
; WaveLimiterHint : 1
; COMPUTE_PGM_RSRC2:SCRATCH_EN: 1
; COMPUTE_PGM_RSRC2:USER_SGPR: 2
; COMPUTE_PGM_RSRC2:TRAP_HANDLER: 0
; COMPUTE_PGM_RSRC2:TGID_X_EN: 1
; COMPUTE_PGM_RSRC2:TGID_Y_EN: 0
; COMPUTE_PGM_RSRC2:TGID_Z_EN: 0
; COMPUTE_PGM_RSRC2:TIDIG_COMP_CNT: 1
; COMPUTE_PGM_RSRC3_GFX90A:ACCUM_OFFSET: 6
; COMPUTE_PGM_RSRC3_GFX90A:TG_SPLIT: 0
	.section	.text._ZN4vllm3moe22topkGatingSoftplusSqrtILi4ELi128ELi4ELi16ELi32ELb0EifEEvPKT6_PKbPfiPT5_PiiiibdPKfPKS8_SE_,"axG",@progbits,_ZN4vllm3moe22topkGatingSoftplusSqrtILi4ELi128ELi4ELi16ELi32ELb0EifEEvPKT6_PKbPfiPT5_PiiiibdPKfPKS8_SE_,comdat
	.protected	_ZN4vllm3moe22topkGatingSoftplusSqrtILi4ELi128ELi4ELi16ELi32ELb0EifEEvPKT6_PKbPfiPT5_PiiiibdPKfPKS8_SE_ ; -- Begin function _ZN4vllm3moe22topkGatingSoftplusSqrtILi4ELi128ELi4ELi16ELi32ELb0EifEEvPKT6_PKbPfiPT5_PiiiibdPKfPKS8_SE_
	.globl	_ZN4vllm3moe22topkGatingSoftplusSqrtILi4ELi128ELi4ELi16ELi32ELb0EifEEvPKT6_PKbPfiPT5_PiiiibdPKfPKS8_SE_
	.p2align	8
	.type	_ZN4vllm3moe22topkGatingSoftplusSqrtILi4ELi128ELi4ELi16ELi32ELb0EifEEvPKT6_PKbPfiPT5_PiiiibdPKfPKS8_SE_,@function
_ZN4vllm3moe22topkGatingSoftplusSqrtILi4ELi128ELi4ELi16ELi32ELb0EifEEvPKT6_PKbPfiPT5_PiiiibdPKfPKS8_SE_: ; @_ZN4vllm3moe22topkGatingSoftplusSqrtILi4ELi128ELi4ELi16ELi32ELb0EifEEvPKT6_PKbPfiPT5_PiiiibdPKfPKS8_SE_
; %bb.0:
	s_load_dword s30, s[2:3], 0x18
	v_and_b32_e32 v1, 0x3ff, v0
	v_bfe_u32 v4, v0, 10, 10
	s_lshl_b32 s4, s4, 2
	v_lshrrev_b32_e32 v2, 5, v1
	v_add3_u32 v2, s4, v4, v2
	s_waitcnt lgkmcnt(0)
	v_cmp_gt_i32_e32 vcc, s30, v2
	s_and_saveexec_b64 s[4:5], vcc
	s_cbranch_execz .LBB31_55
; %bb.1:
	s_load_dwordx4 s[4:7], s[2:3], 0x0
	s_load_dwordx2 s[20:21], s[2:3], 0x10
	s_waitcnt lgkmcnt(0)
	s_cmp_eq_u64 s[6:7], 0
	s_cbranch_scc1 .LBB31_3
; %bb.2:
	v_ashrrev_i32_e32 v3, 31, v2
	v_lshl_add_u64 v[6:7], s[6:7], 0, v[2:3]
	global_load_ubyte v3, v[6:7], off
	s_waitcnt vmcnt(0)
	v_and_b32_e32 v3, 1, v3
	v_cmp_eq_u32_e32 vcc, 1, v3
	s_xor_b64 s[6:7], vcc, -1
	s_orn2_b64 s[22:23], s[6:7], exec
	s_branch .LBB31_4
.LBB31_3:
	s_mov_b64 s[22:23], -1
.LBB31_4:
	v_lshlrev_b32_e32 v8, 7, v2
	v_mov_b32_e32 v6, s4
	v_mov_b32_e32 v7, s5
	v_ashrrev_i32_e32 v9, 31, v8
	v_and_b32_e32 v3, 31, v1
	v_lshl_add_u64 v[6:7], v[8:9], 2, v[6:7]
	v_mov_b32_e32 v9, 0
	v_lshlrev_b32_e32 v8, 4, v3
	v_lshl_add_u64 v[6:7], v[6:7], 0, v[8:9]
	global_load_dwordx4 v[6:9], v[6:7], off
	s_load_dwordx2 s[4:5], s[0:1], 0x4
	s_load_dwordx4 s[8:11], s[2:3], 0x40
	v_bfe_u32 v0, v0, 20, 10
	s_mov_b32 s16, 0x800000
	s_mov_b32 s13, 0x3f317217
	s_waitcnt lgkmcnt(0)
	s_lshr_b32 s0, s4, 16
	v_mul_u32_u24_e32 v4, s5, v4
	s_mul_i32 s0, s0, s5
	v_mad_u32_u24 v1, s0, v1, v4
	v_add_lshl_u32 v4, v1, v0, 4
	s_mov_b32 s14, 0x7f800000
	s_mov_b32 s12, 0x41a00000
	;; [unrolled: 1-line block ×3, first 2 shown]
	s_cmp_lg_u64 s[10:11], 0
	v_mov_b32_e32 v1, 0x260
	s_cselect_b64 s[6:7], -1, 0
	s_and_b64 s[0:1], exec, s[6:7]
	s_waitcnt vmcnt(0)
	ds_write_b128 v4, v[6:9]
	ds_read_b32 v8, v4
	v_mov_b32_e32 v6, 0x4f800000
	v_mov_b32_e32 v7, 0x41b17218
	s_waitcnt lgkmcnt(0)
	v_mul_f32_e32 v0, 0x3fb8aa3b, v8
	v_exp_f32_e32 v0, v0
	s_nop 0
	v_add_f32_e32 v0, 1.0, v0
	v_cmp_gt_f32_e32 vcc, s16, v0
	s_nop 1
	v_cndmask_b32_e32 v5, 1.0, v6, vcc
	v_mul_f32_e32 v0, v0, v5
	v_log_f32_e32 v9, v0
	v_cndmask_b32_e32 v10, 0, v7, vcc
	v_lshlrev_b32_e32 v5, 2, v3
	v_lshlrev_b32_e32 v0, 2, v5
	v_mul_f32_e32 v11, 0x3f317217, v9
	v_fma_f32 v11, v9, s13, -v11
	v_fmac_f32_e32 v11, 0x3377d1cf, v9
	v_fmac_f32_e32 v11, 0x3f317217, v9
	v_cmp_lt_f32_e64 vcc, |v9|, s14
	s_nop 1
	v_cndmask_b32_e32 v9, v9, v11, vcc
	v_sub_f32_e32 v9, v9, v10
	v_cmp_lt_f32_e32 vcc, s12, v8
	s_nop 1
	v_cndmask_b32_e32 v8, v9, v8, vcc
	v_mul_f32_e32 v9, 0x4f800000, v8
	v_cmp_gt_f32_e32 vcc, s15, v8
	s_nop 1
	v_cndmask_b32_e32 v8, v8, v9, vcc
	v_sqrt_f32_e32 v9, v8
	s_nop 0
	v_add_u32_e32 v10, -1, v9
	v_add_u32_e32 v11, 1, v9
	v_fma_f32 v12, -v10, v9, v8
	v_fma_f32 v13, -v11, v9, v8
	v_cmp_ge_f32_e64 s[4:5], 0, v12
	s_nop 1
	v_cndmask_b32_e64 v9, v9, v10, s[4:5]
	v_cmp_lt_f32_e64 s[4:5], 0, v13
	s_nop 1
	v_cndmask_b32_e64 v9, v9, v11, s[4:5]
	v_mul_f32_e32 v10, 0x37800000, v9
	v_cndmask_b32_e32 v9, v9, v10, vcc
	v_cmp_class_f32_e32 vcc, v8, v1
	s_nop 1
	v_cndmask_b32_e32 v8, v9, v8, vcc
	s_mov_b64 vcc, s[0:1]
	s_cbranch_vccz .LBB31_6
; %bb.5:
	global_load_dword v9, v0, s[10:11]
	s_waitcnt vmcnt(0)
	v_add_f32_e32 v8, v8, v9
.LBB31_6:
	ds_read_b32 v9, v4 offset:4
	ds_write_b32 v4, v8
	s_waitcnt lgkmcnt(1)
	v_mul_f32_e32 v10, 0x3fb8aa3b, v9
	v_exp_f32_e32 v10, v10
	s_nop 0
	v_add_f32_e32 v10, 1.0, v10
	v_cmp_gt_f32_e32 vcc, s16, v10
	s_nop 1
	v_cndmask_b32_e32 v6, 1.0, v6, vcc
	v_mul_f32_e32 v6, v10, v6
	v_log_f32_e32 v6, v6
	v_cndmask_b32_e32 v7, 0, v7, vcc
	v_mul_f32_e32 v8, 0x3f317217, v6
	v_fma_f32 v8, v6, s13, -v8
	v_fmac_f32_e32 v8, 0x3377d1cf, v6
	v_fmac_f32_e32 v8, 0x3f317217, v6
	v_cmp_lt_f32_e64 vcc, |v6|, s14
	s_nop 1
	v_cndmask_b32_e32 v6, v6, v8, vcc
	v_sub_f32_e32 v6, v6, v7
	v_cmp_lt_f32_e32 vcc, s12, v9
	v_cndmask_b32_e64 v8, 0, 1, s[6:7]
	v_cmp_ne_u32_e64 s[0:1], 1, v8
	v_cndmask_b32_e32 v6, v6, v9, vcc
	v_mul_f32_e32 v7, 0x4f800000, v6
	v_cmp_gt_f32_e64 s[4:5], s15, v6
	s_andn2_b64 vcc, exec, s[6:7]
	s_nop 0
	v_cndmask_b32_e64 v6, v6, v7, s[4:5]
	v_sqrt_f32_e32 v7, v6
	s_nop 0
	v_add_u32_e32 v8, -1, v7
	v_add_u32_e32 v9, 1, v7
	v_fma_f32 v10, -v8, v7, v6
	v_fma_f32 v11, -v9, v7, v6
	v_cmp_ge_f32_e64 s[6:7], 0, v10
	s_nop 1
	v_cndmask_b32_e64 v7, v7, v8, s[6:7]
	v_cmp_lt_f32_e64 s[6:7], 0, v11
	s_nop 1
	v_cndmask_b32_e64 v7, v7, v9, s[6:7]
	v_mul_f32_e32 v8, 0x37800000, v7
	v_cndmask_b32_e64 v7, v7, v8, s[4:5]
	v_cmp_class_f32_e64 s[4:5], v6, v1
	s_nop 1
	v_cndmask_b32_e64 v1, v7, v6, s[4:5]
	s_cbranch_vccnz .LBB31_8
; %bb.7:
	global_load_dword v6, v0, s[10:11] offset:4
	s_waitcnt vmcnt(0)
	v_add_f32_e32 v1, v1, v6
.LBB31_8:
	ds_read_b32 v8, v4 offset:8
	s_mov_b32 s12, 0x800000
	s_mov_b32 s7, 0x3f317217
	;; [unrolled: 1-line block ×4, first 2 shown]
	s_waitcnt lgkmcnt(0)
	v_mul_f32_e32 v6, 0x3fb8aa3b, v8
	v_exp_f32_e32 v7, v6
	v_mov_b32_e32 v6, 0x4f800000
	s_mov_b32 s14, 0xf800000
	ds_write_b32 v4, v1 offset:4
	v_add_f32_e32 v7, 1.0, v7
	v_cmp_gt_f32_e32 vcc, s12, v7
	s_nop 1
	v_cndmask_b32_e32 v9, 1.0, v6, vcc
	v_mul_f32_e32 v7, v7, v9
	v_log_f32_e32 v9, v7
	v_mov_b32_e32 v7, 0x41b17218
	v_cndmask_b32_e32 v10, 0, v7, vcc
	v_mul_f32_e32 v11, 0x3f317217, v9
	v_fma_f32 v11, v9, s7, -v11
	v_fmac_f32_e32 v11, 0x3377d1cf, v9
	v_fmac_f32_e32 v11, 0x3f317217, v9
	v_cmp_lt_f32_e64 vcc, |v9|, s13
	s_nop 1
	v_cndmask_b32_e32 v9, v9, v11, vcc
	v_sub_f32_e32 v9, v9, v10
	v_cmp_lt_f32_e32 vcc, s6, v8
	s_nop 1
	v_cndmask_b32_e32 v8, v9, v8, vcc
	v_mul_f32_e32 v9, 0x4f800000, v8
	v_cmp_gt_f32_e32 vcc, s14, v8
	s_nop 1
	v_cndmask_b32_e32 v8, v8, v9, vcc
	v_sqrt_f32_e32 v9, v8
	s_nop 0
	v_add_u32_e32 v1, -1, v9
	v_fma_f32 v10, -v1, v9, v8
	v_cmp_ge_f32_e64 s[4:5], 0, v10
	v_add_u32_e32 v10, 1, v9
	s_nop 0
	v_cndmask_b32_e64 v1, v9, v1, s[4:5]
	v_fma_f32 v9, -v10, v9, v8
	v_cmp_lt_f32_e64 s[4:5], 0, v9
	s_nop 1
	v_cndmask_b32_e64 v1, v1, v10, s[4:5]
	v_mul_f32_e32 v9, 0x37800000, v1
	v_cndmask_b32_e32 v9, v1, v9, vcc
	v_mov_b32_e32 v1, 0x260
	v_cmp_class_f32_e64 s[4:5], v8, v1
	s_and_b64 vcc, exec, s[0:1]
	s_nop 0
	v_cndmask_b32_e64 v8, v9, v8, s[4:5]
	s_cbranch_vccnz .LBB31_10
; %bb.9:
	global_load_dword v9, v0, s[10:11] offset:8
	s_waitcnt vmcnt(0)
	v_add_f32_e32 v8, v8, v9
.LBB31_10:
	ds_read_b32 v9, v4 offset:12
	ds_write_b32 v4, v8 offset:8
	s_waitcnt lgkmcnt(1)
	v_mul_f32_e32 v10, 0x3fb8aa3b, v9
	v_exp_f32_e32 v10, v10
	s_nop 0
	v_add_f32_e32 v10, 1.0, v10
	v_cmp_gt_f32_e32 vcc, s12, v10
	s_nop 1
	v_cndmask_b32_e32 v6, 1.0, v6, vcc
	v_mul_f32_e32 v6, v10, v6
	v_log_f32_e32 v6, v6
	v_cndmask_b32_e32 v7, 0, v7, vcc
	v_mul_f32_e32 v10, 0x3f317217, v6
	v_fma_f32 v10, v6, s7, -v10
	v_fmac_f32_e32 v10, 0x3377d1cf, v6
	v_fmac_f32_e32 v10, 0x3f317217, v6
	v_cmp_lt_f32_e64 vcc, |v6|, s13
	s_nop 1
	v_cndmask_b32_e32 v6, v6, v10, vcc
	v_sub_f32_e32 v6, v6, v7
	v_cmp_lt_f32_e32 vcc, s6, v9
	s_nop 1
	v_cndmask_b32_e32 v6, v6, v9, vcc
	v_mul_f32_e32 v7, 0x4f800000, v6
	v_cmp_gt_f32_e64 s[4:5], s14, v6
	s_and_b64 vcc, exec, s[0:1]
	s_nop 0
	v_cndmask_b32_e64 v6, v6, v7, s[4:5]
	v_sqrt_f32_e32 v7, v6
	s_nop 0
	v_add_u32_e32 v8, -1, v7
	v_add_u32_e32 v9, 1, v7
	v_fma_f32 v10, -v8, v7, v6
	v_fma_f32 v11, -v9, v7, v6
	v_cmp_ge_f32_e64 s[6:7], 0, v10
	s_nop 1
	v_cndmask_b32_e64 v7, v7, v8, s[6:7]
	v_cmp_lt_f32_e64 s[6:7], 0, v11
	s_nop 1
	v_cndmask_b32_e64 v7, v7, v9, s[6:7]
	v_mul_f32_e32 v8, 0x37800000, v7
	v_cndmask_b32_e64 v7, v7, v8, s[4:5]
	v_cmp_class_f32_e64 s[4:5], v6, v1
	s_nop 1
	v_cndmask_b32_e64 v1, v7, v6, s[4:5]
	s_cbranch_vccnz .LBB31_12
; %bb.11:
	global_load_dword v0, v0, s[10:11] offset:12
	s_waitcnt vmcnt(0)
	v_add_f32_e32 v1, v1, v0
.LBB31_12:
	s_load_dwordx4 s[12:15], s[2:3], 0x30
	s_mov_b32 s31, 0
	v_cmp_eq_u32_e64 s[6:7], 0, v3
	ds_write_b32 v4, v1 offset:12
	s_waitcnt lgkmcnt(0)
	s_bitcmp1_b32 s15, 0
	s_cselect_b64 s[4:5], -1, 0
	s_cmp_gt_i32 s12, 0
	s_cselect_b64 s[24:25], -1, 0
	s_and_b64 vcc, exec, s[24:25]
	s_cbranch_vccz .LBB31_41
; %bb.13:
	v_mbcnt_lo_u32_b32 v0, -1, 0
	v_mbcnt_hi_u32_b32 v0, -1, v0
	v_and_b32_e32 v1, 0x60, v0
	v_add_u32_e32 v1, 32, v1
	v_xor_b32_e32 v6, 16, v0
	v_cmp_lt_i32_e32 vcc, v6, v1
	s_load_dwordx4 s[16:19], s[2:3], 0x20
	v_mul_lo_u32 v7, v2, s12
	v_cndmask_b32_e32 v6, v0, v6, vcc
	v_lshlrev_b32_e32 v8, 2, v6
	v_xor_b32_e32 v6, 8, v0
	v_cmp_lt_i32_e32 vcc, v6, v1
	v_mov_b32_e32 v13, 0xc61c4000
	v_mov_b32_e32 v14, 0x80
	v_cndmask_b32_e32 v6, v0, v6, vcc
	v_lshlrev_b32_e32 v9, 2, v6
	v_xor_b32_e32 v6, 4, v0
	v_cmp_lt_i32_e32 vcc, v6, v1
	v_mov_b32_e32 v15, v2
	s_nop 0
	v_cndmask_b32_e32 v6, v0, v6, vcc
	v_lshlrev_b32_e32 v10, 2, v6
	v_xor_b32_e32 v6, 2, v0
	v_cmp_lt_i32_e32 vcc, v6, v1
	s_nop 1
	v_cndmask_b32_e32 v6, v0, v6, vcc
	v_lshlrev_b32_e32 v11, 2, v6
	v_xor_b32_e32 v6, 1, v0
	v_cmp_lt_i32_e32 vcc, v6, v1
	s_nop 1
	v_cndmask_b32_e32 v0, v0, v6, vcc
	v_lshlrev_b32_e32 v12, 2, v0
	v_mov_b32_e32 v6, 0
	s_branch .LBB31_15
.LBB31_14:                              ;   in Loop: Header=BB31_15 Depth=1
	s_or_b64 exec, exec, s[2:3]
	s_cmp_eq_u32 s12, s31
	v_add_u32_e32 v15, s30, v15
	s_cbranch_scc1 .LBB31_42
.LBB31_15:                              ; =>This Inner Loop Header: Depth=1
	ds_read_b128 v[16:19], v4
	s_waitcnt lgkmcnt(0)
	v_cmp_gt_f32_e32 vcc, v17, v16
	s_nop 1
	v_cndmask_b32_e32 v1, v16, v17, vcc
	v_cndmask_b32_e64 v0, 0, 1, vcc
	v_cmp_gt_f32_e32 vcc, v18, v1
	s_nop 1
	v_cndmask_b32_e32 v1, v1, v18, vcc
	v_cndmask_b32_e64 v0, v0, 2, vcc
	v_cmp_gt_f32_e32 vcc, v19, v1
	s_nop 1
	v_cndmask_b32_e64 v0, v0, 3, vcc
	v_cndmask_b32_e32 v16, v1, v19, vcc
	ds_bpermute_b32 v1, v8, v16
	v_or_b32_e32 v0, v5, v0
	ds_bpermute_b32 v17, v8, v0
	s_waitcnt lgkmcnt(1)
	v_cmp_lt_f32_e64 s[26:27], v16, v1
	v_cmp_nlt_f32_e32 vcc, v16, v1
	s_and_saveexec_b64 s[28:29], vcc
	s_cbranch_execz .LBB31_17
; %bb.16:                               ;   in Loop: Header=BB31_15 Depth=1
	v_cmp_eq_f32_e32 vcc, v16, v1
	s_waitcnt lgkmcnt(0)
	v_cmp_lt_i32_e64 s[2:3], v17, v0
	s_and_b64 s[2:3], vcc, s[2:3]
	s_andn2_b64 s[26:27], s[26:27], exec
	s_and_b64 s[2:3], s[2:3], exec
	s_or_b64 s[26:27], s[26:27], s[2:3]
.LBB31_17:                              ;   in Loop: Header=BB31_15 Depth=1
	s_or_b64 exec, exec, s[28:29]
	s_and_saveexec_b64 s[2:3], s[26:27]
	s_cbranch_execz .LBB31_19
; %bb.18:                               ;   in Loop: Header=BB31_15 Depth=1
	v_mov_b32_e32 v16, v1
	s_waitcnt lgkmcnt(0)
	v_mov_b32_e32 v0, v17
.LBB31_19:                              ;   in Loop: Header=BB31_15 Depth=1
	s_or_b64 exec, exec, s[2:3]
	ds_bpermute_b32 v1, v9, v16
	s_waitcnt lgkmcnt(1)
	ds_bpermute_b32 v17, v9, v0
	s_waitcnt lgkmcnt(1)
	v_cmp_lt_f32_e64 s[26:27], v16, v1
	v_cmp_nlt_f32_e32 vcc, v16, v1
	s_and_saveexec_b64 s[28:29], vcc
	s_cbranch_execz .LBB31_21
; %bb.20:                               ;   in Loop: Header=BB31_15 Depth=1
	v_cmp_eq_f32_e32 vcc, v16, v1
	s_waitcnt lgkmcnt(0)
	v_cmp_lt_i32_e64 s[2:3], v17, v0
	s_and_b64 s[2:3], vcc, s[2:3]
	s_andn2_b64 s[26:27], s[26:27], exec
	s_and_b64 s[2:3], s[2:3], exec
	s_or_b64 s[26:27], s[26:27], s[2:3]
.LBB31_21:                              ;   in Loop: Header=BB31_15 Depth=1
	s_or_b64 exec, exec, s[28:29]
	s_and_saveexec_b64 s[2:3], s[26:27]
	s_cbranch_execz .LBB31_23
; %bb.22:                               ;   in Loop: Header=BB31_15 Depth=1
	v_mov_b32_e32 v16, v1
	s_waitcnt lgkmcnt(0)
	v_mov_b32_e32 v0, v17
.LBB31_23:                              ;   in Loop: Header=BB31_15 Depth=1
	s_or_b64 exec, exec, s[2:3]
	ds_bpermute_b32 v1, v10, v16
	s_waitcnt lgkmcnt(1)
	;; [unrolled: 26-line block ×4, first 2 shown]
	ds_bpermute_b32 v17, v12, v0
	s_waitcnt lgkmcnt(1)
	v_cmp_lt_f32_e64 s[26:27], v16, v1
	v_cmp_nlt_f32_e32 vcc, v16, v1
	s_and_saveexec_b64 s[28:29], vcc
	s_cbranch_execnz .LBB31_34
; %bb.32:                               ;   in Loop: Header=BB31_15 Depth=1
	s_or_b64 exec, exec, s[28:29]
	s_and_saveexec_b64 s[2:3], s[26:27]
	s_cbranch_execnz .LBB31_35
.LBB31_33:                              ;   in Loop: Header=BB31_15 Depth=1
	s_or_b64 exec, exec, s[2:3]
	s_and_saveexec_b64 s[26:27], s[6:7]
	s_cbranch_execnz .LBB31_36
	s_branch .LBB31_39
.LBB31_34:                              ;   in Loop: Header=BB31_15 Depth=1
	v_cmp_eq_f32_e32 vcc, v16, v1
	s_waitcnt lgkmcnt(0)
	v_cmp_lt_i32_e64 s[2:3], v17, v0
	s_and_b64 s[2:3], vcc, s[2:3]
	s_andn2_b64 s[26:27], s[26:27], exec
	s_and_b64 s[2:3], s[2:3], exec
	s_or_b64 s[26:27], s[26:27], s[2:3]
	s_or_b64 exec, exec, s[28:29]
	s_and_saveexec_b64 s[2:3], s[26:27]
	s_cbranch_execz .LBB31_33
.LBB31_35:                              ;   in Loop: Header=BB31_15 Depth=1
	s_waitcnt lgkmcnt(0)
	v_mov_b32_e32 v0, v17
	v_mov_b32_e32 v16, v1
	s_or_b64 exec, exec, s[2:3]
	s_and_saveexec_b64 s[26:27], s[6:7]
	s_cbranch_execz .LBB31_39
.LBB31_36:                              ;   in Loop: Header=BB31_15 Depth=1
	s_and_b64 vcc, exec, s[0:1]
	s_cbranch_vccnz .LBB31_38
; %bb.37:                               ;   in Loop: Header=BB31_15 Depth=1
	v_ashrrev_i32_e32 v1, 31, v0
	v_lshl_add_u64 v[18:19], v[0:1], 2, s[10:11]
	global_load_dword v1, v[18:19], off
	s_waitcnt vmcnt(0)
	v_sub_f32_e32 v16, v16, v1
.LBB31_38:                              ;   in Loop: Header=BB31_15 Depth=1
	v_add_u32_e32 v18, s31, v7
	v_cmp_le_i32_e32 vcc, s13, v0
	v_cmp_gt_i32_e64 s[2:3], s14, v0
	v_ashrrev_i32_e32 v19, 31, v18
	s_and_b64 s[2:3], vcc, s[2:3]
	v_lshlrev_b64 v[18:19], 2, v[18:19]
	v_lshl_add_u64 v[20:21], s[20:21], 0, v[18:19]
	v_subrev_u32_e32 v1, s13, v0
	s_and_b64 vcc, s[22:23], s[2:3]
	global_store_dword v[20:21], v16, off
	v_cndmask_b32_e32 v1, v14, v1, vcc
	v_lshl_add_u64 v[20:21], s[16:17], 0, v[18:19]
	global_store_dword v[20:21], v1, off
	v_add_f32_e32 v1, v6, v16
	v_lshl_add_u64 v[18:19], s[18:19], 0, v[18:19]
	v_cndmask_b32_e64 v6, v6, v1, s[4:5]
	global_store_dword v[18:19], v15, off
.LBB31_39:                              ;   in Loop: Header=BB31_15 Depth=1
	s_or_b64 exec, exec, s[26:27]
	v_ashrrev_i32_e32 v16, 31, v0
	v_lshrrev_b32_e32 v1, 30, v16
	s_waitcnt lgkmcnt(0)
	v_add_u32_e32 v17, v0, v1
	v_ashrrev_i32_e32 v1, 2, v17
	v_ashrrev_i32_e32 v17, 31, v17
	v_lshrrev_b32_e32 v17, 27, v17
	v_add_u32_e32 v17, v1, v17
	s_add_i32 s31, s31, 1
	v_and_b32_e32 v17, 0xffffffe0, v17
	s_cmp_lt_i32 s31, s12
	v_sub_u32_e32 v17, v1, v17
	s_cselect_b64 s[2:3], -1, 0
	v_cmp_eq_u32_e32 vcc, v3, v17
	s_and_b64 s[26:27], s[2:3], vcc
	s_and_saveexec_b64 s[2:3], s[26:27]
	s_cbranch_execz .LBB31_14
; %bb.40:                               ;   in Loop: Header=BB31_15 Depth=1
	v_lshrrev_b32_e32 v16, 25, v16
	v_add_u32_e32 v16, v0, v16
	v_lshlrev_b32_e32 v1, 2, v1
	v_ashrrev_i32_e32 v16, 7, v16
	v_sub_u32_e32 v0, v0, v1
	v_lshl_add_u32 v0, v16, 2, v0
	v_lshl_add_u32 v0, v0, 2, v4
	ds_write_b32 v0, v13
	s_branch .LBB31_14
.LBB31_41:
	v_mov_b32_e32 v6, 0
.LBB31_42:
	v_cmp_eq_u32_e32 vcc, 0, v3
	s_and_b64 exec, exec, vcc
	s_cbranch_execz .LBB31_55
; %bb.43:
	s_andn2_b64 vcc, exec, s[4:5]
	v_cvt_f32_f64_e32 v0, s[8:9]
	s_cbranch_vccnz .LBB31_45
; %bb.44:
	v_cmp_lt_f32_e32 vcc, 0, v6
	s_nop 1
	v_cndmask_b32_e32 v1, 1.0, v6, vcc
	v_div_scale_f32 v3, s[0:1], v1, v1, v0
	v_rcp_f32_e32 v4, v3
	s_nop 0
	v_fma_f32 v5, -v3, v4, 1.0
	v_fmac_f32_e32 v4, v5, v4
	v_div_scale_f32 v5, vcc, v0, v1, v0
	v_mul_f32_e32 v6, v5, v4
	v_fma_f32 v7, -v3, v6, v5
	v_fmac_f32_e32 v6, v7, v4
	v_fma_f32 v3, -v3, v6, v5
	v_div_fmas_f32 v3, v3, v4, v6
	v_div_fixup_f32 v0, v3, v1, v0
.LBB31_45:
	s_andn2_b64 vcc, exec, s[24:25]
	s_cbranch_vccnz .LBB31_55
; %bb.46:
	v_mul_lo_u32 v2, v2, s12
	s_cmp_gt_u32 s12, 3
	v_ashrrev_i32_e32 v3, 31, v2
	s_cbranch_scc0 .LBB31_50
; %bb.47:
	s_and_b32 s0, s12, 0x7ffffffc
	v_lshl_add_u64 v[4:5], v[2:3], 2, s[20:21]
	v_mov_b32_e32 v1, v0
	v_lshl_add_u64 v[4:5], v[4:5], 0, 8
	s_mov_b32 s1, s0
.LBB31_48:                              ; =>This Inner Loop Header: Depth=1
	global_load_dwordx4 v[6:9], v[4:5], off offset:-8
	s_add_i32 s1, s1, -4
	s_cmp_lg_u32 s1, 0
	s_waitcnt vmcnt(0)
	v_pk_mul_f32 v[6:7], v[0:1], v[6:7]
	v_pk_mul_f32 v[8:9], v[0:1], v[8:9]
	global_store_dwordx4 v[4:5], v[6:9], off offset:-8
	v_lshl_add_u64 v[4:5], v[4:5], 0, 16
	s_cbranch_scc1 .LBB31_48
; %bb.49:
	s_cmp_lg_u32 s0, s12
	s_cselect_b64 s[2:3], -1, 0
	s_branch .LBB31_52
.LBB31_50:
	s_mov_b64 s[2:3], 0
                                        ; implicit-def: $sgpr0
	s_cbranch_execz .LBB31_52
; %bb.51:
	s_mov_b64 s[2:3], -1
	s_mov_b32 s0, 0
.LBB31_52:
	s_andn2_b64 vcc, exec, s[2:3]
	s_cbranch_vccnz .LBB31_55
; %bb.53:
	s_mov_b32 s1, 0
	v_lshl_add_u64 v[2:3], v[2:3], 0, s[0:1]
	s_sub_i32 s2, s12, s0
	v_lshl_add_u64 v[2:3], v[2:3], 2, s[20:21]
.LBB31_54:                              ; =>This Inner Loop Header: Depth=1
	global_load_dword v1, v[2:3], off
	s_add_i32 s2, s2, -1
	s_cmp_lg_u32 s2, 0
	s_waitcnt vmcnt(0)
	v_mul_f32_e32 v1, v0, v1
	global_store_dword v[2:3], v1, off
	v_lshl_add_u64 v[2:3], v[2:3], 0, 4
	s_cbranch_scc1 .LBB31_54
.LBB31_55:
	s_endpgm
	.section	.rodata,"a",@progbits
	.p2align	6, 0x0
	.amdhsa_kernel _ZN4vllm3moe22topkGatingSoftplusSqrtILi4ELi128ELi4ELi16ELi32ELb0EifEEvPKT6_PKbPfiPT5_PiiiibdPKfPKS8_SE_
		.amdhsa_group_segment_fixed_size 2048
		.amdhsa_private_segment_fixed_size 0
		.amdhsa_kernarg_size 96
		.amdhsa_user_sgpr_count 4
		.amdhsa_user_sgpr_dispatch_ptr 1
		.amdhsa_user_sgpr_queue_ptr 0
		.amdhsa_user_sgpr_kernarg_segment_ptr 1
		.amdhsa_user_sgpr_dispatch_id 0
		.amdhsa_user_sgpr_kernarg_preload_length 0
		.amdhsa_user_sgpr_kernarg_preload_offset 0
		.amdhsa_user_sgpr_private_segment_size 0
		.amdhsa_uses_dynamic_stack 0
		.amdhsa_enable_private_segment 0
		.amdhsa_system_sgpr_workgroup_id_x 1
		.amdhsa_system_sgpr_workgroup_id_y 0
		.amdhsa_system_sgpr_workgroup_id_z 0
		.amdhsa_system_sgpr_workgroup_info 0
		.amdhsa_system_vgpr_workitem_id 2
		.amdhsa_next_free_vgpr 22
		.amdhsa_next_free_sgpr 32
		.amdhsa_accum_offset 24
		.amdhsa_reserve_vcc 1
		.amdhsa_float_round_mode_32 0
		.amdhsa_float_round_mode_16_64 0
		.amdhsa_float_denorm_mode_32 3
		.amdhsa_float_denorm_mode_16_64 3
		.amdhsa_dx10_clamp 1
		.amdhsa_ieee_mode 1
		.amdhsa_fp16_overflow 0
		.amdhsa_tg_split 0
		.amdhsa_exception_fp_ieee_invalid_op 0
		.amdhsa_exception_fp_denorm_src 0
		.amdhsa_exception_fp_ieee_div_zero 0
		.amdhsa_exception_fp_ieee_overflow 0
		.amdhsa_exception_fp_ieee_underflow 0
		.amdhsa_exception_fp_ieee_inexact 0
		.amdhsa_exception_int_div_zero 0
	.end_amdhsa_kernel
	.section	.text._ZN4vllm3moe22topkGatingSoftplusSqrtILi4ELi128ELi4ELi16ELi32ELb0EifEEvPKT6_PKbPfiPT5_PiiiibdPKfPKS8_SE_,"axG",@progbits,_ZN4vllm3moe22topkGatingSoftplusSqrtILi4ELi128ELi4ELi16ELi32ELb0EifEEvPKT6_PKbPfiPT5_PiiiibdPKfPKS8_SE_,comdat
.Lfunc_end31:
	.size	_ZN4vllm3moe22topkGatingSoftplusSqrtILi4ELi128ELi4ELi16ELi32ELb0EifEEvPKT6_PKbPfiPT5_PiiiibdPKfPKS8_SE_, .Lfunc_end31-_ZN4vllm3moe22topkGatingSoftplusSqrtILi4ELi128ELi4ELi16ELi32ELb0EifEEvPKT6_PKbPfiPT5_PiiiibdPKfPKS8_SE_
                                        ; -- End function
	.section	.AMDGPU.csdata,"",@progbits
; Kernel info:
; codeLenInByte = 2988
; NumSgprs: 38
; NumVgprs: 22
; NumAgprs: 0
; TotalNumVgprs: 22
; ScratchSize: 0
; MemoryBound: 0
; FloatMode: 240
; IeeeMode: 1
; LDSByteSize: 2048 bytes/workgroup (compile time only)
; SGPRBlocks: 4
; VGPRBlocks: 2
; NumSGPRsForWavesPerEU: 38
; NumVGPRsForWavesPerEU: 22
; AccumOffset: 24
; Occupancy: 8
; WaveLimiterHint : 0
; COMPUTE_PGM_RSRC2:SCRATCH_EN: 0
; COMPUTE_PGM_RSRC2:USER_SGPR: 4
; COMPUTE_PGM_RSRC2:TRAP_HANDLER: 0
; COMPUTE_PGM_RSRC2:TGID_X_EN: 1
; COMPUTE_PGM_RSRC2:TGID_Y_EN: 0
; COMPUTE_PGM_RSRC2:TGID_Z_EN: 0
; COMPUTE_PGM_RSRC2:TIDIG_COMP_CNT: 2
; COMPUTE_PGM_RSRC3_GFX90A:ACCUM_OFFSET: 5
; COMPUTE_PGM_RSRC3_GFX90A:TG_SPLIT: 0
	.section	.text._ZN4vllm3moe22topkGatingSoftplusSqrtILi4ELi256ELi4ELi16ELi64ELb1EifEEvPKT6_PKbPfiPT5_PiiiibdPKfPKS8_SE_,"axG",@progbits,_ZN4vllm3moe22topkGatingSoftplusSqrtILi4ELi256ELi4ELi16ELi64ELb1EifEEvPKT6_PKbPfiPT5_PiiiibdPKfPKS8_SE_,comdat
	.protected	_ZN4vllm3moe22topkGatingSoftplusSqrtILi4ELi256ELi4ELi16ELi64ELb1EifEEvPKT6_PKbPfiPT5_PiiiibdPKfPKS8_SE_ ; -- Begin function _ZN4vllm3moe22topkGatingSoftplusSqrtILi4ELi256ELi4ELi16ELi64ELb1EifEEvPKT6_PKbPfiPT5_PiiiibdPKfPKS8_SE_
	.globl	_ZN4vllm3moe22topkGatingSoftplusSqrtILi4ELi256ELi4ELi16ELi64ELb1EifEEvPKT6_PKbPfiPT5_PiiiibdPKfPKS8_SE_
	.p2align	8
	.type	_ZN4vllm3moe22topkGatingSoftplusSqrtILi4ELi256ELi4ELi16ELi64ELb1EifEEvPKT6_PKbPfiPT5_PiiiibdPKfPKS8_SE_,@function
_ZN4vllm3moe22topkGatingSoftplusSqrtILi4ELi256ELi4ELi16ELi64ELb1EifEEvPKT6_PKbPfiPT5_PiiiibdPKfPKS8_SE_: ; @_ZN4vllm3moe22topkGatingSoftplusSqrtILi4ELi256ELi4ELi16ELi64ELb1EifEEvPKT6_PKbPfiPT5_PiiiibdPKfPKS8_SE_
; %bb.0:
	s_load_dword s3, s[0:1], 0x18
	v_and_b32_e32 v8, 0x3ff, v0
	s_lshl_b32 s2, s2, 2
	v_lshrrev_b32_e32 v1, 6, v8
	v_bfe_u32 v0, v0, 10, 10
	v_add3_u32 v2, s2, v0, v1
	s_waitcnt lgkmcnt(0)
	v_cmp_gt_i32_e32 vcc, s3, v2
	s_and_saveexec_b64 s[2:3], vcc
	s_cbranch_execz .LBB32_79
; %bb.1:
	s_load_dwordx2 s[2:3], s[0:1], 0x0
	s_load_dword s20, s[0:1], 0x30
	s_load_dwordx4 s[8:11], s[0:1], 0x50
	v_lshlrev_b32_e32 v0, 8, v2
	v_lshlrev_b32_e32 v3, 2, v8
	v_ashrrev_i32_e32 v1, 31, v0
	v_and_b32_e32 v12, 0xfc, v3
	s_waitcnt lgkmcnt(0)
	v_lshl_add_u64 v[0:1], v[0:1], 2, s[2:3]
	v_lshlrev_b32_e32 v6, 2, v12
	v_mov_b32_e32 v7, 0
	v_lshl_add_u64 v[0:1], v[0:1], 0, v[6:7]
	global_load_dwordx4 v[14:17], v[0:1], off
	v_mov_b32_e32 v0, s8
	v_mov_b32_e32 v1, s9
	v_ashrrev_i32_e32 v3, 31, v2
	v_lshl_add_u64 v[0:1], v[2:3], 2, v[0:1]
	global_load_dword v0, v[0:1], off
	s_mov_b32 s6, 0x800000
	v_mov_b32_e32 v3, 0x4f800000
	s_mov_b32 s12, 0x3f317217
	s_mov_b32 s13, 0x7f800000
	v_mov_b32_e32 v6, 0x41b17218
	s_mov_b32 s9, 0x41a00000
	s_mov_b32 s14, 0xf800000
	v_mov_b32_e32 v9, 0x260
	s_cmp_gt_i32 s20, 0
	s_mov_b32 s8, 0
	v_mul_lo_u32 v2, v2, s20
	s_waitcnt vmcnt(1)
	v_mul_f32_e32 v1, 0x3fb8aa3b, v14
	v_mul_f32_e32 v5, 0x3fb8aa3b, v15
	v_exp_f32_e32 v4, v1
	v_exp_f32_e32 v5, v5
	v_mul_f32_e32 v10, 0x3fb8aa3b, v16
	v_mul_f32_e32 v11, 0x3fb8aa3b, v17
	v_exp_f32_e32 v10, v10
	v_exp_f32_e32 v11, v11
	v_pk_add_f32 v[4:5], v[4:5], 1.0 op_sel_hi:[1,0]
	s_waitcnt vmcnt(0)
	v_mul_lo_u32 v0, v0, s20
	v_cmp_gt_f32_e32 vcc, s6, v5
	v_pk_add_f32 v[10:11], v[10:11], 1.0 op_sel_hi:[1,0]
	v_cmp_gt_f32_e64 s[2:3], s6, v4
	v_cndmask_b32_e32 v13, 1.0, v3, vcc
	v_cmp_gt_f32_e64 s[4:5], s6, v11
	v_cndmask_b32_e64 v18, 1.0, v3, s[2:3]
	v_mul_f32_e32 v5, v5, v13
	v_cndmask_b32_e64 v19, 1.0, v3, s[4:5]
	v_cmp_gt_f32_e64 s[6:7], s6, v10
	v_mul_f32_e32 v4, v4, v18
	v_log_f32_e32 v5, v5
	v_cndmask_b32_e64 v3, 1.0, v3, s[6:7]
	v_mul_f32_e32 v11, v11, v19
	v_log_f32_e32 v4, v4
	v_mul_f32_e32 v3, v10, v3
	v_log_f32_e32 v10, v11
	v_mul_f32_e32 v11, 0x3f317217, v5
	v_mul_f32_e32 v20, 0x3f317217, v4
	v_fma_f32 v11, v5, s12, -v11
	v_mul_f32_e32 v21, 0x3f317217, v10
	v_fma_f32 v20, v4, s12, -v20
	v_fmac_f32_e32 v11, 0x3377d1cf, v5
	v_cndmask_b32_e32 v13, 0, v6, vcc
	v_fma_f32 v21, v10, s12, -v21
	v_fmac_f32_e32 v20, 0x3377d1cf, v4
	v_fmac_f32_e32 v11, 0x3f317217, v5
	v_cmp_lt_f32_e64 vcc, |v5|, s13
	v_fmac_f32_e32 v21, 0x3377d1cf, v10
	v_fmac_f32_e32 v20, 0x3f317217, v4
	v_cndmask_b32_e32 v5, v5, v11, vcc
	v_cmp_lt_f32_e64 vcc, |v4|, s13
	v_cndmask_b32_e64 v18, 0, v6, s[2:3]
	v_fmac_f32_e32 v21, 0x3f317217, v10
	v_cndmask_b32_e32 v4, v4, v20, vcc
	v_cmp_lt_f32_e64 vcc, |v10|, s13
	v_sub_f32_e32 v4, v4, v18
	v_sub_f32_e32 v5, v5, v13
	v_cndmask_b32_e32 v10, v10, v21, vcc
	v_cmp_lt_f32_e32 vcc, s9, v14
	v_cndmask_b32_e64 v19, 0, v6, s[4:5]
	v_log_f32_e32 v3, v3
	v_cndmask_b32_e32 v4, v4, v14, vcc
	v_cmp_lt_f32_e32 vcc, s9, v15
	v_mul_f32_e32 v13, 0x4f800000, v4
	v_cmp_gt_f32_e64 s[2:3], s14, v4
	v_cndmask_b32_e32 v5, v5, v15, vcc
	v_mul_f32_e32 v11, 0x4f800000, v5
	v_cmp_gt_f32_e32 vcc, s14, v5
	v_cndmask_b32_e64 v4, v4, v13, s[2:3]
	v_sqrt_f32_e32 v13, v4
	v_cndmask_b32_e32 v5, v5, v11, vcc
	v_sqrt_f32_e32 v11, v5
	v_sub_f32_e32 v10, v10, v19
	v_add_u32_e32 v18, -1, v13
	v_fma_f32 v23, -v18, v13, v4
	v_add_u32_e32 v14, -1, v11
	v_fma_f32 v20, -v14, v11, v5
	v_add_u32_e32 v15, 1, v11
	v_cmp_ge_f32_e64 s[4:5], 0, v20
	v_add_u32_e32 v19, 1, v13
	v_fma_f32 v21, -v15, v11, v5
	v_cndmask_b32_e64 v11, v11, v14, s[4:5]
	v_cmp_ge_f32_e64 s[4:5], 0, v23
	v_fma_f32 v24, -v19, v13, v4
	v_mul_f32_e32 v22, 0x3f317217, v3
	v_cndmask_b32_e64 v13, v13, v18, s[4:5]
	v_cmp_lt_f32_e64 s[4:5], 0, v21
	v_fma_f32 v22, v3, s12, -v22
	v_fmac_f32_e32 v22, 0x3377d1cf, v3
	v_cndmask_b32_e64 v11, v11, v15, s[4:5]
	v_cmp_lt_f32_e64 s[4:5], 0, v24
	v_mul_f32_e32 v14, 0x37800000, v11
	v_cndmask_b32_e32 v11, v11, v14, vcc
	v_cndmask_b32_e64 v13, v13, v19, s[4:5]
	v_mul_f32_e32 v15, 0x37800000, v13
	v_cmp_class_f32_e32 vcc, v5, v9
	v_cndmask_b32_e64 v13, v13, v15, s[2:3]
	v_fmac_f32_e32 v22, 0x3f317217, v3
	v_cndmask_b32_e32 v15, v11, v5, vcc
	v_cmp_class_f32_e32 vcc, v4, v9
	v_cmp_lt_f32_e64 s[2:3], s9, v16
	v_ashrrev_i32_e32 v1, 31, v0
	v_cndmask_b32_e32 v14, v13, v4, vcc
	v_cmp_lt_f32_e64 vcc, |v3|, s13
	v_cndmask_b32_e64 v4, 0, v6, s[6:7]
	s_cselect_b64 s[4:5], -1, 0
	v_cndmask_b32_e32 v3, v3, v22, vcc
	v_cmp_lt_f32_e32 vcc, s9, v17
	v_sub_f32_e32 v3, v3, v4
	v_cndmask_b32_e64 v3, v3, v16, s[2:3]
	v_cndmask_b32_e32 v5, v10, v17, vcc
	v_mul_f32_e32 v6, 0x4f800000, v5
	v_cmp_gt_f32_e32 vcc, s14, v5
	s_cmp_lt_i32 s20, 1
	s_nop 0
	v_cndmask_b32_e32 v5, v5, v6, vcc
	v_sqrt_f32_e32 v6, v5
	s_nop 0
	v_add_u32_e32 v4, -1, v6
	v_fma_f32 v10, -v4, v6, v5
	v_cmp_ge_f32_e64 s[2:3], 0, v10
	v_add_u32_e32 v10, 1, v6
	s_nop 0
	v_cndmask_b32_e64 v4, v6, v4, s[2:3]
	v_fma_f32 v6, -v10, v6, v5
	v_cmp_lt_f32_e64 s[2:3], 0, v6
	s_nop 1
	v_cndmask_b32_e64 v4, v4, v10, s[2:3]
	v_mul_f32_e32 v10, 0x4f800000, v3
	v_cmp_gt_f32_e64 s[2:3], s14, v3
	v_mul_f32_e32 v6, 0x37800000, v4
	v_cndmask_b32_e32 v4, v4, v6, vcc
	v_cndmask_b32_e64 v3, v3, v10, s[2:3]
	v_sqrt_f32_e32 v10, v3
	v_cmp_class_f32_e32 vcc, v5, v9
	s_nop 1
	v_cndmask_b32_e32 v17, v4, v5, vcc
	v_add_u32_e32 v4, -1, v10
	v_fma_f32 v5, -v4, v10, v3
	v_cmp_ge_f32_e32 vcc, 0, v5
	v_add_u32_e32 v5, 1, v10
	v_fma_f32 v6, -v5, v10, v3
	v_cndmask_b32_e32 v4, v10, v4, vcc
	v_cmp_lt_f32_e32 vcc, 0, v6
	s_nop 1
	v_cndmask_b32_e32 v4, v4, v5, vcc
	v_mul_f32_e32 v5, 0x37800000, v4
	v_cndmask_b32_e64 v4, v4, v5, s[2:3]
	v_cmp_class_f32_e32 vcc, v3, v9
	s_nop 1
	v_cndmask_b32_e32 v16, v4, v3, vcc
	v_lshl_add_u64 v[4:5], v[0:1], 2, s[10:11]
	scratch_store_dwordx4 off, v[14:17], off
	s_cbranch_scc1 .LBB32_28
; %bb.2:
	s_load_dwordx2 s[6:7], s[0:1], 0x20
	s_cmp_lt_u32 s20, 4
	v_and_b32_e32 v6, 63, v8
	s_cbranch_scc1 .LBB32_21
; %bb.3:
	v_lshlrev_b32_e32 v7, 2, v6
	s_mov_b32 s13, 0
	s_and_b32 s8, s20, 0x7ffffffc
	v_ashrrev_i32_e32 v3, 31, v2
	v_sub_u32_e32 v13, 0, v7
	v_mov_b32_e32 v7, 0
	s_mov_b32 s12, s13
	s_branch .LBB32_5
.LBB32_4:                               ;   in Loop: Header=BB32_5 Depth=1
	s_or_b64 exec, exec, s[14:15]
	s_add_i32 s12, s12, 4
	s_cmp_eq_u32 s12, s8
	s_cbranch_scc1 .LBB32_21
.LBB32_5:                               ; =>This Loop Header: Depth=1
                                        ;     Child Loop BB32_7 Depth 2
                                        ;     Child Loop BB32_11 Depth 2
	;; [unrolled: 1-line block ×4, first 2 shown]
	v_lshl_add_u64 v[8:9], s[12:13], 2, v[4:5]
	global_load_dword v14, v[8:9], off
	v_add_u32_e32 v10, s12, v2
	v_ashrrev_i32_e32 v11, 31, v10
	v_mov_b32_e32 v15, 0
	s_mov_b64 s[14:15], 0
	s_waitcnt lgkmcnt(0)
	v_lshl_add_u64 v[10:11], v[10:11], 2, s[6:7]
	s_mov_b32 s9, 0
	s_waitcnt vmcnt(0)
	v_add_u32_e32 v16, v13, v14
	s_branch .LBB32_7
.LBB32_6:                               ;   in Loop: Header=BB32_7 Depth=2
	s_or_b64 exec, exec, s[16:17]
	s_add_i32 s18, s9, 1
	s_cmp_gt_u32 s9, 2
	s_cselect_b64 s[2:3], -1, 0
	s_xor_b64 s[16:17], vcc, -1
	s_or_b64 s[2:3], s[16:17], s[2:3]
	s_and_b64 s[2:3], exec, s[2:3]
	v_add_u32_e32 v15, 4, v15
	s_or_b64 s[14:15], s[2:3], s[14:15]
	s_mov_b32 s9, s18
	s_andn2_b64 exec, exec, s[14:15]
	s_cbranch_execz .LBB32_9
.LBB32_7:                               ;   Parent Loop BB32_5 Depth=1
                                        ; =>  This Inner Loop Header: Depth=2
	v_cmp_ne_u32_e32 vcc, s9, v16
	v_cmp_eq_u32_e64 s[2:3], s9, v16
	s_and_saveexec_b64 s[16:17], s[2:3]
	s_cbranch_execz .LBB32_6
; %bb.8:                                ;   in Loop: Header=BB32_7 Depth=2
	scratch_load_dword v17, v15, off
	s_waitcnt vmcnt(0)
	v_add_f32_e32 v7, v7, v17
	global_store_dword v[10:11], v14, off
	s_branch .LBB32_6
.LBB32_9:                               ;   in Loop: Header=BB32_5 Depth=1
	s_or_b64 exec, exec, s[14:15]
	global_load_dword v14, v[8:9], off offset:4
	s_ashr_i32 s3, s12, 31
	s_mov_b32 s2, s12
	v_lshl_add_u64 v[10:11], s[2:3], 0, v[2:3]
	v_mov_b32_e32 v15, 0
	s_mov_b32 s9, 0
	v_lshl_add_u64 v[10:11], v[10:11], 2, s[6:7]
	s_mov_b64 s[14:15], 0
	s_waitcnt vmcnt(0)
	v_add_u32_e32 v16, v13, v14
	s_branch .LBB32_11
.LBB32_10:                              ;   in Loop: Header=BB32_11 Depth=2
	s_or_b64 exec, exec, s[16:17]
	s_add_i32 s18, s9, 1
	s_cmp_gt_u32 s9, 2
	s_cselect_b64 s[2:3], -1, 0
	s_xor_b64 s[16:17], vcc, -1
	s_or_b64 s[2:3], s[16:17], s[2:3]
	s_and_b64 s[2:3], exec, s[2:3]
	v_add_u32_e32 v15, 4, v15
	s_or_b64 s[14:15], s[2:3], s[14:15]
	s_mov_b32 s9, s18
	s_andn2_b64 exec, exec, s[14:15]
	s_cbranch_execz .LBB32_13
.LBB32_11:                              ;   Parent Loop BB32_5 Depth=1
                                        ; =>  This Inner Loop Header: Depth=2
	v_cmp_ne_u32_e32 vcc, s9, v16
	v_cmp_eq_u32_e64 s[2:3], s9, v16
	s_and_saveexec_b64 s[16:17], s[2:3]
	s_cbranch_execz .LBB32_10
; %bb.12:                               ;   in Loop: Header=BB32_11 Depth=2
	scratch_load_dword v17, v15, off
	s_waitcnt vmcnt(0)
	v_add_f32_e32 v7, v7, v17
	global_store_dword v[10:11], v14, off offset:4
	s_branch .LBB32_10
.LBB32_13:                              ;   in Loop: Header=BB32_5 Depth=1
	s_or_b64 exec, exec, s[14:15]
	global_load_dword v14, v[8:9], off offset:8
	v_mov_b32_e32 v15, 0
	s_mov_b32 s9, 0
	s_mov_b64 s[14:15], 0
	s_waitcnt vmcnt(0)
	v_add_u32_e32 v16, v13, v14
	s_branch .LBB32_15
.LBB32_14:                              ;   in Loop: Header=BB32_15 Depth=2
	s_or_b64 exec, exec, s[16:17]
	s_add_i32 s18, s9, 1
	s_cmp_gt_u32 s9, 2
	s_cselect_b64 s[2:3], -1, 0
	s_xor_b64 s[16:17], vcc, -1
	s_or_b64 s[2:3], s[16:17], s[2:3]
	s_and_b64 s[2:3], exec, s[2:3]
	v_add_u32_e32 v15, 4, v15
	s_or_b64 s[14:15], s[2:3], s[14:15]
	s_mov_b32 s9, s18
	s_andn2_b64 exec, exec, s[14:15]
	s_cbranch_execz .LBB32_17
.LBB32_15:                              ;   Parent Loop BB32_5 Depth=1
                                        ; =>  This Inner Loop Header: Depth=2
	v_cmp_ne_u32_e32 vcc, s9, v16
	v_cmp_eq_u32_e64 s[2:3], s9, v16
	s_and_saveexec_b64 s[16:17], s[2:3]
	s_cbranch_execz .LBB32_14
; %bb.16:                               ;   in Loop: Header=BB32_15 Depth=2
	scratch_load_dword v17, v15, off
	s_waitcnt vmcnt(0)
	v_add_f32_e32 v7, v7, v17
	global_store_dword v[10:11], v14, off offset:8
	s_branch .LBB32_14
.LBB32_17:                              ;   in Loop: Header=BB32_5 Depth=1
	s_or_b64 exec, exec, s[14:15]
	global_load_dword v8, v[8:9], off offset:12
	v_mov_b32_e32 v9, 0
	s_mov_b32 s9, 0
	s_mov_b64 s[14:15], 0
	s_waitcnt vmcnt(0)
	v_add_u32_e32 v14, v13, v8
	s_branch .LBB32_19
.LBB32_18:                              ;   in Loop: Header=BB32_19 Depth=2
	s_or_b64 exec, exec, s[16:17]
	s_add_i32 s18, s9, 1
	s_cmp_gt_u32 s9, 2
	s_cselect_b64 s[2:3], -1, 0
	s_xor_b64 s[16:17], vcc, -1
	s_or_b64 s[2:3], s[16:17], s[2:3]
	s_and_b64 s[2:3], exec, s[2:3]
	v_add_u32_e32 v9, 4, v9
	s_or_b64 s[14:15], s[2:3], s[14:15]
	s_mov_b32 s9, s18
	s_andn2_b64 exec, exec, s[14:15]
	s_cbranch_execz .LBB32_4
.LBB32_19:                              ;   Parent Loop BB32_5 Depth=1
                                        ; =>  This Inner Loop Header: Depth=2
	v_cmp_ne_u32_e32 vcc, s9, v14
	v_cmp_eq_u32_e64 s[2:3], s9, v14
	s_and_saveexec_b64 s[16:17], s[2:3]
	s_cbranch_execz .LBB32_18
; %bb.20:                               ;   in Loop: Header=BB32_19 Depth=2
	scratch_load_dword v15, v9, off
	s_waitcnt vmcnt(0)
	v_add_f32_e32 v7, v7, v15
	global_store_dword v[10:11], v8, off offset:12
	s_branch .LBB32_18
.LBB32_21:
	s_and_b32 s16, s20, 3
	s_cmp_eq_u32 s16, 0
	s_mov_b32 s9, 0
	s_cbranch_scc1 .LBB32_28
; %bb.22:
	v_lshlrev_b32_e32 v3, 2, v6
	v_sub_u32_e32 v3, 0, v3
	s_mov_b32 s17, s9
	s_branch .LBB32_24
.LBB32_23:                              ;   in Loop: Header=BB32_24 Depth=1
	s_or_b64 exec, exec, s[12:13]
	s_add_i32 s8, s8, 1
	s_add_i32 s17, s17, 1
	s_cmp_lg_u32 s17, s16
	s_cbranch_scc0 .LBB32_28
.LBB32_24:                              ; =>This Loop Header: Depth=1
                                        ;     Child Loop BB32_26 Depth 2
	v_lshl_add_u64 v[8:9], s[8:9], 2, v[4:5]
	global_load_dword v6, v[8:9], off
	v_add_u32_e32 v8, s8, v2
	v_ashrrev_i32_e32 v9, 31, v8
	v_mov_b32_e32 v10, 0
	s_mov_b32 s18, 0
	s_waitcnt lgkmcnt(0)
	v_lshl_add_u64 v[8:9], v[8:9], 2, s[6:7]
	s_mov_b64 s[12:13], 0
	s_waitcnt vmcnt(0)
	v_add_u32_e32 v11, v3, v6
	s_branch .LBB32_26
.LBB32_25:                              ;   in Loop: Header=BB32_26 Depth=2
	s_or_b64 exec, exec, s[14:15]
	s_add_i32 s19, s18, 1
	s_cmp_gt_u32 s18, 2
	s_cselect_b64 s[2:3], -1, 0
	s_xor_b64 s[14:15], vcc, -1
	s_or_b64 s[2:3], s[14:15], s[2:3]
	s_and_b64 s[2:3], exec, s[2:3]
	v_add_u32_e32 v10, 4, v10
	s_or_b64 s[12:13], s[2:3], s[12:13]
	s_mov_b32 s18, s19
	s_andn2_b64 exec, exec, s[12:13]
	s_cbranch_execz .LBB32_23
.LBB32_26:                              ;   Parent Loop BB32_24 Depth=1
                                        ; =>  This Inner Loop Header: Depth=2
	v_cmp_ne_u32_e32 vcc, s18, v11
	v_cmp_eq_u32_e64 s[2:3], s18, v11
	s_and_saveexec_b64 s[14:15], s[2:3]
	s_cbranch_execz .LBB32_25
; %bb.27:                               ;   in Loop: Header=BB32_26 Depth=2
	scratch_load_dword v13, v10, off
	s_waitcnt vmcnt(0)
	v_add_f32_e32 v7, v7, v13
	global_store_dword v[8:9], v6, off
	s_branch .LBB32_25
.LBB32_28:
	s_waitcnt lgkmcnt(0)
	s_load_dword s6, s[0:1], 0x3c
	s_waitcnt lgkmcnt(0)
	s_bitcmp1_b32 s6, 0
	s_cselect_b64 s[2:3], -1, 0
	s_bitcmp0_b32 s6, 0
	s_cbranch_scc0 .LBB32_31
; %bb.29:
	s_load_dwordx2 s[6:7], s[0:1], 0x40
	s_andn2_b64 vcc, exec, s[2:3]
	s_waitcnt lgkmcnt(0)
	v_cvt_f32_f64_e32 v10, s[6:7]
	s_cbranch_vccz .LBB32_32
.LBB32_30:
	s_andn2_b64 vcc, exec, s[4:5]
	s_cbranch_vccz .LBB32_33
	s_branch .LBB32_79
.LBB32_31:
	v_mbcnt_lo_u32_b32 v3, -1, 0
	v_mbcnt_hi_u32_b32 v3, -1, v3
	v_and_b32_e32 v6, 64, v3
	v_add_u32_e32 v6, 64, v6
	v_xor_b32_e32 v8, 32, v3
	v_cmp_lt_i32_e32 vcc, v8, v6
	v_xor_b32_e32 v9, 16, v3
	s_nop 0
	v_cndmask_b32_e32 v8, v3, v8, vcc
	v_lshlrev_b32_e32 v8, 2, v8
	ds_bpermute_b32 v8, v8, v7
	v_cmp_lt_i32_e32 vcc, v9, v6
	s_waitcnt lgkmcnt(0)
	v_add_f32_e32 v7, v7, v8
	v_cndmask_b32_e32 v8, v3, v9, vcc
	v_lshlrev_b32_e32 v8, 2, v8
	ds_bpermute_b32 v8, v8, v7
	v_xor_b32_e32 v9, 8, v3
	v_cmp_lt_i32_e32 vcc, v9, v6
	s_waitcnt lgkmcnt(0)
	v_add_f32_e32 v7, v7, v8
	v_cndmask_b32_e32 v8, v3, v9, vcc
	v_lshlrev_b32_e32 v8, 2, v8
	ds_bpermute_b32 v8, v8, v7
	v_xor_b32_e32 v9, 4, v3
	;; [unrolled: 7-line block ×4, first 2 shown]
	v_cmp_lt_i32_e32 vcc, v9, v6
	s_waitcnt lgkmcnt(0)
	v_add_f32_e32 v7, v7, v8
	v_cndmask_b32_e32 v3, v3, v9, vcc
	v_lshlrev_b32_e32 v3, 2, v3
	ds_bpermute_b32 v3, v3, v7
	s_waitcnt lgkmcnt(0)
	v_add_f32_e32 v7, v7, v3
	s_load_dwordx2 s[6:7], s[0:1], 0x40
	s_andn2_b64 vcc, exec, s[2:3]
	s_waitcnt lgkmcnt(0)
	v_cvt_f32_f64_e32 v10, s[6:7]
	s_cbranch_vccnz .LBB32_30
.LBB32_32:
	v_cmp_lt_f32_e32 vcc, 0, v7
	s_nop 1
	v_cndmask_b32_e32 v3, 1.0, v7, vcc
	v_div_scale_f32 v6, s[2:3], v3, v3, v10
	v_rcp_f32_e32 v7, v6
	s_nop 0
	v_fma_f32 v8, -v6, v7, 1.0
	v_fmac_f32_e32 v7, v8, v7
	v_div_scale_f32 v8, vcc, v10, v3, v10
	v_mul_f32_e32 v9, v8, v7
	v_fma_f32 v11, -v6, v9, v8
	v_fmac_f32_e32 v9, v11, v7
	v_fma_f32 v6, -v6, v9, v8
	v_div_fmas_f32 v6, v6, v7, v9
	v_div_fixup_f32 v10, v6, v3, v10
	s_andn2_b64 vcc, exec, s[4:5]
	s_cbranch_vccnz .LBB32_79
.LBB32_33:
	s_load_dwordx2 s[4:5], s[0:1], 0x10
	v_mov_b32_e32 v3, 0
	v_or_b32_e32 v11, 4, v3
	v_or_b32_e32 v13, 8, v3
	;; [unrolled: 1-line block ×6, first 2 shown]
	s_cmp_lt_u32 s20, 4
	s_mov_b32 s6, 0
	s_cbranch_scc1 .LBB32_68
; %bb.34:
	v_ashrrev_i32_e32 v3, 31, v2
	s_and_b32 s6, s20, 0x7ffffffc
	s_waitcnt lgkmcnt(0)
	v_lshl_add_u64 v[6:7], v[2:3], 2, s[4:5]
	s_mov_b32 s7, 0
	s_mov_b64 s[8:9], 0
	s_branch .LBB32_36
.LBB32_35:                              ;   in Loop: Header=BB32_36 Depth=1
	s_or_b64 exec, exec, s[2:3]
	s_add_i32 s7, s7, 4
	s_add_u32 s8, s8, 16
	s_addc_u32 s9, s9, 0
	s_cmp_eq_u32 s6, s7
	s_cbranch_scc1 .LBB32_68
.LBB32_36:                              ; =>This Inner Loop Header: Depth=1
	v_lshl_add_u64 v[8:9], v[4:5], 0, s[8:9]
	global_load_dword v18, v[8:9], off
	v_mov_b32_e32 v3, 0
	s_waitcnt vmcnt(0)
	v_cmp_eq_u32_e32 vcc, v18, v12
	v_cmp_ne_u32_e64 s[0:1], v18, v12
	s_and_saveexec_b64 s[12:13], s[0:1]
	s_cbranch_execz .LBB32_42
; %bb.37:                               ;   in Loop: Header=BB32_36 Depth=1
	v_cmp_eq_u32_e64 s[0:1], v18, v15
	v_cmp_ne_u32_e64 s[2:3], v18, v15
	v_mov_b32_e32 v3, v11
	s_and_saveexec_b64 s[14:15], s[2:3]
	s_cbranch_execz .LBB32_41
; %bb.38:                               ;   in Loop: Header=BB32_36 Depth=1
	v_cmp_eq_u32_e64 s[16:17], v18, v16
	v_cmp_ne_u32_e64 s[2:3], v18, v16
	v_mov_b32_e32 v3, v13
	s_and_saveexec_b64 s[18:19], s[2:3]
	s_xor_b64 s[18:19], exec, s[18:19]
; %bb.39:                               ;   in Loop: Header=BB32_36 Depth=1
	v_cmp_eq_u32_e64 s[2:3], v18, v17
	s_andn2_b64 s[16:17], s[16:17], exec
	s_and_b64 s[2:3], s[2:3], exec
	s_or_b64 s[16:17], s[16:17], s[2:3]
	v_mov_b32_e32 v3, v14
; %bb.40:                               ;   in Loop: Header=BB32_36 Depth=1
	s_or_b64 exec, exec, s[18:19]
	s_andn2_b64 s[0:1], s[0:1], exec
	s_and_b64 s[2:3], s[16:17], exec
	s_or_b64 s[0:1], s[0:1], s[2:3]
.LBB32_41:                              ;   in Loop: Header=BB32_36 Depth=1
	s_or_b64 exec, exec, s[14:15]
	s_andn2_b64 s[2:3], vcc, exec
	s_and_b64 s[0:1], s[0:1], exec
	s_or_b64 vcc, s[2:3], s[0:1]
.LBB32_42:                              ;   in Loop: Header=BB32_36 Depth=1
	s_or_b64 exec, exec, s[12:13]
	s_and_saveexec_b64 s[0:1], vcc
	s_cbranch_execz .LBB32_44
; %bb.43:                               ;   in Loop: Header=BB32_36 Depth=1
	scratch_load_dword v3, v3, off
	v_add_u32_e32 v18, s7, v2
	v_ashrrev_i32_e32 v19, 31, v18
	v_lshl_add_u64 v[18:19], v[18:19], 2, s[4:5]
	s_waitcnt vmcnt(0)
	v_mul_f32_e32 v3, v10, v3
	global_store_dword v[18:19], v3, off
.LBB32_44:                              ;   in Loop: Header=BB32_36 Depth=1
	s_or_b64 exec, exec, s[0:1]
	global_load_dword v18, v[8:9], off offset:4
	v_mov_b32_e32 v3, 0
	s_waitcnt vmcnt(0)
	v_cmp_eq_u32_e64 s[0:1], v18, v12
	v_cmp_ne_u32_e32 vcc, v18, v12
	s_and_saveexec_b64 s[2:3], vcc
	s_cbranch_execz .LBB32_50
; %bb.45:                               ;   in Loop: Header=BB32_36 Depth=1
	v_cmp_eq_u32_e64 s[12:13], v18, v15
	v_cmp_ne_u32_e32 vcc, v18, v15
	v_mov_b32_e32 v3, v11
	s_and_saveexec_b64 s[14:15], vcc
	s_cbranch_execz .LBB32_49
; %bb.46:                               ;   in Loop: Header=BB32_36 Depth=1
	v_cmp_eq_u32_e64 s[16:17], v18, v16
	v_cmp_ne_u32_e32 vcc, v18, v16
	v_mov_b32_e32 v3, v13
	s_and_saveexec_b64 s[18:19], vcc
; %bb.47:                               ;   in Loop: Header=BB32_36 Depth=1
	v_cmp_eq_u32_e32 vcc, v18, v17
	s_andn2_b64 s[16:17], s[16:17], exec
	s_and_b64 s[22:23], vcc, exec
	s_or_b64 s[16:17], s[16:17], s[22:23]
	v_mov_b32_e32 v3, v14
; %bb.48:                               ;   in Loop: Header=BB32_36 Depth=1
	s_or_b64 exec, exec, s[18:19]
	s_andn2_b64 s[12:13], s[12:13], exec
	s_and_b64 s[16:17], s[16:17], exec
	s_or_b64 s[12:13], s[12:13], s[16:17]
.LBB32_49:                              ;   in Loop: Header=BB32_36 Depth=1
	s_or_b64 exec, exec, s[14:15]
	s_andn2_b64 s[0:1], s[0:1], exec
	s_and_b64 s[12:13], s[12:13], exec
	s_or_b64 s[0:1], s[0:1], s[12:13]
.LBB32_50:                              ;   in Loop: Header=BB32_36 Depth=1
	s_or_b64 exec, exec, s[2:3]
	s_and_saveexec_b64 s[2:3], s[0:1]
	s_cbranch_execz .LBB32_52
; %bb.51:                               ;   in Loop: Header=BB32_36 Depth=1
	scratch_load_dword v3, v3, off
	v_lshl_add_u64 v[18:19], v[6:7], 0, s[8:9]
	s_waitcnt vmcnt(0)
	v_mul_f32_e32 v3, v10, v3
	global_store_dword v[18:19], v3, off offset:4
.LBB32_52:                              ;   in Loop: Header=BB32_36 Depth=1
	s_or_b64 exec, exec, s[2:3]
	global_load_dword v18, v[8:9], off offset:8
	v_mov_b32_e32 v3, 0
	s_waitcnt vmcnt(0)
	v_cmp_eq_u32_e64 s[0:1], v18, v12
	v_cmp_ne_u32_e32 vcc, v18, v12
	s_and_saveexec_b64 s[2:3], vcc
	s_cbranch_execz .LBB32_58
; %bb.53:                               ;   in Loop: Header=BB32_36 Depth=1
	v_cmp_eq_u32_e64 s[12:13], v18, v15
	v_cmp_ne_u32_e32 vcc, v18, v15
	v_mov_b32_e32 v3, v11
	s_and_saveexec_b64 s[14:15], vcc
	s_cbranch_execz .LBB32_57
; %bb.54:                               ;   in Loop: Header=BB32_36 Depth=1
	v_cmp_eq_u32_e64 s[16:17], v18, v16
	v_cmp_ne_u32_e32 vcc, v18, v16
	v_mov_b32_e32 v3, v13
	s_and_saveexec_b64 s[18:19], vcc
; %bb.55:                               ;   in Loop: Header=BB32_36 Depth=1
	v_cmp_eq_u32_e32 vcc, v18, v17
	s_andn2_b64 s[16:17], s[16:17], exec
	s_and_b64 s[22:23], vcc, exec
	s_or_b64 s[16:17], s[16:17], s[22:23]
	v_mov_b32_e32 v3, v14
; %bb.56:                               ;   in Loop: Header=BB32_36 Depth=1
	s_or_b64 exec, exec, s[18:19]
	s_andn2_b64 s[12:13], s[12:13], exec
	s_and_b64 s[16:17], s[16:17], exec
	s_or_b64 s[12:13], s[12:13], s[16:17]
.LBB32_57:                              ;   in Loop: Header=BB32_36 Depth=1
	s_or_b64 exec, exec, s[14:15]
	s_andn2_b64 s[0:1], s[0:1], exec
	s_and_b64 s[12:13], s[12:13], exec
	s_or_b64 s[0:1], s[0:1], s[12:13]
.LBB32_58:                              ;   in Loop: Header=BB32_36 Depth=1
	s_or_b64 exec, exec, s[2:3]
	s_and_saveexec_b64 s[2:3], s[0:1]
	s_cbranch_execz .LBB32_60
; %bb.59:                               ;   in Loop: Header=BB32_36 Depth=1
	scratch_load_dword v3, v3, off
	v_lshl_add_u64 v[18:19], v[6:7], 0, s[8:9]
	s_waitcnt vmcnt(0)
	v_mul_f32_e32 v3, v10, v3
	global_store_dword v[18:19], v3, off offset:8
.LBB32_60:                              ;   in Loop: Header=BB32_36 Depth=1
	s_or_b64 exec, exec, s[2:3]
	global_load_dword v8, v[8:9], off offset:12
	v_mov_b32_e32 v3, 0
	s_waitcnt vmcnt(0)
	v_cmp_eq_u32_e64 s[0:1], v8, v12
	v_cmp_ne_u32_e32 vcc, v8, v12
	s_and_saveexec_b64 s[2:3], vcc
	s_cbranch_execz .LBB32_66
; %bb.61:                               ;   in Loop: Header=BB32_36 Depth=1
	v_cmp_eq_u32_e64 s[12:13], v8, v15
	v_cmp_ne_u32_e32 vcc, v8, v15
	v_mov_b32_e32 v3, v11
	s_and_saveexec_b64 s[14:15], vcc
	s_cbranch_execz .LBB32_65
; %bb.62:                               ;   in Loop: Header=BB32_36 Depth=1
	v_cmp_eq_u32_e64 s[16:17], v8, v16
	v_cmp_ne_u32_e32 vcc, v8, v16
	v_mov_b32_e32 v3, v13
	s_and_saveexec_b64 s[18:19], vcc
; %bb.63:                               ;   in Loop: Header=BB32_36 Depth=1
	v_cmp_eq_u32_e32 vcc, v8, v17
	s_andn2_b64 s[16:17], s[16:17], exec
	s_and_b64 s[22:23], vcc, exec
	s_or_b64 s[16:17], s[16:17], s[22:23]
	v_mov_b32_e32 v3, v14
; %bb.64:                               ;   in Loop: Header=BB32_36 Depth=1
	s_or_b64 exec, exec, s[18:19]
	s_andn2_b64 s[12:13], s[12:13], exec
	s_and_b64 s[16:17], s[16:17], exec
	s_or_b64 s[12:13], s[12:13], s[16:17]
.LBB32_65:                              ;   in Loop: Header=BB32_36 Depth=1
	s_or_b64 exec, exec, s[14:15]
	s_andn2_b64 s[0:1], s[0:1], exec
	s_and_b64 s[12:13], s[12:13], exec
	s_or_b64 s[0:1], s[0:1], s[12:13]
.LBB32_66:                              ;   in Loop: Header=BB32_36 Depth=1
	s_or_b64 exec, exec, s[2:3]
	s_and_saveexec_b64 s[2:3], s[0:1]
	s_cbranch_execz .LBB32_35
; %bb.67:                               ;   in Loop: Header=BB32_36 Depth=1
	scratch_load_dword v3, v3, off
	v_lshl_add_u64 v[8:9], v[6:7], 0, s[8:9]
	s_waitcnt vmcnt(0)
	v_mul_f32_e32 v3, v10, v3
	global_store_dword v[8:9], v3, off offset:12
	s_branch .LBB32_35
.LBB32_68:
	s_and_b32 s14, s20, 3
	s_cmp_eq_u32 s14, 0
	s_mov_b32 s7, 0
	s_cbranch_scc1 .LBB32_79
; %bb.69:
	s_lshl_b64 s[0:1], s[6:7], 2
	s_add_u32 s0, s10, s0
	s_addc_u32 s1, s11, s1
	v_add_u32_e32 v2, s6, v2
	v_lshl_add_u64 v[0:1], v[0:1], 2, s[0:1]
	s_branch .LBB32_71
.LBB32_70:                              ;   in Loop: Header=BB32_71 Depth=1
	s_or_b64 exec, exec, s[2:3]
	s_add_i32 s14, s14, -1
	v_add_u32_e32 v2, 1, v2
	s_cmp_lg_u32 s14, 0
	v_lshl_add_u64 v[0:1], v[0:1], 0, 4
	s_cbranch_scc0 .LBB32_79
.LBB32_71:                              ; =>This Inner Loop Header: Depth=1
	global_load_dword v4, v[0:1], off
	v_mov_b32_e32 v3, 0
	s_waitcnt vmcnt(0)
	v_cmp_eq_u32_e64 s[0:1], v4, v12
	v_cmp_ne_u32_e32 vcc, v4, v12
	s_and_saveexec_b64 s[2:3], vcc
	s_cbranch_execz .LBB32_77
; %bb.72:                               ;   in Loop: Header=BB32_71 Depth=1
	v_cmp_eq_u32_e64 s[6:7], v4, v15
	v_cmp_ne_u32_e32 vcc, v4, v15
	v_mov_b32_e32 v3, v11
	s_and_saveexec_b64 s[8:9], vcc
	s_cbranch_execz .LBB32_76
; %bb.73:                               ;   in Loop: Header=BB32_71 Depth=1
	v_cmp_eq_u32_e64 s[10:11], v4, v16
	v_cmp_ne_u32_e32 vcc, v4, v16
	v_mov_b32_e32 v3, v13
	s_and_saveexec_b64 s[12:13], vcc
; %bb.74:                               ;   in Loop: Header=BB32_71 Depth=1
	v_cmp_eq_u32_e32 vcc, v4, v17
	s_andn2_b64 s[10:11], s[10:11], exec
	s_and_b64 s[16:17], vcc, exec
	s_or_b64 s[10:11], s[10:11], s[16:17]
	v_mov_b32_e32 v3, v14
; %bb.75:                               ;   in Loop: Header=BB32_71 Depth=1
	s_or_b64 exec, exec, s[12:13]
	s_andn2_b64 s[6:7], s[6:7], exec
	s_and_b64 s[10:11], s[10:11], exec
	s_or_b64 s[6:7], s[6:7], s[10:11]
.LBB32_76:                              ;   in Loop: Header=BB32_71 Depth=1
	s_or_b64 exec, exec, s[8:9]
	s_andn2_b64 s[0:1], s[0:1], exec
	s_and_b64 s[6:7], s[6:7], exec
	s_or_b64 s[0:1], s[0:1], s[6:7]
.LBB32_77:                              ;   in Loop: Header=BB32_71 Depth=1
	s_or_b64 exec, exec, s[2:3]
	s_and_saveexec_b64 s[2:3], s[0:1]
	s_cbranch_execz .LBB32_70
; %bb.78:                               ;   in Loop: Header=BB32_71 Depth=1
	scratch_load_dword v4, v3, off
	v_ashrrev_i32_e32 v3, 31, v2
	s_waitcnt vmcnt(0)
	v_mul_f32_e32 v6, v10, v4
	s_waitcnt lgkmcnt(0)
	v_lshl_add_u64 v[4:5], v[2:3], 2, s[4:5]
	global_store_dword v[4:5], v6, off
	s_branch .LBB32_70
.LBB32_79:
	s_endpgm
	.section	.rodata,"a",@progbits
	.p2align	6, 0x0
	.amdhsa_kernel _ZN4vllm3moe22topkGatingSoftplusSqrtILi4ELi256ELi4ELi16ELi64ELb1EifEEvPKT6_PKbPfiPT5_PiiiibdPKfPKS8_SE_
		.amdhsa_group_segment_fixed_size 0
		.amdhsa_private_segment_fixed_size 32
		.amdhsa_kernarg_size 96
		.amdhsa_user_sgpr_count 2
		.amdhsa_user_sgpr_dispatch_ptr 0
		.amdhsa_user_sgpr_queue_ptr 0
		.amdhsa_user_sgpr_kernarg_segment_ptr 1
		.amdhsa_user_sgpr_dispatch_id 0
		.amdhsa_user_sgpr_kernarg_preload_length 0
		.amdhsa_user_sgpr_kernarg_preload_offset 0
		.amdhsa_user_sgpr_private_segment_size 0
		.amdhsa_uses_dynamic_stack 0
		.amdhsa_enable_private_segment 1
		.amdhsa_system_sgpr_workgroup_id_x 1
		.amdhsa_system_sgpr_workgroup_id_y 0
		.amdhsa_system_sgpr_workgroup_id_z 0
		.amdhsa_system_sgpr_workgroup_info 0
		.amdhsa_system_vgpr_workitem_id 1
		.amdhsa_next_free_vgpr 25
		.amdhsa_next_free_sgpr 24
		.amdhsa_accum_offset 28
		.amdhsa_reserve_vcc 1
		.amdhsa_float_round_mode_32 0
		.amdhsa_float_round_mode_16_64 0
		.amdhsa_float_denorm_mode_32 3
		.amdhsa_float_denorm_mode_16_64 3
		.amdhsa_dx10_clamp 1
		.amdhsa_ieee_mode 1
		.amdhsa_fp16_overflow 0
		.amdhsa_tg_split 0
		.amdhsa_exception_fp_ieee_invalid_op 0
		.amdhsa_exception_fp_denorm_src 0
		.amdhsa_exception_fp_ieee_div_zero 0
		.amdhsa_exception_fp_ieee_overflow 0
		.amdhsa_exception_fp_ieee_underflow 0
		.amdhsa_exception_fp_ieee_inexact 0
		.amdhsa_exception_int_div_zero 0
	.end_amdhsa_kernel
	.section	.text._ZN4vllm3moe22topkGatingSoftplusSqrtILi4ELi256ELi4ELi16ELi64ELb1EifEEvPKT6_PKbPfiPT5_PiiiibdPKfPKS8_SE_,"axG",@progbits,_ZN4vllm3moe22topkGatingSoftplusSqrtILi4ELi256ELi4ELi16ELi64ELb1EifEEvPKT6_PKbPfiPT5_PiiiibdPKfPKS8_SE_,comdat
.Lfunc_end32:
	.size	_ZN4vllm3moe22topkGatingSoftplusSqrtILi4ELi256ELi4ELi16ELi64ELb1EifEEvPKT6_PKbPfiPT5_PiiiibdPKfPKS8_SE_, .Lfunc_end32-_ZN4vllm3moe22topkGatingSoftplusSqrtILi4ELi256ELi4ELi16ELi64ELb1EifEEvPKT6_PKbPfiPT5_PiiiibdPKfPKS8_SE_
                                        ; -- End function
	.section	.AMDGPU.csdata,"",@progbits
; Kernel info:
; codeLenInByte = 3512
; NumSgprs: 30
; NumVgprs: 25
; NumAgprs: 0
; TotalNumVgprs: 25
; ScratchSize: 32
; MemoryBound: 0
; FloatMode: 240
; IeeeMode: 1
; LDSByteSize: 0 bytes/workgroup (compile time only)
; SGPRBlocks: 3
; VGPRBlocks: 3
; NumSGPRsForWavesPerEU: 30
; NumVGPRsForWavesPerEU: 25
; AccumOffset: 28
; Occupancy: 8
; WaveLimiterHint : 1
; COMPUTE_PGM_RSRC2:SCRATCH_EN: 1
; COMPUTE_PGM_RSRC2:USER_SGPR: 2
; COMPUTE_PGM_RSRC2:TRAP_HANDLER: 0
; COMPUTE_PGM_RSRC2:TGID_X_EN: 1
; COMPUTE_PGM_RSRC2:TGID_Y_EN: 0
; COMPUTE_PGM_RSRC2:TGID_Z_EN: 0
; COMPUTE_PGM_RSRC2:TIDIG_COMP_CNT: 1
; COMPUTE_PGM_RSRC3_GFX90A:ACCUM_OFFSET: 6
; COMPUTE_PGM_RSRC3_GFX90A:TG_SPLIT: 0
	.section	.text._ZN4vllm3moe22topkGatingSoftplusSqrtILi4ELi256ELi4ELi16ELi64ELb0EifEEvPKT6_PKbPfiPT5_PiiiibdPKfPKS8_SE_,"axG",@progbits,_ZN4vllm3moe22topkGatingSoftplusSqrtILi4ELi256ELi4ELi16ELi64ELb0EifEEvPKT6_PKbPfiPT5_PiiiibdPKfPKS8_SE_,comdat
	.protected	_ZN4vllm3moe22topkGatingSoftplusSqrtILi4ELi256ELi4ELi16ELi64ELb0EifEEvPKT6_PKbPfiPT5_PiiiibdPKfPKS8_SE_ ; -- Begin function _ZN4vllm3moe22topkGatingSoftplusSqrtILi4ELi256ELi4ELi16ELi64ELb0EifEEvPKT6_PKbPfiPT5_PiiiibdPKfPKS8_SE_
	.globl	_ZN4vllm3moe22topkGatingSoftplusSqrtILi4ELi256ELi4ELi16ELi64ELb0EifEEvPKT6_PKbPfiPT5_PiiiibdPKfPKS8_SE_
	.p2align	8
	.type	_ZN4vllm3moe22topkGatingSoftplusSqrtILi4ELi256ELi4ELi16ELi64ELb0EifEEvPKT6_PKbPfiPT5_PiiiibdPKfPKS8_SE_,@function
_ZN4vllm3moe22topkGatingSoftplusSqrtILi4ELi256ELi4ELi16ELi64ELb0EifEEvPKT6_PKbPfiPT5_PiiiibdPKfPKS8_SE_: ; @_ZN4vllm3moe22topkGatingSoftplusSqrtILi4ELi256ELi4ELi16ELi64ELb0EifEEvPKT6_PKbPfiPT5_PiiiibdPKfPKS8_SE_
; %bb.0:
	s_load_dword s30, s[2:3], 0x18
	v_and_b32_e32 v1, 0x3ff, v0
	v_bfe_u32 v4, v0, 10, 10
	s_lshl_b32 s4, s4, 2
	v_lshrrev_b32_e32 v2, 6, v1
	v_add3_u32 v2, s4, v4, v2
	s_waitcnt lgkmcnt(0)
	v_cmp_gt_i32_e32 vcc, s30, v2
	s_and_saveexec_b64 s[4:5], vcc
	s_cbranch_execz .LBB33_59
; %bb.1:
	s_load_dwordx4 s[4:7], s[2:3], 0x0
	s_load_dwordx2 s[20:21], s[2:3], 0x10
	s_waitcnt lgkmcnt(0)
	s_cmp_eq_u64 s[6:7], 0
	s_cbranch_scc1 .LBB33_3
; %bb.2:
	v_ashrrev_i32_e32 v3, 31, v2
	v_lshl_add_u64 v[6:7], s[6:7], 0, v[2:3]
	global_load_ubyte v3, v[6:7], off
	s_waitcnt vmcnt(0)
	v_and_b32_e32 v3, 1, v3
	v_cmp_eq_u32_e32 vcc, 1, v3
	s_xor_b64 s[6:7], vcc, -1
	s_orn2_b64 s[22:23], s[6:7], exec
	s_branch .LBB33_4
.LBB33_3:
	s_mov_b64 s[22:23], -1
.LBB33_4:
	v_lshlrev_b32_e32 v8, 8, v2
	v_mov_b32_e32 v6, s4
	v_mov_b32_e32 v7, s5
	v_ashrrev_i32_e32 v9, 31, v8
	v_and_b32_e32 v3, 63, v1
	v_lshl_add_u64 v[6:7], v[8:9], 2, v[6:7]
	v_mov_b32_e32 v9, 0
	v_lshlrev_b32_e32 v8, 4, v3
	v_lshl_add_u64 v[6:7], v[6:7], 0, v[8:9]
	global_load_dwordx4 v[6:9], v[6:7], off
	s_load_dwordx2 s[4:5], s[0:1], 0x4
	s_load_dwordx4 s[8:11], s[2:3], 0x40
	v_bfe_u32 v0, v0, 20, 10
	s_mov_b32 s16, 0x800000
	s_mov_b32 s13, 0x3f317217
	s_waitcnt lgkmcnt(0)
	s_lshr_b32 s0, s4, 16
	s_mul_i32 s0, s0, s5
	v_mul_lo_u32 v1, s0, v1
	v_mad_u32_u24 v1, v4, s5, v1
	v_add_lshl_u32 v4, v1, v0, 4
	s_mov_b32 s14, 0x7f800000
	s_mov_b32 s12, 0x41a00000
	;; [unrolled: 1-line block ×3, first 2 shown]
	s_cmp_lg_u64 s[10:11], 0
	v_mov_b32_e32 v1, 0x260
	s_cselect_b64 s[6:7], -1, 0
	s_and_b64 s[0:1], exec, s[6:7]
	s_waitcnt vmcnt(0)
	ds_write_b128 v4, v[6:9]
	ds_read_b32 v8, v4
	v_mov_b32_e32 v6, 0x4f800000
	v_mov_b32_e32 v7, 0x41b17218
	s_waitcnt lgkmcnt(0)
	v_mul_f32_e32 v0, 0x3fb8aa3b, v8
	v_exp_f32_e32 v0, v0
	s_nop 0
	v_add_f32_e32 v0, 1.0, v0
	v_cmp_gt_f32_e32 vcc, s16, v0
	s_nop 1
	v_cndmask_b32_e32 v5, 1.0, v6, vcc
	v_mul_f32_e32 v0, v0, v5
	v_log_f32_e32 v9, v0
	v_cndmask_b32_e32 v10, 0, v7, vcc
	v_lshlrev_b32_e32 v5, 2, v3
	v_lshlrev_b32_e32 v0, 2, v5
	v_mul_f32_e32 v11, 0x3f317217, v9
	v_fma_f32 v11, v9, s13, -v11
	v_fmac_f32_e32 v11, 0x3377d1cf, v9
	v_fmac_f32_e32 v11, 0x3f317217, v9
	v_cmp_lt_f32_e64 vcc, |v9|, s14
	s_nop 1
	v_cndmask_b32_e32 v9, v9, v11, vcc
	v_sub_f32_e32 v9, v9, v10
	v_cmp_lt_f32_e32 vcc, s12, v8
	s_nop 1
	v_cndmask_b32_e32 v8, v9, v8, vcc
	v_mul_f32_e32 v9, 0x4f800000, v8
	v_cmp_gt_f32_e32 vcc, s15, v8
	s_nop 1
	v_cndmask_b32_e32 v8, v8, v9, vcc
	v_sqrt_f32_e32 v9, v8
	s_nop 0
	v_add_u32_e32 v10, -1, v9
	v_add_u32_e32 v11, 1, v9
	v_fma_f32 v12, -v10, v9, v8
	v_fma_f32 v13, -v11, v9, v8
	v_cmp_ge_f32_e64 s[4:5], 0, v12
	s_nop 1
	v_cndmask_b32_e64 v9, v9, v10, s[4:5]
	v_cmp_lt_f32_e64 s[4:5], 0, v13
	s_nop 1
	v_cndmask_b32_e64 v9, v9, v11, s[4:5]
	v_mul_f32_e32 v10, 0x37800000, v9
	v_cndmask_b32_e32 v9, v9, v10, vcc
	v_cmp_class_f32_e32 vcc, v8, v1
	s_nop 1
	v_cndmask_b32_e32 v8, v9, v8, vcc
	s_mov_b64 vcc, s[0:1]
	s_cbranch_vccz .LBB33_6
; %bb.5:
	global_load_dword v9, v0, s[10:11]
	s_waitcnt vmcnt(0)
	v_add_f32_e32 v8, v8, v9
.LBB33_6:
	ds_read_b32 v9, v4 offset:4
	ds_write_b32 v4, v8
	s_waitcnt lgkmcnt(1)
	v_mul_f32_e32 v10, 0x3fb8aa3b, v9
	v_exp_f32_e32 v10, v10
	s_nop 0
	v_add_f32_e32 v10, 1.0, v10
	v_cmp_gt_f32_e32 vcc, s16, v10
	s_nop 1
	v_cndmask_b32_e32 v6, 1.0, v6, vcc
	v_mul_f32_e32 v6, v10, v6
	v_log_f32_e32 v6, v6
	v_cndmask_b32_e32 v7, 0, v7, vcc
	v_mul_f32_e32 v8, 0x3f317217, v6
	v_fma_f32 v8, v6, s13, -v8
	v_fmac_f32_e32 v8, 0x3377d1cf, v6
	v_fmac_f32_e32 v8, 0x3f317217, v6
	v_cmp_lt_f32_e64 vcc, |v6|, s14
	s_nop 1
	v_cndmask_b32_e32 v6, v6, v8, vcc
	v_sub_f32_e32 v6, v6, v7
	v_cmp_lt_f32_e32 vcc, s12, v9
	v_cndmask_b32_e64 v8, 0, 1, s[6:7]
	v_cmp_ne_u32_e64 s[0:1], 1, v8
	v_cndmask_b32_e32 v6, v6, v9, vcc
	v_mul_f32_e32 v7, 0x4f800000, v6
	v_cmp_gt_f32_e64 s[4:5], s15, v6
	s_andn2_b64 vcc, exec, s[6:7]
	s_nop 0
	v_cndmask_b32_e64 v6, v6, v7, s[4:5]
	v_sqrt_f32_e32 v7, v6
	s_nop 0
	v_add_u32_e32 v8, -1, v7
	v_add_u32_e32 v9, 1, v7
	v_fma_f32 v10, -v8, v7, v6
	v_fma_f32 v11, -v9, v7, v6
	v_cmp_ge_f32_e64 s[6:7], 0, v10
	s_nop 1
	v_cndmask_b32_e64 v7, v7, v8, s[6:7]
	v_cmp_lt_f32_e64 s[6:7], 0, v11
	s_nop 1
	v_cndmask_b32_e64 v7, v7, v9, s[6:7]
	v_mul_f32_e32 v8, 0x37800000, v7
	v_cndmask_b32_e64 v7, v7, v8, s[4:5]
	v_cmp_class_f32_e64 s[4:5], v6, v1
	s_nop 1
	v_cndmask_b32_e64 v1, v7, v6, s[4:5]
	s_cbranch_vccnz .LBB33_8
; %bb.7:
	global_load_dword v6, v0, s[10:11] offset:4
	s_waitcnt vmcnt(0)
	v_add_f32_e32 v1, v1, v6
.LBB33_8:
	ds_read_b32 v8, v4 offset:8
	s_mov_b32 s12, 0x800000
	s_mov_b32 s7, 0x3f317217
	s_mov_b32 s13, 0x7f800000
	s_mov_b32 s6, 0x41a00000
	s_waitcnt lgkmcnt(0)
	v_mul_f32_e32 v6, 0x3fb8aa3b, v8
	v_exp_f32_e32 v7, v6
	v_mov_b32_e32 v6, 0x4f800000
	s_mov_b32 s14, 0xf800000
	ds_write_b32 v4, v1 offset:4
	v_add_f32_e32 v7, 1.0, v7
	v_cmp_gt_f32_e32 vcc, s12, v7
	s_nop 1
	v_cndmask_b32_e32 v9, 1.0, v6, vcc
	v_mul_f32_e32 v7, v7, v9
	v_log_f32_e32 v9, v7
	v_mov_b32_e32 v7, 0x41b17218
	v_cndmask_b32_e32 v10, 0, v7, vcc
	v_mul_f32_e32 v11, 0x3f317217, v9
	v_fma_f32 v11, v9, s7, -v11
	v_fmac_f32_e32 v11, 0x3377d1cf, v9
	v_fmac_f32_e32 v11, 0x3f317217, v9
	v_cmp_lt_f32_e64 vcc, |v9|, s13
	s_nop 1
	v_cndmask_b32_e32 v9, v9, v11, vcc
	v_sub_f32_e32 v9, v9, v10
	v_cmp_lt_f32_e32 vcc, s6, v8
	s_nop 1
	v_cndmask_b32_e32 v8, v9, v8, vcc
	v_mul_f32_e32 v9, 0x4f800000, v8
	v_cmp_gt_f32_e32 vcc, s14, v8
	s_nop 1
	v_cndmask_b32_e32 v8, v8, v9, vcc
	v_sqrt_f32_e32 v9, v8
	s_nop 0
	v_add_u32_e32 v1, -1, v9
	v_fma_f32 v10, -v1, v9, v8
	v_cmp_ge_f32_e64 s[4:5], 0, v10
	v_add_u32_e32 v10, 1, v9
	s_nop 0
	v_cndmask_b32_e64 v1, v9, v1, s[4:5]
	v_fma_f32 v9, -v10, v9, v8
	v_cmp_lt_f32_e64 s[4:5], 0, v9
	s_nop 1
	v_cndmask_b32_e64 v1, v1, v10, s[4:5]
	v_mul_f32_e32 v9, 0x37800000, v1
	v_cndmask_b32_e32 v9, v1, v9, vcc
	v_mov_b32_e32 v1, 0x260
	v_cmp_class_f32_e64 s[4:5], v8, v1
	s_and_b64 vcc, exec, s[0:1]
	s_nop 0
	v_cndmask_b32_e64 v8, v9, v8, s[4:5]
	s_cbranch_vccnz .LBB33_10
; %bb.9:
	global_load_dword v9, v0, s[10:11] offset:8
	s_waitcnt vmcnt(0)
	v_add_f32_e32 v8, v8, v9
.LBB33_10:
	ds_read_b32 v9, v4 offset:12
	ds_write_b32 v4, v8 offset:8
	s_waitcnt lgkmcnt(1)
	v_mul_f32_e32 v10, 0x3fb8aa3b, v9
	v_exp_f32_e32 v10, v10
	s_nop 0
	v_add_f32_e32 v10, 1.0, v10
	v_cmp_gt_f32_e32 vcc, s12, v10
	s_nop 1
	v_cndmask_b32_e32 v6, 1.0, v6, vcc
	v_mul_f32_e32 v6, v10, v6
	v_log_f32_e32 v6, v6
	v_cndmask_b32_e32 v7, 0, v7, vcc
	v_mul_f32_e32 v10, 0x3f317217, v6
	v_fma_f32 v10, v6, s7, -v10
	v_fmac_f32_e32 v10, 0x3377d1cf, v6
	v_fmac_f32_e32 v10, 0x3f317217, v6
	v_cmp_lt_f32_e64 vcc, |v6|, s13
	s_nop 1
	v_cndmask_b32_e32 v6, v6, v10, vcc
	v_sub_f32_e32 v6, v6, v7
	v_cmp_lt_f32_e32 vcc, s6, v9
	s_nop 1
	v_cndmask_b32_e32 v6, v6, v9, vcc
	v_mul_f32_e32 v7, 0x4f800000, v6
	v_cmp_gt_f32_e64 s[4:5], s14, v6
	s_and_b64 vcc, exec, s[0:1]
	s_nop 0
	v_cndmask_b32_e64 v6, v6, v7, s[4:5]
	v_sqrt_f32_e32 v7, v6
	s_nop 0
	v_add_u32_e32 v8, -1, v7
	v_add_u32_e32 v9, 1, v7
	v_fma_f32 v10, -v8, v7, v6
	v_fma_f32 v11, -v9, v7, v6
	v_cmp_ge_f32_e64 s[6:7], 0, v10
	s_nop 1
	v_cndmask_b32_e64 v7, v7, v8, s[6:7]
	v_cmp_lt_f32_e64 s[6:7], 0, v11
	s_nop 1
	v_cndmask_b32_e64 v7, v7, v9, s[6:7]
	v_mul_f32_e32 v8, 0x37800000, v7
	v_cndmask_b32_e64 v7, v7, v8, s[4:5]
	v_cmp_class_f32_e64 s[4:5], v6, v1
	s_nop 1
	v_cndmask_b32_e64 v1, v7, v6, s[4:5]
	s_cbranch_vccnz .LBB33_12
; %bb.11:
	global_load_dword v0, v0, s[10:11] offset:12
	s_waitcnt vmcnt(0)
	v_add_f32_e32 v1, v1, v0
.LBB33_12:
	s_load_dwordx4 s[12:15], s[2:3], 0x30
	s_mov_b32 s31, 0
	v_cmp_eq_u32_e64 s[4:5], 0, v3
	ds_write_b32 v4, v1 offset:12
	s_waitcnt lgkmcnt(0)
	s_bitcmp1_b32 s15, 0
	s_cselect_b64 s[6:7], -1, 0
	s_cmp_gt_i32 s12, 0
	s_cselect_b64 s[24:25], -1, 0
	s_and_b64 vcc, exec, s[24:25]
	s_cbranch_vccz .LBB33_45
; %bb.13:
	v_mbcnt_lo_u32_b32 v0, -1, 0
	v_mbcnt_hi_u32_b32 v0, -1, v0
	v_and_b32_e32 v1, 64, v0
	v_add_u32_e32 v1, 64, v1
	v_xor_b32_e32 v6, 32, v0
	v_cmp_lt_i32_e32 vcc, v6, v1
	s_load_dwordx4 s[16:19], s[2:3], 0x20
	v_mul_lo_u32 v7, v2, s12
	v_cndmask_b32_e32 v6, v0, v6, vcc
	v_lshlrev_b32_e32 v8, 2, v6
	v_xor_b32_e32 v6, 16, v0
	v_cmp_lt_i32_e32 vcc, v6, v1
	v_mov_b32_e32 v14, 0xc61c4000
	v_mov_b32_e32 v15, 0x100
	v_cndmask_b32_e32 v6, v0, v6, vcc
	v_lshlrev_b32_e32 v9, 2, v6
	v_xor_b32_e32 v6, 8, v0
	v_cmp_lt_i32_e32 vcc, v6, v1
	v_mov_b32_e32 v16, v2
	s_nop 0
	v_cndmask_b32_e32 v6, v0, v6, vcc
	v_lshlrev_b32_e32 v10, 2, v6
	v_xor_b32_e32 v6, 4, v0
	v_cmp_lt_i32_e32 vcc, v6, v1
	s_nop 1
	v_cndmask_b32_e32 v6, v0, v6, vcc
	v_lshlrev_b32_e32 v11, 2, v6
	v_xor_b32_e32 v6, 2, v0
	v_cmp_lt_i32_e32 vcc, v6, v1
	s_nop 1
	v_cndmask_b32_e32 v6, v0, v6, vcc
	v_lshlrev_b32_e32 v12, 2, v6
	v_xor_b32_e32 v6, 1, v0
	v_cmp_lt_i32_e32 vcc, v6, v1
	s_nop 1
	v_cndmask_b32_e32 v0, v0, v6, vcc
	v_lshlrev_b32_e32 v13, 2, v0
	v_mov_b32_e32 v6, 0
	s_branch .LBB33_15
.LBB33_14:                              ;   in Loop: Header=BB33_15 Depth=1
	s_or_b64 exec, exec, s[2:3]
	s_cmp_eq_u32 s12, s31
	v_add_u32_e32 v16, s30, v16
	s_cbranch_scc1 .LBB33_46
.LBB33_15:                              ; =>This Inner Loop Header: Depth=1
	ds_read_b128 v[18:21], v4
	s_waitcnt lgkmcnt(0)
	v_cmp_gt_f32_e32 vcc, v19, v18
	s_nop 1
	v_cndmask_b32_e32 v1, v18, v19, vcc
	v_cndmask_b32_e64 v0, 0, 1, vcc
	v_cmp_gt_f32_e32 vcc, v20, v1
	s_nop 1
	v_cndmask_b32_e32 v1, v1, v20, vcc
	v_cndmask_b32_e64 v0, v0, 2, vcc
	v_cmp_gt_f32_e32 vcc, v21, v1
	s_nop 1
	v_cndmask_b32_e64 v0, v0, 3, vcc
	v_cndmask_b32_e32 v17, v1, v21, vcc
	ds_bpermute_b32 v1, v8, v17
	v_or_b32_e32 v0, v5, v0
	ds_bpermute_b32 v18, v8, v0
	s_waitcnt lgkmcnt(1)
	v_cmp_lt_f32_e64 s[26:27], v17, v1
	v_cmp_nlt_f32_e32 vcc, v17, v1
	s_and_saveexec_b64 s[28:29], vcc
	s_cbranch_execz .LBB33_17
; %bb.16:                               ;   in Loop: Header=BB33_15 Depth=1
	v_cmp_eq_f32_e32 vcc, v17, v1
	s_waitcnt lgkmcnt(0)
	v_cmp_lt_i32_e64 s[2:3], v18, v0
	s_and_b64 s[2:3], vcc, s[2:3]
	s_andn2_b64 s[26:27], s[26:27], exec
	s_and_b64 s[2:3], s[2:3], exec
	s_or_b64 s[26:27], s[26:27], s[2:3]
.LBB33_17:                              ;   in Loop: Header=BB33_15 Depth=1
	s_or_b64 exec, exec, s[28:29]
	s_and_saveexec_b64 s[2:3], s[26:27]
	s_cbranch_execz .LBB33_19
; %bb.18:                               ;   in Loop: Header=BB33_15 Depth=1
	v_mov_b32_e32 v17, v1
	s_waitcnt lgkmcnt(0)
	v_mov_b32_e32 v0, v18
.LBB33_19:                              ;   in Loop: Header=BB33_15 Depth=1
	s_or_b64 exec, exec, s[2:3]
	ds_bpermute_b32 v1, v9, v17
	s_waitcnt lgkmcnt(1)
	ds_bpermute_b32 v18, v9, v0
	s_waitcnt lgkmcnt(1)
	v_cmp_lt_f32_e64 s[26:27], v17, v1
	v_cmp_nlt_f32_e32 vcc, v17, v1
	s_and_saveexec_b64 s[28:29], vcc
	s_cbranch_execz .LBB33_21
; %bb.20:                               ;   in Loop: Header=BB33_15 Depth=1
	v_cmp_eq_f32_e32 vcc, v17, v1
	s_waitcnt lgkmcnt(0)
	v_cmp_lt_i32_e64 s[2:3], v18, v0
	s_and_b64 s[2:3], vcc, s[2:3]
	s_andn2_b64 s[26:27], s[26:27], exec
	s_and_b64 s[2:3], s[2:3], exec
	s_or_b64 s[26:27], s[26:27], s[2:3]
.LBB33_21:                              ;   in Loop: Header=BB33_15 Depth=1
	s_or_b64 exec, exec, s[28:29]
	s_and_saveexec_b64 s[2:3], s[26:27]
	s_cbranch_execz .LBB33_23
; %bb.22:                               ;   in Loop: Header=BB33_15 Depth=1
	v_mov_b32_e32 v17, v1
	s_waitcnt lgkmcnt(0)
	v_mov_b32_e32 v0, v18
.LBB33_23:                              ;   in Loop: Header=BB33_15 Depth=1
	s_or_b64 exec, exec, s[2:3]
	ds_bpermute_b32 v1, v10, v17
	s_waitcnt lgkmcnt(1)
	;; [unrolled: 26-line block ×5, first 2 shown]
	ds_bpermute_b32 v18, v13, v0
	s_waitcnt lgkmcnt(1)
	v_cmp_lt_f32_e64 s[26:27], v17, v1
	v_cmp_nlt_f32_e32 vcc, v17, v1
	s_and_saveexec_b64 s[28:29], vcc
	s_cbranch_execnz .LBB33_38
; %bb.36:                               ;   in Loop: Header=BB33_15 Depth=1
	s_or_b64 exec, exec, s[28:29]
	s_and_saveexec_b64 s[2:3], s[26:27]
	s_cbranch_execnz .LBB33_39
.LBB33_37:                              ;   in Loop: Header=BB33_15 Depth=1
	s_or_b64 exec, exec, s[2:3]
	s_and_saveexec_b64 s[26:27], s[4:5]
	s_cbranch_execnz .LBB33_40
	s_branch .LBB33_43
.LBB33_38:                              ;   in Loop: Header=BB33_15 Depth=1
	v_cmp_eq_f32_e32 vcc, v17, v1
	s_waitcnt lgkmcnt(0)
	v_cmp_lt_i32_e64 s[2:3], v18, v0
	s_and_b64 s[2:3], vcc, s[2:3]
	s_andn2_b64 s[26:27], s[26:27], exec
	s_and_b64 s[2:3], s[2:3], exec
	s_or_b64 s[26:27], s[26:27], s[2:3]
	s_or_b64 exec, exec, s[28:29]
	s_and_saveexec_b64 s[2:3], s[26:27]
	s_cbranch_execz .LBB33_37
.LBB33_39:                              ;   in Loop: Header=BB33_15 Depth=1
	s_waitcnt lgkmcnt(0)
	v_mov_b32_e32 v0, v18
	v_mov_b32_e32 v17, v1
	s_or_b64 exec, exec, s[2:3]
	s_and_saveexec_b64 s[26:27], s[4:5]
	s_cbranch_execz .LBB33_43
.LBB33_40:                              ;   in Loop: Header=BB33_15 Depth=1
	s_and_b64 vcc, exec, s[0:1]
	s_cbranch_vccnz .LBB33_42
; %bb.41:                               ;   in Loop: Header=BB33_15 Depth=1
	v_ashrrev_i32_e32 v1, 31, v0
	s_waitcnt lgkmcnt(0)
	v_lshl_add_u64 v[18:19], v[0:1], 2, s[10:11]
	global_load_dword v1, v[18:19], off
	s_waitcnt vmcnt(0)
	v_sub_f32_e32 v17, v17, v1
.LBB33_42:                              ;   in Loop: Header=BB33_15 Depth=1
	s_waitcnt lgkmcnt(0)
	v_add_u32_e32 v18, s31, v7
	v_cmp_le_i32_e32 vcc, s13, v0
	v_cmp_gt_i32_e64 s[2:3], s14, v0
	v_ashrrev_i32_e32 v19, 31, v18
	s_and_b64 s[2:3], vcc, s[2:3]
	v_lshlrev_b64 v[18:19], 2, v[18:19]
	v_lshl_add_u64 v[20:21], s[20:21], 0, v[18:19]
	v_subrev_u32_e32 v1, s13, v0
	s_and_b64 vcc, s[22:23], s[2:3]
	global_store_dword v[20:21], v17, off
	v_cndmask_b32_e32 v1, v15, v1, vcc
	v_lshl_add_u64 v[20:21], s[16:17], 0, v[18:19]
	global_store_dword v[20:21], v1, off
	v_add_f32_e32 v1, v6, v17
	v_lshl_add_u64 v[18:19], s[18:19], 0, v[18:19]
	v_cndmask_b32_e64 v6, v6, v1, s[6:7]
	global_store_dword v[18:19], v16, off
.LBB33_43:                              ;   in Loop: Header=BB33_15 Depth=1
	s_or_b64 exec, exec, s[26:27]
	v_ashrrev_i32_e32 v1, 31, v0
	v_lshrrev_b32_e32 v17, 30, v1
	s_waitcnt lgkmcnt(0)
	v_add_u32_e32 v18, v0, v17
	v_ashrrev_i32_e32 v17, 2, v18
	v_ashrrev_i32_e32 v18, 31, v18
	v_lshrrev_b32_e32 v18, 26, v18
	v_add_u32_e32 v18, v17, v18
	s_add_i32 s31, s31, 1
	v_and_b32_e32 v18, 0xffffffc0, v18
	s_cmp_lt_i32 s31, s12
	v_sub_u32_e32 v18, v17, v18
	s_cselect_b64 s[2:3], -1, 0
	v_cmp_eq_u32_e32 vcc, v3, v18
	s_and_b64 s[26:27], s[2:3], vcc
	s_and_saveexec_b64 s[2:3], s[26:27]
	s_cbranch_execz .LBB33_14
; %bb.44:                               ;   in Loop: Header=BB33_15 Depth=1
	v_add_u32_sdwa v1, v0, v1 dst_sel:DWORD dst_unused:UNUSED_PAD src0_sel:DWORD src1_sel:BYTE_3
	v_lshlrev_b32_e32 v17, 2, v17
	v_ashrrev_i32_e32 v1, 8, v1
	v_sub_u32_e32 v0, v0, v17
	v_lshl_add_u32 v0, v1, 2, v0
	v_lshl_add_u32 v0, v0, 2, v4
	ds_write_b32 v0, v14
	s_branch .LBB33_14
.LBB33_45:
	v_mov_b32_e32 v6, 0
.LBB33_46:
	v_cmp_eq_u32_e32 vcc, 0, v3
	s_and_b64 exec, exec, vcc
	s_cbranch_execz .LBB33_59
; %bb.47:
	s_andn2_b64 vcc, exec, s[6:7]
	v_cvt_f32_f64_e32 v0, s[8:9]
	s_cbranch_vccnz .LBB33_49
; %bb.48:
	v_cmp_lt_f32_e32 vcc, 0, v6
	s_nop 1
	v_cndmask_b32_e32 v1, 1.0, v6, vcc
	v_div_scale_f32 v3, s[0:1], v1, v1, v0
	v_rcp_f32_e32 v4, v3
	s_nop 0
	v_fma_f32 v5, -v3, v4, 1.0
	v_fmac_f32_e32 v4, v5, v4
	v_div_scale_f32 v5, vcc, v0, v1, v0
	v_mul_f32_e32 v6, v5, v4
	v_fma_f32 v7, -v3, v6, v5
	v_fmac_f32_e32 v6, v7, v4
	v_fma_f32 v3, -v3, v6, v5
	v_div_fmas_f32 v3, v3, v4, v6
	v_div_fixup_f32 v0, v3, v1, v0
.LBB33_49:
	s_andn2_b64 vcc, exec, s[24:25]
	s_cbranch_vccnz .LBB33_59
; %bb.50:
	v_mul_lo_u32 v2, v2, s12
	s_cmp_gt_u32 s12, 3
	v_ashrrev_i32_e32 v3, 31, v2
	s_cbranch_scc0 .LBB33_54
; %bb.51:
	s_and_b32 s0, s12, 0x7ffffffc
	v_lshl_add_u64 v[4:5], v[2:3], 2, s[20:21]
	v_mov_b32_e32 v1, v0
	v_lshl_add_u64 v[4:5], v[4:5], 0, 8
	s_mov_b32 s1, s0
.LBB33_52:                              ; =>This Inner Loop Header: Depth=1
	global_load_dwordx4 v[6:9], v[4:5], off offset:-8
	s_add_i32 s1, s1, -4
	s_cmp_lg_u32 s1, 0
	s_waitcnt vmcnt(0)
	v_pk_mul_f32 v[6:7], v[0:1], v[6:7]
	v_pk_mul_f32 v[8:9], v[0:1], v[8:9]
	global_store_dwordx4 v[4:5], v[6:9], off offset:-8
	v_lshl_add_u64 v[4:5], v[4:5], 0, 16
	s_cbranch_scc1 .LBB33_52
; %bb.53:
	s_cmp_lg_u32 s0, s12
	s_cselect_b64 s[2:3], -1, 0
	s_branch .LBB33_56
.LBB33_54:
	s_mov_b64 s[2:3], 0
                                        ; implicit-def: $sgpr0
	s_cbranch_execz .LBB33_56
; %bb.55:
	s_mov_b64 s[2:3], -1
	s_mov_b32 s0, 0
.LBB33_56:
	s_andn2_b64 vcc, exec, s[2:3]
	s_cbranch_vccnz .LBB33_59
; %bb.57:
	s_mov_b32 s1, 0
	v_lshl_add_u64 v[2:3], v[2:3], 0, s[0:1]
	s_sub_i32 s2, s12, s0
	v_lshl_add_u64 v[2:3], v[2:3], 2, s[20:21]
.LBB33_58:                              ; =>This Inner Loop Header: Depth=1
	global_load_dword v1, v[2:3], off
	s_add_i32 s2, s2, -1
	s_cmp_lg_u32 s2, 0
	s_waitcnt vmcnt(0)
	v_mul_f32_e32 v1, v0, v1
	global_store_dword v[2:3], v1, off
	v_lshl_add_u64 v[2:3], v[2:3], 0, 4
	s_cbranch_scc1 .LBB33_58
.LBB33_59:
	s_endpgm
	.section	.rodata,"a",@progbits
	.p2align	6, 0x0
	.amdhsa_kernel _ZN4vllm3moe22topkGatingSoftplusSqrtILi4ELi256ELi4ELi16ELi64ELb0EifEEvPKT6_PKbPfiPT5_PiiiibdPKfPKS8_SE_
		.amdhsa_group_segment_fixed_size 4096
		.amdhsa_private_segment_fixed_size 0
		.amdhsa_kernarg_size 96
		.amdhsa_user_sgpr_count 4
		.amdhsa_user_sgpr_dispatch_ptr 1
		.amdhsa_user_sgpr_queue_ptr 0
		.amdhsa_user_sgpr_kernarg_segment_ptr 1
		.amdhsa_user_sgpr_dispatch_id 0
		.amdhsa_user_sgpr_kernarg_preload_length 0
		.amdhsa_user_sgpr_kernarg_preload_offset 0
		.amdhsa_user_sgpr_private_segment_size 0
		.amdhsa_uses_dynamic_stack 0
		.amdhsa_enable_private_segment 0
		.amdhsa_system_sgpr_workgroup_id_x 1
		.amdhsa_system_sgpr_workgroup_id_y 0
		.amdhsa_system_sgpr_workgroup_id_z 0
		.amdhsa_system_sgpr_workgroup_info 0
		.amdhsa_system_vgpr_workitem_id 2
		.amdhsa_next_free_vgpr 22
		.amdhsa_next_free_sgpr 32
		.amdhsa_accum_offset 24
		.amdhsa_reserve_vcc 1
		.amdhsa_float_round_mode_32 0
		.amdhsa_float_round_mode_16_64 0
		.amdhsa_float_denorm_mode_32 3
		.amdhsa_float_denorm_mode_16_64 3
		.amdhsa_dx10_clamp 1
		.amdhsa_ieee_mode 1
		.amdhsa_fp16_overflow 0
		.amdhsa_tg_split 0
		.amdhsa_exception_fp_ieee_invalid_op 0
		.amdhsa_exception_fp_denorm_src 0
		.amdhsa_exception_fp_ieee_div_zero 0
		.amdhsa_exception_fp_ieee_overflow 0
		.amdhsa_exception_fp_ieee_underflow 0
		.amdhsa_exception_fp_ieee_inexact 0
		.amdhsa_exception_int_div_zero 0
	.end_amdhsa_kernel
	.section	.text._ZN4vllm3moe22topkGatingSoftplusSqrtILi4ELi256ELi4ELi16ELi64ELb0EifEEvPKT6_PKbPfiPT5_PiiiibdPKfPKS8_SE_,"axG",@progbits,_ZN4vllm3moe22topkGatingSoftplusSqrtILi4ELi256ELi4ELi16ELi64ELb0EifEEvPKT6_PKbPfiPT5_PiiiibdPKfPKS8_SE_,comdat
.Lfunc_end33:
	.size	_ZN4vllm3moe22topkGatingSoftplusSqrtILi4ELi256ELi4ELi16ELi64ELb0EifEEvPKT6_PKbPfiPT5_PiiiibdPKfPKS8_SE_, .Lfunc_end33-_ZN4vllm3moe22topkGatingSoftplusSqrtILi4ELi256ELi4ELi16ELi64ELb0EifEEvPKT6_PKbPfiPT5_PiiiibdPKfPKS8_SE_
                                        ; -- End function
	.section	.AMDGPU.csdata,"",@progbits
; Kernel info:
; codeLenInByte = 3120
; NumSgprs: 38
; NumVgprs: 22
; NumAgprs: 0
; TotalNumVgprs: 22
; ScratchSize: 0
; MemoryBound: 0
; FloatMode: 240
; IeeeMode: 1
; LDSByteSize: 4096 bytes/workgroup (compile time only)
; SGPRBlocks: 4
; VGPRBlocks: 2
; NumSGPRsForWavesPerEU: 38
; NumVGPRsForWavesPerEU: 22
; AccumOffset: 24
; Occupancy: 8
; WaveLimiterHint : 0
; COMPUTE_PGM_RSRC2:SCRATCH_EN: 0
; COMPUTE_PGM_RSRC2:USER_SGPR: 4
; COMPUTE_PGM_RSRC2:TRAP_HANDLER: 0
; COMPUTE_PGM_RSRC2:TGID_X_EN: 1
; COMPUTE_PGM_RSRC2:TGID_Y_EN: 0
; COMPUTE_PGM_RSRC2:TGID_Z_EN: 0
; COMPUTE_PGM_RSRC2:TIDIG_COMP_CNT: 2
; COMPUTE_PGM_RSRC3_GFX90A:ACCUM_OFFSET: 5
; COMPUTE_PGM_RSRC3_GFX90A:TG_SPLIT: 0
	.section	.text._ZN4vllm3moe22topkGatingSoftplusSqrtILi8ELi256ELi4ELi16ELi32ELb1EifEEvPKT6_PKbPfiPT5_PiiiibdPKfPKS8_SE_,"axG",@progbits,_ZN4vllm3moe22topkGatingSoftplusSqrtILi8ELi256ELi4ELi16ELi32ELb1EifEEvPKT6_PKbPfiPT5_PiiiibdPKfPKS8_SE_,comdat
	.protected	_ZN4vllm3moe22topkGatingSoftplusSqrtILi8ELi256ELi4ELi16ELi32ELb1EifEEvPKT6_PKbPfiPT5_PiiiibdPKfPKS8_SE_ ; -- Begin function _ZN4vllm3moe22topkGatingSoftplusSqrtILi8ELi256ELi4ELi16ELi32ELb1EifEEvPKT6_PKbPfiPT5_PiiiibdPKfPKS8_SE_
	.globl	_ZN4vllm3moe22topkGatingSoftplusSqrtILi8ELi256ELi4ELi16ELi32ELb1EifEEvPKT6_PKbPfiPT5_PiiiibdPKfPKS8_SE_
	.p2align	8
	.type	_ZN4vllm3moe22topkGatingSoftplusSqrtILi8ELi256ELi4ELi16ELi32ELb1EifEEvPKT6_PKbPfiPT5_PiiiibdPKfPKS8_SE_,@function
_ZN4vllm3moe22topkGatingSoftplusSqrtILi8ELi256ELi4ELi16ELi32ELb1EifEEvPKT6_PKbPfiPT5_PiiiibdPKfPKS8_SE_: ; @_ZN4vllm3moe22topkGatingSoftplusSqrtILi8ELi256ELi4ELi16ELi32ELb1EifEEvPKT6_PKbPfiPT5_PiiiibdPKfPKS8_SE_
; %bb.0:
	s_load_dword s3, s[0:1], 0x18
	v_and_b32_e32 v1, 0x3ff, v0
	s_lshl_b32 s2, s2, 2
	v_lshrrev_b32_e32 v2, 5, v1
	v_bfe_u32 v0, v0, 10, 10
	v_add3_u32 v6, s2, v0, v2
	s_waitcnt lgkmcnt(0)
	v_cmp_gt_i32_e32 vcc, s3, v6
	s_and_saveexec_b64 s[2:3], vcc
	s_cbranch_execz .LBB34_31
; %bb.1:
	s_load_dwordx2 s[2:3], s[0:1], 0x0
	s_load_dword s33, s[0:1], 0x30
	s_load_dwordx4 s[8:11], s[0:1], 0x50
	v_lshlrev_b32_e32 v2, 8, v6
	v_lshlrev_b32_e32 v0, 2, v1
	v_ashrrev_i32_e32 v3, 31, v2
	v_and_b32_e32 v10, 0x7c, v0
	s_waitcnt lgkmcnt(0)
	v_lshl_add_u64 v[2:3], v[2:3], 2, s[2:3]
	v_lshlrev_b32_e32 v4, 2, v10
	v_mov_b32_e32 v5, 0
	v_lshl_add_u64 v[0:1], v[2:3], 0, v[4:5]
	global_load_dwordx4 v[12:15], v[0:1], off
	v_mov_b32_e32 v2, s8
	v_mov_b32_e32 v3, s9
	v_ashrrev_i32_e32 v7, 31, v6
	v_lshl_add_u64 v[2:3], v[6:7], 2, v[2:3]
	global_load_dword v7, v[2:3], off
	s_mov_b32 s15, 0x800000
	global_load_dwordx4 v[0:3], v[0:1], off offset:512
	v_mov_b32_e32 v11, 0x4f800000
	s_mov_b32 s13, 0x3f317217
	s_mov_b32 s14, 0x7f800000
	v_mov_b32_e32 v20, 0x41b17218
	s_mov_b32 s9, 0x41a00000
	s_mov_b32 s12, 0xf800000
	v_mov_b32_e32 v21, 0x260
	s_cmp_gt_i32 s33, 0
	v_mov_b32_e32 v4, 0
	s_mov_b32 s8, 0
	s_waitcnt vmcnt(2)
	v_mul_f32_e32 v8, 0x3fb8aa3b, v12
	v_mul_f32_e32 v9, 0x3fb8aa3b, v13
	v_exp_f32_e32 v16, v8
	v_exp_f32_e32 v17, v9
	v_mul_f32_e32 v18, 0x3fb8aa3b, v14
	v_mul_f32_e32 v19, 0x3fb8aa3b, v15
	v_exp_f32_e32 v18, v18
	v_exp_f32_e32 v19, v19
	v_pk_add_f32 v[16:17], v[16:17], 1.0 op_sel_hi:[1,0]
	s_waitcnt vmcnt(1)
	v_mul_lo_u32 v8, v7, s33
	v_cmp_gt_f32_e32 vcc, s15, v17
	v_pk_add_f32 v[18:19], v[18:19], 1.0 op_sel_hi:[1,0]
	v_cmp_gt_f32_e64 s[2:3], s15, v16
	v_cndmask_b32_e32 v7, 1.0, v11, vcc
	v_cmp_gt_f32_e64 s[4:5], s15, v19
	v_cndmask_b32_e64 v22, 1.0, v11, s[2:3]
	v_mul_f32_e32 v7, v17, v7
	v_cndmask_b32_e64 v23, 1.0, v11, s[4:5]
	v_mul_f32_e32 v16, v16, v22
	v_log_f32_e32 v7, v7
	v_mul_f32_e32 v19, v19, v23
	v_log_f32_e32 v16, v16
	v_cmp_gt_f32_e64 s[6:7], s15, v18
	v_log_f32_e32 v19, v19
	v_cndmask_b32_e32 v17, 0, v20, vcc
	v_cndmask_b32_e64 v24, 1.0, v11, s[6:7]
	v_mul_f32_e32 v18, v18, v24
	v_mul_f32_e32 v24, 0x3f317217, v7
	;; [unrolled: 1-line block ×3, first 2 shown]
	v_fma_f32 v24, v7, s13, -v24
	v_mul_f32_e32 v26, 0x3f317217, v19
	v_fma_f32 v25, v16, s13, -v25
	v_fmac_f32_e32 v24, 0x3377d1cf, v7
	v_fma_f32 v26, v19, s13, -v26
	v_fmac_f32_e32 v25, 0x3377d1cf, v16
	v_fmac_f32_e32 v24, 0x3f317217, v7
	v_cmp_lt_f32_e64 vcc, |v7|, s14
	v_fmac_f32_e32 v26, 0x3377d1cf, v19
	v_fmac_f32_e32 v25, 0x3f317217, v16
	v_cndmask_b32_e32 v7, v7, v24, vcc
	v_cmp_lt_f32_e64 vcc, |v16|, s14
	v_cndmask_b32_e64 v22, 0, v20, s[2:3]
	v_fmac_f32_e32 v26, 0x3f317217, v19
	v_cndmask_b32_e32 v16, v16, v25, vcc
	v_cmp_lt_f32_e64 vcc, |v19|, s14
	v_sub_f32_e32 v16, v16, v22
	v_sub_f32_e32 v7, v7, v17
	v_cndmask_b32_e32 v19, v19, v26, vcc
	v_cmp_lt_f32_e32 vcc, s9, v12
	v_cndmask_b32_e64 v23, 0, v20, s[4:5]
	v_sub_f32_e32 v17, v19, v23
	v_cndmask_b32_e32 v12, v16, v12, vcc
	v_cmp_lt_f32_e32 vcc, s9, v13
	v_mul_f32_e32 v16, 0x4f800000, v12
	v_cmp_gt_f32_e64 s[2:3], s12, v12
	v_cndmask_b32_e32 v7, v7, v13, vcc
	v_mul_f32_e32 v13, 0x4f800000, v7
	v_cmp_gt_f32_e32 vcc, s12, v7
	v_cndmask_b32_e64 v12, v12, v16, s[2:3]
	v_sqrt_f32_e32 v16, v12
	v_cndmask_b32_e32 v7, v7, v13, vcc
	v_sqrt_f32_e32 v13, v7
	v_log_f32_e32 v18, v18
	v_add_u32_e32 v23, -1, v16
	v_fma_f32 v28, -v23, v16, v12
	v_add_u32_e32 v19, -1, v13
	v_fma_f32 v25, -v19, v13, v7
	v_add_u32_e32 v22, 1, v13
	v_cmp_ge_f32_e64 s[4:5], 0, v25
	v_add_u32_e32 v24, 1, v16
	v_fma_f32 v26, -v22, v13, v7
	v_cndmask_b32_e64 v13, v13, v19, s[4:5]
	v_cmp_ge_f32_e64 s[4:5], 0, v28
	v_fma_f32 v29, -v24, v16, v12
	v_mul_f32_e32 v27, 0x3f317217, v18
	v_cndmask_b32_e64 v16, v16, v23, s[4:5]
	v_cmp_lt_f32_e64 s[4:5], 0, v26
	v_fma_f32 v27, v18, s13, -v27
	v_fmac_f32_e32 v27, 0x3377d1cf, v18
	v_cndmask_b32_e64 v13, v13, v22, s[4:5]
	v_cmp_lt_f32_e64 s[4:5], 0, v29
	v_mul_f32_e32 v19, 0x37800000, v13
	v_cndmask_b32_e32 v13, v13, v19, vcc
	v_cndmask_b32_e64 v16, v16, v24, s[4:5]
	v_mul_f32_e32 v22, 0x37800000, v16
	v_cmp_class_f32_e32 vcc, v7, v21
	v_cndmask_b32_e64 v16, v16, v22, s[2:3]
	v_fmac_f32_e32 v27, 0x3f317217, v18
	v_cndmask_b32_e32 v13, v13, v7, vcc
	v_cmp_class_f32_e32 vcc, v12, v21
	v_cmp_lt_f32_e64 s[2:3], s9, v14
	v_ashrrev_i32_e32 v9, 31, v8
	v_cndmask_b32_e32 v12, v16, v12, vcc
	v_cmp_lt_f32_e64 vcc, |v18|, s14
	v_cndmask_b32_e64 v16, 0, v20, s[6:7]
	s_nop 0
	v_cndmask_b32_e32 v7, v18, v27, vcc
	v_cmp_lt_f32_e32 vcc, s9, v15
	v_sub_f32_e32 v7, v7, v16
	v_cndmask_b32_e64 v7, v7, v14, s[2:3]
	v_cndmask_b32_e32 v15, v17, v15, vcc
	v_mul_f32_e32 v17, 0x4f800000, v15
	v_cmp_gt_f32_e32 vcc, s12, v15
	s_nop 1
	v_cndmask_b32_e32 v15, v15, v17, vcc
	v_sqrt_f32_e32 v17, v15
	s_nop 0
	v_add_u32_e32 v14, -1, v17
	v_fma_f32 v16, -v14, v17, v15
	v_cmp_ge_f32_e64 s[2:3], 0, v16
	v_add_u32_e32 v16, 1, v17
	s_nop 0
	v_cndmask_b32_e64 v14, v17, v14, s[2:3]
	v_fma_f32 v17, -v16, v17, v15
	v_cmp_lt_f32_e64 s[2:3], 0, v17
	v_mul_f32_e32 v17, 0x4f800000, v7
	s_nop 0
	v_cndmask_b32_e64 v14, v14, v16, s[2:3]
	v_cmp_gt_f32_e64 s[2:3], s12, v7
	v_mul_f32_e32 v16, 0x37800000, v14
	v_cndmask_b32_e32 v14, v14, v16, vcc
	v_cndmask_b32_e64 v7, v7, v17, s[2:3]
	v_sqrt_f32_e32 v17, v7
	v_cmp_class_f32_e32 vcc, v15, v21
	v_add_u32_e32 v18, 1, v17
	s_nop 0
	v_cndmask_b32_e32 v15, v14, v15, vcc
	v_add_u32_e32 v14, -1, v17
	v_fma_f32 v16, -v14, v17, v7
	v_cmp_ge_f32_e32 vcc, 0, v16
	v_fma_f32 v19, -v18, v17, v7
	s_waitcnt vmcnt(0)
	v_mul_f32_e32 v16, 0x3fb8aa3b, v0
	v_cndmask_b32_e32 v14, v17, v14, vcc
	v_mul_f32_e32 v17, 0x3fb8aa3b, v1
	v_exp_f32_e32 v16, v16
	v_exp_f32_e32 v17, v17
	v_cmp_lt_f32_e32 vcc, 0, v19
	v_pk_add_f32 v[16:17], v[16:17], 1.0 op_sel_hi:[1,0]
	s_nop 0
	v_cndmask_b32_e32 v14, v14, v18, vcc
	v_mul_f32_e32 v18, 0x37800000, v14
	v_cmp_gt_f32_e32 vcc, s15, v17
	v_cndmask_b32_e64 v14, v14, v18, s[2:3]
	v_cmp_class_f32_e64 s[2:3], v7, v21
	v_cndmask_b32_e32 v18, 1.0, v11, vcc
	v_mul_f32_e32 v17, v17, v18
	v_log_f32_e32 v17, v17
	v_cndmask_b32_e64 v14, v14, v7, s[2:3]
	v_cmp_gt_f32_e64 s[2:3], s15, v16
	scratch_store_dwordx4 off, v[12:15], off
	v_mul_f32_e32 v7, 0x3f317217, v17
	v_fma_f32 v7, v17, s13, -v7
	v_cndmask_b32_e64 v12, 1.0, v11, s[2:3]
	v_mul_f32_e32 v12, v16, v12
	v_log_f32_e32 v12, v12
	v_fmac_f32_e32 v7, 0x3377d1cf, v17
	v_fmac_f32_e32 v7, 0x3f317217, v17
	v_cmp_lt_f32_e64 s[4:5], |v17|, s14
	v_cndmask_b32_e32 v13, 0, v20, vcc
	v_cmp_lt_f32_e64 vcc, |v12|, s14
	v_cndmask_b32_e64 v7, v17, v7, s[4:5]
	v_sub_f32_e32 v7, v7, v13
	v_mul_f32_e32 v13, 0x3f317217, v12
	v_fma_f32 v13, v12, s13, -v13
	v_fmac_f32_e32 v13, 0x3377d1cf, v12
	v_fmac_f32_e32 v13, 0x3f317217, v12
	v_cndmask_b32_e32 v12, v12, v13, vcc
	v_cmp_lt_f32_e32 vcc, s9, v1
	v_cndmask_b32_e64 v13, 0, v20, s[2:3]
	v_sub_f32_e32 v12, v12, v13
	v_cndmask_b32_e32 v1, v7, v1, vcc
	v_mul_f32_e32 v7, 0x4f800000, v1
	v_cmp_gt_f32_e32 vcc, s12, v1
	v_cmp_lt_f32_e64 s[2:3], s9, v0
	s_nop 0
	v_cndmask_b32_e32 v1, v1, v7, vcc
	v_sqrt_f32_e32 v7, v1
	v_cndmask_b32_e64 v0, v12, v0, s[2:3]
	v_add_u32_e32 v12, -1, v7
	v_fma_f32 v13, -v12, v7, v1
	v_cmp_ge_f32_e64 s[2:3], 0, v13
	v_add_u32_e32 v13, 1, v7
	s_nop 0
	v_cndmask_b32_e64 v12, v7, v12, s[2:3]
	v_fma_f32 v7, -v13, v7, v1
	v_cmp_lt_f32_e64 s[2:3], 0, v7
	s_nop 1
	v_cndmask_b32_e64 v7, v12, v13, s[2:3]
	v_mul_f32_e32 v13, 0x4f800000, v0
	v_cmp_gt_f32_e64 s[2:3], s12, v0
	v_mul_f32_e32 v12, 0x37800000, v7
	v_cndmask_b32_e32 v7, v7, v12, vcc
	v_cndmask_b32_e64 v0, v0, v13, s[2:3]
	v_sqrt_f32_e32 v13, v0
	v_cmp_class_f32_e32 vcc, v1, v21
	v_add_u32_e32 v14, 1, v13
	s_nop 0
	v_cndmask_b32_e32 v1, v7, v1, vcc
	v_add_u32_e32 v7, -1, v13
	v_fma_f32 v12, -v7, v13, v0
	v_cmp_ge_f32_e32 vcc, 0, v12
	v_fma_f32 v15, -v14, v13, v0
	v_mul_f32_e32 v12, 0x3fb8aa3b, v2
	v_cndmask_b32_e32 v7, v13, v7, vcc
	v_mul_f32_e32 v13, 0x3fb8aa3b, v3
	v_exp_f32_e32 v12, v12
	v_exp_f32_e32 v13, v13
	v_cmp_lt_f32_e32 vcc, 0, v15
	v_pk_add_f32 v[12:13], v[12:13], 1.0 op_sel_hi:[1,0]
	s_nop 0
	v_cndmask_b32_e32 v7, v7, v14, vcc
	v_cmp_gt_f32_e32 vcc, s15, v13
	v_mul_f32_e32 v14, 0x37800000, v7
	v_cndmask_b32_e64 v7, v7, v14, s[2:3]
	v_cndmask_b32_e32 v15, 1.0, v11, vcc
	v_mul_f32_e32 v13, v13, v15
	v_log_f32_e32 v13, v13
	v_cmp_class_f32_e64 s[2:3], v0, v21
	v_cmp_lt_f32_e64 s[4:5], |v13|, s14
	s_nop 0
	v_cndmask_b32_e64 v0, v7, v0, s[2:3]
	v_cmp_gt_f32_e64 s[2:3], s15, v12
	v_mul_f32_e32 v7, 0x3f317217, v13
	v_fma_f32 v7, v13, s13, -v7
	v_cndmask_b32_e64 v11, 1.0, v11, s[2:3]
	v_mul_f32_e32 v11, v12, v11
	v_log_f32_e32 v11, v11
	v_fmac_f32_e32 v7, 0x3377d1cf, v13
	v_fmac_f32_e32 v7, 0x3f317217, v13
	v_cndmask_b32_e64 v7, v13, v7, s[4:5]
	v_cndmask_b32_e32 v12, 0, v20, vcc
	v_sub_f32_e32 v7, v7, v12
	v_mul_f32_e32 v12, 0x3f317217, v11
	v_fma_f32 v12, v11, s13, -v12
	v_fmac_f32_e32 v12, 0x3377d1cf, v11
	v_fmac_f32_e32 v12, 0x3f317217, v11
	v_cmp_lt_f32_e64 vcc, |v11|, s14
	s_cselect_b64 s[4:5], -1, 0
	s_cmp_lt_i32 s33, 1
	v_cndmask_b32_e32 v11, v11, v12, vcc
	v_cmp_lt_f32_e32 vcc, s9, v3
	v_cndmask_b32_e64 v12, 0, v20, s[2:3]
	v_sub_f32_e32 v11, v11, v12
	v_cndmask_b32_e32 v3, v7, v3, vcc
	v_mul_f32_e32 v7, 0x4f800000, v3
	v_cmp_gt_f32_e32 vcc, s12, v3
	v_cmp_lt_f32_e64 s[2:3], s9, v2
	s_nop 0
	v_cndmask_b32_e32 v3, v3, v7, vcc
	v_sqrt_f32_e32 v7, v3
	v_cndmask_b32_e64 v2, v11, v2, s[2:3]
	v_add_u32_e32 v11, -1, v7
	v_fma_f32 v12, -v11, v7, v3
	v_cmp_ge_f32_e64 s[2:3], 0, v12
	v_add_u32_e32 v12, 1, v7
	s_nop 0
	v_cndmask_b32_e64 v11, v7, v11, s[2:3]
	v_fma_f32 v7, -v12, v7, v3
	v_cmp_lt_f32_e64 s[2:3], 0, v7
	s_nop 1
	v_cndmask_b32_e64 v7, v11, v12, s[2:3]
	v_mul_f32_e32 v12, 0x4f800000, v2
	v_cmp_gt_f32_e64 s[2:3], s12, v2
	v_mul_f32_e32 v11, 0x37800000, v7
	v_cndmask_b32_e32 v7, v7, v11, vcc
	v_cndmask_b32_e64 v2, v2, v12, s[2:3]
	v_sqrt_f32_e32 v12, v2
	v_cmp_class_f32_e32 vcc, v3, v21
	s_nop 1
	v_cndmask_b32_e32 v3, v7, v3, vcc
	v_add_u32_e32 v7, -1, v12
	v_fma_f32 v11, -v7, v12, v2
	v_cmp_ge_f32_e32 vcc, 0, v11
	v_add_u32_e32 v11, 1, v12
	s_nop 0
	v_cndmask_b32_e32 v7, v12, v7, vcc
	v_fma_f32 v12, -v11, v12, v2
	v_cmp_lt_f32_e32 vcc, 0, v12
	s_nop 1
	v_cndmask_b32_e32 v7, v7, v11, vcc
	v_mul_f32_e32 v11, 0x37800000, v7
	v_cndmask_b32_e64 v7, v7, v11, s[2:3]
	v_cmp_class_f32_e32 vcc, v2, v21
	s_nop 1
	v_cndmask_b32_e32 v2, v7, v2, vcc
	scratch_store_dwordx4 off, v[0:3], off offset:16
	s_nop 1
	v_lshl_add_u64 v[2:3], v[8:9], 2, s[10:11]
	v_mul_lo_u32 v0, v6, s33
	s_cbranch_scc1 .LBB34_28
; %bb.2:
	s_load_dwordx2 s[6:7], s[0:1], 0x20
	s_cmp_lt_u32 s33, 4
	s_cbranch_scc1 .LBB34_21
; %bb.3:
	s_mov_b32 s11, 0
	s_and_b32 s8, s33, 0x7ffffffc
	v_ashrrev_i32_e32 v1, 31, v0
	v_mov_b32_e32 v5, 0
	s_mov_b32 s10, s11
	s_branch .LBB34_5
.LBB34_4:                               ;   in Loop: Header=BB34_5 Depth=1
	s_or_b64 exec, exec, s[12:13]
	s_add_i32 s10, s10, 4
	s_cmp_eq_u32 s10, s8
	s_cbranch_scc1 .LBB34_21
.LBB34_5:                               ; =>This Loop Header: Depth=1
                                        ;     Child Loop BB34_7 Depth 2
                                        ;     Child Loop BB34_11 Depth 2
	;; [unrolled: 1-line block ×4, first 2 shown]
	v_lshl_add_u64 v[6:7], s[10:11], 2, v[2:3]
	global_load_dword v11, v[6:7], off
	v_add_u32_e32 v8, s10, v0
	v_ashrrev_i32_e32 v9, 31, v8
	s_waitcnt lgkmcnt(0)
	v_lshl_add_u64 v[8:9], v[8:9], 2, s[6:7]
	v_mov_b32_e32 v12, 0
	s_mov_b64 s[12:13], 0
	s_mov_b32 s9, 0
	s_mov_b32 s16, 0
	s_branch .LBB34_7
.LBB34_6:                               ;   in Loop: Header=BB34_7 Depth=2
	s_or_b64 exec, exec, s[14:15]
	s_add_i32 s17, s16, 1
	s_cmp_gt_u32 s16, 6
	s_cselect_b64 s[2:3], -1, 0
	s_xor_b64 s[14:15], vcc, -1
	s_or_b64 s[2:3], s[14:15], s[2:3]
	s_add_i32 s9, s9, 32
	s_and_b64 s[2:3], exec, s[2:3]
	v_add_u32_e32 v12, 4, v12
	s_or_b64 s[12:13], s[2:3], s[12:13]
	s_mov_b32 s16, s17
	s_andn2_b64 exec, exec, s[12:13]
	s_cbranch_execz .LBB34_9
.LBB34_7:                               ;   Parent Loop BB34_5 Depth=1
                                        ; =>  This Inner Loop Header: Depth=2
	s_and_b32 s2, s16, 3
	s_and_b32 s3, s9, 0x80
	s_or_b32 s2, s2, s3
	v_or_b32_e32 v13, s2, v10
	s_waitcnt vmcnt(0)
	v_cmp_ne_u32_e32 vcc, v11, v13
	v_cmp_eq_u32_e64 s[2:3], v11, v13
	s_and_saveexec_b64 s[14:15], s[2:3]
	s_cbranch_execz .LBB34_6
; %bb.8:                                ;   in Loop: Header=BB34_7 Depth=2
	scratch_load_dword v13, v12, off
	s_waitcnt vmcnt(0)
	v_add_f32_e32 v5, v5, v13
	global_store_dword v[8:9], v11, off
	s_branch .LBB34_6
.LBB34_9:                               ;   in Loop: Header=BB34_5 Depth=1
	s_or_b64 exec, exec, s[12:13]
	global_load_dword v11, v[6:7], off offset:4
	s_ashr_i32 s3, s10, 31
	s_mov_b32 s2, s10
	v_lshl_add_u64 v[8:9], s[2:3], 0, v[0:1]
	v_lshl_add_u64 v[8:9], v[8:9], 2, s[6:7]
	v_mov_b32_e32 v12, 0
	s_mov_b32 s9, 0
	s_mov_b64 s[12:13], 0
	s_mov_b32 s16, 0
	s_branch .LBB34_11
.LBB34_10:                              ;   in Loop: Header=BB34_11 Depth=2
	s_or_b64 exec, exec, s[14:15]
	s_add_i32 s17, s16, 1
	s_cmp_gt_u32 s16, 6
	s_cselect_b64 s[2:3], -1, 0
	s_xor_b64 s[14:15], vcc, -1
	s_or_b64 s[2:3], s[14:15], s[2:3]
	s_add_i32 s9, s9, 32
	s_and_b64 s[2:3], exec, s[2:3]
	v_add_u32_e32 v12, 4, v12
	s_or_b64 s[12:13], s[2:3], s[12:13]
	s_mov_b32 s16, s17
	s_andn2_b64 exec, exec, s[12:13]
	s_cbranch_execz .LBB34_13
.LBB34_11:                              ;   Parent Loop BB34_5 Depth=1
                                        ; =>  This Inner Loop Header: Depth=2
	s_and_b32 s2, s16, 3
	s_and_b32 s3, s9, 0x80
	s_or_b32 s2, s2, s3
	v_or_b32_e32 v13, s2, v10
	s_waitcnt vmcnt(0)
	v_cmp_ne_u32_e32 vcc, v11, v13
	v_cmp_eq_u32_e64 s[2:3], v11, v13
	s_and_saveexec_b64 s[14:15], s[2:3]
	s_cbranch_execz .LBB34_10
; %bb.12:                               ;   in Loop: Header=BB34_11 Depth=2
	scratch_load_dword v13, v12, off
	s_waitcnt vmcnt(0)
	v_add_f32_e32 v5, v5, v13
	global_store_dword v[8:9], v11, off offset:4
	s_branch .LBB34_10
.LBB34_13:                              ;   in Loop: Header=BB34_5 Depth=1
	s_or_b64 exec, exec, s[12:13]
	global_load_dword v11, v[6:7], off offset:8
	v_mov_b32_e32 v12, 0
	s_mov_b32 s9, 0
	s_mov_b64 s[12:13], 0
	s_mov_b32 s16, 0
	s_branch .LBB34_15
.LBB34_14:                              ;   in Loop: Header=BB34_15 Depth=2
	s_or_b64 exec, exec, s[14:15]
	s_add_i32 s17, s16, 1
	s_cmp_gt_u32 s16, 6
	s_cselect_b64 s[2:3], -1, 0
	s_xor_b64 s[14:15], vcc, -1
	s_or_b64 s[2:3], s[14:15], s[2:3]
	s_add_i32 s9, s9, 32
	s_and_b64 s[2:3], exec, s[2:3]
	v_add_u32_e32 v12, 4, v12
	s_or_b64 s[12:13], s[2:3], s[12:13]
	s_mov_b32 s16, s17
	s_andn2_b64 exec, exec, s[12:13]
	s_cbranch_execz .LBB34_17
.LBB34_15:                              ;   Parent Loop BB34_5 Depth=1
                                        ; =>  This Inner Loop Header: Depth=2
	s_and_b32 s2, s16, 3
	s_and_b32 s3, s9, 0x80
	s_or_b32 s2, s2, s3
	v_or_b32_e32 v13, s2, v10
	s_waitcnt vmcnt(0)
	v_cmp_ne_u32_e32 vcc, v11, v13
	v_cmp_eq_u32_e64 s[2:3], v11, v13
	s_and_saveexec_b64 s[14:15], s[2:3]
	s_cbranch_execz .LBB34_14
; %bb.16:                               ;   in Loop: Header=BB34_15 Depth=2
	scratch_load_dword v13, v12, off
	s_waitcnt vmcnt(0)
	v_add_f32_e32 v5, v5, v13
	global_store_dword v[8:9], v11, off offset:8
	s_branch .LBB34_14
.LBB34_17:                              ;   in Loop: Header=BB34_5 Depth=1
	s_or_b64 exec, exec, s[12:13]
	global_load_dword v6, v[6:7], off offset:12
	v_mov_b32_e32 v7, 0
	s_mov_b32 s9, 0
	s_mov_b64 s[12:13], 0
	s_mov_b32 s16, 0
	s_branch .LBB34_19
.LBB34_18:                              ;   in Loop: Header=BB34_19 Depth=2
	s_or_b64 exec, exec, s[14:15]
	s_add_i32 s17, s16, 1
	s_cmp_gt_u32 s16, 6
	s_cselect_b64 s[2:3], -1, 0
	s_xor_b64 s[14:15], vcc, -1
	s_or_b64 s[2:3], s[14:15], s[2:3]
	s_add_i32 s9, s9, 32
	s_and_b64 s[2:3], exec, s[2:3]
	v_add_u32_e32 v7, 4, v7
	s_or_b64 s[12:13], s[2:3], s[12:13]
	s_mov_b32 s16, s17
	s_andn2_b64 exec, exec, s[12:13]
	s_cbranch_execz .LBB34_4
.LBB34_19:                              ;   Parent Loop BB34_5 Depth=1
                                        ; =>  This Inner Loop Header: Depth=2
	s_and_b32 s2, s16, 3
	s_and_b32 s3, s9, 0x80
	s_or_b32 s2, s2, s3
	v_or_b32_e32 v11, s2, v10
	s_waitcnt vmcnt(0)
	v_cmp_ne_u32_e32 vcc, v6, v11
	v_cmp_eq_u32_e64 s[2:3], v6, v11
	s_and_saveexec_b64 s[14:15], s[2:3]
	s_cbranch_execz .LBB34_18
; %bb.20:                               ;   in Loop: Header=BB34_19 Depth=2
	scratch_load_dword v11, v7, off
	s_waitcnt vmcnt(0)
	v_add_f32_e32 v5, v5, v11
	global_store_dword v[8:9], v6, off offset:12
	s_branch .LBB34_18
.LBB34_21:
	s_and_b32 s14, s33, 3
	s_cmp_eq_u32 s14, 0
	s_mov_b32 s9, 0
	s_cbranch_scc1 .LBB34_28
; %bb.22:
	s_mov_b32 s15, s9
	s_branch .LBB34_24
.LBB34_23:                              ;   in Loop: Header=BB34_24 Depth=1
	s_or_b64 exec, exec, s[10:11]
	s_add_i32 s8, s8, 1
	s_add_i32 s15, s15, 1
	s_cmp_lg_u32 s15, s14
	s_cbranch_scc0 .LBB34_28
.LBB34_24:                              ; =>This Loop Header: Depth=1
                                        ;     Child Loop BB34_26 Depth 2
	v_lshl_add_u64 v[6:7], s[8:9], 2, v[2:3]
	global_load_dword v1, v[6:7], off
	v_add_u32_e32 v6, s8, v0
	v_ashrrev_i32_e32 v7, 31, v6
	s_waitcnt lgkmcnt(0)
	v_lshl_add_u64 v[6:7], v[6:7], 2, s[6:7]
	v_mov_b32_e32 v8, 0
	s_mov_b32 s16, 0
	s_mov_b64 s[10:11], 0
	s_mov_b32 s17, 0
	s_branch .LBB34_26
.LBB34_25:                              ;   in Loop: Header=BB34_26 Depth=2
	s_or_b64 exec, exec, s[12:13]
	s_add_i32 s18, s17, 1
	s_cmp_gt_u32 s17, 6
	s_cselect_b64 s[2:3], -1, 0
	s_xor_b64 s[12:13], vcc, -1
	s_or_b64 s[2:3], s[12:13], s[2:3]
	s_add_i32 s16, s16, 32
	s_and_b64 s[2:3], exec, s[2:3]
	v_add_u32_e32 v8, 4, v8
	s_or_b64 s[10:11], s[2:3], s[10:11]
	s_mov_b32 s17, s18
	s_andn2_b64 exec, exec, s[10:11]
	s_cbranch_execz .LBB34_23
.LBB34_26:                              ;   Parent Loop BB34_24 Depth=1
                                        ; =>  This Inner Loop Header: Depth=2
	s_and_b32 s2, s17, 3
	s_and_b32 s3, s16, 0x80
	s_or_b32 s2, s2, s3
	v_or_b32_e32 v9, s2, v10
	s_waitcnt vmcnt(0)
	v_cmp_ne_u32_e32 vcc, v1, v9
	v_cmp_eq_u32_e64 s[2:3], v1, v9
	s_and_saveexec_b64 s[12:13], s[2:3]
	s_cbranch_execz .LBB34_25
; %bb.27:                               ;   in Loop: Header=BB34_26 Depth=2
	scratch_load_dword v9, v8, off
	s_waitcnt vmcnt(0)
	v_add_f32_e32 v5, v5, v9
	global_store_dword v[6:7], v1, off
	s_branch .LBB34_25
.LBB34_28:
	s_waitcnt lgkmcnt(0)
	s_load_dword s6, s[0:1], 0x3c
	v_add_u32_e32 v9, 16, v4
	s_waitcnt lgkmcnt(0)
	s_bitcmp1_b32 s6, 0
	s_cselect_b64 s[2:3], -1, 0
	s_bitcmp0_b32 s6, 0
	s_cbranch_scc0 .LBB34_32
; %bb.29:
	s_load_dwordx2 s[6:7], s[0:1], 0x40
	s_andn2_b64 vcc, exec, s[2:3]
	s_waitcnt lgkmcnt(0)
	v_cvt_f32_f64_e32 v8, s[6:7]
	s_cbranch_vccz .LBB34_33
.LBB34_30:
	s_andn2_b64 vcc, exec, s[4:5]
	s_cbranch_vccz .LBB34_34
.LBB34_31:
	s_endpgm
.LBB34_32:
	v_mbcnt_lo_u32_b32 v1, -1, 0
	v_mbcnt_hi_u32_b32 v1, -1, v1
	v_and_b32_e32 v4, 0x60, v1
	v_add_u32_e32 v4, 32, v4
	v_xor_b32_e32 v6, 16, v1
	v_cmp_lt_i32_e32 vcc, v6, v4
	v_xor_b32_e32 v7, 8, v1
	s_nop 0
	v_cndmask_b32_e32 v6, v1, v6, vcc
	v_lshlrev_b32_e32 v6, 2, v6
	ds_bpermute_b32 v6, v6, v5
	v_cmp_lt_i32_e32 vcc, v7, v4
	s_waitcnt lgkmcnt(0)
	v_add_f32_e32 v5, v5, v6
	v_cndmask_b32_e32 v6, v1, v7, vcc
	v_lshlrev_b32_e32 v6, 2, v6
	ds_bpermute_b32 v6, v6, v5
	v_xor_b32_e32 v7, 4, v1
	v_cmp_lt_i32_e32 vcc, v7, v4
	s_waitcnt lgkmcnt(0)
	v_add_f32_e32 v5, v5, v6
	v_cndmask_b32_e32 v6, v1, v7, vcc
	v_lshlrev_b32_e32 v6, 2, v6
	ds_bpermute_b32 v6, v6, v5
	v_xor_b32_e32 v7, 2, v1
	;; [unrolled: 7-line block ×3, first 2 shown]
	v_cmp_lt_i32_e32 vcc, v7, v4
	s_waitcnt lgkmcnt(0)
	v_add_f32_e32 v5, v5, v6
	v_cndmask_b32_e32 v1, v1, v7, vcc
	v_lshlrev_b32_e32 v1, 2, v1
	ds_bpermute_b32 v1, v1, v5
	s_waitcnt lgkmcnt(0)
	v_add_f32_e32 v5, v5, v1
	s_load_dwordx2 s[6:7], s[0:1], 0x40
	s_andn2_b64 vcc, exec, s[2:3]
	s_waitcnt lgkmcnt(0)
	v_cvt_f32_f64_e32 v8, s[6:7]
	s_cbranch_vccnz .LBB34_30
.LBB34_33:
	v_cmp_lt_f32_e32 vcc, 0, v5
	s_nop 1
	v_cndmask_b32_e32 v1, 1.0, v5, vcc
	v_div_scale_f32 v4, s[2:3], v1, v1, v8
	v_rcp_f32_e32 v5, v4
	s_nop 0
	v_fma_f32 v6, -v4, v5, 1.0
	v_fmac_f32_e32 v5, v6, v5
	v_div_scale_f32 v6, vcc, v8, v1, v8
	v_mul_f32_e32 v7, v6, v5
	v_fma_f32 v11, -v4, v7, v6
	v_fmac_f32_e32 v7, v11, v5
	v_fma_f32 v4, -v4, v7, v6
	v_div_fmas_f32 v4, v4, v5, v7
	v_div_fixup_f32 v8, v4, v1, v8
	s_andn2_b64 vcc, exec, s[4:5]
	s_cbranch_vccnz .LBB34_31
.LBB34_34:
	s_load_dwordx2 s[12:13], s[0:1], 0x10
	v_mov_b32_e32 v1, 0
	v_or_b32_e32 v20, 4, v1
	v_or_b32_e32 v18, 8, v1
	;; [unrolled: 1-line block ×3, first 2 shown]
	v_add_u32_e32 v13, 20, v1
	v_add_u32_e32 v11, 24, v1
	;; [unrolled: 1-line block ×3, first 2 shown]
	v_or_b32_e32 v23, 1, v10
	v_or_b32_e32 v22, 2, v10
	;; [unrolled: 1-line block ×7, first 2 shown]
	s_cmp_eq_u32 s33, 1
	s_mov_b32 s14, 0
	s_cbranch_scc1 .LBB34_69
; %bb.35:
	v_ashrrev_i32_e32 v1, 31, v0
	s_waitcnt lgkmcnt(0)
	v_lshl_add_u64 v[4:5], v[0:1], 2, s[12:13]
	s_and_b32 s14, s33, 0x7ffffffe
	v_lshl_add_u64 v[4:5], v[4:5], 0, 4
	v_lshl_add_u64 v[6:7], v[2:3], 0, 4
	s_mov_b32 s15, 0
	s_branch .LBB34_37
.LBB34_36:                              ;   in Loop: Header=BB34_37 Depth=1
	s_or_b64 exec, exec, s[0:1]
	s_add_i32 s15, s15, 2
	v_lshl_add_u64 v[4:5], v[4:5], 0, 8
	s_cmp_eq_u32 s14, s15
	v_lshl_add_u64 v[6:7], v[6:7], 0, 8
	s_cbranch_scc1 .LBB34_69
.LBB34_37:                              ; =>This Inner Loop Header: Depth=1
	global_load_dword v24, v[6:7], off offset:-4
	v_mov_b32_e32 v1, 0
	s_waitcnt vmcnt(0)
	v_cmp_eq_u32_e32 vcc, v24, v10
	v_cmp_ne_u32_e64 s[0:1], v24, v10
	s_and_saveexec_b64 s[16:17], s[0:1]
	s_cbranch_execz .LBB34_51
; %bb.38:                               ;   in Loop: Header=BB34_37 Depth=1
	v_cmp_eq_u32_e64 s[0:1], v24, v23
	v_cmp_ne_u32_e64 s[2:3], v24, v23
	v_mov_b32_e32 v1, v20
	s_and_saveexec_b64 s[18:19], s[2:3]
	s_cbranch_execz .LBB34_50
; %bb.39:                               ;   in Loop: Header=BB34_37 Depth=1
	v_cmp_eq_u32_e64 s[2:3], v24, v22
	v_cmp_ne_u32_e64 s[4:5], v24, v22
	v_mov_b32_e32 v1, v18
	;; [unrolled: 6-line block ×6, first 2 shown]
	s_and_saveexec_b64 s[30:31], s[10:11]
	s_xor_b64 s[30:31], exec, s[30:31]
; %bb.44:                               ;   in Loop: Header=BB34_37 Depth=1
	v_cmp_eq_u32_e64 s[10:11], v24, v14
	s_andn2_b64 s[28:29], s[28:29], exec
	s_and_b64 s[10:11], s[10:11], exec
	s_or_b64 s[28:29], s[28:29], s[10:11]
	v_mov_b32_e32 v1, v12
; %bb.45:                               ;   in Loop: Header=BB34_37 Depth=1
	s_or_b64 exec, exec, s[30:31]
	s_andn2_b64 s[8:9], s[8:9], exec
	s_and_b64 s[10:11], s[28:29], exec
	s_or_b64 s[8:9], s[8:9], s[10:11]
.LBB34_46:                              ;   in Loop: Header=BB34_37 Depth=1
	s_or_b64 exec, exec, s[26:27]
	s_andn2_b64 s[6:7], s[6:7], exec
	s_and_b64 s[8:9], s[8:9], exec
	s_or_b64 s[6:7], s[6:7], s[8:9]
.LBB34_47:                              ;   in Loop: Header=BB34_37 Depth=1
	s_or_b64 exec, exec, s[24:25]
	s_andn2_b64 s[4:5], s[4:5], exec
	s_and_b64 s[6:7], s[6:7], exec
	s_or_b64 s[4:5], s[4:5], s[6:7]
.LBB34_48:                              ;   in Loop: Header=BB34_37 Depth=1
	s_or_b64 exec, exec, s[22:23]
	s_andn2_b64 s[2:3], s[2:3], exec
	s_and_b64 s[4:5], s[4:5], exec
	s_or_b64 s[2:3], s[2:3], s[4:5]
.LBB34_49:                              ;   in Loop: Header=BB34_37 Depth=1
	s_or_b64 exec, exec, s[20:21]
	s_andn2_b64 s[0:1], s[0:1], exec
	s_and_b64 s[2:3], s[2:3], exec
	s_or_b64 s[0:1], s[0:1], s[2:3]
.LBB34_50:                              ;   in Loop: Header=BB34_37 Depth=1
	s_or_b64 exec, exec, s[18:19]
	s_andn2_b64 s[2:3], vcc, exec
	s_and_b64 s[0:1], s[0:1], exec
	s_or_b64 vcc, s[2:3], s[0:1]
.LBB34_51:                              ;   in Loop: Header=BB34_37 Depth=1
	s_or_b64 exec, exec, s[16:17]
	s_and_saveexec_b64 s[0:1], vcc
	s_cbranch_execz .LBB34_53
; %bb.52:                               ;   in Loop: Header=BB34_37 Depth=1
	scratch_load_dword v1, v1, off
	v_add_u32_e32 v24, s15, v0
	v_ashrrev_i32_e32 v25, 31, v24
	v_lshl_add_u64 v[24:25], v[24:25], 2, s[12:13]
	s_waitcnt vmcnt(0)
	v_mul_f32_e32 v1, v8, v1
	global_store_dword v[24:25], v1, off
.LBB34_53:                              ;   in Loop: Header=BB34_37 Depth=1
	s_or_b64 exec, exec, s[0:1]
	global_load_dword v24, v[6:7], off
	v_mov_b32_e32 v1, 0
	s_waitcnt vmcnt(0)
	v_cmp_eq_u32_e64 s[8:9], v24, v10
	v_cmp_ne_u32_e32 vcc, v24, v10
	s_and_saveexec_b64 s[10:11], vcc
	s_cbranch_execz .LBB34_67
; %bb.54:                               ;   in Loop: Header=BB34_37 Depth=1
	v_cmp_eq_u32_e32 vcc, v24, v23
	v_cmp_ne_u32_e64 s[0:1], v24, v23
	v_mov_b32_e32 v1, v20
	s_and_saveexec_b64 s[16:17], s[0:1]
	s_cbranch_execz .LBB34_66
; %bb.55:                               ;   in Loop: Header=BB34_37 Depth=1
	v_cmp_eq_u32_e64 s[0:1], v24, v22
	v_cmp_ne_u32_e64 s[2:3], v24, v22
	v_mov_b32_e32 v1, v18
	s_and_saveexec_b64 s[18:19], s[2:3]
	s_cbranch_execz .LBB34_65
; %bb.56:                               ;   in Loop: Header=BB34_37 Depth=1
	v_cmp_eq_u32_e64 s[2:3], v24, v21
	;; [unrolled: 6-line block ×5, first 2 shown]
	v_cmp_ne_u32_e64 s[6:7], v24, v15
	v_mov_b32_e32 v1, v11
	s_and_saveexec_b64 s[30:31], s[6:7]
; %bb.60:                               ;   in Loop: Header=BB34_37 Depth=1
	v_cmp_eq_u32_e64 s[6:7], v24, v14
	s_andn2_b64 s[28:29], s[28:29], exec
	s_and_b64 s[6:7], s[6:7], exec
	s_or_b64 s[28:29], s[28:29], s[6:7]
	v_mov_b32_e32 v1, v12
; %bb.61:                               ;   in Loop: Header=BB34_37 Depth=1
	s_or_b64 exec, exec, s[30:31]
	s_andn2_b64 s[6:7], s[24:25], exec
	s_and_b64 s[24:25], s[28:29], exec
	s_or_b64 s[24:25], s[6:7], s[24:25]
.LBB34_62:                              ;   in Loop: Header=BB34_37 Depth=1
	s_or_b64 exec, exec, s[26:27]
	s_andn2_b64 s[4:5], s[4:5], exec
	s_and_b64 s[6:7], s[24:25], exec
	s_or_b64 s[4:5], s[4:5], s[6:7]
.LBB34_63:                              ;   in Loop: Header=BB34_37 Depth=1
	s_or_b64 exec, exec, s[22:23]
	s_andn2_b64 s[2:3], s[2:3], exec
	s_and_b64 s[4:5], s[4:5], exec
	s_or_b64 s[2:3], s[2:3], s[4:5]
.LBB34_64:                              ;   in Loop: Header=BB34_37 Depth=1
	s_or_b64 exec, exec, s[20:21]
	s_andn2_b64 s[0:1], s[0:1], exec
	s_and_b64 s[2:3], s[2:3], exec
	s_or_b64 s[0:1], s[0:1], s[2:3]
.LBB34_65:                              ;   in Loop: Header=BB34_37 Depth=1
	s_or_b64 exec, exec, s[18:19]
	s_andn2_b64 s[2:3], vcc, exec
	s_and_b64 s[0:1], s[0:1], exec
	s_or_b64 vcc, s[2:3], s[0:1]
.LBB34_66:                              ;   in Loop: Header=BB34_37 Depth=1
	s_or_b64 exec, exec, s[16:17]
	s_andn2_b64 s[0:1], s[8:9], exec
	s_and_b64 s[2:3], vcc, exec
	s_or_b64 s[8:9], s[0:1], s[2:3]
.LBB34_67:                              ;   in Loop: Header=BB34_37 Depth=1
	s_or_b64 exec, exec, s[10:11]
	s_and_saveexec_b64 s[0:1], s[8:9]
	s_cbranch_execz .LBB34_36
; %bb.68:                               ;   in Loop: Header=BB34_37 Depth=1
	scratch_load_dword v1, v1, off
	s_waitcnt vmcnt(0)
	v_mul_f32_e32 v1, v8, v1
	global_store_dword v[4:5], v1, off
	s_branch .LBB34_36
.LBB34_69:
	s_bitcmp0_b32 s33, 0
	s_mov_b32 s15, 0
	s_cbranch_scc1 .LBB34_31
; %bb.70:
	v_lshl_add_u64 v[2:3], s[14:15], 2, v[2:3]
	global_load_dword v1, v[2:3], off
	v_mov_b32_e32 v2, 0
	s_waitcnt vmcnt(0)
	v_cmp_eq_u32_e64 s[8:9], v1, v10
	v_cmp_ne_u32_e32 vcc, v1, v10
	s_and_saveexec_b64 s[10:11], vcc
	s_cbranch_execz .LBB34_84
; %bb.71:
	v_cmp_eq_u32_e32 vcc, v1, v23
	v_cmp_ne_u32_e64 s[0:1], v1, v23
	s_and_saveexec_b64 s[16:17], s[0:1]
	s_cbranch_execz .LBB34_83
; %bb.72:
	v_cmp_eq_u32_e64 s[0:1], v1, v22
	v_cmp_ne_u32_e64 s[2:3], v1, v22
	s_and_saveexec_b64 s[18:19], s[2:3]
	s_cbranch_execz .LBB34_82
; %bb.73:
	v_cmp_eq_u32_e64 s[2:3], v1, v21
	v_cmp_ne_u32_e64 s[4:5], v1, v21
	s_and_saveexec_b64 s[20:21], s[4:5]
	s_cbranch_execz .LBB34_81
; %bb.74:
	v_cmp_eq_u32_e64 s[4:5], v1, v19
	v_cmp_ne_u32_e64 s[6:7], v1, v19
	s_and_saveexec_b64 s[22:23], s[6:7]
	s_cbranch_execz .LBB34_80
; %bb.75:
	v_cmp_eq_u32_e64 s[24:25], v1, v17
	v_cmp_ne_u32_e64 s[6:7], v1, v17
	s_and_saveexec_b64 s[26:27], s[6:7]
	s_cbranch_execz .LBB34_79
; %bb.76:
	v_cmp_eq_u32_e64 s[28:29], v1, v15
	v_cmp_ne_u32_e64 s[6:7], v1, v15
	s_and_saveexec_b64 s[30:31], s[6:7]
; %bb.77:
	v_cmp_eq_u32_e64 s[6:7], v1, v14
	s_andn2_b64 s[28:29], s[28:29], exec
	s_and_b64 s[6:7], s[6:7], exec
	s_or_b64 s[28:29], s[28:29], s[6:7]
	v_mov_b32_e32 v11, v12
; %bb.78:
	s_or_b64 exec, exec, s[30:31]
	s_andn2_b64 s[6:7], s[24:25], exec
	s_and_b64 s[24:25], s[28:29], exec
	s_or_b64 s[24:25], s[6:7], s[24:25]
	v_mov_b32_e32 v13, v11
.LBB34_79:
	s_or_b64 exec, exec, s[26:27]
	s_andn2_b64 s[4:5], s[4:5], exec
	s_and_b64 s[6:7], s[24:25], exec
	s_or_b64 s[4:5], s[4:5], s[6:7]
	v_mov_b32_e32 v9, v13
.LBB34_80:
	s_or_b64 exec, exec, s[22:23]
	s_andn2_b64 s[2:3], s[2:3], exec
	s_and_b64 s[4:5], s[4:5], exec
	s_or_b64 s[2:3], s[2:3], s[4:5]
	v_mov_b32_e32 v16, v9
.LBB34_81:
	s_or_b64 exec, exec, s[20:21]
	s_andn2_b64 s[0:1], s[0:1], exec
	s_and_b64 s[2:3], s[2:3], exec
	s_or_b64 s[0:1], s[0:1], s[2:3]
	v_mov_b32_e32 v18, v16
.LBB34_82:
	s_or_b64 exec, exec, s[18:19]
	s_andn2_b64 s[2:3], vcc, exec
	s_and_b64 s[0:1], s[0:1], exec
	s_or_b64 vcc, s[2:3], s[0:1]
	v_mov_b32_e32 v20, v18
.LBB34_83:
	s_or_b64 exec, exec, s[16:17]
	s_andn2_b64 s[0:1], s[8:9], exec
	s_and_b64 s[2:3], vcc, exec
	s_or_b64 s[8:9], s[0:1], s[2:3]
	v_mov_b32_e32 v2, v20
.LBB34_84:
	s_or_b64 exec, exec, s[10:11]
	s_and_b64 exec, exec, s[8:9]
	s_cbranch_execz .LBB34_31
; %bb.85:
	scratch_load_dword v2, v2, off
	v_add_u32_e32 v0, s14, v0
	v_ashrrev_i32_e32 v1, 31, v0
	s_waitcnt lgkmcnt(0)
	v_lshl_add_u64 v[0:1], v[0:1], 2, s[12:13]
	s_waitcnt vmcnt(0)
	v_mul_f32_e32 v2, v8, v2
	global_store_dword v[0:1], v2, off
	s_endpgm
	.section	.rodata,"a",@progbits
	.p2align	6, 0x0
	.amdhsa_kernel _ZN4vllm3moe22topkGatingSoftplusSqrtILi8ELi256ELi4ELi16ELi32ELb1EifEEvPKT6_PKbPfiPT5_PiiiibdPKfPKS8_SE_
		.amdhsa_group_segment_fixed_size 0
		.amdhsa_private_segment_fixed_size 48
		.amdhsa_kernarg_size 96
		.amdhsa_user_sgpr_count 2
		.amdhsa_user_sgpr_dispatch_ptr 0
		.amdhsa_user_sgpr_queue_ptr 0
		.amdhsa_user_sgpr_kernarg_segment_ptr 1
		.amdhsa_user_sgpr_dispatch_id 0
		.amdhsa_user_sgpr_kernarg_preload_length 0
		.amdhsa_user_sgpr_kernarg_preload_offset 0
		.amdhsa_user_sgpr_private_segment_size 0
		.amdhsa_uses_dynamic_stack 0
		.amdhsa_enable_private_segment 1
		.amdhsa_system_sgpr_workgroup_id_x 1
		.amdhsa_system_sgpr_workgroup_id_y 0
		.amdhsa_system_sgpr_workgroup_id_z 0
		.amdhsa_system_sgpr_workgroup_info 0
		.amdhsa_system_vgpr_workitem_id 1
		.amdhsa_next_free_vgpr 30
		.amdhsa_next_free_sgpr 34
		.amdhsa_accum_offset 32
		.amdhsa_reserve_vcc 1
		.amdhsa_float_round_mode_32 0
		.amdhsa_float_round_mode_16_64 0
		.amdhsa_float_denorm_mode_32 3
		.amdhsa_float_denorm_mode_16_64 3
		.amdhsa_dx10_clamp 1
		.amdhsa_ieee_mode 1
		.amdhsa_fp16_overflow 0
		.amdhsa_tg_split 0
		.amdhsa_exception_fp_ieee_invalid_op 0
		.amdhsa_exception_fp_denorm_src 0
		.amdhsa_exception_fp_ieee_div_zero 0
		.amdhsa_exception_fp_ieee_overflow 0
		.amdhsa_exception_fp_ieee_underflow 0
		.amdhsa_exception_fp_ieee_inexact 0
		.amdhsa_exception_int_div_zero 0
	.end_amdhsa_kernel
	.section	.text._ZN4vllm3moe22topkGatingSoftplusSqrtILi8ELi256ELi4ELi16ELi32ELb1EifEEvPKT6_PKbPfiPT5_PiiiibdPKfPKS8_SE_,"axG",@progbits,_ZN4vllm3moe22topkGatingSoftplusSqrtILi8ELi256ELi4ELi16ELi32ELb1EifEEvPKT6_PKbPfiPT5_PiiiibdPKfPKS8_SE_,comdat
.Lfunc_end34:
	.size	_ZN4vllm3moe22topkGatingSoftplusSqrtILi8ELi256ELi4ELi16ELi32ELb1EifEEvPKT6_PKbPfiPT5_PiiiibdPKfPKS8_SE_, .Lfunc_end34-_ZN4vllm3moe22topkGatingSoftplusSqrtILi8ELi256ELi4ELi16ELi32ELb1EifEEvPKT6_PKbPfiPT5_PiiiibdPKfPKS8_SE_
                                        ; -- End function
	.section	.AMDGPU.csdata,"",@progbits
; Kernel info:
; codeLenInByte = 4656
; NumSgprs: 40
; NumVgprs: 30
; NumAgprs: 0
; TotalNumVgprs: 30
; ScratchSize: 48
; MemoryBound: 0
; FloatMode: 240
; IeeeMode: 1
; LDSByteSize: 0 bytes/workgroup (compile time only)
; SGPRBlocks: 4
; VGPRBlocks: 3
; NumSGPRsForWavesPerEU: 40
; NumVGPRsForWavesPerEU: 30
; AccumOffset: 32
; Occupancy: 8
; WaveLimiterHint : 1
; COMPUTE_PGM_RSRC2:SCRATCH_EN: 1
; COMPUTE_PGM_RSRC2:USER_SGPR: 2
; COMPUTE_PGM_RSRC2:TRAP_HANDLER: 0
; COMPUTE_PGM_RSRC2:TGID_X_EN: 1
; COMPUTE_PGM_RSRC2:TGID_Y_EN: 0
; COMPUTE_PGM_RSRC2:TGID_Z_EN: 0
; COMPUTE_PGM_RSRC2:TIDIG_COMP_CNT: 1
; COMPUTE_PGM_RSRC3_GFX90A:ACCUM_OFFSET: 7
; COMPUTE_PGM_RSRC3_GFX90A:TG_SPLIT: 0
	.section	.text._ZN4vllm3moe22topkGatingSoftplusSqrtILi8ELi256ELi4ELi16ELi32ELb0EifEEvPKT6_PKbPfiPT5_PiiiibdPKfPKS8_SE_,"axG",@progbits,_ZN4vllm3moe22topkGatingSoftplusSqrtILi8ELi256ELi4ELi16ELi32ELb0EifEEvPKT6_PKbPfiPT5_PiiiibdPKfPKS8_SE_,comdat
	.protected	_ZN4vllm3moe22topkGatingSoftplusSqrtILi8ELi256ELi4ELi16ELi32ELb0EifEEvPKT6_PKbPfiPT5_PiiiibdPKfPKS8_SE_ ; -- Begin function _ZN4vllm3moe22topkGatingSoftplusSqrtILi8ELi256ELi4ELi16ELi32ELb0EifEEvPKT6_PKbPfiPT5_PiiiibdPKfPKS8_SE_
	.globl	_ZN4vllm3moe22topkGatingSoftplusSqrtILi8ELi256ELi4ELi16ELi32ELb0EifEEvPKT6_PKbPfiPT5_PiiiibdPKfPKS8_SE_
	.p2align	8
	.type	_ZN4vllm3moe22topkGatingSoftplusSqrtILi8ELi256ELi4ELi16ELi32ELb0EifEEvPKT6_PKbPfiPT5_PiiiibdPKfPKS8_SE_,@function
_ZN4vllm3moe22topkGatingSoftplusSqrtILi8ELi256ELi4ELi16ELi32ELb0EifEEvPKT6_PKbPfiPT5_PiiiibdPKfPKS8_SE_: ; @_ZN4vllm3moe22topkGatingSoftplusSqrtILi8ELi256ELi4ELi16ELi32ELb0EifEEvPKT6_PKbPfiPT5_PiiiibdPKfPKS8_SE_
; %bb.0:
	s_load_dword s30, s[2:3], 0x18
	v_and_b32_e32 v1, 0x3ff, v0
	v_bfe_u32 v4, v0, 10, 10
	s_lshl_b32 s4, s4, 2
	v_lshrrev_b32_e32 v2, 5, v1
	v_add3_u32 v2, s4, v4, v2
	s_waitcnt lgkmcnt(0)
	v_cmp_gt_i32_e32 vcc, s30, v2
	s_and_saveexec_b64 s[4:5], vcc
	s_cbranch_execz .LBB35_63
; %bb.1:
	s_load_dwordx4 s[4:7], s[2:3], 0x0
	s_load_dwordx2 s[20:21], s[2:3], 0x10
	s_waitcnt lgkmcnt(0)
	s_cmp_eq_u64 s[6:7], 0
	s_cbranch_scc1 .LBB35_3
; %bb.2:
	v_ashrrev_i32_e32 v3, 31, v2
	v_lshl_add_u64 v[6:7], s[6:7], 0, v[2:3]
	global_load_ubyte v3, v[6:7], off
	s_waitcnt vmcnt(0)
	v_and_b32_e32 v3, 1, v3
	v_cmp_eq_u32_e32 vcc, 1, v3
	s_xor_b64 s[6:7], vcc, -1
	s_orn2_b64 s[22:23], s[6:7], exec
	s_branch .LBB35_4
.LBB35_3:
	s_mov_b64 s[22:23], -1
.LBB35_4:
	v_lshlrev_b32_e32 v8, 8, v2
	v_mov_b32_e32 v6, s4
	v_mov_b32_e32 v7, s5
	v_ashrrev_i32_e32 v9, 31, v8
	v_and_b32_e32 v3, 31, v1
	v_lshl_add_u64 v[6:7], v[8:9], 2, v[6:7]
	v_mov_b32_e32 v9, 0
	v_lshlrev_b32_e32 v8, 4, v3
	v_lshl_add_u64 v[14:15], v[6:7], 0, v[8:9]
	global_load_dwordx4 v[6:9], v[14:15], off
	global_load_dwordx4 v[10:13], v[14:15], off offset:512
	s_load_dwordx2 s[4:5], s[0:1], 0x4
	s_load_dwordx4 s[8:11], s[2:3], 0x40
	v_bfe_u32 v0, v0, 20, 10
	s_mov_b32 s14, 0x800000
	s_mov_b32 s13, 0x3f317217
	s_waitcnt lgkmcnt(0)
	s_lshr_b32 s0, s4, 16
	v_mul_u32_u24_e32 v4, s5, v4
	s_mul_i32 s0, s0, s5
	v_mad_u32_u24 v1, s0, v1, v4
	v_add_lshl_u32 v4, v1, v0, 5
	s_mov_b32 s15, 0x7f800000
	s_mov_b32 s12, 0x41a00000
	;; [unrolled: 1-line block ×3, first 2 shown]
	s_cmp_lg_u64 s[10:11], 0
	v_mov_b32_e32 v1, 0x260
	s_cselect_b64 s[6:7], -1, 0
	v_lshlrev_b32_e32 v5, 2, v3
	s_and_b64 s[0:1], exec, s[6:7]
	s_waitcnt vmcnt(1)
	ds_write_b128 v4, v[6:9]
	ds_read_b32 v8, v4
	v_mov_b32_e32 v6, 0x4f800000
	v_mov_b32_e32 v7, 0x41b17218
	s_waitcnt vmcnt(0)
	ds_write_b128 v4, v[10:13] offset:16
	s_waitcnt lgkmcnt(1)
	v_mul_f32_e32 v0, 0x3fb8aa3b, v8
	v_exp_f32_e32 v0, v0
	s_nop 0
	v_add_f32_e32 v0, 1.0, v0
	v_cmp_gt_f32_e32 vcc, s14, v0
	s_nop 1
	v_cndmask_b32_e32 v9, 1.0, v6, vcc
	v_mul_f32_e32 v0, v0, v9
	v_log_f32_e32 v9, v0
	v_cndmask_b32_e32 v14, 0, v7, vcc
	v_lshlrev_b32_e32 v0, 2, v5
	v_mul_f32_e32 v15, 0x3f317217, v9
	v_fma_f32 v15, v9, s13, -v15
	v_fmac_f32_e32 v15, 0x3377d1cf, v9
	v_fmac_f32_e32 v15, 0x3f317217, v9
	v_cmp_lt_f32_e64 vcc, |v9|, s15
	s_nop 1
	v_cndmask_b32_e32 v9, v9, v15, vcc
	v_sub_f32_e32 v9, v9, v14
	v_cmp_lt_f32_e32 vcc, s12, v8
	s_nop 1
	v_cndmask_b32_e32 v8, v9, v8, vcc
	v_mul_f32_e32 v9, 0x4f800000, v8
	v_cmp_gt_f32_e32 vcc, s16, v8
	s_nop 1
	v_cndmask_b32_e32 v8, v8, v9, vcc
	v_sqrt_f32_e32 v9, v8
	s_nop 0
	v_add_u32_e32 v10, -1, v9
	v_add_u32_e32 v11, 1, v9
	v_fma_f32 v12, -v10, v9, v8
	v_fma_f32 v13, -v11, v9, v8
	v_cmp_ge_f32_e64 s[4:5], 0, v12
	s_nop 1
	v_cndmask_b32_e64 v9, v9, v10, s[4:5]
	v_cmp_lt_f32_e64 s[4:5], 0, v13
	s_nop 1
	v_cndmask_b32_e64 v9, v9, v11, s[4:5]
	v_mul_f32_e32 v10, 0x37800000, v9
	v_cndmask_b32_e32 v9, v9, v10, vcc
	v_cmp_class_f32_e32 vcc, v8, v1
	s_nop 1
	v_cndmask_b32_e32 v8, v9, v8, vcc
	s_mov_b64 vcc, s[0:1]
	s_cbranch_vccz .LBB35_6
; %bb.5:
	global_load_dword v9, v0, s[10:11]
	s_waitcnt vmcnt(0)
	v_add_f32_e32 v8, v8, v9
.LBB35_6:
	ds_read_b32 v9, v4 offset:4
	ds_write_b32 v4, v8
	s_waitcnt lgkmcnt(1)
	v_mul_f32_e32 v10, 0x3fb8aa3b, v9
	v_exp_f32_e32 v10, v10
	s_nop 0
	v_add_f32_e32 v10, 1.0, v10
	v_cmp_gt_f32_e32 vcc, s14, v10
	s_nop 1
	v_cndmask_b32_e32 v6, 1.0, v6, vcc
	v_mul_f32_e32 v6, v10, v6
	v_log_f32_e32 v6, v6
	v_cndmask_b32_e32 v7, 0, v7, vcc
	v_mul_f32_e32 v8, 0x3f317217, v6
	v_fma_f32 v8, v6, s13, -v8
	v_fmac_f32_e32 v8, 0x3377d1cf, v6
	v_fmac_f32_e32 v8, 0x3f317217, v6
	v_cmp_lt_f32_e64 vcc, |v6|, s15
	s_nop 1
	v_cndmask_b32_e32 v6, v6, v8, vcc
	v_sub_f32_e32 v6, v6, v7
	v_cmp_lt_f32_e32 vcc, s12, v9
	v_cndmask_b32_e64 v8, 0, 1, s[6:7]
	v_cmp_ne_u32_e64 s[0:1], 1, v8
	v_cndmask_b32_e32 v6, v6, v9, vcc
	v_mul_f32_e32 v7, 0x4f800000, v6
	v_cmp_gt_f32_e64 s[4:5], s16, v6
	s_andn2_b64 vcc, exec, s[6:7]
	s_nop 0
	v_cndmask_b32_e64 v6, v6, v7, s[4:5]
	v_sqrt_f32_e32 v7, v6
	s_nop 0
	v_add_u32_e32 v8, -1, v7
	v_add_u32_e32 v9, 1, v7
	v_fma_f32 v10, -v8, v7, v6
	v_fma_f32 v11, -v9, v7, v6
	v_cmp_ge_f32_e64 s[6:7], 0, v10
	s_nop 1
	v_cndmask_b32_e64 v7, v7, v8, s[6:7]
	v_cmp_lt_f32_e64 s[6:7], 0, v11
	s_nop 1
	v_cndmask_b32_e64 v7, v7, v9, s[6:7]
	v_mul_f32_e32 v8, 0x37800000, v7
	v_cndmask_b32_e64 v7, v7, v8, s[4:5]
	v_cmp_class_f32_e64 s[4:5], v6, v1
	s_nop 1
	v_cndmask_b32_e64 v1, v7, v6, s[4:5]
	s_cbranch_vccnz .LBB35_8
; %bb.7:
	global_load_dword v6, v0, s[10:11] offset:4
	s_waitcnt vmcnt(0)
	v_add_f32_e32 v1, v1, v6
.LBB35_8:
	ds_read_b32 v8, v4 offset:8
	s_mov_b32 s12, 0x800000
	s_mov_b32 s7, 0x3f317217
	;; [unrolled: 1-line block ×4, first 2 shown]
	s_waitcnt lgkmcnt(0)
	v_mul_f32_e32 v6, 0x3fb8aa3b, v8
	v_exp_f32_e32 v7, v6
	v_mov_b32_e32 v6, 0x4f800000
	s_mov_b32 s14, 0xf800000
	ds_write_b32 v4, v1 offset:4
	v_add_f32_e32 v7, 1.0, v7
	v_cmp_gt_f32_e32 vcc, s12, v7
	s_nop 1
	v_cndmask_b32_e32 v9, 1.0, v6, vcc
	v_mul_f32_e32 v7, v7, v9
	v_log_f32_e32 v9, v7
	v_mov_b32_e32 v7, 0x41b17218
	v_cndmask_b32_e32 v10, 0, v7, vcc
	v_mul_f32_e32 v11, 0x3f317217, v9
	v_fma_f32 v11, v9, s7, -v11
	v_fmac_f32_e32 v11, 0x3377d1cf, v9
	v_fmac_f32_e32 v11, 0x3f317217, v9
	v_cmp_lt_f32_e64 vcc, |v9|, s13
	s_nop 1
	v_cndmask_b32_e32 v9, v9, v11, vcc
	v_sub_f32_e32 v9, v9, v10
	v_cmp_lt_f32_e32 vcc, s6, v8
	s_nop 1
	v_cndmask_b32_e32 v8, v9, v8, vcc
	v_mul_f32_e32 v9, 0x4f800000, v8
	v_cmp_gt_f32_e32 vcc, s14, v8
	s_nop 1
	v_cndmask_b32_e32 v8, v8, v9, vcc
	v_sqrt_f32_e32 v9, v8
	s_nop 0
	v_add_u32_e32 v1, -1, v9
	v_fma_f32 v10, -v1, v9, v8
	v_cmp_ge_f32_e64 s[4:5], 0, v10
	v_add_u32_e32 v10, 1, v9
	s_nop 0
	v_cndmask_b32_e64 v1, v9, v1, s[4:5]
	v_fma_f32 v9, -v10, v9, v8
	v_cmp_lt_f32_e64 s[4:5], 0, v9
	s_nop 1
	v_cndmask_b32_e64 v1, v1, v10, s[4:5]
	v_mul_f32_e32 v9, 0x37800000, v1
	v_cndmask_b32_e32 v9, v1, v9, vcc
	v_mov_b32_e32 v1, 0x260
	v_cmp_class_f32_e64 s[4:5], v8, v1
	s_and_b64 vcc, exec, s[0:1]
	s_nop 0
	v_cndmask_b32_e64 v8, v9, v8, s[4:5]
	s_cbranch_vccnz .LBB35_10
; %bb.9:
	global_load_dword v9, v0, s[10:11] offset:8
	s_waitcnt vmcnt(0)
	v_add_f32_e32 v8, v8, v9
.LBB35_10:
	ds_read_b32 v9, v4 offset:12
	ds_write_b32 v4, v8 offset:8
	s_waitcnt lgkmcnt(1)
	v_mul_f32_e32 v10, 0x3fb8aa3b, v9
	v_exp_f32_e32 v10, v10
	s_nop 0
	v_add_f32_e32 v10, 1.0, v10
	v_cmp_gt_f32_e32 vcc, s12, v10
	s_nop 1
	v_cndmask_b32_e32 v6, 1.0, v6, vcc
	v_mul_f32_e32 v6, v10, v6
	v_log_f32_e32 v6, v6
	v_cndmask_b32_e32 v7, 0, v7, vcc
	v_mul_f32_e32 v10, 0x3f317217, v6
	v_fma_f32 v10, v6, s7, -v10
	v_fmac_f32_e32 v10, 0x3377d1cf, v6
	v_fmac_f32_e32 v10, 0x3f317217, v6
	v_cmp_lt_f32_e64 vcc, |v6|, s13
	s_nop 1
	v_cndmask_b32_e32 v6, v6, v10, vcc
	v_sub_f32_e32 v6, v6, v7
	v_cmp_lt_f32_e32 vcc, s6, v9
	s_nop 1
	v_cndmask_b32_e32 v6, v6, v9, vcc
	v_mul_f32_e32 v7, 0x4f800000, v6
	v_cmp_gt_f32_e64 s[4:5], s14, v6
	s_and_b64 vcc, exec, s[0:1]
	s_nop 0
	v_cndmask_b32_e64 v6, v6, v7, s[4:5]
	v_sqrt_f32_e32 v7, v6
	s_nop 0
	v_add_u32_e32 v8, -1, v7
	v_add_u32_e32 v9, 1, v7
	v_fma_f32 v10, -v8, v7, v6
	v_fma_f32 v11, -v9, v7, v6
	v_cmp_ge_f32_e64 s[6:7], 0, v10
	s_nop 1
	v_cndmask_b32_e64 v7, v7, v8, s[6:7]
	v_cmp_lt_f32_e64 s[6:7], 0, v11
	s_nop 1
	v_cndmask_b32_e64 v7, v7, v9, s[6:7]
	v_mul_f32_e32 v8, 0x37800000, v7
	v_cndmask_b32_e64 v7, v7, v8, s[4:5]
	v_cmp_class_f32_e64 s[4:5], v6, v1
	s_nop 1
	v_cndmask_b32_e64 v1, v7, v6, s[4:5]
	s_cbranch_vccnz .LBB35_12
; %bb.11:
	global_load_dword v6, v0, s[10:11] offset:12
	s_waitcnt vmcnt(0)
	v_add_f32_e32 v1, v1, v6
.LBB35_12:
	ds_read_b32 v8, v4 offset:16
	s_mov_b32 s7, 0x3f317217
	s_mov_b32 s6, 0x41a00000
	ds_write_b32 v4, v1 offset:12
	s_waitcnt lgkmcnt(1)
	v_mul_f32_e32 v6, 0x3fb8aa3b, v8
	v_exp_f32_e32 v7, v6
	v_mov_b32_e32 v6, 0x4f800000
	v_add_f32_e32 v7, 1.0, v7
	v_cmp_gt_f32_e32 vcc, s12, v7
	s_nop 1
	v_cndmask_b32_e32 v9, 1.0, v6, vcc
	v_mul_f32_e32 v7, v7, v9
	v_log_f32_e32 v9, v7
	v_mov_b32_e32 v7, 0x41b17218
	v_cndmask_b32_e32 v10, 0, v7, vcc
	v_mul_f32_e32 v11, 0x3f317217, v9
	v_fma_f32 v11, v9, s7, -v11
	v_fmac_f32_e32 v11, 0x3377d1cf, v9
	v_fmac_f32_e32 v11, 0x3f317217, v9
	v_cmp_lt_f32_e64 vcc, |v9|, s13
	s_nop 1
	v_cndmask_b32_e32 v9, v9, v11, vcc
	v_sub_f32_e32 v9, v9, v10
	v_cmp_lt_f32_e32 vcc, s6, v8
	s_nop 1
	v_cndmask_b32_e32 v8, v9, v8, vcc
	v_mul_f32_e32 v9, 0x4f800000, v8
	v_cmp_gt_f32_e32 vcc, s14, v8
	s_nop 1
	v_cndmask_b32_e32 v8, v8, v9, vcc
	v_sqrt_f32_e32 v9, v8
	s_nop 0
	v_add_u32_e32 v1, -1, v9
	v_fma_f32 v10, -v1, v9, v8
	v_cmp_ge_f32_e64 s[4:5], 0, v10
	v_add_u32_e32 v10, 1, v9
	s_nop 0
	v_cndmask_b32_e64 v1, v9, v1, s[4:5]
	v_fma_f32 v9, -v10, v9, v8
	v_cmp_lt_f32_e64 s[4:5], 0, v9
	s_nop 1
	v_cndmask_b32_e64 v1, v1, v10, s[4:5]
	v_mul_f32_e32 v9, 0x37800000, v1
	v_cndmask_b32_e32 v9, v1, v9, vcc
	v_mov_b32_e32 v1, 0x260
	v_cmp_class_f32_e64 s[4:5], v8, v1
	s_and_b64 vcc, exec, s[0:1]
	s_nop 0
	v_cndmask_b32_e64 v8, v9, v8, s[4:5]
	s_cbranch_vccnz .LBB35_14
; %bb.13:
	global_load_dword v9, v0, s[10:11] offset:512
	s_waitcnt vmcnt(0)
	v_add_f32_e32 v8, v8, v9
.LBB35_14:
	ds_read_b32 v9, v4 offset:20
	ds_write_b32 v4, v8 offset:16
	s_waitcnt lgkmcnt(1)
	v_mul_f32_e32 v10, 0x3fb8aa3b, v9
	v_exp_f32_e32 v10, v10
	s_nop 0
	v_add_f32_e32 v10, 1.0, v10
	v_cmp_gt_f32_e32 vcc, s12, v10
	s_nop 1
	v_cndmask_b32_e32 v6, 1.0, v6, vcc
	v_mul_f32_e32 v6, v10, v6
	v_log_f32_e32 v6, v6
	v_cndmask_b32_e32 v7, 0, v7, vcc
	v_mul_f32_e32 v10, 0x3f317217, v6
	v_fma_f32 v10, v6, s7, -v10
	v_fmac_f32_e32 v10, 0x3377d1cf, v6
	v_fmac_f32_e32 v10, 0x3f317217, v6
	v_cmp_lt_f32_e64 vcc, |v6|, s13
	s_nop 1
	v_cndmask_b32_e32 v6, v6, v10, vcc
	v_sub_f32_e32 v6, v6, v7
	v_cmp_lt_f32_e32 vcc, s6, v9
	s_nop 1
	v_cndmask_b32_e32 v6, v6, v9, vcc
	v_mul_f32_e32 v7, 0x4f800000, v6
	v_cmp_gt_f32_e64 s[4:5], s14, v6
	s_and_b64 vcc, exec, s[0:1]
	s_nop 0
	v_cndmask_b32_e64 v6, v6, v7, s[4:5]
	v_sqrt_f32_e32 v7, v6
	s_nop 0
	v_add_u32_e32 v8, -1, v7
	v_add_u32_e32 v9, 1, v7
	v_fma_f32 v10, -v8, v7, v6
	v_fma_f32 v11, -v9, v7, v6
	v_cmp_ge_f32_e64 s[6:7], 0, v10
	s_nop 1
	v_cndmask_b32_e64 v7, v7, v8, s[6:7]
	v_cmp_lt_f32_e64 s[6:7], 0, v11
	s_nop 1
	v_cndmask_b32_e64 v7, v7, v9, s[6:7]
	v_mul_f32_e32 v8, 0x37800000, v7
	v_cndmask_b32_e64 v7, v7, v8, s[4:5]
	v_cmp_class_f32_e64 s[4:5], v6, v1
	s_nop 1
	v_cndmask_b32_e64 v1, v7, v6, s[4:5]
	s_cbranch_vccnz .LBB35_16
; %bb.15:
	global_load_dword v6, v0, s[10:11] offset:516
	s_waitcnt vmcnt(0)
	v_add_f32_e32 v1, v1, v6
.LBB35_16:
	ds_read_b32 v8, v4 offset:24
	s_mov_b32 s7, 0x3f317217
	s_mov_b32 s6, 0x41a00000
	ds_write_b32 v4, v1 offset:20
	s_waitcnt lgkmcnt(1)
	v_mul_f32_e32 v6, 0x3fb8aa3b, v8
	v_exp_f32_e32 v7, v6
	v_mov_b32_e32 v6, 0x4f800000
	v_add_f32_e32 v7, 1.0, v7
	v_cmp_gt_f32_e32 vcc, s12, v7
	s_nop 1
	v_cndmask_b32_e32 v9, 1.0, v6, vcc
	v_mul_f32_e32 v7, v7, v9
	v_log_f32_e32 v9, v7
	v_mov_b32_e32 v7, 0x41b17218
	v_cndmask_b32_e32 v10, 0, v7, vcc
	v_mul_f32_e32 v11, 0x3f317217, v9
	v_fma_f32 v11, v9, s7, -v11
	v_fmac_f32_e32 v11, 0x3377d1cf, v9
	v_fmac_f32_e32 v11, 0x3f317217, v9
	v_cmp_lt_f32_e64 vcc, |v9|, s13
	s_nop 1
	v_cndmask_b32_e32 v9, v9, v11, vcc
	v_sub_f32_e32 v9, v9, v10
	v_cmp_lt_f32_e32 vcc, s6, v8
	s_nop 1
	v_cndmask_b32_e32 v8, v9, v8, vcc
	v_mul_f32_e32 v9, 0x4f800000, v8
	v_cmp_gt_f32_e32 vcc, s14, v8
	s_nop 1
	v_cndmask_b32_e32 v8, v8, v9, vcc
	v_sqrt_f32_e32 v9, v8
	s_nop 0
	v_add_u32_e32 v1, -1, v9
	v_fma_f32 v10, -v1, v9, v8
	v_cmp_ge_f32_e64 s[4:5], 0, v10
	v_add_u32_e32 v10, 1, v9
	s_nop 0
	v_cndmask_b32_e64 v1, v9, v1, s[4:5]
	v_fma_f32 v9, -v10, v9, v8
	v_cmp_lt_f32_e64 s[4:5], 0, v9
	s_nop 1
	v_cndmask_b32_e64 v1, v1, v10, s[4:5]
	v_mul_f32_e32 v9, 0x37800000, v1
	v_cndmask_b32_e32 v9, v1, v9, vcc
	v_mov_b32_e32 v1, 0x260
	v_cmp_class_f32_e64 s[4:5], v8, v1
	s_and_b64 vcc, exec, s[0:1]
	s_nop 0
	v_cndmask_b32_e64 v8, v9, v8, s[4:5]
	s_cbranch_vccnz .LBB35_18
; %bb.17:
	global_load_dword v9, v0, s[10:11] offset:520
	s_waitcnt vmcnt(0)
	v_add_f32_e32 v8, v8, v9
.LBB35_18:
	ds_read_b32 v9, v4 offset:28
	ds_write_b32 v4, v8 offset:24
	s_waitcnt lgkmcnt(1)
	v_mul_f32_e32 v10, 0x3fb8aa3b, v9
	v_exp_f32_e32 v10, v10
	s_nop 0
	v_add_f32_e32 v10, 1.0, v10
	v_cmp_gt_f32_e32 vcc, s12, v10
	s_nop 1
	v_cndmask_b32_e32 v6, 1.0, v6, vcc
	v_mul_f32_e32 v6, v10, v6
	v_log_f32_e32 v6, v6
	v_cndmask_b32_e32 v7, 0, v7, vcc
	v_mul_f32_e32 v10, 0x3f317217, v6
	v_fma_f32 v10, v6, s7, -v10
	v_fmac_f32_e32 v10, 0x3377d1cf, v6
	v_fmac_f32_e32 v10, 0x3f317217, v6
	v_cmp_lt_f32_e64 vcc, |v6|, s13
	s_nop 1
	v_cndmask_b32_e32 v6, v6, v10, vcc
	v_sub_f32_e32 v6, v6, v7
	v_cmp_lt_f32_e32 vcc, s6, v9
	s_nop 1
	v_cndmask_b32_e32 v6, v6, v9, vcc
	v_mul_f32_e32 v7, 0x4f800000, v6
	v_cmp_gt_f32_e64 s[4:5], s14, v6
	s_and_b64 vcc, exec, s[0:1]
	s_nop 0
	v_cndmask_b32_e64 v6, v6, v7, s[4:5]
	v_sqrt_f32_e32 v7, v6
	s_nop 0
	v_add_u32_e32 v8, -1, v7
	v_add_u32_e32 v9, 1, v7
	v_fma_f32 v10, -v8, v7, v6
	v_fma_f32 v11, -v9, v7, v6
	v_cmp_ge_f32_e64 s[6:7], 0, v10
	s_nop 1
	v_cndmask_b32_e64 v7, v7, v8, s[6:7]
	v_cmp_lt_f32_e64 s[6:7], 0, v11
	s_nop 1
	v_cndmask_b32_e64 v7, v7, v9, s[6:7]
	v_mul_f32_e32 v8, 0x37800000, v7
	v_cndmask_b32_e64 v7, v7, v8, s[4:5]
	v_cmp_class_f32_e64 s[4:5], v6, v1
	s_nop 1
	v_cndmask_b32_e64 v1, v7, v6, s[4:5]
	s_cbranch_vccnz .LBB35_20
; %bb.19:
	global_load_dword v0, v0, s[10:11] offset:524
	s_waitcnt vmcnt(0)
	v_add_f32_e32 v1, v1, v0
.LBB35_20:
	s_load_dwordx4 s[12:15], s[2:3], 0x30
	s_mov_b32 s31, 0
	v_cmp_eq_u32_e64 s[6:7], 0, v3
	ds_write_b32 v4, v1 offset:28
	s_waitcnt lgkmcnt(0)
	s_bitcmp1_b32 s15, 0
	s_cselect_b64 s[4:5], -1, 0
	s_cmp_gt_i32 s12, 0
	s_cselect_b64 s[24:25], -1, 0
	s_and_b64 vcc, exec, s[24:25]
	s_cbranch_vccz .LBB35_49
; %bb.21:
	v_mbcnt_lo_u32_b32 v0, -1, 0
	v_mbcnt_hi_u32_b32 v0, -1, v0
	v_and_b32_e32 v1, 0x60, v0
	v_add_u32_e32 v1, 32, v1
	v_xor_b32_e32 v6, 16, v0
	v_cmp_lt_i32_e32 vcc, v6, v1
	s_load_dwordx4 s[16:19], s[2:3], 0x20
	v_mul_lo_u32 v7, v2, s12
	v_cndmask_b32_e32 v6, v0, v6, vcc
	v_lshlrev_b32_e32 v8, 2, v6
	v_xor_b32_e32 v6, 8, v0
	v_cmp_lt_i32_e32 vcc, v6, v1
	v_mov_b32_e32 v13, 0x80
	v_mov_b32_e32 v14, 0x81
	v_cndmask_b32_e32 v6, v0, v6, vcc
	v_lshlrev_b32_e32 v9, 2, v6
	v_xor_b32_e32 v6, 4, v0
	v_cmp_lt_i32_e32 vcc, v6, v1
	v_mov_b32_e32 v15, 0x82
	v_mov_b32_e32 v16, 0x83
	;; [unrolled: 6-line block ×3, first 2 shown]
	v_cndmask_b32_e32 v6, v0, v6, vcc
	v_lshlrev_b32_e32 v11, 2, v6
	v_xor_b32_e32 v6, 1, v0
	v_cmp_lt_i32_e32 vcc, v6, v1
	v_mov_b32_e32 v19, v2
	s_nop 0
	v_cndmask_b32_e32 v0, v0, v6, vcc
	v_lshlrev_b32_e32 v12, 2, v0
	v_mov_b32_e32 v6, 0
	s_branch .LBB35_23
.LBB35_22:                              ;   in Loop: Header=BB35_23 Depth=1
	s_or_b64 exec, exec, s[2:3]
	s_cmp_eq_u32 s12, s31
	v_add_u32_e32 v19, s30, v19
	s_cbranch_scc1 .LBB35_50
.LBB35_23:                              ; =>This Inner Loop Header: Depth=1
	ds_read_b128 v[20:23], v4
	ds_read_b128 v[24:27], v4 offset:16
	s_waitcnt lgkmcnt(0)
	v_cmp_gt_f32_e32 vcc, v21, v20
	s_nop 1
	v_cndmask_b32_e32 v1, v20, v21, vcc
	v_cndmask_b32_e64 v0, 0, 1, vcc
	v_cmp_gt_f32_e32 vcc, v22, v1
	s_nop 1
	v_cndmask_b32_e32 v1, v1, v22, vcc
	v_cndmask_b32_e64 v0, v0, 2, vcc
	;; [unrolled: 4-line block ×3, first 2 shown]
	v_cmp_gt_f32_e32 vcc, v24, v1
	s_nop 1
	v_cndmask_b32_e32 v1, v1, v24, vcc
	v_cndmask_b32_e32 v0, v0, v13, vcc
	v_cmp_gt_f32_e32 vcc, v25, v1
	s_nop 1
	v_cndmask_b32_e32 v1, v1, v25, vcc
	v_cndmask_b32_e32 v0, v0, v14, vcc
	v_cmp_gt_f32_e32 vcc, v26, v1
	s_nop 1
	v_cndmask_b32_e32 v1, v1, v26, vcc
	v_cndmask_b32_e32 v0, v0, v15, vcc
	v_cmp_gt_f32_e32 vcc, v27, v1
	s_nop 1
	v_cndmask_b32_e32 v0, v0, v16, vcc
	v_cndmask_b32_e32 v20, v1, v27, vcc
	ds_bpermute_b32 v1, v8, v20
	v_or_b32_e32 v0, v5, v0
	ds_bpermute_b32 v21, v8, v0
	s_waitcnt lgkmcnt(1)
	v_cmp_lt_f32_e64 s[26:27], v20, v1
	v_cmp_nlt_f32_e32 vcc, v20, v1
	s_and_saveexec_b64 s[28:29], vcc
	s_cbranch_execz .LBB35_25
; %bb.24:                               ;   in Loop: Header=BB35_23 Depth=1
	v_cmp_eq_f32_e32 vcc, v20, v1
	s_waitcnt lgkmcnt(0)
	v_cmp_lt_i32_e64 s[2:3], v21, v0
	s_and_b64 s[2:3], vcc, s[2:3]
	s_andn2_b64 s[26:27], s[26:27], exec
	s_and_b64 s[2:3], s[2:3], exec
	s_or_b64 s[26:27], s[26:27], s[2:3]
.LBB35_25:                              ;   in Loop: Header=BB35_23 Depth=1
	s_or_b64 exec, exec, s[28:29]
	s_and_saveexec_b64 s[2:3], s[26:27]
	s_cbranch_execz .LBB35_27
; %bb.26:                               ;   in Loop: Header=BB35_23 Depth=1
	v_mov_b32_e32 v20, v1
	s_waitcnt lgkmcnt(0)
	v_mov_b32_e32 v0, v21
.LBB35_27:                              ;   in Loop: Header=BB35_23 Depth=1
	s_or_b64 exec, exec, s[2:3]
	ds_bpermute_b32 v1, v9, v20
	s_waitcnt lgkmcnt(1)
	ds_bpermute_b32 v21, v9, v0
	s_waitcnt lgkmcnt(1)
	v_cmp_lt_f32_e64 s[26:27], v20, v1
	v_cmp_nlt_f32_e32 vcc, v20, v1
	s_and_saveexec_b64 s[28:29], vcc
	s_cbranch_execz .LBB35_29
; %bb.28:                               ;   in Loop: Header=BB35_23 Depth=1
	v_cmp_eq_f32_e32 vcc, v20, v1
	s_waitcnt lgkmcnt(0)
	v_cmp_lt_i32_e64 s[2:3], v21, v0
	s_and_b64 s[2:3], vcc, s[2:3]
	s_andn2_b64 s[26:27], s[26:27], exec
	s_and_b64 s[2:3], s[2:3], exec
	s_or_b64 s[26:27], s[26:27], s[2:3]
.LBB35_29:                              ;   in Loop: Header=BB35_23 Depth=1
	s_or_b64 exec, exec, s[28:29]
	s_and_saveexec_b64 s[2:3], s[26:27]
	s_cbranch_execz .LBB35_31
; %bb.30:                               ;   in Loop: Header=BB35_23 Depth=1
	v_mov_b32_e32 v20, v1
	s_waitcnt lgkmcnt(0)
	v_mov_b32_e32 v0, v21
.LBB35_31:                              ;   in Loop: Header=BB35_23 Depth=1
	s_or_b64 exec, exec, s[2:3]
	ds_bpermute_b32 v1, v10, v20
	s_waitcnt lgkmcnt(1)
	;; [unrolled: 26-line block ×4, first 2 shown]
	ds_bpermute_b32 v21, v12, v0
	s_waitcnt lgkmcnt(1)
	v_cmp_lt_f32_e64 s[26:27], v20, v1
	v_cmp_nlt_f32_e32 vcc, v20, v1
	s_and_saveexec_b64 s[28:29], vcc
	s_cbranch_execnz .LBB35_42
; %bb.40:                               ;   in Loop: Header=BB35_23 Depth=1
	s_or_b64 exec, exec, s[28:29]
	s_and_saveexec_b64 s[2:3], s[26:27]
	s_cbranch_execnz .LBB35_43
.LBB35_41:                              ;   in Loop: Header=BB35_23 Depth=1
	s_or_b64 exec, exec, s[2:3]
	s_and_saveexec_b64 s[26:27], s[6:7]
	s_cbranch_execnz .LBB35_44
	s_branch .LBB35_47
.LBB35_42:                              ;   in Loop: Header=BB35_23 Depth=1
	v_cmp_eq_f32_e32 vcc, v20, v1
	s_waitcnt lgkmcnt(0)
	v_cmp_lt_i32_e64 s[2:3], v21, v0
	s_and_b64 s[2:3], vcc, s[2:3]
	s_andn2_b64 s[26:27], s[26:27], exec
	s_and_b64 s[2:3], s[2:3], exec
	s_or_b64 s[26:27], s[26:27], s[2:3]
	s_or_b64 exec, exec, s[28:29]
	s_and_saveexec_b64 s[2:3], s[26:27]
	s_cbranch_execz .LBB35_41
.LBB35_43:                              ;   in Loop: Header=BB35_23 Depth=1
	s_waitcnt lgkmcnt(0)
	v_mov_b32_e32 v0, v21
	v_mov_b32_e32 v20, v1
	s_or_b64 exec, exec, s[2:3]
	s_and_saveexec_b64 s[26:27], s[6:7]
	s_cbranch_execz .LBB35_47
.LBB35_44:                              ;   in Loop: Header=BB35_23 Depth=1
	s_and_b64 vcc, exec, s[0:1]
	s_cbranch_vccnz .LBB35_46
; %bb.45:                               ;   in Loop: Header=BB35_23 Depth=1
	v_ashrrev_i32_e32 v1, 31, v0
	v_lshl_add_u64 v[22:23], v[0:1], 2, s[10:11]
	global_load_dword v1, v[22:23], off
	s_waitcnt vmcnt(0)
	v_sub_f32_e32 v20, v20, v1
.LBB35_46:                              ;   in Loop: Header=BB35_23 Depth=1
	v_add_u32_e32 v22, s31, v7
	v_cmp_le_i32_e32 vcc, s13, v0
	v_cmp_gt_i32_e64 s[2:3], s14, v0
	v_ashrrev_i32_e32 v23, 31, v22
	s_and_b64 s[2:3], vcc, s[2:3]
	v_lshlrev_b64 v[22:23], 2, v[22:23]
	v_lshl_add_u64 v[24:25], s[20:21], 0, v[22:23]
	v_subrev_u32_e32 v1, s13, v0
	s_and_b64 vcc, s[22:23], s[2:3]
	global_store_dword v[24:25], v20, off
	v_cndmask_b32_e32 v1, v18, v1, vcc
	v_lshl_add_u64 v[24:25], s[16:17], 0, v[22:23]
	global_store_dword v[24:25], v1, off
	v_add_f32_e32 v1, v6, v20
	v_lshl_add_u64 v[22:23], s[18:19], 0, v[22:23]
	v_cndmask_b32_e64 v6, v6, v1, s[4:5]
	global_store_dword v[22:23], v19, off
.LBB35_47:                              ;   in Loop: Header=BB35_23 Depth=1
	s_or_b64 exec, exec, s[26:27]
	v_ashrrev_i32_e32 v20, 31, v0
	v_lshrrev_b32_e32 v1, 30, v20
	s_waitcnt lgkmcnt(0)
	v_add_u32_e32 v21, v0, v1
	v_ashrrev_i32_e32 v1, 2, v21
	v_ashrrev_i32_e32 v21, 31, v21
	v_lshrrev_b32_e32 v21, 27, v21
	v_add_u32_e32 v21, v1, v21
	s_add_i32 s31, s31, 1
	v_and_b32_e32 v21, 0xffffffe0, v21
	s_cmp_lt_i32 s31, s12
	v_sub_u32_e32 v21, v1, v21
	s_cselect_b64 s[2:3], -1, 0
	v_cmp_eq_u32_e32 vcc, v3, v21
	s_and_b64 s[26:27], s[2:3], vcc
	s_and_saveexec_b64 s[2:3], s[26:27]
	s_cbranch_execz .LBB35_22
; %bb.48:                               ;   in Loop: Header=BB35_23 Depth=1
	v_lshrrev_b32_e32 v20, 25, v20
	v_add_u32_e32 v20, v0, v20
	v_lshlrev_b32_e32 v1, 2, v1
	v_ashrrev_i32_e32 v20, 7, v20
	v_sub_u32_e32 v0, v0, v1
	v_lshl_add_u32 v0, v20, 2, v0
	v_lshl_add_u32 v0, v0, 2, v4
	ds_write_b32 v0, v17
	s_branch .LBB35_22
.LBB35_49:
	v_mov_b32_e32 v6, 0
.LBB35_50:
	v_cmp_eq_u32_e32 vcc, 0, v3
	s_and_b64 exec, exec, vcc
	s_cbranch_execz .LBB35_63
; %bb.51:
	s_andn2_b64 vcc, exec, s[4:5]
	v_cvt_f32_f64_e32 v0, s[8:9]
	s_cbranch_vccnz .LBB35_53
; %bb.52:
	v_cmp_lt_f32_e32 vcc, 0, v6
	s_nop 1
	v_cndmask_b32_e32 v1, 1.0, v6, vcc
	v_div_scale_f32 v3, s[0:1], v1, v1, v0
	v_rcp_f32_e32 v4, v3
	s_nop 0
	v_fma_f32 v5, -v3, v4, 1.0
	v_fmac_f32_e32 v4, v5, v4
	v_div_scale_f32 v5, vcc, v0, v1, v0
	v_mul_f32_e32 v6, v5, v4
	v_fma_f32 v7, -v3, v6, v5
	v_fmac_f32_e32 v6, v7, v4
	v_fma_f32 v3, -v3, v6, v5
	v_div_fmas_f32 v3, v3, v4, v6
	v_div_fixup_f32 v0, v3, v1, v0
.LBB35_53:
	s_andn2_b64 vcc, exec, s[24:25]
	s_cbranch_vccnz .LBB35_63
; %bb.54:
	v_mul_lo_u32 v2, v2, s12
	s_cmp_gt_u32 s12, 3
	v_ashrrev_i32_e32 v3, 31, v2
	s_cbranch_scc0 .LBB35_58
; %bb.55:
	s_and_b32 s0, s12, 0x7ffffffc
	v_lshl_add_u64 v[4:5], v[2:3], 2, s[20:21]
	v_mov_b32_e32 v1, v0
	v_lshl_add_u64 v[4:5], v[4:5], 0, 8
	s_mov_b32 s1, s0
.LBB35_56:                              ; =>This Inner Loop Header: Depth=1
	global_load_dwordx4 v[6:9], v[4:5], off offset:-8
	s_add_i32 s1, s1, -4
	s_cmp_lg_u32 s1, 0
	s_waitcnt vmcnt(0)
	v_pk_mul_f32 v[6:7], v[0:1], v[6:7]
	v_pk_mul_f32 v[8:9], v[0:1], v[8:9]
	global_store_dwordx4 v[4:5], v[6:9], off offset:-8
	v_lshl_add_u64 v[4:5], v[4:5], 0, 16
	s_cbranch_scc1 .LBB35_56
; %bb.57:
	s_cmp_lg_u32 s0, s12
	s_cselect_b64 s[2:3], -1, 0
	s_branch .LBB35_60
.LBB35_58:
	s_mov_b64 s[2:3], 0
                                        ; implicit-def: $sgpr0
	s_cbranch_execz .LBB35_60
; %bb.59:
	s_mov_b64 s[2:3], -1
	s_mov_b32 s0, 0
.LBB35_60:
	s_andn2_b64 vcc, exec, s[2:3]
	s_cbranch_vccnz .LBB35_63
; %bb.61:
	s_mov_b32 s1, 0
	v_lshl_add_u64 v[2:3], v[2:3], 0, s[0:1]
	s_sub_i32 s2, s12, s0
	v_lshl_add_u64 v[2:3], v[2:3], 2, s[20:21]
.LBB35_62:                              ; =>This Inner Loop Header: Depth=1
	global_load_dword v1, v[2:3], off
	s_add_i32 s2, s2, -1
	s_cmp_lg_u32 s2, 0
	s_waitcnt vmcnt(0)
	v_mul_f32_e32 v1, v0, v1
	global_store_dword v[2:3], v1, off
	v_lshl_add_u64 v[2:3], v[2:3], 0, 4
	s_cbranch_scc1 .LBB35_62
.LBB35_63:
	s_endpgm
	.section	.rodata,"a",@progbits
	.p2align	6, 0x0
	.amdhsa_kernel _ZN4vllm3moe22topkGatingSoftplusSqrtILi8ELi256ELi4ELi16ELi32ELb0EifEEvPKT6_PKbPfiPT5_PiiiibdPKfPKS8_SE_
		.amdhsa_group_segment_fixed_size 4096
		.amdhsa_private_segment_fixed_size 0
		.amdhsa_kernarg_size 96
		.amdhsa_user_sgpr_count 4
		.amdhsa_user_sgpr_dispatch_ptr 1
		.amdhsa_user_sgpr_queue_ptr 0
		.amdhsa_user_sgpr_kernarg_segment_ptr 1
		.amdhsa_user_sgpr_dispatch_id 0
		.amdhsa_user_sgpr_kernarg_preload_length 0
		.amdhsa_user_sgpr_kernarg_preload_offset 0
		.amdhsa_user_sgpr_private_segment_size 0
		.amdhsa_uses_dynamic_stack 0
		.amdhsa_enable_private_segment 0
		.amdhsa_system_sgpr_workgroup_id_x 1
		.amdhsa_system_sgpr_workgroup_id_y 0
		.amdhsa_system_sgpr_workgroup_id_z 0
		.amdhsa_system_sgpr_workgroup_info 0
		.amdhsa_system_vgpr_workitem_id 2
		.amdhsa_next_free_vgpr 28
		.amdhsa_next_free_sgpr 32
		.amdhsa_accum_offset 28
		.amdhsa_reserve_vcc 1
		.amdhsa_float_round_mode_32 0
		.amdhsa_float_round_mode_16_64 0
		.amdhsa_float_denorm_mode_32 3
		.amdhsa_float_denorm_mode_16_64 3
		.amdhsa_dx10_clamp 1
		.amdhsa_ieee_mode 1
		.amdhsa_fp16_overflow 0
		.amdhsa_tg_split 0
		.amdhsa_exception_fp_ieee_invalid_op 0
		.amdhsa_exception_fp_denorm_src 0
		.amdhsa_exception_fp_ieee_div_zero 0
		.amdhsa_exception_fp_ieee_overflow 0
		.amdhsa_exception_fp_ieee_underflow 0
		.amdhsa_exception_fp_ieee_inexact 0
		.amdhsa_exception_int_div_zero 0
	.end_amdhsa_kernel
	.section	.text._ZN4vllm3moe22topkGatingSoftplusSqrtILi8ELi256ELi4ELi16ELi32ELb0EifEEvPKT6_PKbPfiPT5_PiiiibdPKfPKS8_SE_,"axG",@progbits,_ZN4vllm3moe22topkGatingSoftplusSqrtILi8ELi256ELi4ELi16ELi32ELb0EifEEvPKT6_PKbPfiPT5_PiiiibdPKfPKS8_SE_,comdat
.Lfunc_end35:
	.size	_ZN4vllm3moe22topkGatingSoftplusSqrtILi8ELi256ELi4ELi16ELi32ELb0EifEEvPKT6_PKbPfiPT5_PiiiibdPKfPKS8_SE_, .Lfunc_end35-_ZN4vllm3moe22topkGatingSoftplusSqrtILi8ELi256ELi4ELi16ELi32ELb0EifEEvPKT6_PKbPfiPT5_PiiiibdPKfPKS8_SE_
                                        ; -- End function
	.section	.AMDGPU.csdata,"",@progbits
; Kernel info:
; codeLenInByte = 4304
; NumSgprs: 38
; NumVgprs: 28
; NumAgprs: 0
; TotalNumVgprs: 28
; ScratchSize: 0
; MemoryBound: 0
; FloatMode: 240
; IeeeMode: 1
; LDSByteSize: 4096 bytes/workgroup (compile time only)
; SGPRBlocks: 4
; VGPRBlocks: 3
; NumSGPRsForWavesPerEU: 38
; NumVGPRsForWavesPerEU: 28
; AccumOffset: 28
; Occupancy: 8
; WaveLimiterHint : 0
; COMPUTE_PGM_RSRC2:SCRATCH_EN: 0
; COMPUTE_PGM_RSRC2:USER_SGPR: 4
; COMPUTE_PGM_RSRC2:TRAP_HANDLER: 0
; COMPUTE_PGM_RSRC2:TGID_X_EN: 1
; COMPUTE_PGM_RSRC2:TGID_Y_EN: 0
; COMPUTE_PGM_RSRC2:TGID_Z_EN: 0
; COMPUTE_PGM_RSRC2:TIDIG_COMP_CNT: 2
; COMPUTE_PGM_RSRC3_GFX90A:ACCUM_OFFSET: 6
; COMPUTE_PGM_RSRC3_GFX90A:TG_SPLIT: 0
	.section	.text._ZN4vllm3moe22topkGatingSoftplusSqrtILi8ELi512ELi4ELi16ELi64ELb1EifEEvPKT6_PKbPfiPT5_PiiiibdPKfPKS8_SE_,"axG",@progbits,_ZN4vllm3moe22topkGatingSoftplusSqrtILi8ELi512ELi4ELi16ELi64ELb1EifEEvPKT6_PKbPfiPT5_PiiiibdPKfPKS8_SE_,comdat
	.protected	_ZN4vllm3moe22topkGatingSoftplusSqrtILi8ELi512ELi4ELi16ELi64ELb1EifEEvPKT6_PKbPfiPT5_PiiiibdPKfPKS8_SE_ ; -- Begin function _ZN4vllm3moe22topkGatingSoftplusSqrtILi8ELi512ELi4ELi16ELi64ELb1EifEEvPKT6_PKbPfiPT5_PiiiibdPKfPKS8_SE_
	.globl	_ZN4vllm3moe22topkGatingSoftplusSqrtILi8ELi512ELi4ELi16ELi64ELb1EifEEvPKT6_PKbPfiPT5_PiiiibdPKfPKS8_SE_
	.p2align	8
	.type	_ZN4vllm3moe22topkGatingSoftplusSqrtILi8ELi512ELi4ELi16ELi64ELb1EifEEvPKT6_PKbPfiPT5_PiiiibdPKfPKS8_SE_,@function
_ZN4vllm3moe22topkGatingSoftplusSqrtILi8ELi512ELi4ELi16ELi64ELb1EifEEvPKT6_PKbPfiPT5_PiiiibdPKfPKS8_SE_: ; @_ZN4vllm3moe22topkGatingSoftplusSqrtILi8ELi512ELi4ELi16ELi64ELb1EifEEvPKT6_PKbPfiPT5_PiiiibdPKfPKS8_SE_
; %bb.0:
	s_load_dword s3, s[0:1], 0x18
	v_and_b32_e32 v1, 0x3ff, v0
	s_lshl_b32 s2, s2, 2
	v_lshrrev_b32_e32 v2, 6, v1
	v_bfe_u32 v0, v0, 10, 10
	v_add3_u32 v6, s2, v0, v2
	s_waitcnt lgkmcnt(0)
	v_cmp_gt_i32_e32 vcc, s3, v6
	s_and_saveexec_b64 s[2:3], vcc
	s_cbranch_execz .LBB36_31
; %bb.1:
	s_load_dwordx2 s[2:3], s[0:1], 0x0
	s_load_dword s33, s[0:1], 0x30
	s_load_dwordx4 s[8:11], s[0:1], 0x50
	v_lshlrev_b32_e32 v2, 9, v6
	v_lshlrev_b32_e32 v0, 2, v1
	v_ashrrev_i32_e32 v3, 31, v2
	v_and_b32_e32 v10, 0xfc, v0
	s_waitcnt lgkmcnt(0)
	v_lshl_add_u64 v[2:3], v[2:3], 2, s[2:3]
	v_lshlrev_b32_e32 v4, 2, v10
	v_mov_b32_e32 v5, 0
	v_lshl_add_u64 v[0:1], v[2:3], 0, v[4:5]
	global_load_dwordx4 v[12:15], v[0:1], off
	v_mov_b32_e32 v2, s8
	v_mov_b32_e32 v3, s9
	v_ashrrev_i32_e32 v7, 31, v6
	v_lshl_add_u64 v[2:3], v[6:7], 2, v[2:3]
	global_load_dword v7, v[2:3], off
	s_mov_b32 s15, 0x800000
	global_load_dwordx4 v[0:3], v[0:1], off offset:1024
	v_mov_b32_e32 v11, 0x4f800000
	s_mov_b32 s13, 0x3f317217
	s_mov_b32 s14, 0x7f800000
	v_mov_b32_e32 v20, 0x41b17218
	s_mov_b32 s9, 0x41a00000
	s_mov_b32 s12, 0xf800000
	v_mov_b32_e32 v21, 0x260
	s_cmp_gt_i32 s33, 0
	v_mov_b32_e32 v4, 0
	s_mov_b32 s8, 0
	s_waitcnt vmcnt(2)
	v_mul_f32_e32 v8, 0x3fb8aa3b, v12
	v_mul_f32_e32 v9, 0x3fb8aa3b, v13
	v_exp_f32_e32 v16, v8
	v_exp_f32_e32 v17, v9
	v_mul_f32_e32 v18, 0x3fb8aa3b, v14
	v_mul_f32_e32 v19, 0x3fb8aa3b, v15
	v_exp_f32_e32 v18, v18
	v_exp_f32_e32 v19, v19
	v_pk_add_f32 v[16:17], v[16:17], 1.0 op_sel_hi:[1,0]
	s_waitcnt vmcnt(1)
	v_mul_lo_u32 v8, v7, s33
	v_cmp_gt_f32_e32 vcc, s15, v17
	v_pk_add_f32 v[18:19], v[18:19], 1.0 op_sel_hi:[1,0]
	v_cmp_gt_f32_e64 s[2:3], s15, v16
	v_cndmask_b32_e32 v7, 1.0, v11, vcc
	v_cmp_gt_f32_e64 s[4:5], s15, v19
	v_cndmask_b32_e64 v22, 1.0, v11, s[2:3]
	v_mul_f32_e32 v7, v17, v7
	v_cndmask_b32_e64 v23, 1.0, v11, s[4:5]
	v_mul_f32_e32 v16, v16, v22
	v_log_f32_e32 v7, v7
	v_mul_f32_e32 v19, v19, v23
	v_log_f32_e32 v16, v16
	v_cmp_gt_f32_e64 s[6:7], s15, v18
	v_log_f32_e32 v19, v19
	v_cndmask_b32_e32 v17, 0, v20, vcc
	v_cndmask_b32_e64 v24, 1.0, v11, s[6:7]
	v_mul_f32_e32 v18, v18, v24
	v_mul_f32_e32 v24, 0x3f317217, v7
	;; [unrolled: 1-line block ×3, first 2 shown]
	v_fma_f32 v24, v7, s13, -v24
	v_mul_f32_e32 v26, 0x3f317217, v19
	v_fma_f32 v25, v16, s13, -v25
	v_fmac_f32_e32 v24, 0x3377d1cf, v7
	v_fma_f32 v26, v19, s13, -v26
	v_fmac_f32_e32 v25, 0x3377d1cf, v16
	v_fmac_f32_e32 v24, 0x3f317217, v7
	v_cmp_lt_f32_e64 vcc, |v7|, s14
	v_fmac_f32_e32 v26, 0x3377d1cf, v19
	v_fmac_f32_e32 v25, 0x3f317217, v16
	v_cndmask_b32_e32 v7, v7, v24, vcc
	v_cmp_lt_f32_e64 vcc, |v16|, s14
	v_cndmask_b32_e64 v22, 0, v20, s[2:3]
	v_fmac_f32_e32 v26, 0x3f317217, v19
	v_cndmask_b32_e32 v16, v16, v25, vcc
	v_cmp_lt_f32_e64 vcc, |v19|, s14
	v_sub_f32_e32 v16, v16, v22
	v_sub_f32_e32 v7, v7, v17
	v_cndmask_b32_e32 v19, v19, v26, vcc
	v_cmp_lt_f32_e32 vcc, s9, v12
	v_cndmask_b32_e64 v23, 0, v20, s[4:5]
	v_sub_f32_e32 v17, v19, v23
	v_cndmask_b32_e32 v12, v16, v12, vcc
	v_cmp_lt_f32_e32 vcc, s9, v13
	v_mul_f32_e32 v16, 0x4f800000, v12
	v_cmp_gt_f32_e64 s[2:3], s12, v12
	v_cndmask_b32_e32 v7, v7, v13, vcc
	v_mul_f32_e32 v13, 0x4f800000, v7
	v_cmp_gt_f32_e32 vcc, s12, v7
	v_cndmask_b32_e64 v12, v12, v16, s[2:3]
	v_sqrt_f32_e32 v16, v12
	v_cndmask_b32_e32 v7, v7, v13, vcc
	v_sqrt_f32_e32 v13, v7
	v_log_f32_e32 v18, v18
	v_add_u32_e32 v23, -1, v16
	v_fma_f32 v28, -v23, v16, v12
	v_add_u32_e32 v19, -1, v13
	v_fma_f32 v25, -v19, v13, v7
	v_add_u32_e32 v22, 1, v13
	v_cmp_ge_f32_e64 s[4:5], 0, v25
	v_add_u32_e32 v24, 1, v16
	v_fma_f32 v26, -v22, v13, v7
	v_cndmask_b32_e64 v13, v13, v19, s[4:5]
	v_cmp_ge_f32_e64 s[4:5], 0, v28
	v_fma_f32 v29, -v24, v16, v12
	v_mul_f32_e32 v27, 0x3f317217, v18
	v_cndmask_b32_e64 v16, v16, v23, s[4:5]
	v_cmp_lt_f32_e64 s[4:5], 0, v26
	v_fma_f32 v27, v18, s13, -v27
	v_fmac_f32_e32 v27, 0x3377d1cf, v18
	v_cndmask_b32_e64 v13, v13, v22, s[4:5]
	v_cmp_lt_f32_e64 s[4:5], 0, v29
	v_mul_f32_e32 v19, 0x37800000, v13
	v_cndmask_b32_e32 v13, v13, v19, vcc
	v_cndmask_b32_e64 v16, v16, v24, s[4:5]
	v_mul_f32_e32 v22, 0x37800000, v16
	v_cmp_class_f32_e32 vcc, v7, v21
	v_cndmask_b32_e64 v16, v16, v22, s[2:3]
	v_fmac_f32_e32 v27, 0x3f317217, v18
	v_cndmask_b32_e32 v13, v13, v7, vcc
	v_cmp_class_f32_e32 vcc, v12, v21
	v_cmp_lt_f32_e64 s[2:3], s9, v14
	v_ashrrev_i32_e32 v9, 31, v8
	v_cndmask_b32_e32 v12, v16, v12, vcc
	v_cmp_lt_f32_e64 vcc, |v18|, s14
	v_cndmask_b32_e64 v16, 0, v20, s[6:7]
	s_nop 0
	v_cndmask_b32_e32 v7, v18, v27, vcc
	v_cmp_lt_f32_e32 vcc, s9, v15
	v_sub_f32_e32 v7, v7, v16
	v_cndmask_b32_e64 v7, v7, v14, s[2:3]
	v_cndmask_b32_e32 v15, v17, v15, vcc
	v_mul_f32_e32 v17, 0x4f800000, v15
	v_cmp_gt_f32_e32 vcc, s12, v15
	s_nop 1
	v_cndmask_b32_e32 v15, v15, v17, vcc
	v_sqrt_f32_e32 v17, v15
	s_nop 0
	v_add_u32_e32 v14, -1, v17
	v_fma_f32 v16, -v14, v17, v15
	v_cmp_ge_f32_e64 s[2:3], 0, v16
	v_add_u32_e32 v16, 1, v17
	s_nop 0
	v_cndmask_b32_e64 v14, v17, v14, s[2:3]
	v_fma_f32 v17, -v16, v17, v15
	v_cmp_lt_f32_e64 s[2:3], 0, v17
	v_mul_f32_e32 v17, 0x4f800000, v7
	s_nop 0
	v_cndmask_b32_e64 v14, v14, v16, s[2:3]
	v_cmp_gt_f32_e64 s[2:3], s12, v7
	v_mul_f32_e32 v16, 0x37800000, v14
	v_cndmask_b32_e32 v14, v14, v16, vcc
	v_cndmask_b32_e64 v7, v7, v17, s[2:3]
	v_sqrt_f32_e32 v17, v7
	v_cmp_class_f32_e32 vcc, v15, v21
	v_add_u32_e32 v18, 1, v17
	s_nop 0
	v_cndmask_b32_e32 v15, v14, v15, vcc
	v_add_u32_e32 v14, -1, v17
	v_fma_f32 v16, -v14, v17, v7
	v_cmp_ge_f32_e32 vcc, 0, v16
	v_fma_f32 v19, -v18, v17, v7
	s_waitcnt vmcnt(0)
	v_mul_f32_e32 v16, 0x3fb8aa3b, v0
	v_cndmask_b32_e32 v14, v17, v14, vcc
	v_mul_f32_e32 v17, 0x3fb8aa3b, v1
	v_exp_f32_e32 v16, v16
	v_exp_f32_e32 v17, v17
	v_cmp_lt_f32_e32 vcc, 0, v19
	v_pk_add_f32 v[16:17], v[16:17], 1.0 op_sel_hi:[1,0]
	s_nop 0
	v_cndmask_b32_e32 v14, v14, v18, vcc
	v_mul_f32_e32 v18, 0x37800000, v14
	v_cmp_gt_f32_e32 vcc, s15, v17
	v_cndmask_b32_e64 v14, v14, v18, s[2:3]
	v_cmp_class_f32_e64 s[2:3], v7, v21
	v_cndmask_b32_e32 v18, 1.0, v11, vcc
	v_mul_f32_e32 v17, v17, v18
	v_log_f32_e32 v17, v17
	v_cndmask_b32_e64 v14, v14, v7, s[2:3]
	v_cmp_gt_f32_e64 s[2:3], s15, v16
	scratch_store_dwordx4 off, v[12:15], off
	v_mul_f32_e32 v7, 0x3f317217, v17
	v_fma_f32 v7, v17, s13, -v7
	v_cndmask_b32_e64 v12, 1.0, v11, s[2:3]
	v_mul_f32_e32 v12, v16, v12
	v_log_f32_e32 v12, v12
	v_fmac_f32_e32 v7, 0x3377d1cf, v17
	v_fmac_f32_e32 v7, 0x3f317217, v17
	v_cmp_lt_f32_e64 s[4:5], |v17|, s14
	v_cndmask_b32_e32 v13, 0, v20, vcc
	v_cmp_lt_f32_e64 vcc, |v12|, s14
	v_cndmask_b32_e64 v7, v17, v7, s[4:5]
	v_sub_f32_e32 v7, v7, v13
	v_mul_f32_e32 v13, 0x3f317217, v12
	v_fma_f32 v13, v12, s13, -v13
	v_fmac_f32_e32 v13, 0x3377d1cf, v12
	v_fmac_f32_e32 v13, 0x3f317217, v12
	v_cndmask_b32_e32 v12, v12, v13, vcc
	v_cmp_lt_f32_e32 vcc, s9, v1
	v_cndmask_b32_e64 v13, 0, v20, s[2:3]
	v_sub_f32_e32 v12, v12, v13
	v_cndmask_b32_e32 v1, v7, v1, vcc
	v_mul_f32_e32 v7, 0x4f800000, v1
	v_cmp_gt_f32_e32 vcc, s12, v1
	v_cmp_lt_f32_e64 s[2:3], s9, v0
	s_nop 0
	v_cndmask_b32_e32 v1, v1, v7, vcc
	v_sqrt_f32_e32 v7, v1
	v_cndmask_b32_e64 v0, v12, v0, s[2:3]
	v_add_u32_e32 v12, -1, v7
	v_fma_f32 v13, -v12, v7, v1
	v_cmp_ge_f32_e64 s[2:3], 0, v13
	v_add_u32_e32 v13, 1, v7
	s_nop 0
	v_cndmask_b32_e64 v12, v7, v12, s[2:3]
	v_fma_f32 v7, -v13, v7, v1
	v_cmp_lt_f32_e64 s[2:3], 0, v7
	s_nop 1
	v_cndmask_b32_e64 v7, v12, v13, s[2:3]
	v_mul_f32_e32 v13, 0x4f800000, v0
	v_cmp_gt_f32_e64 s[2:3], s12, v0
	v_mul_f32_e32 v12, 0x37800000, v7
	v_cndmask_b32_e32 v7, v7, v12, vcc
	v_cndmask_b32_e64 v0, v0, v13, s[2:3]
	v_sqrt_f32_e32 v13, v0
	v_cmp_class_f32_e32 vcc, v1, v21
	v_add_u32_e32 v14, 1, v13
	s_nop 0
	v_cndmask_b32_e32 v1, v7, v1, vcc
	v_add_u32_e32 v7, -1, v13
	v_fma_f32 v12, -v7, v13, v0
	v_cmp_ge_f32_e32 vcc, 0, v12
	v_fma_f32 v15, -v14, v13, v0
	v_mul_f32_e32 v12, 0x3fb8aa3b, v2
	v_cndmask_b32_e32 v7, v13, v7, vcc
	v_mul_f32_e32 v13, 0x3fb8aa3b, v3
	v_exp_f32_e32 v12, v12
	v_exp_f32_e32 v13, v13
	v_cmp_lt_f32_e32 vcc, 0, v15
	v_pk_add_f32 v[12:13], v[12:13], 1.0 op_sel_hi:[1,0]
	s_nop 0
	v_cndmask_b32_e32 v7, v7, v14, vcc
	v_cmp_gt_f32_e32 vcc, s15, v13
	v_mul_f32_e32 v14, 0x37800000, v7
	v_cndmask_b32_e64 v7, v7, v14, s[2:3]
	v_cndmask_b32_e32 v15, 1.0, v11, vcc
	v_mul_f32_e32 v13, v13, v15
	v_log_f32_e32 v13, v13
	v_cmp_class_f32_e64 s[2:3], v0, v21
	v_cmp_lt_f32_e64 s[4:5], |v13|, s14
	s_nop 0
	v_cndmask_b32_e64 v0, v7, v0, s[2:3]
	v_cmp_gt_f32_e64 s[2:3], s15, v12
	v_mul_f32_e32 v7, 0x3f317217, v13
	v_fma_f32 v7, v13, s13, -v7
	v_cndmask_b32_e64 v11, 1.0, v11, s[2:3]
	v_mul_f32_e32 v11, v12, v11
	v_log_f32_e32 v11, v11
	v_fmac_f32_e32 v7, 0x3377d1cf, v13
	v_fmac_f32_e32 v7, 0x3f317217, v13
	v_cndmask_b32_e64 v7, v13, v7, s[4:5]
	v_cndmask_b32_e32 v12, 0, v20, vcc
	v_sub_f32_e32 v7, v7, v12
	v_mul_f32_e32 v12, 0x3f317217, v11
	v_fma_f32 v12, v11, s13, -v12
	v_fmac_f32_e32 v12, 0x3377d1cf, v11
	v_fmac_f32_e32 v12, 0x3f317217, v11
	v_cmp_lt_f32_e64 vcc, |v11|, s14
	s_cselect_b64 s[4:5], -1, 0
	s_cmp_lt_i32 s33, 1
	v_cndmask_b32_e32 v11, v11, v12, vcc
	v_cmp_lt_f32_e32 vcc, s9, v3
	v_cndmask_b32_e64 v12, 0, v20, s[2:3]
	v_sub_f32_e32 v11, v11, v12
	v_cndmask_b32_e32 v3, v7, v3, vcc
	v_mul_f32_e32 v7, 0x4f800000, v3
	v_cmp_gt_f32_e32 vcc, s12, v3
	v_cmp_lt_f32_e64 s[2:3], s9, v2
	s_nop 0
	v_cndmask_b32_e32 v3, v3, v7, vcc
	v_sqrt_f32_e32 v7, v3
	v_cndmask_b32_e64 v2, v11, v2, s[2:3]
	v_add_u32_e32 v11, -1, v7
	v_fma_f32 v12, -v11, v7, v3
	v_cmp_ge_f32_e64 s[2:3], 0, v12
	v_add_u32_e32 v12, 1, v7
	s_nop 0
	v_cndmask_b32_e64 v11, v7, v11, s[2:3]
	v_fma_f32 v7, -v12, v7, v3
	v_cmp_lt_f32_e64 s[2:3], 0, v7
	s_nop 1
	v_cndmask_b32_e64 v7, v11, v12, s[2:3]
	v_mul_f32_e32 v12, 0x4f800000, v2
	v_cmp_gt_f32_e64 s[2:3], s12, v2
	v_mul_f32_e32 v11, 0x37800000, v7
	v_cndmask_b32_e32 v7, v7, v11, vcc
	v_cndmask_b32_e64 v2, v2, v12, s[2:3]
	v_sqrt_f32_e32 v12, v2
	v_cmp_class_f32_e32 vcc, v3, v21
	s_nop 1
	v_cndmask_b32_e32 v3, v7, v3, vcc
	v_add_u32_e32 v7, -1, v12
	v_fma_f32 v11, -v7, v12, v2
	v_cmp_ge_f32_e32 vcc, 0, v11
	v_add_u32_e32 v11, 1, v12
	s_nop 0
	v_cndmask_b32_e32 v7, v12, v7, vcc
	v_fma_f32 v12, -v11, v12, v2
	v_cmp_lt_f32_e32 vcc, 0, v12
	s_nop 1
	v_cndmask_b32_e32 v7, v7, v11, vcc
	v_mul_f32_e32 v11, 0x37800000, v7
	v_cndmask_b32_e64 v7, v7, v11, s[2:3]
	v_cmp_class_f32_e32 vcc, v2, v21
	s_nop 1
	v_cndmask_b32_e32 v2, v7, v2, vcc
	scratch_store_dwordx4 off, v[0:3], off offset:16
	s_nop 1
	v_lshl_add_u64 v[2:3], v[8:9], 2, s[10:11]
	v_mul_lo_u32 v0, v6, s33
	s_cbranch_scc1 .LBB36_28
; %bb.2:
	s_load_dwordx2 s[6:7], s[0:1], 0x20
	s_cmp_lt_u32 s33, 4
	s_cbranch_scc1 .LBB36_21
; %bb.3:
	s_mov_b32 s11, 0
	s_and_b32 s8, s33, 0x7ffffffc
	v_ashrrev_i32_e32 v1, 31, v0
	v_mov_b32_e32 v5, 0
	s_mov_b32 s10, s11
	s_branch .LBB36_5
.LBB36_4:                               ;   in Loop: Header=BB36_5 Depth=1
	s_or_b64 exec, exec, s[12:13]
	s_add_i32 s10, s10, 4
	s_cmp_eq_u32 s10, s8
	s_cbranch_scc1 .LBB36_21
.LBB36_5:                               ; =>This Loop Header: Depth=1
                                        ;     Child Loop BB36_7 Depth 2
                                        ;     Child Loop BB36_11 Depth 2
	;; [unrolled: 1-line block ×4, first 2 shown]
	v_lshl_add_u64 v[6:7], s[10:11], 2, v[2:3]
	global_load_dword v11, v[6:7], off
	v_add_u32_e32 v8, s10, v0
	v_ashrrev_i32_e32 v9, 31, v8
	s_waitcnt lgkmcnt(0)
	v_lshl_add_u64 v[8:9], v[8:9], 2, s[6:7]
	v_mov_b32_e32 v12, 0
	s_mov_b64 s[12:13], 0
	s_mov_b32 s9, 0
	s_mov_b32 s16, 0
	s_branch .LBB36_7
.LBB36_6:                               ;   in Loop: Header=BB36_7 Depth=2
	s_or_b64 exec, exec, s[14:15]
	s_add_i32 s17, s16, 1
	s_cmp_gt_u32 s16, 6
	s_cselect_b64 s[2:3], -1, 0
	s_xor_b64 s[14:15], vcc, -1
	s_or_b64 s[2:3], s[14:15], s[2:3]
	s_add_i32 s9, s9, 64
	s_and_b64 s[2:3], exec, s[2:3]
	v_add_u32_e32 v12, 4, v12
	s_or_b64 s[12:13], s[2:3], s[12:13]
	s_mov_b32 s16, s17
	s_andn2_b64 exec, exec, s[12:13]
	s_cbranch_execz .LBB36_9
.LBB36_7:                               ;   Parent Loop BB36_5 Depth=1
                                        ; =>  This Inner Loop Header: Depth=2
	s_and_b32 s2, s16, 3
	s_and_b32 s3, s9, 0x100
	s_or_b32 s2, s2, s3
	v_or_b32_e32 v13, s2, v10
	s_waitcnt vmcnt(0)
	v_cmp_ne_u32_e32 vcc, v11, v13
	v_cmp_eq_u32_e64 s[2:3], v11, v13
	s_and_saveexec_b64 s[14:15], s[2:3]
	s_cbranch_execz .LBB36_6
; %bb.8:                                ;   in Loop: Header=BB36_7 Depth=2
	scratch_load_dword v13, v12, off
	s_waitcnt vmcnt(0)
	v_add_f32_e32 v5, v5, v13
	global_store_dword v[8:9], v11, off
	s_branch .LBB36_6
.LBB36_9:                               ;   in Loop: Header=BB36_5 Depth=1
	s_or_b64 exec, exec, s[12:13]
	global_load_dword v11, v[6:7], off offset:4
	s_ashr_i32 s3, s10, 31
	s_mov_b32 s2, s10
	v_lshl_add_u64 v[8:9], s[2:3], 0, v[0:1]
	v_lshl_add_u64 v[8:9], v[8:9], 2, s[6:7]
	v_mov_b32_e32 v12, 0
	s_mov_b32 s9, 0
	s_mov_b64 s[12:13], 0
	s_mov_b32 s16, 0
	s_branch .LBB36_11
.LBB36_10:                              ;   in Loop: Header=BB36_11 Depth=2
	s_or_b64 exec, exec, s[14:15]
	s_add_i32 s17, s16, 1
	s_cmp_gt_u32 s16, 6
	s_cselect_b64 s[2:3], -1, 0
	s_xor_b64 s[14:15], vcc, -1
	s_or_b64 s[2:3], s[14:15], s[2:3]
	s_add_i32 s9, s9, 64
	s_and_b64 s[2:3], exec, s[2:3]
	v_add_u32_e32 v12, 4, v12
	s_or_b64 s[12:13], s[2:3], s[12:13]
	s_mov_b32 s16, s17
	s_andn2_b64 exec, exec, s[12:13]
	s_cbranch_execz .LBB36_13
.LBB36_11:                              ;   Parent Loop BB36_5 Depth=1
                                        ; =>  This Inner Loop Header: Depth=2
	s_and_b32 s2, s16, 3
	s_and_b32 s3, s9, 0x100
	s_or_b32 s2, s2, s3
	v_or_b32_e32 v13, s2, v10
	s_waitcnt vmcnt(0)
	v_cmp_ne_u32_e32 vcc, v11, v13
	v_cmp_eq_u32_e64 s[2:3], v11, v13
	s_and_saveexec_b64 s[14:15], s[2:3]
	s_cbranch_execz .LBB36_10
; %bb.12:                               ;   in Loop: Header=BB36_11 Depth=2
	scratch_load_dword v13, v12, off
	s_waitcnt vmcnt(0)
	v_add_f32_e32 v5, v5, v13
	global_store_dword v[8:9], v11, off offset:4
	s_branch .LBB36_10
.LBB36_13:                              ;   in Loop: Header=BB36_5 Depth=1
	s_or_b64 exec, exec, s[12:13]
	global_load_dword v11, v[6:7], off offset:8
	v_mov_b32_e32 v12, 0
	s_mov_b32 s9, 0
	s_mov_b64 s[12:13], 0
	s_mov_b32 s16, 0
	s_branch .LBB36_15
.LBB36_14:                              ;   in Loop: Header=BB36_15 Depth=2
	s_or_b64 exec, exec, s[14:15]
	s_add_i32 s17, s16, 1
	s_cmp_gt_u32 s16, 6
	s_cselect_b64 s[2:3], -1, 0
	s_xor_b64 s[14:15], vcc, -1
	s_or_b64 s[2:3], s[14:15], s[2:3]
	s_add_i32 s9, s9, 64
	s_and_b64 s[2:3], exec, s[2:3]
	v_add_u32_e32 v12, 4, v12
	s_or_b64 s[12:13], s[2:3], s[12:13]
	s_mov_b32 s16, s17
	s_andn2_b64 exec, exec, s[12:13]
	s_cbranch_execz .LBB36_17
.LBB36_15:                              ;   Parent Loop BB36_5 Depth=1
                                        ; =>  This Inner Loop Header: Depth=2
	s_and_b32 s2, s16, 3
	s_and_b32 s3, s9, 0x100
	s_or_b32 s2, s2, s3
	v_or_b32_e32 v13, s2, v10
	s_waitcnt vmcnt(0)
	v_cmp_ne_u32_e32 vcc, v11, v13
	v_cmp_eq_u32_e64 s[2:3], v11, v13
	s_and_saveexec_b64 s[14:15], s[2:3]
	s_cbranch_execz .LBB36_14
; %bb.16:                               ;   in Loop: Header=BB36_15 Depth=2
	scratch_load_dword v13, v12, off
	s_waitcnt vmcnt(0)
	v_add_f32_e32 v5, v5, v13
	global_store_dword v[8:9], v11, off offset:8
	s_branch .LBB36_14
.LBB36_17:                              ;   in Loop: Header=BB36_5 Depth=1
	s_or_b64 exec, exec, s[12:13]
	global_load_dword v6, v[6:7], off offset:12
	v_mov_b32_e32 v7, 0
	s_mov_b32 s9, 0
	s_mov_b64 s[12:13], 0
	s_mov_b32 s16, 0
	s_branch .LBB36_19
.LBB36_18:                              ;   in Loop: Header=BB36_19 Depth=2
	s_or_b64 exec, exec, s[14:15]
	s_add_i32 s17, s16, 1
	s_cmp_gt_u32 s16, 6
	s_cselect_b64 s[2:3], -1, 0
	s_xor_b64 s[14:15], vcc, -1
	s_or_b64 s[2:3], s[14:15], s[2:3]
	s_add_i32 s9, s9, 64
	s_and_b64 s[2:3], exec, s[2:3]
	v_add_u32_e32 v7, 4, v7
	s_or_b64 s[12:13], s[2:3], s[12:13]
	s_mov_b32 s16, s17
	s_andn2_b64 exec, exec, s[12:13]
	s_cbranch_execz .LBB36_4
.LBB36_19:                              ;   Parent Loop BB36_5 Depth=1
                                        ; =>  This Inner Loop Header: Depth=2
	s_and_b32 s2, s16, 3
	s_and_b32 s3, s9, 0x100
	s_or_b32 s2, s2, s3
	v_or_b32_e32 v11, s2, v10
	s_waitcnt vmcnt(0)
	v_cmp_ne_u32_e32 vcc, v6, v11
	v_cmp_eq_u32_e64 s[2:3], v6, v11
	s_and_saveexec_b64 s[14:15], s[2:3]
	s_cbranch_execz .LBB36_18
; %bb.20:                               ;   in Loop: Header=BB36_19 Depth=2
	scratch_load_dword v11, v7, off
	s_waitcnt vmcnt(0)
	v_add_f32_e32 v5, v5, v11
	global_store_dword v[8:9], v6, off offset:12
	s_branch .LBB36_18
.LBB36_21:
	s_and_b32 s14, s33, 3
	s_cmp_eq_u32 s14, 0
	s_mov_b32 s9, 0
	s_cbranch_scc1 .LBB36_28
; %bb.22:
	s_mov_b32 s15, s9
	s_branch .LBB36_24
.LBB36_23:                              ;   in Loop: Header=BB36_24 Depth=1
	s_or_b64 exec, exec, s[10:11]
	s_add_i32 s8, s8, 1
	s_add_i32 s15, s15, 1
	s_cmp_lg_u32 s15, s14
	s_cbranch_scc0 .LBB36_28
.LBB36_24:                              ; =>This Loop Header: Depth=1
                                        ;     Child Loop BB36_26 Depth 2
	v_lshl_add_u64 v[6:7], s[8:9], 2, v[2:3]
	global_load_dword v1, v[6:7], off
	v_add_u32_e32 v6, s8, v0
	v_ashrrev_i32_e32 v7, 31, v6
	s_waitcnt lgkmcnt(0)
	v_lshl_add_u64 v[6:7], v[6:7], 2, s[6:7]
	v_mov_b32_e32 v8, 0
	s_mov_b32 s16, 0
	s_mov_b64 s[10:11], 0
	s_mov_b32 s17, 0
	s_branch .LBB36_26
.LBB36_25:                              ;   in Loop: Header=BB36_26 Depth=2
	s_or_b64 exec, exec, s[12:13]
	s_add_i32 s18, s17, 1
	s_cmp_gt_u32 s17, 6
	s_cselect_b64 s[2:3], -1, 0
	s_xor_b64 s[12:13], vcc, -1
	s_or_b64 s[2:3], s[12:13], s[2:3]
	s_add_i32 s16, s16, 64
	s_and_b64 s[2:3], exec, s[2:3]
	v_add_u32_e32 v8, 4, v8
	s_or_b64 s[10:11], s[2:3], s[10:11]
	s_mov_b32 s17, s18
	s_andn2_b64 exec, exec, s[10:11]
	s_cbranch_execz .LBB36_23
.LBB36_26:                              ;   Parent Loop BB36_24 Depth=1
                                        ; =>  This Inner Loop Header: Depth=2
	s_and_b32 s2, s17, 3
	s_and_b32 s3, s16, 0x100
	s_or_b32 s2, s2, s3
	v_or_b32_e32 v9, s2, v10
	s_waitcnt vmcnt(0)
	v_cmp_ne_u32_e32 vcc, v1, v9
	v_cmp_eq_u32_e64 s[2:3], v1, v9
	s_and_saveexec_b64 s[12:13], s[2:3]
	s_cbranch_execz .LBB36_25
; %bb.27:                               ;   in Loop: Header=BB36_26 Depth=2
	scratch_load_dword v9, v8, off
	s_waitcnt vmcnt(0)
	v_add_f32_e32 v5, v5, v9
	global_store_dword v[6:7], v1, off
	s_branch .LBB36_25
.LBB36_28:
	s_waitcnt lgkmcnt(0)
	s_load_dword s6, s[0:1], 0x3c
	v_add_u32_e32 v9, 16, v4
	s_waitcnt lgkmcnt(0)
	s_bitcmp1_b32 s6, 0
	s_cselect_b64 s[2:3], -1, 0
	s_bitcmp0_b32 s6, 0
	s_cbranch_scc0 .LBB36_32
; %bb.29:
	s_load_dwordx2 s[6:7], s[0:1], 0x40
	s_andn2_b64 vcc, exec, s[2:3]
	s_waitcnt lgkmcnt(0)
	v_cvt_f32_f64_e32 v8, s[6:7]
	s_cbranch_vccz .LBB36_33
.LBB36_30:
	s_andn2_b64 vcc, exec, s[4:5]
	s_cbranch_vccz .LBB36_34
.LBB36_31:
	s_endpgm
.LBB36_32:
	v_mbcnt_lo_u32_b32 v1, -1, 0
	v_mbcnt_hi_u32_b32 v1, -1, v1
	v_and_b32_e32 v4, 64, v1
	v_add_u32_e32 v4, 64, v4
	v_xor_b32_e32 v6, 32, v1
	v_cmp_lt_i32_e32 vcc, v6, v4
	v_xor_b32_e32 v7, 16, v1
	s_nop 0
	v_cndmask_b32_e32 v6, v1, v6, vcc
	v_lshlrev_b32_e32 v6, 2, v6
	ds_bpermute_b32 v6, v6, v5
	v_cmp_lt_i32_e32 vcc, v7, v4
	s_waitcnt lgkmcnt(0)
	v_add_f32_e32 v5, v5, v6
	v_cndmask_b32_e32 v6, v1, v7, vcc
	v_lshlrev_b32_e32 v6, 2, v6
	ds_bpermute_b32 v6, v6, v5
	v_xor_b32_e32 v7, 8, v1
	v_cmp_lt_i32_e32 vcc, v7, v4
	s_waitcnt lgkmcnt(0)
	v_add_f32_e32 v5, v5, v6
	v_cndmask_b32_e32 v6, v1, v7, vcc
	v_lshlrev_b32_e32 v6, 2, v6
	ds_bpermute_b32 v6, v6, v5
	v_xor_b32_e32 v7, 4, v1
	;; [unrolled: 7-line block ×4, first 2 shown]
	v_cmp_lt_i32_e32 vcc, v7, v4
	s_waitcnt lgkmcnt(0)
	v_add_f32_e32 v5, v5, v6
	v_cndmask_b32_e32 v1, v1, v7, vcc
	v_lshlrev_b32_e32 v1, 2, v1
	ds_bpermute_b32 v1, v1, v5
	s_waitcnt lgkmcnt(0)
	v_add_f32_e32 v5, v5, v1
	s_load_dwordx2 s[6:7], s[0:1], 0x40
	s_andn2_b64 vcc, exec, s[2:3]
	s_waitcnt lgkmcnt(0)
	v_cvt_f32_f64_e32 v8, s[6:7]
	s_cbranch_vccnz .LBB36_30
.LBB36_33:
	v_cmp_lt_f32_e32 vcc, 0, v5
	s_nop 1
	v_cndmask_b32_e32 v1, 1.0, v5, vcc
	v_div_scale_f32 v4, s[2:3], v1, v1, v8
	v_rcp_f32_e32 v5, v4
	s_nop 0
	v_fma_f32 v6, -v4, v5, 1.0
	v_fmac_f32_e32 v5, v6, v5
	v_div_scale_f32 v6, vcc, v8, v1, v8
	v_mul_f32_e32 v7, v6, v5
	v_fma_f32 v11, -v4, v7, v6
	v_fmac_f32_e32 v7, v11, v5
	v_fma_f32 v4, -v4, v7, v6
	v_div_fmas_f32 v4, v4, v5, v7
	v_div_fixup_f32 v8, v4, v1, v8
	s_andn2_b64 vcc, exec, s[4:5]
	s_cbranch_vccnz .LBB36_31
.LBB36_34:
	s_load_dwordx2 s[12:13], s[0:1], 0x10
	v_mov_b32_e32 v1, 0
	v_or_b32_e32 v20, 4, v1
	v_or_b32_e32 v18, 8, v1
	;; [unrolled: 1-line block ×3, first 2 shown]
	v_add_u32_e32 v13, 20, v1
	v_add_u32_e32 v11, 24, v1
	;; [unrolled: 1-line block ×3, first 2 shown]
	v_or_b32_e32 v23, 1, v10
	v_or_b32_e32 v22, 2, v10
	;; [unrolled: 1-line block ×7, first 2 shown]
	s_cmp_eq_u32 s33, 1
	s_mov_b32 s14, 0
	s_cbranch_scc1 .LBB36_69
; %bb.35:
	v_ashrrev_i32_e32 v1, 31, v0
	s_waitcnt lgkmcnt(0)
	v_lshl_add_u64 v[4:5], v[0:1], 2, s[12:13]
	s_and_b32 s14, s33, 0x7ffffffe
	v_lshl_add_u64 v[4:5], v[4:5], 0, 4
	v_lshl_add_u64 v[6:7], v[2:3], 0, 4
	s_mov_b32 s15, 0
	s_branch .LBB36_37
.LBB36_36:                              ;   in Loop: Header=BB36_37 Depth=1
	s_or_b64 exec, exec, s[0:1]
	s_add_i32 s15, s15, 2
	v_lshl_add_u64 v[4:5], v[4:5], 0, 8
	s_cmp_eq_u32 s14, s15
	v_lshl_add_u64 v[6:7], v[6:7], 0, 8
	s_cbranch_scc1 .LBB36_69
.LBB36_37:                              ; =>This Inner Loop Header: Depth=1
	global_load_dword v24, v[6:7], off offset:-4
	v_mov_b32_e32 v1, 0
	s_waitcnt vmcnt(0)
	v_cmp_eq_u32_e32 vcc, v24, v10
	v_cmp_ne_u32_e64 s[0:1], v24, v10
	s_and_saveexec_b64 s[16:17], s[0:1]
	s_cbranch_execz .LBB36_51
; %bb.38:                               ;   in Loop: Header=BB36_37 Depth=1
	v_cmp_eq_u32_e64 s[0:1], v24, v23
	v_cmp_ne_u32_e64 s[2:3], v24, v23
	v_mov_b32_e32 v1, v20
	s_and_saveexec_b64 s[18:19], s[2:3]
	s_cbranch_execz .LBB36_50
; %bb.39:                               ;   in Loop: Header=BB36_37 Depth=1
	v_cmp_eq_u32_e64 s[2:3], v24, v22
	v_cmp_ne_u32_e64 s[4:5], v24, v22
	v_mov_b32_e32 v1, v18
	;; [unrolled: 6-line block ×6, first 2 shown]
	s_and_saveexec_b64 s[30:31], s[10:11]
	s_xor_b64 s[30:31], exec, s[30:31]
; %bb.44:                               ;   in Loop: Header=BB36_37 Depth=1
	v_cmp_eq_u32_e64 s[10:11], v24, v14
	s_andn2_b64 s[28:29], s[28:29], exec
	s_and_b64 s[10:11], s[10:11], exec
	s_or_b64 s[28:29], s[28:29], s[10:11]
	v_mov_b32_e32 v1, v12
; %bb.45:                               ;   in Loop: Header=BB36_37 Depth=1
	s_or_b64 exec, exec, s[30:31]
	s_andn2_b64 s[8:9], s[8:9], exec
	s_and_b64 s[10:11], s[28:29], exec
	s_or_b64 s[8:9], s[8:9], s[10:11]
.LBB36_46:                              ;   in Loop: Header=BB36_37 Depth=1
	s_or_b64 exec, exec, s[26:27]
	s_andn2_b64 s[6:7], s[6:7], exec
	s_and_b64 s[8:9], s[8:9], exec
	s_or_b64 s[6:7], s[6:7], s[8:9]
.LBB36_47:                              ;   in Loop: Header=BB36_37 Depth=1
	s_or_b64 exec, exec, s[24:25]
	s_andn2_b64 s[4:5], s[4:5], exec
	s_and_b64 s[6:7], s[6:7], exec
	s_or_b64 s[4:5], s[4:5], s[6:7]
.LBB36_48:                              ;   in Loop: Header=BB36_37 Depth=1
	s_or_b64 exec, exec, s[22:23]
	s_andn2_b64 s[2:3], s[2:3], exec
	s_and_b64 s[4:5], s[4:5], exec
	s_or_b64 s[2:3], s[2:3], s[4:5]
.LBB36_49:                              ;   in Loop: Header=BB36_37 Depth=1
	s_or_b64 exec, exec, s[20:21]
	s_andn2_b64 s[0:1], s[0:1], exec
	s_and_b64 s[2:3], s[2:3], exec
	s_or_b64 s[0:1], s[0:1], s[2:3]
.LBB36_50:                              ;   in Loop: Header=BB36_37 Depth=1
	s_or_b64 exec, exec, s[18:19]
	s_andn2_b64 s[2:3], vcc, exec
	s_and_b64 s[0:1], s[0:1], exec
	s_or_b64 vcc, s[2:3], s[0:1]
.LBB36_51:                              ;   in Loop: Header=BB36_37 Depth=1
	s_or_b64 exec, exec, s[16:17]
	s_and_saveexec_b64 s[0:1], vcc
	s_cbranch_execz .LBB36_53
; %bb.52:                               ;   in Loop: Header=BB36_37 Depth=1
	scratch_load_dword v1, v1, off
	v_add_u32_e32 v24, s15, v0
	v_ashrrev_i32_e32 v25, 31, v24
	v_lshl_add_u64 v[24:25], v[24:25], 2, s[12:13]
	s_waitcnt vmcnt(0)
	v_mul_f32_e32 v1, v8, v1
	global_store_dword v[24:25], v1, off
.LBB36_53:                              ;   in Loop: Header=BB36_37 Depth=1
	s_or_b64 exec, exec, s[0:1]
	global_load_dword v24, v[6:7], off
	v_mov_b32_e32 v1, 0
	s_waitcnt vmcnt(0)
	v_cmp_eq_u32_e64 s[8:9], v24, v10
	v_cmp_ne_u32_e32 vcc, v24, v10
	s_and_saveexec_b64 s[10:11], vcc
	s_cbranch_execz .LBB36_67
; %bb.54:                               ;   in Loop: Header=BB36_37 Depth=1
	v_cmp_eq_u32_e32 vcc, v24, v23
	v_cmp_ne_u32_e64 s[0:1], v24, v23
	v_mov_b32_e32 v1, v20
	s_and_saveexec_b64 s[16:17], s[0:1]
	s_cbranch_execz .LBB36_66
; %bb.55:                               ;   in Loop: Header=BB36_37 Depth=1
	v_cmp_eq_u32_e64 s[0:1], v24, v22
	v_cmp_ne_u32_e64 s[2:3], v24, v22
	v_mov_b32_e32 v1, v18
	s_and_saveexec_b64 s[18:19], s[2:3]
	s_cbranch_execz .LBB36_65
; %bb.56:                               ;   in Loop: Header=BB36_37 Depth=1
	v_cmp_eq_u32_e64 s[2:3], v24, v21
	;; [unrolled: 6-line block ×5, first 2 shown]
	v_cmp_ne_u32_e64 s[6:7], v24, v15
	v_mov_b32_e32 v1, v11
	s_and_saveexec_b64 s[30:31], s[6:7]
; %bb.60:                               ;   in Loop: Header=BB36_37 Depth=1
	v_cmp_eq_u32_e64 s[6:7], v24, v14
	s_andn2_b64 s[28:29], s[28:29], exec
	s_and_b64 s[6:7], s[6:7], exec
	s_or_b64 s[28:29], s[28:29], s[6:7]
	v_mov_b32_e32 v1, v12
; %bb.61:                               ;   in Loop: Header=BB36_37 Depth=1
	s_or_b64 exec, exec, s[30:31]
	s_andn2_b64 s[6:7], s[24:25], exec
	s_and_b64 s[24:25], s[28:29], exec
	s_or_b64 s[24:25], s[6:7], s[24:25]
.LBB36_62:                              ;   in Loop: Header=BB36_37 Depth=1
	s_or_b64 exec, exec, s[26:27]
	s_andn2_b64 s[4:5], s[4:5], exec
	s_and_b64 s[6:7], s[24:25], exec
	s_or_b64 s[4:5], s[4:5], s[6:7]
.LBB36_63:                              ;   in Loop: Header=BB36_37 Depth=1
	s_or_b64 exec, exec, s[22:23]
	s_andn2_b64 s[2:3], s[2:3], exec
	s_and_b64 s[4:5], s[4:5], exec
	s_or_b64 s[2:3], s[2:3], s[4:5]
.LBB36_64:                              ;   in Loop: Header=BB36_37 Depth=1
	s_or_b64 exec, exec, s[20:21]
	s_andn2_b64 s[0:1], s[0:1], exec
	s_and_b64 s[2:3], s[2:3], exec
	s_or_b64 s[0:1], s[0:1], s[2:3]
.LBB36_65:                              ;   in Loop: Header=BB36_37 Depth=1
	s_or_b64 exec, exec, s[18:19]
	s_andn2_b64 s[2:3], vcc, exec
	s_and_b64 s[0:1], s[0:1], exec
	s_or_b64 vcc, s[2:3], s[0:1]
.LBB36_66:                              ;   in Loop: Header=BB36_37 Depth=1
	s_or_b64 exec, exec, s[16:17]
	s_andn2_b64 s[0:1], s[8:9], exec
	s_and_b64 s[2:3], vcc, exec
	s_or_b64 s[8:9], s[0:1], s[2:3]
.LBB36_67:                              ;   in Loop: Header=BB36_37 Depth=1
	s_or_b64 exec, exec, s[10:11]
	s_and_saveexec_b64 s[0:1], s[8:9]
	s_cbranch_execz .LBB36_36
; %bb.68:                               ;   in Loop: Header=BB36_37 Depth=1
	scratch_load_dword v1, v1, off
	s_waitcnt vmcnt(0)
	v_mul_f32_e32 v1, v8, v1
	global_store_dword v[4:5], v1, off
	s_branch .LBB36_36
.LBB36_69:
	s_bitcmp0_b32 s33, 0
	s_mov_b32 s15, 0
	s_cbranch_scc1 .LBB36_31
; %bb.70:
	v_lshl_add_u64 v[2:3], s[14:15], 2, v[2:3]
	global_load_dword v1, v[2:3], off
	v_mov_b32_e32 v2, 0
	s_waitcnt vmcnt(0)
	v_cmp_eq_u32_e64 s[8:9], v1, v10
	v_cmp_ne_u32_e32 vcc, v1, v10
	s_and_saveexec_b64 s[10:11], vcc
	s_cbranch_execz .LBB36_84
; %bb.71:
	v_cmp_eq_u32_e32 vcc, v1, v23
	v_cmp_ne_u32_e64 s[0:1], v1, v23
	s_and_saveexec_b64 s[16:17], s[0:1]
	s_cbranch_execz .LBB36_83
; %bb.72:
	v_cmp_eq_u32_e64 s[0:1], v1, v22
	v_cmp_ne_u32_e64 s[2:3], v1, v22
	s_and_saveexec_b64 s[18:19], s[2:3]
	s_cbranch_execz .LBB36_82
; %bb.73:
	v_cmp_eq_u32_e64 s[2:3], v1, v21
	;; [unrolled: 5-line block ×5, first 2 shown]
	v_cmp_ne_u32_e64 s[6:7], v1, v15
	s_and_saveexec_b64 s[30:31], s[6:7]
; %bb.77:
	v_cmp_eq_u32_e64 s[6:7], v1, v14
	s_andn2_b64 s[28:29], s[28:29], exec
	s_and_b64 s[6:7], s[6:7], exec
	s_or_b64 s[28:29], s[28:29], s[6:7]
	v_mov_b32_e32 v11, v12
; %bb.78:
	s_or_b64 exec, exec, s[30:31]
	s_andn2_b64 s[6:7], s[24:25], exec
	s_and_b64 s[24:25], s[28:29], exec
	s_or_b64 s[24:25], s[6:7], s[24:25]
	v_mov_b32_e32 v13, v11
.LBB36_79:
	s_or_b64 exec, exec, s[26:27]
	s_andn2_b64 s[4:5], s[4:5], exec
	s_and_b64 s[6:7], s[24:25], exec
	s_or_b64 s[4:5], s[4:5], s[6:7]
	v_mov_b32_e32 v9, v13
.LBB36_80:
	s_or_b64 exec, exec, s[22:23]
	s_andn2_b64 s[2:3], s[2:3], exec
	s_and_b64 s[4:5], s[4:5], exec
	s_or_b64 s[2:3], s[2:3], s[4:5]
	v_mov_b32_e32 v16, v9
.LBB36_81:
	s_or_b64 exec, exec, s[20:21]
	s_andn2_b64 s[0:1], s[0:1], exec
	s_and_b64 s[2:3], s[2:3], exec
	s_or_b64 s[0:1], s[0:1], s[2:3]
	v_mov_b32_e32 v18, v16
.LBB36_82:
	s_or_b64 exec, exec, s[18:19]
	s_andn2_b64 s[2:3], vcc, exec
	s_and_b64 s[0:1], s[0:1], exec
	s_or_b64 vcc, s[2:3], s[0:1]
	v_mov_b32_e32 v20, v18
.LBB36_83:
	s_or_b64 exec, exec, s[16:17]
	s_andn2_b64 s[0:1], s[8:9], exec
	s_and_b64 s[2:3], vcc, exec
	s_or_b64 s[8:9], s[0:1], s[2:3]
	v_mov_b32_e32 v2, v20
.LBB36_84:
	s_or_b64 exec, exec, s[10:11]
	s_and_b64 exec, exec, s[8:9]
	s_cbranch_execz .LBB36_31
; %bb.85:
	scratch_load_dword v2, v2, off
	v_add_u32_e32 v0, s14, v0
	v_ashrrev_i32_e32 v1, 31, v0
	s_waitcnt lgkmcnt(0)
	v_lshl_add_u64 v[0:1], v[0:1], 2, s[12:13]
	s_waitcnt vmcnt(0)
	v_mul_f32_e32 v2, v8, v2
	global_store_dword v[0:1], v2, off
	s_endpgm
	.section	.rodata,"a",@progbits
	.p2align	6, 0x0
	.amdhsa_kernel _ZN4vllm3moe22topkGatingSoftplusSqrtILi8ELi512ELi4ELi16ELi64ELb1EifEEvPKT6_PKbPfiPT5_PiiiibdPKfPKS8_SE_
		.amdhsa_group_segment_fixed_size 0
		.amdhsa_private_segment_fixed_size 48
		.amdhsa_kernarg_size 96
		.amdhsa_user_sgpr_count 2
		.amdhsa_user_sgpr_dispatch_ptr 0
		.amdhsa_user_sgpr_queue_ptr 0
		.amdhsa_user_sgpr_kernarg_segment_ptr 1
		.amdhsa_user_sgpr_dispatch_id 0
		.amdhsa_user_sgpr_kernarg_preload_length 0
		.amdhsa_user_sgpr_kernarg_preload_offset 0
		.amdhsa_user_sgpr_private_segment_size 0
		.amdhsa_uses_dynamic_stack 0
		.amdhsa_enable_private_segment 1
		.amdhsa_system_sgpr_workgroup_id_x 1
		.amdhsa_system_sgpr_workgroup_id_y 0
		.amdhsa_system_sgpr_workgroup_id_z 0
		.amdhsa_system_sgpr_workgroup_info 0
		.amdhsa_system_vgpr_workitem_id 1
		.amdhsa_next_free_vgpr 30
		.amdhsa_next_free_sgpr 34
		.amdhsa_accum_offset 32
		.amdhsa_reserve_vcc 1
		.amdhsa_float_round_mode_32 0
		.amdhsa_float_round_mode_16_64 0
		.amdhsa_float_denorm_mode_32 3
		.amdhsa_float_denorm_mode_16_64 3
		.amdhsa_dx10_clamp 1
		.amdhsa_ieee_mode 1
		.amdhsa_fp16_overflow 0
		.amdhsa_tg_split 0
		.amdhsa_exception_fp_ieee_invalid_op 0
		.amdhsa_exception_fp_denorm_src 0
		.amdhsa_exception_fp_ieee_div_zero 0
		.amdhsa_exception_fp_ieee_overflow 0
		.amdhsa_exception_fp_ieee_underflow 0
		.amdhsa_exception_fp_ieee_inexact 0
		.amdhsa_exception_int_div_zero 0
	.end_amdhsa_kernel
	.section	.text._ZN4vllm3moe22topkGatingSoftplusSqrtILi8ELi512ELi4ELi16ELi64ELb1EifEEvPKT6_PKbPfiPT5_PiiiibdPKfPKS8_SE_,"axG",@progbits,_ZN4vllm3moe22topkGatingSoftplusSqrtILi8ELi512ELi4ELi16ELi64ELb1EifEEvPKT6_PKbPfiPT5_PiiiibdPKfPKS8_SE_,comdat
.Lfunc_end36:
	.size	_ZN4vllm3moe22topkGatingSoftplusSqrtILi8ELi512ELi4ELi16ELi64ELb1EifEEvPKT6_PKbPfiPT5_PiiiibdPKfPKS8_SE_, .Lfunc_end36-_ZN4vllm3moe22topkGatingSoftplusSqrtILi8ELi512ELi4ELi16ELi64ELb1EifEEvPKT6_PKbPfiPT5_PiiiibdPKfPKS8_SE_
                                        ; -- End function
	.section	.AMDGPU.csdata,"",@progbits
; Kernel info:
; codeLenInByte = 4684
; NumSgprs: 40
; NumVgprs: 30
; NumAgprs: 0
; TotalNumVgprs: 30
; ScratchSize: 48
; MemoryBound: 0
; FloatMode: 240
; IeeeMode: 1
; LDSByteSize: 0 bytes/workgroup (compile time only)
; SGPRBlocks: 4
; VGPRBlocks: 3
; NumSGPRsForWavesPerEU: 40
; NumVGPRsForWavesPerEU: 30
; AccumOffset: 32
; Occupancy: 8
; WaveLimiterHint : 1
; COMPUTE_PGM_RSRC2:SCRATCH_EN: 1
; COMPUTE_PGM_RSRC2:USER_SGPR: 2
; COMPUTE_PGM_RSRC2:TRAP_HANDLER: 0
; COMPUTE_PGM_RSRC2:TGID_X_EN: 1
; COMPUTE_PGM_RSRC2:TGID_Y_EN: 0
; COMPUTE_PGM_RSRC2:TGID_Z_EN: 0
; COMPUTE_PGM_RSRC2:TIDIG_COMP_CNT: 1
; COMPUTE_PGM_RSRC3_GFX90A:ACCUM_OFFSET: 7
; COMPUTE_PGM_RSRC3_GFX90A:TG_SPLIT: 0
	.section	.text._ZN4vllm3moe22topkGatingSoftplusSqrtILi8ELi512ELi4ELi16ELi64ELb0EifEEvPKT6_PKbPfiPT5_PiiiibdPKfPKS8_SE_,"axG",@progbits,_ZN4vllm3moe22topkGatingSoftplusSqrtILi8ELi512ELi4ELi16ELi64ELb0EifEEvPKT6_PKbPfiPT5_PiiiibdPKfPKS8_SE_,comdat
	.protected	_ZN4vllm3moe22topkGatingSoftplusSqrtILi8ELi512ELi4ELi16ELi64ELb0EifEEvPKT6_PKbPfiPT5_PiiiibdPKfPKS8_SE_ ; -- Begin function _ZN4vllm3moe22topkGatingSoftplusSqrtILi8ELi512ELi4ELi16ELi64ELb0EifEEvPKT6_PKbPfiPT5_PiiiibdPKfPKS8_SE_
	.globl	_ZN4vllm3moe22topkGatingSoftplusSqrtILi8ELi512ELi4ELi16ELi64ELb0EifEEvPKT6_PKbPfiPT5_PiiiibdPKfPKS8_SE_
	.p2align	8
	.type	_ZN4vllm3moe22topkGatingSoftplusSqrtILi8ELi512ELi4ELi16ELi64ELb0EifEEvPKT6_PKbPfiPT5_PiiiibdPKfPKS8_SE_,@function
_ZN4vllm3moe22topkGatingSoftplusSqrtILi8ELi512ELi4ELi16ELi64ELb0EifEEvPKT6_PKbPfiPT5_PiiiibdPKfPKS8_SE_: ; @_ZN4vllm3moe22topkGatingSoftplusSqrtILi8ELi512ELi4ELi16ELi64ELb0EifEEvPKT6_PKbPfiPT5_PiiiibdPKfPKS8_SE_
; %bb.0:
	s_load_dword s30, s[2:3], 0x18
	v_and_b32_e32 v1, 0x3ff, v0
	v_bfe_u32 v4, v0, 10, 10
	s_lshl_b32 s4, s4, 2
	v_lshrrev_b32_e32 v2, 6, v1
	v_add3_u32 v2, s4, v4, v2
	s_waitcnt lgkmcnt(0)
	v_cmp_gt_i32_e32 vcc, s30, v2
	s_and_saveexec_b64 s[4:5], vcc
	s_cbranch_execz .LBB37_67
; %bb.1:
	s_load_dwordx4 s[4:7], s[2:3], 0x0
	s_load_dwordx2 s[20:21], s[2:3], 0x10
	s_waitcnt lgkmcnt(0)
	s_cmp_eq_u64 s[6:7], 0
	s_cbranch_scc1 .LBB37_3
; %bb.2:
	v_ashrrev_i32_e32 v3, 31, v2
	v_lshl_add_u64 v[6:7], s[6:7], 0, v[2:3]
	global_load_ubyte v3, v[6:7], off
	s_waitcnt vmcnt(0)
	v_and_b32_e32 v3, 1, v3
	v_cmp_eq_u32_e32 vcc, 1, v3
	s_xor_b64 s[6:7], vcc, -1
	s_orn2_b64 s[22:23], s[6:7], exec
	s_branch .LBB37_4
.LBB37_3:
	s_mov_b64 s[22:23], -1
.LBB37_4:
	v_lshlrev_b32_e32 v8, 9, v2
	v_mov_b32_e32 v6, s4
	v_mov_b32_e32 v7, s5
	v_ashrrev_i32_e32 v9, 31, v8
	v_and_b32_e32 v3, 63, v1
	v_lshl_add_u64 v[6:7], v[8:9], 2, v[6:7]
	v_mov_b32_e32 v9, 0
	v_lshlrev_b32_e32 v8, 4, v3
	v_lshl_add_u64 v[14:15], v[6:7], 0, v[8:9]
	global_load_dwordx4 v[6:9], v[14:15], off
	global_load_dwordx4 v[10:13], v[14:15], off offset:1024
	s_load_dwordx2 s[4:5], s[0:1], 0x4
	s_load_dwordx4 s[8:11], s[2:3], 0x40
	v_bfe_u32 v0, v0, 20, 10
	s_mov_b32 s14, 0x800000
	s_mov_b32 s13, 0x3f317217
	s_waitcnt lgkmcnt(0)
	s_lshr_b32 s0, s4, 16
	s_mul_i32 s0, s0, s5
	v_mul_lo_u32 v1, s0, v1
	v_mad_u32_u24 v1, v4, s5, v1
	v_add_lshl_u32 v4, v1, v0, 5
	s_mov_b32 s15, 0x7f800000
	s_mov_b32 s12, 0x41a00000
	;; [unrolled: 1-line block ×3, first 2 shown]
	s_cmp_lg_u64 s[10:11], 0
	v_mov_b32_e32 v1, 0x260
	s_cselect_b64 s[6:7], -1, 0
	v_lshlrev_b32_e32 v5, 2, v3
	s_and_b64 s[0:1], exec, s[6:7]
	s_waitcnt vmcnt(1)
	ds_write_b128 v4, v[6:9]
	ds_read_b32 v8, v4
	v_mov_b32_e32 v6, 0x4f800000
	v_mov_b32_e32 v7, 0x41b17218
	s_waitcnt vmcnt(0)
	ds_write_b128 v4, v[10:13] offset:16
	s_waitcnt lgkmcnt(1)
	v_mul_f32_e32 v0, 0x3fb8aa3b, v8
	v_exp_f32_e32 v0, v0
	s_nop 0
	v_add_f32_e32 v0, 1.0, v0
	v_cmp_gt_f32_e32 vcc, s14, v0
	s_nop 1
	v_cndmask_b32_e32 v9, 1.0, v6, vcc
	v_mul_f32_e32 v0, v0, v9
	v_log_f32_e32 v9, v0
	v_cndmask_b32_e32 v14, 0, v7, vcc
	v_lshlrev_b32_e32 v0, 2, v5
	v_mul_f32_e32 v15, 0x3f317217, v9
	v_fma_f32 v15, v9, s13, -v15
	v_fmac_f32_e32 v15, 0x3377d1cf, v9
	v_fmac_f32_e32 v15, 0x3f317217, v9
	v_cmp_lt_f32_e64 vcc, |v9|, s15
	s_nop 1
	v_cndmask_b32_e32 v9, v9, v15, vcc
	v_sub_f32_e32 v9, v9, v14
	v_cmp_lt_f32_e32 vcc, s12, v8
	s_nop 1
	v_cndmask_b32_e32 v8, v9, v8, vcc
	v_mul_f32_e32 v9, 0x4f800000, v8
	v_cmp_gt_f32_e32 vcc, s16, v8
	s_nop 1
	v_cndmask_b32_e32 v8, v8, v9, vcc
	v_sqrt_f32_e32 v9, v8
	s_nop 0
	v_add_u32_e32 v10, -1, v9
	v_add_u32_e32 v11, 1, v9
	v_fma_f32 v12, -v10, v9, v8
	v_fma_f32 v13, -v11, v9, v8
	v_cmp_ge_f32_e64 s[4:5], 0, v12
	s_nop 1
	v_cndmask_b32_e64 v9, v9, v10, s[4:5]
	v_cmp_lt_f32_e64 s[4:5], 0, v13
	s_nop 1
	v_cndmask_b32_e64 v9, v9, v11, s[4:5]
	v_mul_f32_e32 v10, 0x37800000, v9
	v_cndmask_b32_e32 v9, v9, v10, vcc
	v_cmp_class_f32_e32 vcc, v8, v1
	s_nop 1
	v_cndmask_b32_e32 v8, v9, v8, vcc
	s_mov_b64 vcc, s[0:1]
	s_cbranch_vccz .LBB37_6
; %bb.5:
	global_load_dword v9, v0, s[10:11]
	s_waitcnt vmcnt(0)
	v_add_f32_e32 v8, v8, v9
.LBB37_6:
	ds_read_b32 v9, v4 offset:4
	ds_write_b32 v4, v8
	s_waitcnt lgkmcnt(1)
	v_mul_f32_e32 v10, 0x3fb8aa3b, v9
	v_exp_f32_e32 v10, v10
	s_nop 0
	v_add_f32_e32 v10, 1.0, v10
	v_cmp_gt_f32_e32 vcc, s14, v10
	s_nop 1
	v_cndmask_b32_e32 v6, 1.0, v6, vcc
	v_mul_f32_e32 v6, v10, v6
	v_log_f32_e32 v6, v6
	v_cndmask_b32_e32 v7, 0, v7, vcc
	v_mul_f32_e32 v8, 0x3f317217, v6
	v_fma_f32 v8, v6, s13, -v8
	v_fmac_f32_e32 v8, 0x3377d1cf, v6
	v_fmac_f32_e32 v8, 0x3f317217, v6
	v_cmp_lt_f32_e64 vcc, |v6|, s15
	s_nop 1
	v_cndmask_b32_e32 v6, v6, v8, vcc
	v_sub_f32_e32 v6, v6, v7
	v_cmp_lt_f32_e32 vcc, s12, v9
	v_cndmask_b32_e64 v8, 0, 1, s[6:7]
	v_cmp_ne_u32_e64 s[0:1], 1, v8
	v_cndmask_b32_e32 v6, v6, v9, vcc
	v_mul_f32_e32 v7, 0x4f800000, v6
	v_cmp_gt_f32_e64 s[4:5], s16, v6
	s_andn2_b64 vcc, exec, s[6:7]
	s_nop 0
	v_cndmask_b32_e64 v6, v6, v7, s[4:5]
	v_sqrt_f32_e32 v7, v6
	s_nop 0
	v_add_u32_e32 v8, -1, v7
	v_add_u32_e32 v9, 1, v7
	v_fma_f32 v10, -v8, v7, v6
	v_fma_f32 v11, -v9, v7, v6
	v_cmp_ge_f32_e64 s[6:7], 0, v10
	s_nop 1
	v_cndmask_b32_e64 v7, v7, v8, s[6:7]
	v_cmp_lt_f32_e64 s[6:7], 0, v11
	s_nop 1
	v_cndmask_b32_e64 v7, v7, v9, s[6:7]
	v_mul_f32_e32 v8, 0x37800000, v7
	v_cndmask_b32_e64 v7, v7, v8, s[4:5]
	v_cmp_class_f32_e64 s[4:5], v6, v1
	s_nop 1
	v_cndmask_b32_e64 v1, v7, v6, s[4:5]
	s_cbranch_vccnz .LBB37_8
; %bb.7:
	global_load_dword v6, v0, s[10:11] offset:4
	s_waitcnt vmcnt(0)
	v_add_f32_e32 v1, v1, v6
.LBB37_8:
	ds_read_b32 v8, v4 offset:8
	s_mov_b32 s12, 0x800000
	s_mov_b32 s7, 0x3f317217
	;; [unrolled: 1-line block ×4, first 2 shown]
	s_waitcnt lgkmcnt(0)
	v_mul_f32_e32 v6, 0x3fb8aa3b, v8
	v_exp_f32_e32 v7, v6
	v_mov_b32_e32 v6, 0x4f800000
	s_mov_b32 s14, 0xf800000
	ds_write_b32 v4, v1 offset:4
	v_add_f32_e32 v7, 1.0, v7
	v_cmp_gt_f32_e32 vcc, s12, v7
	s_nop 1
	v_cndmask_b32_e32 v9, 1.0, v6, vcc
	v_mul_f32_e32 v7, v7, v9
	v_log_f32_e32 v9, v7
	v_mov_b32_e32 v7, 0x41b17218
	v_cndmask_b32_e32 v10, 0, v7, vcc
	v_mul_f32_e32 v11, 0x3f317217, v9
	v_fma_f32 v11, v9, s7, -v11
	v_fmac_f32_e32 v11, 0x3377d1cf, v9
	v_fmac_f32_e32 v11, 0x3f317217, v9
	v_cmp_lt_f32_e64 vcc, |v9|, s13
	s_nop 1
	v_cndmask_b32_e32 v9, v9, v11, vcc
	v_sub_f32_e32 v9, v9, v10
	v_cmp_lt_f32_e32 vcc, s6, v8
	s_nop 1
	v_cndmask_b32_e32 v8, v9, v8, vcc
	v_mul_f32_e32 v9, 0x4f800000, v8
	v_cmp_gt_f32_e32 vcc, s14, v8
	s_nop 1
	v_cndmask_b32_e32 v8, v8, v9, vcc
	v_sqrt_f32_e32 v9, v8
	s_nop 0
	v_add_u32_e32 v1, -1, v9
	v_fma_f32 v10, -v1, v9, v8
	v_cmp_ge_f32_e64 s[4:5], 0, v10
	v_add_u32_e32 v10, 1, v9
	s_nop 0
	v_cndmask_b32_e64 v1, v9, v1, s[4:5]
	v_fma_f32 v9, -v10, v9, v8
	v_cmp_lt_f32_e64 s[4:5], 0, v9
	s_nop 1
	v_cndmask_b32_e64 v1, v1, v10, s[4:5]
	v_mul_f32_e32 v9, 0x37800000, v1
	v_cndmask_b32_e32 v9, v1, v9, vcc
	v_mov_b32_e32 v1, 0x260
	v_cmp_class_f32_e64 s[4:5], v8, v1
	s_and_b64 vcc, exec, s[0:1]
	s_nop 0
	v_cndmask_b32_e64 v8, v9, v8, s[4:5]
	s_cbranch_vccnz .LBB37_10
; %bb.9:
	global_load_dword v9, v0, s[10:11] offset:8
	s_waitcnt vmcnt(0)
	v_add_f32_e32 v8, v8, v9
.LBB37_10:
	ds_read_b32 v9, v4 offset:12
	ds_write_b32 v4, v8 offset:8
	s_waitcnt lgkmcnt(1)
	v_mul_f32_e32 v10, 0x3fb8aa3b, v9
	v_exp_f32_e32 v10, v10
	s_nop 0
	v_add_f32_e32 v10, 1.0, v10
	v_cmp_gt_f32_e32 vcc, s12, v10
	s_nop 1
	v_cndmask_b32_e32 v6, 1.0, v6, vcc
	v_mul_f32_e32 v6, v10, v6
	v_log_f32_e32 v6, v6
	v_cndmask_b32_e32 v7, 0, v7, vcc
	v_mul_f32_e32 v10, 0x3f317217, v6
	v_fma_f32 v10, v6, s7, -v10
	v_fmac_f32_e32 v10, 0x3377d1cf, v6
	v_fmac_f32_e32 v10, 0x3f317217, v6
	v_cmp_lt_f32_e64 vcc, |v6|, s13
	s_nop 1
	v_cndmask_b32_e32 v6, v6, v10, vcc
	v_sub_f32_e32 v6, v6, v7
	v_cmp_lt_f32_e32 vcc, s6, v9
	s_nop 1
	v_cndmask_b32_e32 v6, v6, v9, vcc
	v_mul_f32_e32 v7, 0x4f800000, v6
	v_cmp_gt_f32_e64 s[4:5], s14, v6
	s_and_b64 vcc, exec, s[0:1]
	s_nop 0
	v_cndmask_b32_e64 v6, v6, v7, s[4:5]
	v_sqrt_f32_e32 v7, v6
	s_nop 0
	v_add_u32_e32 v8, -1, v7
	v_add_u32_e32 v9, 1, v7
	v_fma_f32 v10, -v8, v7, v6
	v_fma_f32 v11, -v9, v7, v6
	v_cmp_ge_f32_e64 s[6:7], 0, v10
	s_nop 1
	v_cndmask_b32_e64 v7, v7, v8, s[6:7]
	v_cmp_lt_f32_e64 s[6:7], 0, v11
	s_nop 1
	v_cndmask_b32_e64 v7, v7, v9, s[6:7]
	v_mul_f32_e32 v8, 0x37800000, v7
	v_cndmask_b32_e64 v7, v7, v8, s[4:5]
	v_cmp_class_f32_e64 s[4:5], v6, v1
	s_nop 1
	v_cndmask_b32_e64 v1, v7, v6, s[4:5]
	s_cbranch_vccnz .LBB37_12
; %bb.11:
	global_load_dword v6, v0, s[10:11] offset:12
	s_waitcnt vmcnt(0)
	v_add_f32_e32 v1, v1, v6
.LBB37_12:
	ds_read_b32 v8, v4 offset:16
	s_mov_b32 s7, 0x3f317217
	s_mov_b32 s6, 0x41a00000
	ds_write_b32 v4, v1 offset:12
	s_waitcnt lgkmcnt(1)
	v_mul_f32_e32 v6, 0x3fb8aa3b, v8
	v_exp_f32_e32 v7, v6
	v_mov_b32_e32 v6, 0x4f800000
	v_add_f32_e32 v7, 1.0, v7
	v_cmp_gt_f32_e32 vcc, s12, v7
	s_nop 1
	v_cndmask_b32_e32 v9, 1.0, v6, vcc
	v_mul_f32_e32 v7, v7, v9
	v_log_f32_e32 v9, v7
	v_mov_b32_e32 v7, 0x41b17218
	v_cndmask_b32_e32 v10, 0, v7, vcc
	v_mul_f32_e32 v11, 0x3f317217, v9
	v_fma_f32 v11, v9, s7, -v11
	v_fmac_f32_e32 v11, 0x3377d1cf, v9
	v_fmac_f32_e32 v11, 0x3f317217, v9
	v_cmp_lt_f32_e64 vcc, |v9|, s13
	s_nop 1
	v_cndmask_b32_e32 v9, v9, v11, vcc
	v_sub_f32_e32 v9, v9, v10
	v_cmp_lt_f32_e32 vcc, s6, v8
	s_nop 1
	v_cndmask_b32_e32 v8, v9, v8, vcc
	v_mul_f32_e32 v9, 0x4f800000, v8
	v_cmp_gt_f32_e32 vcc, s14, v8
	s_nop 1
	v_cndmask_b32_e32 v8, v8, v9, vcc
	v_sqrt_f32_e32 v9, v8
	s_nop 0
	v_add_u32_e32 v1, -1, v9
	v_fma_f32 v10, -v1, v9, v8
	v_cmp_ge_f32_e64 s[4:5], 0, v10
	v_add_u32_e32 v10, 1, v9
	s_nop 0
	v_cndmask_b32_e64 v1, v9, v1, s[4:5]
	v_fma_f32 v9, -v10, v9, v8
	v_cmp_lt_f32_e64 s[4:5], 0, v9
	s_nop 1
	v_cndmask_b32_e64 v1, v1, v10, s[4:5]
	v_mul_f32_e32 v9, 0x37800000, v1
	v_cndmask_b32_e32 v9, v1, v9, vcc
	v_mov_b32_e32 v1, 0x260
	v_cmp_class_f32_e64 s[4:5], v8, v1
	s_and_b64 vcc, exec, s[0:1]
	s_nop 0
	v_cndmask_b32_e64 v8, v9, v8, s[4:5]
	s_cbranch_vccnz .LBB37_14
; %bb.13:
	global_load_dword v9, v0, s[10:11] offset:1024
	s_waitcnt vmcnt(0)
	v_add_f32_e32 v8, v8, v9
.LBB37_14:
	ds_read_b32 v9, v4 offset:20
	ds_write_b32 v4, v8 offset:16
	s_waitcnt lgkmcnt(1)
	v_mul_f32_e32 v10, 0x3fb8aa3b, v9
	v_exp_f32_e32 v10, v10
	s_nop 0
	v_add_f32_e32 v10, 1.0, v10
	v_cmp_gt_f32_e32 vcc, s12, v10
	s_nop 1
	v_cndmask_b32_e32 v6, 1.0, v6, vcc
	v_mul_f32_e32 v6, v10, v6
	v_log_f32_e32 v6, v6
	v_cndmask_b32_e32 v7, 0, v7, vcc
	v_mul_f32_e32 v10, 0x3f317217, v6
	v_fma_f32 v10, v6, s7, -v10
	v_fmac_f32_e32 v10, 0x3377d1cf, v6
	v_fmac_f32_e32 v10, 0x3f317217, v6
	v_cmp_lt_f32_e64 vcc, |v6|, s13
	s_nop 1
	v_cndmask_b32_e32 v6, v6, v10, vcc
	v_sub_f32_e32 v6, v6, v7
	v_cmp_lt_f32_e32 vcc, s6, v9
	s_nop 1
	v_cndmask_b32_e32 v6, v6, v9, vcc
	v_mul_f32_e32 v7, 0x4f800000, v6
	v_cmp_gt_f32_e64 s[4:5], s14, v6
	s_and_b64 vcc, exec, s[0:1]
	s_nop 0
	v_cndmask_b32_e64 v6, v6, v7, s[4:5]
	v_sqrt_f32_e32 v7, v6
	s_nop 0
	v_add_u32_e32 v8, -1, v7
	v_add_u32_e32 v9, 1, v7
	v_fma_f32 v10, -v8, v7, v6
	v_fma_f32 v11, -v9, v7, v6
	v_cmp_ge_f32_e64 s[6:7], 0, v10
	s_nop 1
	v_cndmask_b32_e64 v7, v7, v8, s[6:7]
	v_cmp_lt_f32_e64 s[6:7], 0, v11
	s_nop 1
	v_cndmask_b32_e64 v7, v7, v9, s[6:7]
	v_mul_f32_e32 v8, 0x37800000, v7
	v_cndmask_b32_e64 v7, v7, v8, s[4:5]
	v_cmp_class_f32_e64 s[4:5], v6, v1
	s_nop 1
	v_cndmask_b32_e64 v1, v7, v6, s[4:5]
	s_cbranch_vccnz .LBB37_16
; %bb.15:
	global_load_dword v6, v0, s[10:11] offset:1028
	s_waitcnt vmcnt(0)
	v_add_f32_e32 v1, v1, v6
.LBB37_16:
	ds_read_b32 v8, v4 offset:24
	s_mov_b32 s7, 0x3f317217
	s_mov_b32 s6, 0x41a00000
	ds_write_b32 v4, v1 offset:20
	s_waitcnt lgkmcnt(1)
	v_mul_f32_e32 v6, 0x3fb8aa3b, v8
	v_exp_f32_e32 v7, v6
	v_mov_b32_e32 v6, 0x4f800000
	v_add_f32_e32 v7, 1.0, v7
	v_cmp_gt_f32_e32 vcc, s12, v7
	s_nop 1
	v_cndmask_b32_e32 v9, 1.0, v6, vcc
	v_mul_f32_e32 v7, v7, v9
	v_log_f32_e32 v9, v7
	v_mov_b32_e32 v7, 0x41b17218
	v_cndmask_b32_e32 v10, 0, v7, vcc
	v_mul_f32_e32 v11, 0x3f317217, v9
	v_fma_f32 v11, v9, s7, -v11
	v_fmac_f32_e32 v11, 0x3377d1cf, v9
	v_fmac_f32_e32 v11, 0x3f317217, v9
	v_cmp_lt_f32_e64 vcc, |v9|, s13
	s_nop 1
	v_cndmask_b32_e32 v9, v9, v11, vcc
	v_sub_f32_e32 v9, v9, v10
	v_cmp_lt_f32_e32 vcc, s6, v8
	s_nop 1
	v_cndmask_b32_e32 v8, v9, v8, vcc
	v_mul_f32_e32 v9, 0x4f800000, v8
	v_cmp_gt_f32_e32 vcc, s14, v8
	s_nop 1
	v_cndmask_b32_e32 v8, v8, v9, vcc
	v_sqrt_f32_e32 v9, v8
	s_nop 0
	v_add_u32_e32 v1, -1, v9
	v_fma_f32 v10, -v1, v9, v8
	v_cmp_ge_f32_e64 s[4:5], 0, v10
	v_add_u32_e32 v10, 1, v9
	s_nop 0
	v_cndmask_b32_e64 v1, v9, v1, s[4:5]
	v_fma_f32 v9, -v10, v9, v8
	v_cmp_lt_f32_e64 s[4:5], 0, v9
	s_nop 1
	v_cndmask_b32_e64 v1, v1, v10, s[4:5]
	v_mul_f32_e32 v9, 0x37800000, v1
	v_cndmask_b32_e32 v9, v1, v9, vcc
	v_mov_b32_e32 v1, 0x260
	v_cmp_class_f32_e64 s[4:5], v8, v1
	s_and_b64 vcc, exec, s[0:1]
	s_nop 0
	v_cndmask_b32_e64 v8, v9, v8, s[4:5]
	s_cbranch_vccnz .LBB37_18
; %bb.17:
	global_load_dword v9, v0, s[10:11] offset:1032
	s_waitcnt vmcnt(0)
	v_add_f32_e32 v8, v8, v9
.LBB37_18:
	ds_read_b32 v9, v4 offset:28
	ds_write_b32 v4, v8 offset:24
	s_waitcnt lgkmcnt(1)
	v_mul_f32_e32 v10, 0x3fb8aa3b, v9
	v_exp_f32_e32 v10, v10
	s_nop 0
	v_add_f32_e32 v10, 1.0, v10
	v_cmp_gt_f32_e32 vcc, s12, v10
	s_nop 1
	v_cndmask_b32_e32 v6, 1.0, v6, vcc
	v_mul_f32_e32 v6, v10, v6
	v_log_f32_e32 v6, v6
	v_cndmask_b32_e32 v7, 0, v7, vcc
	v_mul_f32_e32 v10, 0x3f317217, v6
	v_fma_f32 v10, v6, s7, -v10
	v_fmac_f32_e32 v10, 0x3377d1cf, v6
	v_fmac_f32_e32 v10, 0x3f317217, v6
	v_cmp_lt_f32_e64 vcc, |v6|, s13
	s_nop 1
	v_cndmask_b32_e32 v6, v6, v10, vcc
	v_sub_f32_e32 v6, v6, v7
	v_cmp_lt_f32_e32 vcc, s6, v9
	s_nop 1
	v_cndmask_b32_e32 v6, v6, v9, vcc
	v_mul_f32_e32 v7, 0x4f800000, v6
	v_cmp_gt_f32_e64 s[4:5], s14, v6
	s_and_b64 vcc, exec, s[0:1]
	s_nop 0
	v_cndmask_b32_e64 v6, v6, v7, s[4:5]
	v_sqrt_f32_e32 v7, v6
	s_nop 0
	v_add_u32_e32 v8, -1, v7
	v_add_u32_e32 v9, 1, v7
	v_fma_f32 v10, -v8, v7, v6
	v_fma_f32 v11, -v9, v7, v6
	v_cmp_ge_f32_e64 s[6:7], 0, v10
	s_nop 1
	v_cndmask_b32_e64 v7, v7, v8, s[6:7]
	v_cmp_lt_f32_e64 s[6:7], 0, v11
	s_nop 1
	v_cndmask_b32_e64 v7, v7, v9, s[6:7]
	v_mul_f32_e32 v8, 0x37800000, v7
	v_cndmask_b32_e64 v7, v7, v8, s[4:5]
	v_cmp_class_f32_e64 s[4:5], v6, v1
	s_nop 1
	v_cndmask_b32_e64 v1, v7, v6, s[4:5]
	s_cbranch_vccnz .LBB37_20
; %bb.19:
	global_load_dword v0, v0, s[10:11] offset:1036
	s_waitcnt vmcnt(0)
	v_add_f32_e32 v1, v1, v0
.LBB37_20:
	s_load_dwordx4 s[12:15], s[2:3], 0x30
	s_mov_b32 s31, 0
	v_cmp_eq_u32_e64 s[6:7], 0, v3
	ds_write_b32 v4, v1 offset:28
	s_waitcnt lgkmcnt(0)
	s_bitcmp1_b32 s15, 0
	s_cselect_b64 s[4:5], -1, 0
	s_cmp_gt_i32 s12, 0
	s_cselect_b64 s[24:25], -1, 0
	s_and_b64 vcc, exec, s[24:25]
	s_cbranch_vccz .LBB37_53
; %bb.21:
	v_mbcnt_lo_u32_b32 v0, -1, 0
	v_mbcnt_hi_u32_b32 v0, -1, v0
	v_and_b32_e32 v1, 64, v0
	v_add_u32_e32 v1, 64, v1
	v_xor_b32_e32 v6, 32, v0
	v_cmp_lt_i32_e32 vcc, v6, v1
	s_load_dwordx4 s[16:19], s[2:3], 0x20
	v_mul_lo_u32 v7, v2, s12
	v_cndmask_b32_e32 v6, v0, v6, vcc
	v_lshlrev_b32_e32 v8, 2, v6
	v_xor_b32_e32 v6, 16, v0
	v_cmp_lt_i32_e32 vcc, v6, v1
	v_mov_b32_e32 v14, 0x100
	v_mov_b32_e32 v15, 0x101
	v_cndmask_b32_e32 v6, v0, v6, vcc
	v_lshlrev_b32_e32 v9, 2, v6
	v_xor_b32_e32 v6, 8, v0
	v_cmp_lt_i32_e32 vcc, v6, v1
	v_bfrev_b32_e32 v16, 4.0
	v_bfrev_b32_e32 v17, -4.0
	v_cndmask_b32_e32 v6, v0, v6, vcc
	v_lshlrev_b32_e32 v10, 2, v6
	v_xor_b32_e32 v6, 4, v0
	v_cmp_lt_i32_e32 vcc, v6, v1
	v_mov_b32_e32 v18, 0xc61c4000
	v_mov_b32_e32 v19, 0x200
	v_cndmask_b32_e32 v6, v0, v6, vcc
	v_lshlrev_b32_e32 v11, 2, v6
	v_xor_b32_e32 v6, 2, v0
	v_cmp_lt_i32_e32 vcc, v6, v1
	v_mov_b32_e32 v20, v2
	s_nop 0
	v_cndmask_b32_e32 v6, v0, v6, vcc
	v_lshlrev_b32_e32 v12, 2, v6
	v_xor_b32_e32 v6, 1, v0
	v_cmp_lt_i32_e32 vcc, v6, v1
	s_nop 1
	v_cndmask_b32_e32 v0, v0, v6, vcc
	v_lshlrev_b32_e32 v13, 2, v0
	v_mov_b32_e32 v6, 0
	s_branch .LBB37_23
.LBB37_22:                              ;   in Loop: Header=BB37_23 Depth=1
	s_or_b64 exec, exec, s[2:3]
	s_cmp_eq_u32 s12, s31
	v_add_u32_e32 v20, s30, v20
	s_cbranch_scc1 .LBB37_54
.LBB37_23:                              ; =>This Inner Loop Header: Depth=1
	ds_read_b128 v[22:25], v4
	ds_read_b128 v[26:29], v4 offset:16
	s_waitcnt lgkmcnt(0)
	v_cmp_gt_f32_e32 vcc, v23, v22
	s_nop 1
	v_cndmask_b32_e32 v1, v22, v23, vcc
	v_cndmask_b32_e64 v0, 0, 1, vcc
	v_cmp_gt_f32_e32 vcc, v24, v1
	s_nop 1
	v_cndmask_b32_e32 v1, v1, v24, vcc
	v_cndmask_b32_e64 v0, v0, 2, vcc
	;; [unrolled: 4-line block ×3, first 2 shown]
	v_cmp_gt_f32_e32 vcc, v26, v1
	s_nop 1
	v_cndmask_b32_e32 v1, v1, v26, vcc
	v_cndmask_b32_e32 v0, v0, v14, vcc
	v_cmp_gt_f32_e32 vcc, v27, v1
	s_nop 1
	v_cndmask_b32_e32 v1, v1, v27, vcc
	v_cndmask_b32_e32 v0, v0, v15, vcc
	;; [unrolled: 4-line block ×4, first 2 shown]
	ds_bpermute_b32 v1, v8, v21
	v_or_b32_e32 v0, v5, v0
	ds_bpermute_b32 v22, v8, v0
	s_waitcnt lgkmcnt(1)
	v_cmp_lt_f32_e64 s[26:27], v21, v1
	v_cmp_nlt_f32_e32 vcc, v21, v1
	s_and_saveexec_b64 s[28:29], vcc
	s_cbranch_execz .LBB37_25
; %bb.24:                               ;   in Loop: Header=BB37_23 Depth=1
	v_cmp_eq_f32_e32 vcc, v21, v1
	s_waitcnt lgkmcnt(0)
	v_cmp_lt_i32_e64 s[2:3], v22, v0
	s_and_b64 s[2:3], vcc, s[2:3]
	s_andn2_b64 s[26:27], s[26:27], exec
	s_and_b64 s[2:3], s[2:3], exec
	s_or_b64 s[26:27], s[26:27], s[2:3]
.LBB37_25:                              ;   in Loop: Header=BB37_23 Depth=1
	s_or_b64 exec, exec, s[28:29]
	s_and_saveexec_b64 s[2:3], s[26:27]
	s_cbranch_execz .LBB37_27
; %bb.26:                               ;   in Loop: Header=BB37_23 Depth=1
	v_mov_b32_e32 v21, v1
	s_waitcnt lgkmcnt(0)
	v_mov_b32_e32 v0, v22
.LBB37_27:                              ;   in Loop: Header=BB37_23 Depth=1
	s_or_b64 exec, exec, s[2:3]
	ds_bpermute_b32 v1, v9, v21
	s_waitcnt lgkmcnt(1)
	ds_bpermute_b32 v22, v9, v0
	s_waitcnt lgkmcnt(1)
	v_cmp_lt_f32_e64 s[26:27], v21, v1
	v_cmp_nlt_f32_e32 vcc, v21, v1
	s_and_saveexec_b64 s[28:29], vcc
	s_cbranch_execz .LBB37_29
; %bb.28:                               ;   in Loop: Header=BB37_23 Depth=1
	v_cmp_eq_f32_e32 vcc, v21, v1
	s_waitcnt lgkmcnt(0)
	v_cmp_lt_i32_e64 s[2:3], v22, v0
	s_and_b64 s[2:3], vcc, s[2:3]
	s_andn2_b64 s[26:27], s[26:27], exec
	s_and_b64 s[2:3], s[2:3], exec
	s_or_b64 s[26:27], s[26:27], s[2:3]
.LBB37_29:                              ;   in Loop: Header=BB37_23 Depth=1
	s_or_b64 exec, exec, s[28:29]
	s_and_saveexec_b64 s[2:3], s[26:27]
	s_cbranch_execz .LBB37_31
; %bb.30:                               ;   in Loop: Header=BB37_23 Depth=1
	v_mov_b32_e32 v21, v1
	s_waitcnt lgkmcnt(0)
	v_mov_b32_e32 v0, v22
.LBB37_31:                              ;   in Loop: Header=BB37_23 Depth=1
	s_or_b64 exec, exec, s[2:3]
	ds_bpermute_b32 v1, v10, v21
	s_waitcnt lgkmcnt(1)
	;; [unrolled: 26-line block ×5, first 2 shown]
	ds_bpermute_b32 v22, v13, v0
	s_waitcnt lgkmcnt(1)
	v_cmp_lt_f32_e64 s[26:27], v21, v1
	v_cmp_nlt_f32_e32 vcc, v21, v1
	s_and_saveexec_b64 s[28:29], vcc
	s_cbranch_execnz .LBB37_46
; %bb.44:                               ;   in Loop: Header=BB37_23 Depth=1
	s_or_b64 exec, exec, s[28:29]
	s_and_saveexec_b64 s[2:3], s[26:27]
	s_cbranch_execnz .LBB37_47
.LBB37_45:                              ;   in Loop: Header=BB37_23 Depth=1
	s_or_b64 exec, exec, s[2:3]
	s_and_saveexec_b64 s[26:27], s[6:7]
	s_cbranch_execnz .LBB37_48
	s_branch .LBB37_51
.LBB37_46:                              ;   in Loop: Header=BB37_23 Depth=1
	v_cmp_eq_f32_e32 vcc, v21, v1
	s_waitcnt lgkmcnt(0)
	v_cmp_lt_i32_e64 s[2:3], v22, v0
	s_and_b64 s[2:3], vcc, s[2:3]
	s_andn2_b64 s[26:27], s[26:27], exec
	s_and_b64 s[2:3], s[2:3], exec
	s_or_b64 s[26:27], s[26:27], s[2:3]
	s_or_b64 exec, exec, s[28:29]
	s_and_saveexec_b64 s[2:3], s[26:27]
	s_cbranch_execz .LBB37_45
.LBB37_47:                              ;   in Loop: Header=BB37_23 Depth=1
	s_waitcnt lgkmcnt(0)
	v_mov_b32_e32 v0, v22
	v_mov_b32_e32 v21, v1
	s_or_b64 exec, exec, s[2:3]
	s_and_saveexec_b64 s[26:27], s[6:7]
	s_cbranch_execz .LBB37_51
.LBB37_48:                              ;   in Loop: Header=BB37_23 Depth=1
	s_and_b64 vcc, exec, s[0:1]
	s_cbranch_vccnz .LBB37_50
; %bb.49:                               ;   in Loop: Header=BB37_23 Depth=1
	v_ashrrev_i32_e32 v1, 31, v0
	s_waitcnt lgkmcnt(0)
	v_lshl_add_u64 v[22:23], v[0:1], 2, s[10:11]
	global_load_dword v1, v[22:23], off
	s_waitcnt vmcnt(0)
	v_sub_f32_e32 v21, v21, v1
.LBB37_50:                              ;   in Loop: Header=BB37_23 Depth=1
	s_waitcnt lgkmcnt(0)
	v_add_u32_e32 v22, s31, v7
	v_cmp_le_i32_e32 vcc, s13, v0
	v_cmp_gt_i32_e64 s[2:3], s14, v0
	v_ashrrev_i32_e32 v23, 31, v22
	s_and_b64 s[2:3], vcc, s[2:3]
	v_lshlrev_b64 v[22:23], 2, v[22:23]
	v_lshl_add_u64 v[24:25], s[20:21], 0, v[22:23]
	v_subrev_u32_e32 v1, s13, v0
	s_and_b64 vcc, s[22:23], s[2:3]
	global_store_dword v[24:25], v21, off
	v_cndmask_b32_e32 v1, v19, v1, vcc
	v_lshl_add_u64 v[24:25], s[16:17], 0, v[22:23]
	global_store_dword v[24:25], v1, off
	v_add_f32_e32 v1, v6, v21
	v_lshl_add_u64 v[22:23], s[18:19], 0, v[22:23]
	v_cndmask_b32_e64 v6, v6, v1, s[4:5]
	global_store_dword v[22:23], v20, off
.LBB37_51:                              ;   in Loop: Header=BB37_23 Depth=1
	s_or_b64 exec, exec, s[26:27]
	v_ashrrev_i32_e32 v1, 31, v0
	v_lshrrev_b32_e32 v21, 30, v1
	s_waitcnt lgkmcnt(0)
	v_add_u32_e32 v22, v0, v21
	v_ashrrev_i32_e32 v21, 2, v22
	v_ashrrev_i32_e32 v22, 31, v22
	v_lshrrev_b32_e32 v22, 26, v22
	v_add_u32_e32 v22, v21, v22
	s_add_i32 s31, s31, 1
	v_and_b32_e32 v22, 0xffffffc0, v22
	s_cmp_lt_i32 s31, s12
	v_sub_u32_e32 v22, v21, v22
	s_cselect_b64 s[2:3], -1, 0
	v_cmp_eq_u32_e32 vcc, v3, v22
	s_and_b64 s[26:27], s[2:3], vcc
	s_and_saveexec_b64 s[2:3], s[26:27]
	s_cbranch_execz .LBB37_22
; %bb.52:                               ;   in Loop: Header=BB37_23 Depth=1
	v_add_u32_sdwa v1, v0, v1 dst_sel:DWORD dst_unused:UNUSED_PAD src0_sel:DWORD src1_sel:BYTE_3
	v_lshlrev_b32_e32 v21, 2, v21
	v_ashrrev_i32_e32 v1, 8, v1
	v_sub_u32_e32 v0, v0, v21
	v_lshl_add_u32 v0, v1, 2, v0
	v_lshl_add_u32 v0, v0, 2, v4
	ds_write_b32 v0, v18
	s_branch .LBB37_22
.LBB37_53:
	v_mov_b32_e32 v6, 0
.LBB37_54:
	v_cmp_eq_u32_e32 vcc, 0, v3
	s_and_b64 exec, exec, vcc
	s_cbranch_execz .LBB37_67
; %bb.55:
	s_andn2_b64 vcc, exec, s[4:5]
	v_cvt_f32_f64_e32 v0, s[8:9]
	s_cbranch_vccnz .LBB37_57
; %bb.56:
	v_cmp_lt_f32_e32 vcc, 0, v6
	s_nop 1
	v_cndmask_b32_e32 v1, 1.0, v6, vcc
	v_div_scale_f32 v3, s[0:1], v1, v1, v0
	v_rcp_f32_e32 v4, v3
	s_nop 0
	v_fma_f32 v5, -v3, v4, 1.0
	v_fmac_f32_e32 v4, v5, v4
	v_div_scale_f32 v5, vcc, v0, v1, v0
	v_mul_f32_e32 v6, v5, v4
	v_fma_f32 v7, -v3, v6, v5
	v_fmac_f32_e32 v6, v7, v4
	v_fma_f32 v3, -v3, v6, v5
	v_div_fmas_f32 v3, v3, v4, v6
	v_div_fixup_f32 v0, v3, v1, v0
.LBB37_57:
	s_andn2_b64 vcc, exec, s[24:25]
	s_cbranch_vccnz .LBB37_67
; %bb.58:
	v_mul_lo_u32 v2, v2, s12
	s_cmp_gt_u32 s12, 3
	v_ashrrev_i32_e32 v3, 31, v2
	s_cbranch_scc0 .LBB37_62
; %bb.59:
	s_and_b32 s0, s12, 0x7ffffffc
	v_lshl_add_u64 v[4:5], v[2:3], 2, s[20:21]
	v_mov_b32_e32 v1, v0
	v_lshl_add_u64 v[4:5], v[4:5], 0, 8
	s_mov_b32 s1, s0
.LBB37_60:                              ; =>This Inner Loop Header: Depth=1
	global_load_dwordx4 v[6:9], v[4:5], off offset:-8
	s_add_i32 s1, s1, -4
	s_cmp_lg_u32 s1, 0
	s_waitcnt vmcnt(0)
	v_pk_mul_f32 v[6:7], v[0:1], v[6:7]
	v_pk_mul_f32 v[8:9], v[0:1], v[8:9]
	global_store_dwordx4 v[4:5], v[6:9], off offset:-8
	v_lshl_add_u64 v[4:5], v[4:5], 0, 16
	s_cbranch_scc1 .LBB37_60
; %bb.61:
	s_cmp_lg_u32 s0, s12
	s_cselect_b64 s[2:3], -1, 0
	s_branch .LBB37_64
.LBB37_62:
	s_mov_b64 s[2:3], 0
                                        ; implicit-def: $sgpr0
	s_cbranch_execz .LBB37_64
; %bb.63:
	s_mov_b64 s[2:3], -1
	s_mov_b32 s0, 0
.LBB37_64:
	s_andn2_b64 vcc, exec, s[2:3]
	s_cbranch_vccnz .LBB37_67
; %bb.65:
	s_mov_b32 s1, 0
	v_lshl_add_u64 v[2:3], v[2:3], 0, s[0:1]
	s_sub_i32 s2, s12, s0
	v_lshl_add_u64 v[2:3], v[2:3], 2, s[20:21]
.LBB37_66:                              ; =>This Inner Loop Header: Depth=1
	global_load_dword v1, v[2:3], off
	s_add_i32 s2, s2, -1
	s_cmp_lg_u32 s2, 0
	s_waitcnt vmcnt(0)
	v_mul_f32_e32 v1, v0, v1
	global_store_dword v[2:3], v1, off
	v_lshl_add_u64 v[2:3], v[2:3], 0, 4
	s_cbranch_scc1 .LBB37_66
.LBB37_67:
	s_endpgm
	.section	.rodata,"a",@progbits
	.p2align	6, 0x0
	.amdhsa_kernel _ZN4vllm3moe22topkGatingSoftplusSqrtILi8ELi512ELi4ELi16ELi64ELb0EifEEvPKT6_PKbPfiPT5_PiiiibdPKfPKS8_SE_
		.amdhsa_group_segment_fixed_size 8192
		.amdhsa_private_segment_fixed_size 0
		.amdhsa_kernarg_size 96
		.amdhsa_user_sgpr_count 4
		.amdhsa_user_sgpr_dispatch_ptr 1
		.amdhsa_user_sgpr_queue_ptr 0
		.amdhsa_user_sgpr_kernarg_segment_ptr 1
		.amdhsa_user_sgpr_dispatch_id 0
		.amdhsa_user_sgpr_kernarg_preload_length 0
		.amdhsa_user_sgpr_kernarg_preload_offset 0
		.amdhsa_user_sgpr_private_segment_size 0
		.amdhsa_uses_dynamic_stack 0
		.amdhsa_enable_private_segment 0
		.amdhsa_system_sgpr_workgroup_id_x 1
		.amdhsa_system_sgpr_workgroup_id_y 0
		.amdhsa_system_sgpr_workgroup_id_z 0
		.amdhsa_system_sgpr_workgroup_info 0
		.amdhsa_system_vgpr_workitem_id 2
		.amdhsa_next_free_vgpr 30
		.amdhsa_next_free_sgpr 32
		.amdhsa_accum_offset 32
		.amdhsa_reserve_vcc 1
		.amdhsa_float_round_mode_32 0
		.amdhsa_float_round_mode_16_64 0
		.amdhsa_float_denorm_mode_32 3
		.amdhsa_float_denorm_mode_16_64 3
		.amdhsa_dx10_clamp 1
		.amdhsa_ieee_mode 1
		.amdhsa_fp16_overflow 0
		.amdhsa_tg_split 0
		.amdhsa_exception_fp_ieee_invalid_op 0
		.amdhsa_exception_fp_denorm_src 0
		.amdhsa_exception_fp_ieee_div_zero 0
		.amdhsa_exception_fp_ieee_overflow 0
		.amdhsa_exception_fp_ieee_underflow 0
		.amdhsa_exception_fp_ieee_inexact 0
		.amdhsa_exception_int_div_zero 0
	.end_amdhsa_kernel
	.section	.text._ZN4vllm3moe22topkGatingSoftplusSqrtILi8ELi512ELi4ELi16ELi64ELb0EifEEvPKT6_PKbPfiPT5_PiiiibdPKfPKS8_SE_,"axG",@progbits,_ZN4vllm3moe22topkGatingSoftplusSqrtILi8ELi512ELi4ELi16ELi64ELb0EifEEvPKT6_PKbPfiPT5_PiiiibdPKfPKS8_SE_,comdat
.Lfunc_end37:
	.size	_ZN4vllm3moe22topkGatingSoftplusSqrtILi8ELi512ELi4ELi16ELi64ELb0EifEEvPKT6_PKbPfiPT5_PiiiibdPKfPKS8_SE_, .Lfunc_end37-_ZN4vllm3moe22topkGatingSoftplusSqrtILi8ELi512ELi4ELi16ELi64ELb0EifEEvPKT6_PKbPfiPT5_PiiiibdPKfPKS8_SE_
                                        ; -- End function
	.section	.AMDGPU.csdata,"",@progbits
; Kernel info:
; codeLenInByte = 4428
; NumSgprs: 38
; NumVgprs: 30
; NumAgprs: 0
; TotalNumVgprs: 30
; ScratchSize: 0
; MemoryBound: 0
; FloatMode: 240
; IeeeMode: 1
; LDSByteSize: 8192 bytes/workgroup (compile time only)
; SGPRBlocks: 4
; VGPRBlocks: 3
; NumSGPRsForWavesPerEU: 38
; NumVGPRsForWavesPerEU: 30
; AccumOffset: 32
; Occupancy: 8
; WaveLimiterHint : 0
; COMPUTE_PGM_RSRC2:SCRATCH_EN: 0
; COMPUTE_PGM_RSRC2:USER_SGPR: 4
; COMPUTE_PGM_RSRC2:TRAP_HANDLER: 0
; COMPUTE_PGM_RSRC2:TGID_X_EN: 1
; COMPUTE_PGM_RSRC2:TGID_Y_EN: 0
; COMPUTE_PGM_RSRC2:TGID_Z_EN: 0
; COMPUTE_PGM_RSRC2:TIDIG_COMP_CNT: 2
; COMPUTE_PGM_RSRC3_GFX90A:ACCUM_OFFSET: 7
; COMPUTE_PGM_RSRC3_GFX90A:TG_SPLIT: 0
	.section	.text._ZN4vllm3moe22topkGatingSoftplusSqrtILi16ELi512ELi4ELi16ELi32ELb1EifEEvPKT6_PKbPfiPT5_PiiiibdPKfPKS8_SE_,"axG",@progbits,_ZN4vllm3moe22topkGatingSoftplusSqrtILi16ELi512ELi4ELi16ELi32ELb1EifEEvPKT6_PKbPfiPT5_PiiiibdPKfPKS8_SE_,comdat
	.protected	_ZN4vllm3moe22topkGatingSoftplusSqrtILi16ELi512ELi4ELi16ELi32ELb1EifEEvPKT6_PKbPfiPT5_PiiiibdPKfPKS8_SE_ ; -- Begin function _ZN4vllm3moe22topkGatingSoftplusSqrtILi16ELi512ELi4ELi16ELi32ELb1EifEEvPKT6_PKbPfiPT5_PiiiibdPKfPKS8_SE_
	.globl	_ZN4vllm3moe22topkGatingSoftplusSqrtILi16ELi512ELi4ELi16ELi32ELb1EifEEvPKT6_PKbPfiPT5_PiiiibdPKfPKS8_SE_
	.p2align	8
	.type	_ZN4vllm3moe22topkGatingSoftplusSqrtILi16ELi512ELi4ELi16ELi32ELb1EifEEvPKT6_PKbPfiPT5_PiiiibdPKfPKS8_SE_,@function
_ZN4vllm3moe22topkGatingSoftplusSqrtILi16ELi512ELi4ELi16ELi32ELb1EifEEvPKT6_PKbPfiPT5_PiiiibdPKfPKS8_SE_: ; @_ZN4vllm3moe22topkGatingSoftplusSqrtILi16ELi512ELi4ELi16ELi32ELb1EifEEvPKT6_PKbPfiPT5_PiiiibdPKfPKS8_SE_
; %bb.0:
	s_load_dword s3, s[0:1], 0x18
	v_and_b32_e32 v1, 0x3ff, v0
	s_lshl_b32 s2, s2, 2
	v_lshrrev_b32_e32 v2, 5, v1
	v_bfe_u32 v0, v0, 10, 10
	v_add3_u32 v14, s2, v0, v2
	s_waitcnt lgkmcnt(0)
	v_cmp_gt_i32_e32 vcc, s3, v14
	s_and_saveexec_b64 s[2:3], vcc
	s_cbranch_execz .LBB38_67
; %bb.1:
	s_load_dwordx2 s[2:3], s[0:1], 0x0
	s_load_dword s33, s[0:1], 0x30
	s_load_dwordx4 s[4:7], s[0:1], 0x50
	v_lshlrev_b32_e32 v2, 9, v14
	v_lshlrev_b32_e32 v0, 2, v1
	v_ashrrev_i32_e32 v3, 31, v2
	v_and_b32_e32 v20, 0x7c, v0
	s_waitcnt lgkmcnt(0)
	v_lshl_add_u64 v[2:3], v[2:3], 2, s[2:3]
	v_lshlrev_b32_e32 v12, 2, v20
	v_mov_b32_e32 v13, 0
	v_lshl_add_u64 v[18:19], v[2:3], 0, v[12:13]
	global_load_dwordx4 v[24:27], v[18:19], off
	v_mov_b32_e32 v0, s4
	v_mov_b32_e32 v1, s5
	v_ashrrev_i32_e32 v15, 31, v14
	v_lshl_add_u64 v[0:1], v[14:15], 2, v[0:1]
	global_load_dword v23, v[0:1], off
	global_load_dwordx4 v[8:11], v[18:19], off offset:512
	global_load_dwordx4 v[4:7], v[18:19], off offset:1024
	s_nop 0
	global_load_dwordx4 v[0:3], v[18:19], off offset:1536
	s_mov_b32 s13, 0x800000
	v_mov_b32_e32 v21, 0x4f800000
	v_mov_b32_e32 v16, s6
	;; [unrolled: 1-line block ×3, first 2 shown]
	s_mov_b32 s11, 0x3f317217
	s_mov_b32 s12, 0x7f800000
	v_mov_b32_e32 v22, 0x41b17218
	s_mov_b32 s9, 0x41a00000
	s_mov_b32 s10, 0xf800000
	v_mov_b32_e32 v15, 0x260
	s_cmp_gt_i32 s33, 0
	v_mov_b32_e32 v12, 0
	s_mov_b32 s8, 0
	s_waitcnt vmcnt(4)
	v_mul_f32_e32 v18, 0x3fb8aa3b, v24
	v_mul_f32_e32 v19, 0x3fb8aa3b, v25
	v_exp_f32_e32 v28, v18
	v_exp_f32_e32 v29, v19
	v_mul_f32_e32 v30, 0x3fb8aa3b, v26
	v_mul_f32_e32 v31, 0x3fb8aa3b, v27
	v_exp_f32_e32 v30, v30
	v_pk_add_f32 v[28:29], v[28:29], 1.0 op_sel_hi:[1,0]
	v_exp_f32_e32 v31, v31
	v_cmp_gt_f32_e32 vcc, s13, v29
	s_waitcnt vmcnt(3)
	v_mul_lo_u32 v18, v23, s33
	v_cmp_gt_f32_e64 s[2:3], s13, v28
	v_cndmask_b32_e32 v23, 1.0, v21, vcc
	v_mul_f32_e32 v23, v29, v23
	v_cndmask_b32_e64 v32, 1.0, v21, s[2:3]
	v_mul_f32_e32 v28, v28, v32
	v_log_f32_e32 v23, v23
	v_pk_add_f32 v[30:31], v[30:31], 1.0 op_sel_hi:[1,0]
	v_log_f32_e32 v28, v28
	v_cmp_gt_f32_e64 s[6:7], s13, v30
	v_cndmask_b32_e32 v29, 0, v22, vcc
	v_cmp_lt_f32_e64 vcc, |v23|, s12
	v_cndmask_b32_e64 v34, 1.0, v21, s[6:7]
	v_mul_f32_e32 v30, v30, v34
	v_mul_f32_e32 v34, 0x3f317217, v23
	;; [unrolled: 1-line block ×3, first 2 shown]
	v_fma_f32 v34, v23, s11, -v34
	v_fma_f32 v35, v28, s11, -v35
	v_fmac_f32_e32 v34, 0x3377d1cf, v23
	v_fmac_f32_e32 v35, 0x3377d1cf, v28
	;; [unrolled: 1-line block ×3, first 2 shown]
	v_cmp_gt_f32_e64 s[4:5], s13, v31
	v_fmac_f32_e32 v35, 0x3f317217, v28
	v_cndmask_b32_e32 v23, v23, v34, vcc
	v_cmp_lt_f32_e64 vcc, |v28|, s12
	v_cndmask_b32_e64 v33, 1.0, v21, s[4:5]
	v_cndmask_b32_e64 v32, 0, v22, s[2:3]
	v_cndmask_b32_e32 v28, v28, v35, vcc
	v_mul_f32_e32 v31, v31, v33
	v_sub_f32_e32 v28, v28, v32
	v_cmp_lt_f32_e32 vcc, s9, v24
	v_log_f32_e32 v31, v31
	v_sub_f32_e32 v23, v23, v29
	v_cndmask_b32_e32 v24, v28, v24, vcc
	v_cmp_lt_f32_e32 vcc, s9, v25
	v_mul_f32_e32 v28, 0x4f800000, v24
	v_cmp_gt_f32_e64 s[2:3], s10, v24
	v_cndmask_b32_e32 v23, v23, v25, vcc
	v_mul_f32_e32 v25, 0x4f800000, v23
	v_cmp_gt_f32_e32 vcc, s10, v23
	v_mul_f32_e32 v36, 0x3f317217, v31
	v_cndmask_b32_e64 v24, v24, v28, s[2:3]
	v_cndmask_b32_e32 v23, v23, v25, vcc
	v_sqrt_f32_e32 v25, v23
	v_fma_f32 v36, v31, s11, -v36
	v_sqrt_f32_e32 v28, v24
	v_fmac_f32_e32 v36, 0x3377d1cf, v31
	v_cndmask_b32_e64 v33, 0, v22, s[4:5]
	v_fmac_f32_e32 v36, 0x3f317217, v31
	v_cmp_lt_f32_e64 s[4:5], |v31|, s12
	v_add_u32_e32 v34, -1, v28
	v_add_u32_e32 v32, 1, v25
	v_cndmask_b32_e64 v29, v31, v36, s[4:5]
	v_add_u32_e32 v31, -1, v25
	v_fma_f32 v36, -v31, v25, v23
	v_fma_f32 v38, -v34, v28, v24
	v_cmp_ge_f32_e64 s[4:5], 0, v36
	v_add_u32_e32 v35, 1, v28
	v_fma_f32 v37, -v32, v25, v23
	v_cndmask_b32_e64 v25, v25, v31, s[4:5]
	v_cmp_ge_f32_e64 s[4:5], 0, v38
	v_fma_f32 v39, -v35, v28, v24
	v_log_f32_e32 v30, v30
	v_cndmask_b32_e64 v28, v28, v34, s[4:5]
	v_cmp_lt_f32_e64 s[4:5], 0, v37
	v_ashrrev_i32_e32 v19, 31, v18
	s_nop 0
	v_cndmask_b32_e64 v25, v25, v32, s[4:5]
	v_cmp_lt_f32_e64 s[4:5], 0, v39
	v_mul_f32_e32 v31, 0x37800000, v25
	v_cndmask_b32_e32 v25, v25, v31, vcc
	v_cndmask_b32_e64 v28, v28, v35, s[4:5]
	v_mul_f32_e32 v32, 0x37800000, v28
	v_cmp_class_f32_e32 vcc, v23, v15
	v_cndmask_b32_e64 v28, v28, v32, s[2:3]
	v_cmp_lt_f32_e64 s[2:3], s9, v26
	v_cndmask_b32_e32 v25, v25, v23, vcc
	v_cmp_class_f32_e32 vcc, v24, v15
	v_sub_f32_e32 v23, v29, v33
	v_cndmask_b32_e64 v29, 0, v22, s[6:7]
	v_cndmask_b32_e32 v24, v28, v24, vcc
	v_mul_f32_e32 v28, 0x3f317217, v30
	v_fma_f32 v28, v30, s11, -v28
	v_fmac_f32_e32 v28, 0x3377d1cf, v30
	v_fmac_f32_e32 v28, 0x3f317217, v30
	v_cmp_lt_f32_e64 vcc, |v30|, s12
	s_nop 1
	v_cndmask_b32_e32 v28, v30, v28, vcc
	v_cmp_lt_f32_e32 vcc, s9, v27
	v_sub_f32_e32 v28, v28, v29
	v_cndmask_b32_e64 v26, v28, v26, s[2:3]
	v_cndmask_b32_e32 v23, v23, v27, vcc
	v_mul_f32_e32 v27, 0x4f800000, v23
	v_cmp_gt_f32_e32 vcc, s10, v23
	s_nop 1
	v_cndmask_b32_e32 v23, v23, v27, vcc
	v_sqrt_f32_e32 v27, v23
	s_nop 0
	v_add_u32_e32 v28, -1, v27
	v_fma_f32 v29, -v28, v27, v23
	v_cmp_ge_f32_e64 s[2:3], 0, v29
	v_add_u32_e32 v29, 1, v27
	s_nop 0
	v_cndmask_b32_e64 v28, v27, v28, s[2:3]
	v_fma_f32 v27, -v29, v27, v23
	v_cmp_lt_f32_e64 s[2:3], 0, v27
	s_nop 1
	v_cndmask_b32_e64 v27, v28, v29, s[2:3]
	v_mul_f32_e32 v29, 0x4f800000, v26
	v_cmp_gt_f32_e64 s[2:3], s10, v26
	v_mul_f32_e32 v28, 0x37800000, v27
	v_cndmask_b32_e32 v27, v27, v28, vcc
	v_cndmask_b32_e64 v26, v26, v29, s[2:3]
	v_sqrt_f32_e32 v29, v26
	v_cmp_class_f32_e32 vcc, v23, v15
	v_add_u32_e32 v30, 1, v29
	s_nop 0
	v_cndmask_b32_e32 v27, v27, v23, vcc
	v_add_u32_e32 v23, -1, v29
	v_fma_f32 v28, -v23, v29, v26
	v_cmp_ge_f32_e32 vcc, 0, v28
	v_fma_f32 v31, -v30, v29, v26
	s_waitcnt vmcnt(2)
	v_mul_f32_e32 v28, 0x3fb8aa3b, v8
	v_cndmask_b32_e32 v23, v29, v23, vcc
	v_mul_f32_e32 v29, 0x3fb8aa3b, v9
	v_exp_f32_e32 v28, v28
	v_exp_f32_e32 v29, v29
	v_cmp_lt_f32_e32 vcc, 0, v31
	v_pk_add_f32 v[28:29], v[28:29], 1.0 op_sel_hi:[1,0]
	s_nop 0
	v_cndmask_b32_e32 v23, v23, v30, vcc
	v_mul_f32_e32 v30, 0x37800000, v23
	v_cmp_gt_f32_e32 vcc, s13, v29
	v_cndmask_b32_e64 v23, v23, v30, s[2:3]
	v_cmp_class_f32_e64 s[2:3], v26, v15
	v_cndmask_b32_e32 v30, 1.0, v21, vcc
	v_mul_f32_e32 v29, v29, v30
	v_log_f32_e32 v29, v29
	v_cndmask_b32_e64 v26, v23, v26, s[2:3]
	v_cmp_gt_f32_e64 s[2:3], s13, v28
	scratch_store_dwordx4 off, v[24:27], off
	v_mul_f32_e32 v23, 0x3f317217, v29
	v_fma_f32 v23, v29, s11, -v23
	v_cndmask_b32_e64 v24, 1.0, v21, s[2:3]
	v_mul_f32_e32 v24, v28, v24
	v_log_f32_e32 v24, v24
	v_fmac_f32_e32 v23, 0x3377d1cf, v29
	v_fmac_f32_e32 v23, 0x3f317217, v29
	v_cmp_lt_f32_e64 s[4:5], |v29|, s12
	v_cndmask_b32_e32 v25, 0, v22, vcc
	v_cmp_lt_f32_e64 vcc, |v24|, s12
	v_cndmask_b32_e64 v23, v29, v23, s[4:5]
	v_sub_f32_e32 v23, v23, v25
	v_mul_f32_e32 v25, 0x3f317217, v24
	v_fma_f32 v25, v24, s11, -v25
	v_fmac_f32_e32 v25, 0x3377d1cf, v24
	v_fmac_f32_e32 v25, 0x3f317217, v24
	v_cndmask_b32_e32 v24, v24, v25, vcc
	v_cmp_lt_f32_e32 vcc, s9, v9
	v_cndmask_b32_e64 v25, 0, v22, s[2:3]
	v_sub_f32_e32 v24, v24, v25
	v_cndmask_b32_e32 v9, v23, v9, vcc
	v_mul_f32_e32 v23, 0x4f800000, v9
	v_cmp_gt_f32_e32 vcc, s10, v9
	v_cmp_lt_f32_e64 s[2:3], s9, v8
	s_nop 0
	v_cndmask_b32_e32 v9, v9, v23, vcc
	v_sqrt_f32_e32 v23, v9
	v_cndmask_b32_e64 v8, v24, v8, s[2:3]
	v_add_u32_e32 v24, -1, v23
	v_fma_f32 v25, -v24, v23, v9
	v_cmp_ge_f32_e64 s[2:3], 0, v25
	v_add_u32_e32 v25, 1, v23
	s_nop 0
	v_cndmask_b32_e64 v24, v23, v24, s[2:3]
	v_fma_f32 v23, -v25, v23, v9
	v_cmp_lt_f32_e64 s[2:3], 0, v23
	s_nop 1
	v_cndmask_b32_e64 v23, v24, v25, s[2:3]
	v_mul_f32_e32 v25, 0x4f800000, v8
	v_cmp_gt_f32_e64 s[2:3], s10, v8
	v_mul_f32_e32 v24, 0x37800000, v23
	v_cndmask_b32_e32 v23, v23, v24, vcc
	v_cndmask_b32_e64 v8, v8, v25, s[2:3]
	v_sqrt_f32_e32 v25, v8
	v_cmp_class_f32_e32 vcc, v9, v15
	v_add_u32_e32 v26, 1, v25
	s_nop 0
	v_cndmask_b32_e32 v9, v23, v9, vcc
	v_add_u32_e32 v23, -1, v25
	v_fma_f32 v24, -v23, v25, v8
	v_cmp_ge_f32_e32 vcc, 0, v24
	v_fma_f32 v27, -v26, v25, v8
	v_mul_f32_e32 v24, 0x3fb8aa3b, v10
	v_cndmask_b32_e32 v23, v25, v23, vcc
	v_mul_f32_e32 v25, 0x3fb8aa3b, v11
	v_exp_f32_e32 v24, v24
	v_exp_f32_e32 v25, v25
	v_cmp_lt_f32_e32 vcc, 0, v27
	v_pk_add_f32 v[24:25], v[24:25], 1.0 op_sel_hi:[1,0]
	s_nop 0
	v_cndmask_b32_e32 v23, v23, v26, vcc
	v_cmp_gt_f32_e32 vcc, s13, v25
	v_mul_f32_e32 v26, 0x37800000, v23
	v_cndmask_b32_e64 v23, v23, v26, s[2:3]
	v_cndmask_b32_e32 v27, 1.0, v21, vcc
	v_mul_f32_e32 v25, v25, v27
	v_log_f32_e32 v25, v25
	v_cmp_class_f32_e64 s[2:3], v8, v15
	v_cmp_lt_f32_e64 s[4:5], |v25|, s12
	s_nop 0
	v_cndmask_b32_e64 v8, v23, v8, s[2:3]
	v_cmp_gt_f32_e64 s[2:3], s13, v24
	v_mul_f32_e32 v23, 0x3f317217, v25
	v_fma_f32 v23, v25, s11, -v23
	v_cndmask_b32_e64 v26, 1.0, v21, s[2:3]
	v_mul_f32_e32 v24, v24, v26
	v_log_f32_e32 v24, v24
	v_fmac_f32_e32 v23, 0x3377d1cf, v25
	v_fmac_f32_e32 v23, 0x3f317217, v25
	v_cndmask_b32_e64 v23, v25, v23, s[4:5]
	v_cndmask_b32_e32 v25, 0, v22, vcc
	v_sub_f32_e32 v23, v23, v25
	v_mul_f32_e32 v25, 0x3f317217, v24
	v_fma_f32 v25, v24, s11, -v25
	v_fmac_f32_e32 v25, 0x3377d1cf, v24
	v_fmac_f32_e32 v25, 0x3f317217, v24
	v_cmp_lt_f32_e64 vcc, |v24|, s12
	s_nop 1
	v_cndmask_b32_e32 v24, v24, v25, vcc
	v_cmp_lt_f32_e32 vcc, s9, v11
	v_cndmask_b32_e64 v25, 0, v22, s[2:3]
	v_sub_f32_e32 v24, v24, v25
	v_cndmask_b32_e32 v11, v23, v11, vcc
	v_mul_f32_e32 v23, 0x4f800000, v11
	v_cmp_gt_f32_e32 vcc, s10, v11
	v_cmp_lt_f32_e64 s[2:3], s9, v10
	s_nop 0
	v_cndmask_b32_e32 v11, v11, v23, vcc
	v_sqrt_f32_e32 v23, v11
	v_cndmask_b32_e64 v10, v24, v10, s[2:3]
	v_add_u32_e32 v24, -1, v23
	v_fma_f32 v25, -v24, v23, v11
	v_cmp_ge_f32_e64 s[2:3], 0, v25
	v_add_u32_e32 v25, 1, v23
	s_nop 0
	v_cndmask_b32_e64 v24, v23, v24, s[2:3]
	v_fma_f32 v23, -v25, v23, v11
	v_cmp_lt_f32_e64 s[2:3], 0, v23
	s_nop 1
	v_cndmask_b32_e64 v23, v24, v25, s[2:3]
	v_mul_f32_e32 v25, 0x4f800000, v10
	v_cmp_gt_f32_e64 s[2:3], s10, v10
	v_mul_f32_e32 v24, 0x37800000, v23
	v_cndmask_b32_e32 v23, v23, v24, vcc
	v_cndmask_b32_e64 v10, v10, v25, s[2:3]
	v_sqrt_f32_e32 v25, v10
	v_cmp_class_f32_e32 vcc, v11, v15
	v_add_u32_e32 v26, 1, v25
	s_nop 0
	v_cndmask_b32_e32 v11, v23, v11, vcc
	v_add_u32_e32 v23, -1, v25
	v_fma_f32 v24, -v23, v25, v10
	v_cmp_ge_f32_e32 vcc, 0, v24
	v_fma_f32 v27, -v26, v25, v10
	s_waitcnt vmcnt(2)
	v_mul_f32_e32 v24, 0x3fb8aa3b, v4
	v_cndmask_b32_e32 v23, v25, v23, vcc
	v_mul_f32_e32 v25, 0x3fb8aa3b, v5
	v_exp_f32_e32 v24, v24
	v_exp_f32_e32 v25, v25
	v_cmp_lt_f32_e32 vcc, 0, v27
	v_pk_add_f32 v[24:25], v[24:25], 1.0 op_sel_hi:[1,0]
	s_nop 0
	v_cndmask_b32_e32 v23, v23, v26, vcc
	v_mul_f32_e32 v26, 0x37800000, v23
	v_cmp_gt_f32_e32 vcc, s13, v25
	v_cndmask_b32_e64 v23, v23, v26, s[2:3]
	v_cmp_class_f32_e64 s[2:3], v10, v15
	v_cndmask_b32_e32 v26, 1.0, v21, vcc
	v_mul_f32_e32 v25, v25, v26
	v_log_f32_e32 v25, v25
	v_cndmask_b32_e64 v10, v23, v10, s[2:3]
	v_cmp_gt_f32_e64 s[2:3], s13, v24
	scratch_store_dwordx4 off, v[8:11], off offset:16
	v_cmp_lt_f32_e64 s[4:5], |v25|, s12
	s_nop 0
	v_cndmask_b32_e64 v9, 1.0, v21, s[2:3]
	v_mul_f32_e32 v8, 0x3f317217, v25
	v_mul_f32_e32 v9, v24, v9
	v_fma_f32 v8, v25, s11, -v8
	v_log_f32_e32 v9, v9
	v_fmac_f32_e32 v8, 0x3377d1cf, v25
	v_fmac_f32_e32 v8, 0x3f317217, v25
	v_cndmask_b32_e64 v8, v25, v8, s[4:5]
	v_cndmask_b32_e32 v10, 0, v22, vcc
	v_sub_f32_e32 v8, v8, v10
	v_mul_f32_e32 v10, 0x3f317217, v9
	v_fma_f32 v10, v9, s11, -v10
	v_fmac_f32_e32 v10, 0x3377d1cf, v9
	v_fmac_f32_e32 v10, 0x3f317217, v9
	v_cmp_lt_f32_e64 vcc, |v9|, s12
	s_nop 1
	v_cndmask_b32_e32 v9, v9, v10, vcc
	v_cmp_lt_f32_e32 vcc, s9, v5
	v_cndmask_b32_e64 v10, 0, v22, s[2:3]
	v_sub_f32_e32 v9, v9, v10
	v_cndmask_b32_e32 v5, v8, v5, vcc
	v_mul_f32_e32 v8, 0x4f800000, v5
	v_cmp_gt_f32_e32 vcc, s10, v5
	v_cmp_lt_f32_e64 s[2:3], s9, v4
	s_nop 0
	v_cndmask_b32_e32 v5, v5, v8, vcc
	v_sqrt_f32_e32 v8, v5
	v_cndmask_b32_e64 v4, v9, v4, s[2:3]
	v_add_u32_e32 v9, -1, v8
	v_fma_f32 v10, -v9, v8, v5
	v_cmp_ge_f32_e64 s[2:3], 0, v10
	v_add_u32_e32 v10, 1, v8
	s_nop 0
	v_cndmask_b32_e64 v9, v8, v9, s[2:3]
	v_fma_f32 v8, -v10, v8, v5
	v_cmp_lt_f32_e64 s[2:3], 0, v8
	s_nop 1
	v_cndmask_b32_e64 v8, v9, v10, s[2:3]
	v_mul_f32_e32 v10, 0x4f800000, v4
	v_cmp_gt_f32_e64 s[2:3], s10, v4
	v_mul_f32_e32 v9, 0x37800000, v8
	v_cndmask_b32_e32 v8, v8, v9, vcc
	v_cndmask_b32_e64 v4, v4, v10, s[2:3]
	v_sqrt_f32_e32 v10, v4
	v_cmp_class_f32_e32 vcc, v5, v15
	v_add_u32_e32 v23, 1, v10
	s_nop 0
	v_cndmask_b32_e32 v5, v8, v5, vcc
	v_add_u32_e32 v8, -1, v10
	v_fma_f32 v9, -v8, v10, v4
	v_cmp_ge_f32_e32 vcc, 0, v9
	v_mul_f32_e32 v9, 0x3fb8aa3b, v7
	v_exp_f32_e32 v9, v9
	v_cndmask_b32_e32 v11, v10, v8, vcc
	v_mul_f32_e32 v8, 0x3fb8aa3b, v6
	v_exp_f32_e32 v8, v8
	v_fma_f32 v10, -v23, v10, v4
	v_cmp_lt_f32_e32 vcc, 0, v10
	v_pk_add_f32 v[8:9], v[8:9], 1.0 op_sel_hi:[1,0]
	s_nop 0
	v_cndmask_b32_e32 v10, v11, v23, vcc
	v_cmp_gt_f32_e32 vcc, s13, v9
	v_mul_f32_e32 v11, 0x37800000, v10
	v_cndmask_b32_e64 v10, v10, v11, s[2:3]
	v_cndmask_b32_e32 v23, 1.0, v21, vcc
	v_mul_f32_e32 v9, v9, v23
	v_log_f32_e32 v9, v9
	v_cmp_class_f32_e64 s[2:3], v4, v15
	v_cmp_lt_f32_e64 s[4:5], |v9|, s12
	s_nop 0
	v_cndmask_b32_e64 v4, v10, v4, s[2:3]
	v_cmp_gt_f32_e64 s[2:3], s13, v8
	v_mul_f32_e32 v10, 0x3f317217, v9
	v_fma_f32 v10, v9, s11, -v10
	v_cndmask_b32_e64 v11, 1.0, v21, s[2:3]
	v_mul_f32_e32 v8, v8, v11
	v_log_f32_e32 v8, v8
	v_fmac_f32_e32 v10, 0x3377d1cf, v9
	v_fmac_f32_e32 v10, 0x3f317217, v9
	v_cndmask_b32_e64 v9, v9, v10, s[4:5]
	v_cndmask_b32_e32 v10, 0, v22, vcc
	v_sub_f32_e32 v9, v9, v10
	v_mul_f32_e32 v10, 0x3f317217, v8
	v_fma_f32 v10, v8, s11, -v10
	v_fmac_f32_e32 v10, 0x3377d1cf, v8
	v_fmac_f32_e32 v10, 0x3f317217, v8
	v_cmp_lt_f32_e64 vcc, |v8|, s12
	s_nop 1
	v_cndmask_b32_e32 v8, v8, v10, vcc
	v_cmp_lt_f32_e32 vcc, s9, v7
	v_cndmask_b32_e64 v10, 0, v22, s[2:3]
	v_sub_f32_e32 v8, v8, v10
	v_cndmask_b32_e32 v7, v9, v7, vcc
	v_mul_f32_e32 v9, 0x4f800000, v7
	v_cmp_gt_f32_e32 vcc, s10, v7
	v_cmp_lt_f32_e64 s[2:3], s9, v6
	s_nop 0
	v_cndmask_b32_e32 v7, v7, v9, vcc
	v_sqrt_f32_e32 v9, v7
	v_cndmask_b32_e64 v6, v8, v6, s[2:3]
	v_add_u32_e32 v8, -1, v9
	v_fma_f32 v10, -v8, v9, v7
	v_cmp_ge_f32_e64 s[2:3], 0, v10
	v_add_u32_e32 v10, 1, v9
	s_nop 0
	v_cndmask_b32_e64 v8, v9, v8, s[2:3]
	v_fma_f32 v9, -v10, v9, v7
	v_cmp_lt_f32_e64 s[2:3], 0, v9
	s_nop 1
	v_cndmask_b32_e64 v8, v8, v10, s[2:3]
	v_mul_f32_e32 v10, 0x4f800000, v6
	v_cmp_gt_f32_e64 s[2:3], s10, v6
	v_mul_f32_e32 v9, 0x37800000, v8
	v_cndmask_b32_e32 v8, v8, v9, vcc
	v_cndmask_b32_e64 v6, v6, v10, s[2:3]
	v_sqrt_f32_e32 v10, v6
	v_cmp_class_f32_e32 vcc, v7, v15
	v_add_u32_e32 v23, 1, v10
	s_nop 0
	v_cndmask_b32_e32 v7, v8, v7, vcc
	v_add_u32_e32 v8, -1, v10
	v_fma_f32 v9, -v8, v10, v6
	v_cmp_ge_f32_e32 vcc, 0, v9
	s_waitcnt vmcnt(2)
	v_mul_f32_e32 v9, 0x3fb8aa3b, v1
	v_exp_f32_e32 v9, v9
	v_cndmask_b32_e32 v11, v10, v8, vcc
	v_mul_f32_e32 v8, 0x3fb8aa3b, v0
	v_exp_f32_e32 v8, v8
	v_fma_f32 v10, -v23, v10, v6
	v_cmp_lt_f32_e32 vcc, 0, v10
	v_pk_add_f32 v[8:9], v[8:9], 1.0 op_sel_hi:[1,0]
	s_nop 0
	v_cndmask_b32_e32 v10, v11, v23, vcc
	v_mul_f32_e32 v11, 0x37800000, v10
	v_cmp_gt_f32_e32 vcc, s13, v9
	v_cndmask_b32_e64 v10, v10, v11, s[2:3]
	v_cmp_class_f32_e64 s[2:3], v6, v15
	v_cndmask_b32_e32 v11, 1.0, v21, vcc
	v_mul_f32_e32 v9, v9, v11
	v_log_f32_e32 v9, v9
	v_cndmask_b32_e64 v6, v10, v6, s[2:3]
	v_cmp_gt_f32_e64 s[2:3], s13, v8
	scratch_store_dwordx4 off, v[4:7], off offset:32
	v_cmp_lt_f32_e64 s[4:5], |v9|, s12
	s_nop 0
	v_cndmask_b32_e64 v5, 1.0, v21, s[2:3]
	v_mul_f32_e32 v4, 0x3f317217, v9
	v_mul_f32_e32 v5, v8, v5
	v_fma_f32 v4, v9, s11, -v4
	v_log_f32_e32 v5, v5
	v_fmac_f32_e32 v4, 0x3377d1cf, v9
	v_fmac_f32_e32 v4, 0x3f317217, v9
	v_cndmask_b32_e64 v4, v9, v4, s[4:5]
	v_cndmask_b32_e32 v6, 0, v22, vcc
	v_sub_f32_e32 v4, v4, v6
	v_mul_f32_e32 v6, 0x3f317217, v5
	v_fma_f32 v6, v5, s11, -v6
	v_fmac_f32_e32 v6, 0x3377d1cf, v5
	v_fmac_f32_e32 v6, 0x3f317217, v5
	v_cmp_lt_f32_e64 vcc, |v5|, s12
	s_nop 1
	v_cndmask_b32_e32 v5, v5, v6, vcc
	v_cmp_lt_f32_e32 vcc, s9, v1
	v_cndmask_b32_e64 v6, 0, v22, s[2:3]
	v_sub_f32_e32 v5, v5, v6
	v_cndmask_b32_e32 v1, v4, v1, vcc
	v_mul_f32_e32 v4, 0x4f800000, v1
	v_cmp_gt_f32_e32 vcc, s10, v1
	v_cmp_lt_f32_e64 s[2:3], s9, v0
	s_nop 0
	v_cndmask_b32_e32 v1, v1, v4, vcc
	v_sqrt_f32_e32 v4, v1
	v_cndmask_b32_e64 v0, v5, v0, s[2:3]
	v_add_u32_e32 v5, -1, v4
	v_fma_f32 v6, -v5, v4, v1
	v_cmp_ge_f32_e64 s[2:3], 0, v6
	v_add_u32_e32 v6, 1, v4
	s_nop 0
	v_cndmask_b32_e64 v5, v4, v5, s[2:3]
	v_fma_f32 v4, -v6, v4, v1
	v_cmp_lt_f32_e64 s[2:3], 0, v4
	s_nop 1
	v_cndmask_b32_e64 v4, v5, v6, s[2:3]
	v_mul_f32_e32 v6, 0x4f800000, v0
	v_cmp_gt_f32_e64 s[2:3], s10, v0
	v_mul_f32_e32 v5, 0x37800000, v4
	v_cndmask_b32_e32 v4, v4, v5, vcc
	v_cndmask_b32_e64 v0, v0, v6, s[2:3]
	v_sqrt_f32_e32 v6, v0
	v_cmp_class_f32_e32 vcc, v1, v15
	v_add_u32_e32 v8, 1, v6
	s_nop 0
	v_cndmask_b32_e32 v1, v4, v1, vcc
	v_add_u32_e32 v4, -1, v6
	v_fma_f32 v5, -v4, v6, v0
	v_cmp_ge_f32_e32 vcc, 0, v5
	v_mul_f32_e32 v5, 0x3fb8aa3b, v3
	v_exp_f32_e32 v5, v5
	v_cndmask_b32_e32 v7, v6, v4, vcc
	v_mul_f32_e32 v4, 0x3fb8aa3b, v2
	v_exp_f32_e32 v4, v4
	v_fma_f32 v6, -v8, v6, v0
	v_cmp_lt_f32_e32 vcc, 0, v6
	v_pk_add_f32 v[4:5], v[4:5], 1.0 op_sel_hi:[1,0]
	s_nop 0
	v_cndmask_b32_e32 v6, v7, v8, vcc
	v_cmp_gt_f32_e32 vcc, s13, v5
	v_mul_f32_e32 v7, 0x37800000, v6
	v_cndmask_b32_e64 v6, v6, v7, s[2:3]
	v_cndmask_b32_e32 v8, 1.0, v21, vcc
	v_mul_f32_e32 v5, v5, v8
	v_log_f32_e32 v5, v5
	v_cmp_class_f32_e64 s[2:3], v0, v15
	v_cmp_lt_f32_e64 s[4:5], |v5|, s12
	s_nop 0
	v_cndmask_b32_e64 v0, v6, v0, s[2:3]
	v_cmp_gt_f32_e64 s[2:3], s13, v4
	v_mul_f32_e32 v6, 0x3f317217, v5
	v_fma_f32 v6, v5, s11, -v6
	v_cndmask_b32_e64 v7, 1.0, v21, s[2:3]
	v_mul_f32_e32 v4, v4, v7
	v_log_f32_e32 v4, v4
	v_fmac_f32_e32 v6, 0x3377d1cf, v5
	v_fmac_f32_e32 v6, 0x3f317217, v5
	v_cndmask_b32_e64 v5, v5, v6, s[4:5]
	v_cndmask_b32_e32 v6, 0, v22, vcc
	v_sub_f32_e32 v5, v5, v6
	v_mul_f32_e32 v6, 0x3f317217, v4
	v_fma_f32 v6, v4, s11, -v6
	v_fmac_f32_e32 v6, 0x3377d1cf, v4
	v_fmac_f32_e32 v6, 0x3f317217, v4
	v_cmp_lt_f32_e64 vcc, |v4|, s12
	s_cselect_b64 s[4:5], -1, 0
	s_cmp_lt_i32 s33, 1
	v_cndmask_b32_e32 v4, v4, v6, vcc
	v_cmp_lt_f32_e32 vcc, s9, v3
	v_cndmask_b32_e64 v6, 0, v22, s[2:3]
	v_sub_f32_e32 v4, v4, v6
	v_cndmask_b32_e32 v3, v5, v3, vcc
	v_mul_f32_e32 v5, 0x4f800000, v3
	v_cmp_gt_f32_e32 vcc, s10, v3
	v_cmp_lt_f32_e64 s[2:3], s9, v2
	s_nop 0
	v_cndmask_b32_e32 v3, v3, v5, vcc
	v_sqrt_f32_e32 v5, v3
	v_cndmask_b32_e64 v2, v4, v2, s[2:3]
	v_add_u32_e32 v4, -1, v5
	v_fma_f32 v6, -v4, v5, v3
	v_cmp_ge_f32_e64 s[2:3], 0, v6
	v_add_u32_e32 v6, 1, v5
	s_nop 0
	v_cndmask_b32_e64 v4, v5, v4, s[2:3]
	v_fma_f32 v5, -v6, v5, v3
	v_cmp_lt_f32_e64 s[2:3], 0, v5
	s_nop 1
	v_cndmask_b32_e64 v4, v4, v6, s[2:3]
	v_mul_f32_e32 v6, 0x4f800000, v2
	v_cmp_gt_f32_e64 s[2:3], s10, v2
	v_mul_f32_e32 v5, 0x37800000, v4
	v_cndmask_b32_e32 v4, v4, v5, vcc
	v_cndmask_b32_e64 v2, v2, v6, s[2:3]
	v_sqrt_f32_e32 v6, v2
	v_cmp_class_f32_e32 vcc, v3, v15
	s_nop 1
	v_cndmask_b32_e32 v3, v4, v3, vcc
	v_add_u32_e32 v4, -1, v6
	v_fma_f32 v5, -v4, v6, v2
	v_cmp_ge_f32_e32 vcc, 0, v5
	v_add_u32_e32 v5, 1, v6
	s_nop 0
	v_cndmask_b32_e32 v4, v6, v4, vcc
	v_fma_f32 v6, -v5, v6, v2
	v_cmp_lt_f32_e32 vcc, 0, v6
	s_nop 1
	v_cndmask_b32_e32 v4, v4, v5, vcc
	v_mul_f32_e32 v5, 0x37800000, v4
	v_cndmask_b32_e64 v4, v4, v5, s[2:3]
	v_cmp_class_f32_e32 vcc, v2, v15
	s_nop 1
	v_cndmask_b32_e32 v2, v4, v2, vcc
	scratch_store_dwordx4 off, v[0:3], off offset:48
	s_nop 1
	v_lshl_add_u64 v[0:1], v[18:19], 2, v[16:17]
	v_mul_lo_u32 v2, v14, s33
	s_cbranch_scc1 .LBB38_28
; %bb.2:
	s_load_dwordx2 s[6:7], s[0:1], 0x20
	s_cmp_lt_u32 s33, 4
	v_mul_lo_u32 v4, v14, s33
	s_cbranch_scc1 .LBB38_21
; %bb.3:
	s_mov_b32 s11, 0
	s_and_b32 s8, s33, 0x7ffffffc
	v_ashrrev_i32_e32 v5, 31, v4
	v_mov_b32_e32 v13, 0
	s_mov_b32 s10, s11
	s_branch .LBB38_5
.LBB38_4:                               ;   in Loop: Header=BB38_5 Depth=1
	s_or_b64 exec, exec, s[12:13]
	s_add_i32 s10, s10, 4
	s_cmp_eq_u32 s10, s8
	s_cbranch_scc1 .LBB38_21
.LBB38_5:                               ; =>This Loop Header: Depth=1
                                        ;     Child Loop BB38_7 Depth 2
                                        ;     Child Loop BB38_11 Depth 2
	;; [unrolled: 1-line block ×4, first 2 shown]
	v_lshl_add_u64 v[6:7], s[10:11], 2, v[0:1]
	global_load_dword v3, v[6:7], off
	v_add_u32_e32 v8, s10, v4
	v_ashrrev_i32_e32 v9, 31, v8
	s_waitcnt lgkmcnt(0)
	v_lshl_add_u64 v[8:9], v[8:9], 2, s[6:7]
	v_mov_b32_e32 v10, 0
	s_mov_b64 s[12:13], 0
	s_mov_b32 s9, 0
	s_mov_b32 s16, 0
	s_branch .LBB38_7
.LBB38_6:                               ;   in Loop: Header=BB38_7 Depth=2
	s_or_b64 exec, exec, s[14:15]
	s_add_i32 s17, s16, 1
	s_cmp_gt_u32 s16, 14
	s_cselect_b64 s[2:3], -1, 0
	s_xor_b64 s[14:15], vcc, -1
	s_or_b64 s[2:3], s[14:15], s[2:3]
	s_add_i32 s9, s9, 32
	s_and_b64 s[2:3], exec, s[2:3]
	v_add_u32_e32 v10, 4, v10
	s_or_b64 s[12:13], s[2:3], s[12:13]
	s_mov_b32 s16, s17
	s_andn2_b64 exec, exec, s[12:13]
	s_cbranch_execz .LBB38_9
.LBB38_7:                               ;   Parent Loop BB38_5 Depth=1
                                        ; =>  This Inner Loop Header: Depth=2
	s_and_b32 s2, s16, 3
	s_and_b32 s3, s9, 0x180
	s_or_b32 s2, s2, s3
	v_or_b32_e32 v11, s2, v20
	s_waitcnt vmcnt(0)
	v_cmp_ne_u32_e32 vcc, v3, v11
	v_cmp_eq_u32_e64 s[2:3], v3, v11
	s_and_saveexec_b64 s[14:15], s[2:3]
	s_cbranch_execz .LBB38_6
; %bb.8:                                ;   in Loop: Header=BB38_7 Depth=2
	scratch_load_dword v11, v10, off
	s_waitcnt vmcnt(0)
	v_add_f32_e32 v13, v13, v11
	global_store_dword v[8:9], v3, off
	s_branch .LBB38_6
.LBB38_9:                               ;   in Loop: Header=BB38_5 Depth=1
	s_or_b64 exec, exec, s[12:13]
	global_load_dword v3, v[6:7], off offset:4
	s_ashr_i32 s3, s10, 31
	s_mov_b32 s2, s10
	v_lshl_add_u64 v[8:9], s[2:3], 0, v[4:5]
	v_lshl_add_u64 v[8:9], v[8:9], 2, s[6:7]
	v_mov_b32_e32 v10, 0
	s_mov_b32 s9, 0
	s_mov_b64 s[12:13], 0
	s_mov_b32 s16, 0
	s_branch .LBB38_11
.LBB38_10:                              ;   in Loop: Header=BB38_11 Depth=2
	s_or_b64 exec, exec, s[14:15]
	s_add_i32 s17, s16, 1
	s_cmp_gt_u32 s16, 14
	s_cselect_b64 s[2:3], -1, 0
	s_xor_b64 s[14:15], vcc, -1
	s_or_b64 s[2:3], s[14:15], s[2:3]
	s_add_i32 s9, s9, 32
	s_and_b64 s[2:3], exec, s[2:3]
	v_add_u32_e32 v10, 4, v10
	s_or_b64 s[12:13], s[2:3], s[12:13]
	s_mov_b32 s16, s17
	s_andn2_b64 exec, exec, s[12:13]
	s_cbranch_execz .LBB38_13
.LBB38_11:                              ;   Parent Loop BB38_5 Depth=1
                                        ; =>  This Inner Loop Header: Depth=2
	s_and_b32 s2, s16, 3
	s_and_b32 s3, s9, 0x180
	s_or_b32 s2, s2, s3
	v_or_b32_e32 v11, s2, v20
	s_waitcnt vmcnt(0)
	v_cmp_ne_u32_e32 vcc, v3, v11
	v_cmp_eq_u32_e64 s[2:3], v3, v11
	s_and_saveexec_b64 s[14:15], s[2:3]
	s_cbranch_execz .LBB38_10
; %bb.12:                               ;   in Loop: Header=BB38_11 Depth=2
	scratch_load_dword v11, v10, off
	s_waitcnt vmcnt(0)
	v_add_f32_e32 v13, v13, v11
	global_store_dword v[8:9], v3, off offset:4
	s_branch .LBB38_10
.LBB38_13:                              ;   in Loop: Header=BB38_5 Depth=1
	s_or_b64 exec, exec, s[12:13]
	global_load_dword v3, v[6:7], off offset:8
	v_mov_b32_e32 v10, 0
	s_mov_b32 s9, 0
	s_mov_b64 s[12:13], 0
	s_mov_b32 s16, 0
	s_branch .LBB38_15
.LBB38_14:                              ;   in Loop: Header=BB38_15 Depth=2
	s_or_b64 exec, exec, s[14:15]
	s_add_i32 s17, s16, 1
	s_cmp_gt_u32 s16, 14
	s_cselect_b64 s[2:3], -1, 0
	s_xor_b64 s[14:15], vcc, -1
	s_or_b64 s[2:3], s[14:15], s[2:3]
	s_add_i32 s9, s9, 32
	s_and_b64 s[2:3], exec, s[2:3]
	v_add_u32_e32 v10, 4, v10
	s_or_b64 s[12:13], s[2:3], s[12:13]
	s_mov_b32 s16, s17
	s_andn2_b64 exec, exec, s[12:13]
	s_cbranch_execz .LBB38_17
.LBB38_15:                              ;   Parent Loop BB38_5 Depth=1
                                        ; =>  This Inner Loop Header: Depth=2
	s_and_b32 s2, s16, 3
	s_and_b32 s3, s9, 0x180
	s_or_b32 s2, s2, s3
	v_or_b32_e32 v11, s2, v20
	s_waitcnt vmcnt(0)
	v_cmp_ne_u32_e32 vcc, v3, v11
	v_cmp_eq_u32_e64 s[2:3], v3, v11
	s_and_saveexec_b64 s[14:15], s[2:3]
	s_cbranch_execz .LBB38_14
; %bb.16:                               ;   in Loop: Header=BB38_15 Depth=2
	scratch_load_dword v11, v10, off
	s_waitcnt vmcnt(0)
	v_add_f32_e32 v13, v13, v11
	global_store_dword v[8:9], v3, off offset:8
	s_branch .LBB38_14
.LBB38_17:                              ;   in Loop: Header=BB38_5 Depth=1
	s_or_b64 exec, exec, s[12:13]
	global_load_dword v3, v[6:7], off offset:12
	v_mov_b32_e32 v6, 0
	s_mov_b32 s9, 0
	s_mov_b64 s[12:13], 0
	s_mov_b32 s16, 0
	s_branch .LBB38_19
.LBB38_18:                              ;   in Loop: Header=BB38_19 Depth=2
	s_or_b64 exec, exec, s[14:15]
	s_add_i32 s17, s16, 1
	s_cmp_gt_u32 s16, 14
	s_cselect_b64 s[2:3], -1, 0
	s_xor_b64 s[14:15], vcc, -1
	s_or_b64 s[2:3], s[14:15], s[2:3]
	s_add_i32 s9, s9, 32
	s_and_b64 s[2:3], exec, s[2:3]
	v_add_u32_e32 v6, 4, v6
	s_or_b64 s[12:13], s[2:3], s[12:13]
	s_mov_b32 s16, s17
	s_andn2_b64 exec, exec, s[12:13]
	s_cbranch_execz .LBB38_4
.LBB38_19:                              ;   Parent Loop BB38_5 Depth=1
                                        ; =>  This Inner Loop Header: Depth=2
	s_and_b32 s2, s16, 3
	s_and_b32 s3, s9, 0x180
	s_or_b32 s2, s2, s3
	v_or_b32_e32 v7, s2, v20
	s_waitcnt vmcnt(0)
	v_cmp_ne_u32_e32 vcc, v3, v7
	v_cmp_eq_u32_e64 s[2:3], v3, v7
	s_and_saveexec_b64 s[14:15], s[2:3]
	s_cbranch_execz .LBB38_18
; %bb.20:                               ;   in Loop: Header=BB38_19 Depth=2
	scratch_load_dword v7, v6, off
	s_waitcnt vmcnt(0)
	v_add_f32_e32 v13, v13, v7
	global_store_dword v[8:9], v3, off offset:12
	s_branch .LBB38_18
.LBB38_21:
	s_and_b32 s14, s33, 3
	s_cmp_eq_u32 s14, 0
	s_mov_b32 s9, 0
	s_cbranch_scc1 .LBB38_28
; %bb.22:
	s_mov_b32 s15, s9
	s_branch .LBB38_24
.LBB38_23:                              ;   in Loop: Header=BB38_24 Depth=1
	s_or_b64 exec, exec, s[10:11]
	s_add_i32 s8, s8, 1
	s_add_i32 s15, s15, 1
	s_cmp_lg_u32 s15, s14
	s_cbranch_scc0 .LBB38_28
.LBB38_24:                              ; =>This Loop Header: Depth=1
                                        ;     Child Loop BB38_26 Depth 2
	v_lshl_add_u64 v[6:7], s[8:9], 2, v[0:1]
	global_load_dword v3, v[6:7], off
	v_add_u32_e32 v6, s8, v4
	v_ashrrev_i32_e32 v7, 31, v6
	s_waitcnt lgkmcnt(0)
	v_lshl_add_u64 v[6:7], v[6:7], 2, s[6:7]
	v_mov_b32_e32 v5, 0
	s_mov_b32 s16, 0
	s_mov_b64 s[10:11], 0
	s_mov_b32 s17, 0
	s_branch .LBB38_26
.LBB38_25:                              ;   in Loop: Header=BB38_26 Depth=2
	s_or_b64 exec, exec, s[12:13]
	s_add_i32 s18, s17, 1
	s_cmp_gt_u32 s17, 14
	s_cselect_b64 s[2:3], -1, 0
	s_xor_b64 s[12:13], vcc, -1
	s_or_b64 s[2:3], s[12:13], s[2:3]
	s_add_i32 s16, s16, 32
	s_and_b64 s[2:3], exec, s[2:3]
	v_add_u32_e32 v5, 4, v5
	s_or_b64 s[10:11], s[2:3], s[10:11]
	s_mov_b32 s17, s18
	s_andn2_b64 exec, exec, s[10:11]
	s_cbranch_execz .LBB38_23
.LBB38_26:                              ;   Parent Loop BB38_24 Depth=1
                                        ; =>  This Inner Loop Header: Depth=2
	s_and_b32 s2, s17, 3
	s_and_b32 s3, s16, 0x180
	s_or_b32 s2, s2, s3
	v_or_b32_e32 v8, s2, v20
	s_waitcnt vmcnt(0)
	v_cmp_ne_u32_e32 vcc, v3, v8
	v_cmp_eq_u32_e64 s[2:3], v3, v8
	s_and_saveexec_b64 s[12:13], s[2:3]
	s_cbranch_execz .LBB38_25
; %bb.27:                               ;   in Loop: Header=BB38_26 Depth=2
	scratch_load_dword v8, v5, off
	s_waitcnt vmcnt(0)
	v_add_f32_e32 v13, v13, v8
	global_store_dword v[6:7], v3, off
	s_branch .LBB38_25
.LBB38_28:
	s_waitcnt lgkmcnt(0)
	s_load_dword s6, s[0:1], 0x3c
	v_add_u32_e32 v4, 16, v12
	v_add_u32_e32 v5, 32, v12
	;; [unrolled: 1-line block ×3, first 2 shown]
	s_waitcnt lgkmcnt(0)
	s_bitcmp1_b32 s6, 0
	s_cselect_b64 s[2:3], -1, 0
	s_bitcmp0_b32 s6, 0
	s_cbranch_scc0 .LBB38_31
; %bb.29:
	s_load_dwordx2 s[6:7], s[0:1], 0x40
	s_andn2_b64 vcc, exec, s[2:3]
	s_waitcnt lgkmcnt(0)
	v_cvt_f32_f64_e32 v7, s[6:7]
	s_cbranch_vccz .LBB38_32
.LBB38_30:
	s_andn2_b64 vcc, exec, s[4:5]
	s_cbranch_vccz .LBB38_33
	s_branch .LBB38_67
.LBB38_31:
	v_mbcnt_lo_u32_b32 v3, -1, 0
	v_mbcnt_hi_u32_b32 v3, -1, v3
	v_and_b32_e32 v7, 0x60, v3
	v_add_u32_e32 v7, 32, v7
	v_xor_b32_e32 v8, 16, v3
	v_cmp_lt_i32_e32 vcc, v8, v7
	v_xor_b32_e32 v9, 8, v3
	v_xor_b32_e32 v10, 4, v3
	v_cndmask_b32_e32 v8, v3, v8, vcc
	v_lshlrev_b32_e32 v8, 2, v8
	ds_bpermute_b32 v8, v8, v13
	v_cmp_lt_i32_e32 vcc, v9, v7
	s_waitcnt lgkmcnt(0)
	v_add_f32_e32 v8, v13, v8
	v_cndmask_b32_e32 v9, v3, v9, vcc
	v_lshlrev_b32_e32 v9, 2, v9
	ds_bpermute_b32 v9, v9, v8
	v_cmp_lt_i32_e32 vcc, v10, v7
	s_waitcnt lgkmcnt(0)
	v_add_f32_e32 v8, v8, v9
	v_cndmask_b32_e32 v9, v3, v10, vcc
	v_lshlrev_b32_e32 v9, 2, v9
	ds_bpermute_b32 v9, v9, v8
	v_xor_b32_e32 v10, 2, v3
	v_cmp_lt_i32_e32 vcc, v10, v7
	s_waitcnt lgkmcnt(0)
	v_add_f32_e32 v8, v8, v9
	v_cndmask_b32_e32 v9, v3, v10, vcc
	v_lshlrev_b32_e32 v9, 2, v9
	ds_bpermute_b32 v9, v9, v8
	v_xor_b32_e32 v10, 1, v3
	v_cmp_lt_i32_e32 vcc, v10, v7
	s_waitcnt lgkmcnt(0)
	v_add_f32_e32 v8, v8, v9
	v_cndmask_b32_e32 v3, v3, v10, vcc
	v_lshlrev_b32_e32 v3, 2, v3
	ds_bpermute_b32 v3, v3, v8
	s_waitcnt lgkmcnt(0)
	v_add_f32_e32 v13, v8, v3
	s_load_dwordx2 s[6:7], s[0:1], 0x40
	s_andn2_b64 vcc, exec, s[2:3]
	s_waitcnt lgkmcnt(0)
	v_cvt_f32_f64_e32 v7, s[6:7]
	s_cbranch_vccnz .LBB38_30
.LBB38_32:
	v_cmp_lt_f32_e32 vcc, 0, v13
	s_nop 1
	v_cndmask_b32_e32 v3, 1.0, v13, vcc
	v_div_scale_f32 v8, s[2:3], v3, v3, v7
	v_rcp_f32_e32 v9, v8
	s_nop 0
	v_fma_f32 v10, -v8, v9, 1.0
	v_fmac_f32_e32 v9, v10, v9
	v_div_scale_f32 v10, vcc, v7, v3, v7
	v_mul_f32_e32 v11, v10, v9
	v_fma_f32 v12, -v8, v11, v10
	v_fmac_f32_e32 v11, v12, v9
	v_fma_f32 v8, -v8, v11, v10
	v_div_fmas_f32 v8, v8, v9, v11
	v_div_fixup_f32 v7, v8, v3, v7
	s_andn2_b64 vcc, exec, s[4:5]
	s_cbranch_vccnz .LBB38_67
.LBB38_33:
	s_load_dwordx2 s[28:29], s[0:1], 0x10
	v_mov_b32_e32 v3, 0
	v_or_b32_e32 v8, 4, v3
	v_or_b32_e32 v9, 8, v3
	;; [unrolled: 1-line block ×3, first 2 shown]
	v_add_u32_e32 v11, 20, v3
	v_add_u32_e32 v12, 24, v3
	;; [unrolled: 1-line block ×9, first 2 shown]
	v_or_b32_e32 v21, 1, v20
	v_or_b32_e32 v22, 2, v20
	;; [unrolled: 1-line block ×15, first 2 shown]
	s_branch .LBB38_35
.LBB38_34:                              ;   in Loop: Header=BB38_35 Depth=1
	s_or_b64 exec, exec, s[0:1]
	s_add_i32 s33, s33, -1
	v_add_u32_e32 v2, 1, v2
	s_cmp_eq_u32 s33, 0
	v_lshl_add_u64 v[0:1], v[0:1], 0, 4
	s_cbranch_scc1 .LBB38_67
.LBB38_35:                              ; =>This Inner Loop Header: Depth=1
	global_load_dword v36, v[0:1], off
	v_mov_b32_e32 v3, 0
	s_waitcnt vmcnt(0)
	v_cmp_eq_u32_e32 vcc, v36, v20
	v_cmp_ne_u32_e64 s[0:1], v36, v20
	s_and_saveexec_b64 s[30:31], s[0:1]
	s_cbranch_execz .LBB38_65
; %bb.36:                               ;   in Loop: Header=BB38_35 Depth=1
	v_cmp_eq_u32_e64 s[0:1], v36, v21
	v_cmp_ne_u32_e64 s[2:3], v36, v21
	v_mov_b32_e32 v3, v8
	s_and_saveexec_b64 s[34:35], s[2:3]
	s_cbranch_execz .LBB38_64
; %bb.37:                               ;   in Loop: Header=BB38_35 Depth=1
	v_cmp_eq_u32_e64 s[2:3], v36, v22
	v_cmp_ne_u32_e64 s[4:5], v36, v22
	v_mov_b32_e32 v3, v9
	;; [unrolled: 6-line block ×14, first 2 shown]
	s_and_saveexec_b64 s[62:63], s[26:27]
	s_xor_b64 s[62:63], exec, s[62:63]
; %bb.50:                               ;   in Loop: Header=BB38_35 Depth=1
	v_cmp_eq_u32_e64 s[26:27], v36, v35
	s_andn2_b64 s[60:61], s[60:61], exec
	s_and_b64 s[26:27], s[26:27], exec
	s_or_b64 s[60:61], s[60:61], s[26:27]
	v_mov_b32_e32 v3, v19
; %bb.51:                               ;   in Loop: Header=BB38_35 Depth=1
	s_or_b64 exec, exec, s[62:63]
	s_andn2_b64 s[24:25], s[24:25], exec
	s_and_b64 s[26:27], s[60:61], exec
	s_or_b64 s[24:25], s[24:25], s[26:27]
.LBB38_52:                              ;   in Loop: Header=BB38_35 Depth=1
	s_or_b64 exec, exec, s[58:59]
	s_andn2_b64 s[22:23], s[22:23], exec
	s_and_b64 s[24:25], s[24:25], exec
	s_or_b64 s[22:23], s[22:23], s[24:25]
.LBB38_53:                              ;   in Loop: Header=BB38_35 Depth=1
	s_or_b64 exec, exec, s[56:57]
	s_andn2_b64 s[20:21], s[20:21], exec
	s_and_b64 s[22:23], s[22:23], exec
	s_or_b64 s[20:21], s[20:21], s[22:23]
.LBB38_54:                              ;   in Loop: Header=BB38_35 Depth=1
	s_or_b64 exec, exec, s[54:55]
	s_andn2_b64 s[18:19], s[18:19], exec
	s_and_b64 s[20:21], s[20:21], exec
	s_or_b64 s[18:19], s[18:19], s[20:21]
.LBB38_55:                              ;   in Loop: Header=BB38_35 Depth=1
	s_or_b64 exec, exec, s[52:53]
	s_andn2_b64 s[16:17], s[16:17], exec
	s_and_b64 s[18:19], s[18:19], exec
	s_or_b64 s[16:17], s[16:17], s[18:19]
.LBB38_56:                              ;   in Loop: Header=BB38_35 Depth=1
	s_or_b64 exec, exec, s[50:51]
	s_andn2_b64 s[14:15], s[14:15], exec
	s_and_b64 s[16:17], s[16:17], exec
	s_or_b64 s[14:15], s[14:15], s[16:17]
.LBB38_57:                              ;   in Loop: Header=BB38_35 Depth=1
	s_or_b64 exec, exec, s[48:49]
	s_andn2_b64 s[12:13], s[12:13], exec
	s_and_b64 s[14:15], s[14:15], exec
	s_or_b64 s[12:13], s[12:13], s[14:15]
.LBB38_58:                              ;   in Loop: Header=BB38_35 Depth=1
	s_or_b64 exec, exec, s[46:47]
	s_andn2_b64 s[10:11], s[10:11], exec
	s_and_b64 s[12:13], s[12:13], exec
	s_or_b64 s[10:11], s[10:11], s[12:13]
.LBB38_59:                              ;   in Loop: Header=BB38_35 Depth=1
	s_or_b64 exec, exec, s[44:45]
	s_andn2_b64 s[8:9], s[8:9], exec
	s_and_b64 s[10:11], s[10:11], exec
	s_or_b64 s[8:9], s[8:9], s[10:11]
.LBB38_60:                              ;   in Loop: Header=BB38_35 Depth=1
	s_or_b64 exec, exec, s[42:43]
	s_andn2_b64 s[6:7], s[6:7], exec
	s_and_b64 s[8:9], s[8:9], exec
	s_or_b64 s[6:7], s[6:7], s[8:9]
.LBB38_61:                              ;   in Loop: Header=BB38_35 Depth=1
	s_or_b64 exec, exec, s[40:41]
	s_andn2_b64 s[4:5], s[4:5], exec
	s_and_b64 s[6:7], s[6:7], exec
	s_or_b64 s[4:5], s[4:5], s[6:7]
.LBB38_62:                              ;   in Loop: Header=BB38_35 Depth=1
	s_or_b64 exec, exec, s[38:39]
	s_andn2_b64 s[2:3], s[2:3], exec
	s_and_b64 s[4:5], s[4:5], exec
	s_or_b64 s[2:3], s[2:3], s[4:5]
.LBB38_63:                              ;   in Loop: Header=BB38_35 Depth=1
	s_or_b64 exec, exec, s[36:37]
	s_andn2_b64 s[0:1], s[0:1], exec
	s_and_b64 s[2:3], s[2:3], exec
	s_or_b64 s[0:1], s[0:1], s[2:3]
.LBB38_64:                              ;   in Loop: Header=BB38_35 Depth=1
	s_or_b64 exec, exec, s[34:35]
	s_andn2_b64 s[2:3], vcc, exec
	s_and_b64 s[0:1], s[0:1], exec
	s_or_b64 vcc, s[2:3], s[0:1]
.LBB38_65:                              ;   in Loop: Header=BB38_35 Depth=1
	s_or_b64 exec, exec, s[30:31]
	s_and_saveexec_b64 s[0:1], vcc
	s_cbranch_execz .LBB38_34
; %bb.66:                               ;   in Loop: Header=BB38_35 Depth=1
	scratch_load_dword v36, v3, off
	v_ashrrev_i32_e32 v3, 31, v2
	s_waitcnt vmcnt(0)
	v_mul_f32_e32 v38, v7, v36
	s_waitcnt lgkmcnt(0)
	v_lshl_add_u64 v[36:37], v[2:3], 2, s[28:29]
	global_store_dword v[36:37], v38, off
	s_branch .LBB38_34
.LBB38_67:
	s_endpgm
	.section	.rodata,"a",@progbits
	.p2align	6, 0x0
	.amdhsa_kernel _ZN4vllm3moe22topkGatingSoftplusSqrtILi16ELi512ELi4ELi16ELi32ELb1EifEEvPKT6_PKbPfiPT5_PiiiibdPKfPKS8_SE_
		.amdhsa_group_segment_fixed_size 0
		.amdhsa_private_segment_fixed_size 80
		.amdhsa_kernarg_size 96
		.amdhsa_user_sgpr_count 2
		.amdhsa_user_sgpr_dispatch_ptr 0
		.amdhsa_user_sgpr_queue_ptr 0
		.amdhsa_user_sgpr_kernarg_segment_ptr 1
		.amdhsa_user_sgpr_dispatch_id 0
		.amdhsa_user_sgpr_kernarg_preload_length 0
		.amdhsa_user_sgpr_kernarg_preload_offset 0
		.amdhsa_user_sgpr_private_segment_size 0
		.amdhsa_uses_dynamic_stack 0
		.amdhsa_enable_private_segment 1
		.amdhsa_system_sgpr_workgroup_id_x 1
		.amdhsa_system_sgpr_workgroup_id_y 0
		.amdhsa_system_sgpr_workgroup_id_z 0
		.amdhsa_system_sgpr_workgroup_info 0
		.amdhsa_system_vgpr_workitem_id 1
		.amdhsa_next_free_vgpr 40
		.amdhsa_next_free_sgpr 64
		.amdhsa_accum_offset 40
		.amdhsa_reserve_vcc 1
		.amdhsa_float_round_mode_32 0
		.amdhsa_float_round_mode_16_64 0
		.amdhsa_float_denorm_mode_32 3
		.amdhsa_float_denorm_mode_16_64 3
		.amdhsa_dx10_clamp 1
		.amdhsa_ieee_mode 1
		.amdhsa_fp16_overflow 0
		.amdhsa_tg_split 0
		.amdhsa_exception_fp_ieee_invalid_op 0
		.amdhsa_exception_fp_denorm_src 0
		.amdhsa_exception_fp_ieee_div_zero 0
		.amdhsa_exception_fp_ieee_overflow 0
		.amdhsa_exception_fp_ieee_underflow 0
		.amdhsa_exception_fp_ieee_inexact 0
		.amdhsa_exception_int_div_zero 0
	.end_amdhsa_kernel
	.section	.text._ZN4vllm3moe22topkGatingSoftplusSqrtILi16ELi512ELi4ELi16ELi32ELb1EifEEvPKT6_PKbPfiPT5_PiiiibdPKfPKS8_SE_,"axG",@progbits,_ZN4vllm3moe22topkGatingSoftplusSqrtILi16ELi512ELi4ELi16ELi32ELb1EifEEvPKT6_PKbPfiPT5_PiiiibdPKfPKS8_SE_,comdat
.Lfunc_end38:
	.size	_ZN4vllm3moe22topkGatingSoftplusSqrtILi16ELi512ELi4ELi16ELi32ELb1EifEEvPKT6_PKbPfiPT5_PiiiibdPKfPKS8_SE_, .Lfunc_end38-_ZN4vllm3moe22topkGatingSoftplusSqrtILi16ELi512ELi4ELi16ELi32ELb1EifEEvPKT6_PKbPfiPT5_PiiiibdPKfPKS8_SE_
                                        ; -- End function
	.section	.AMDGPU.csdata,"",@progbits
; Kernel info:
; codeLenInByte = 6088
; NumSgprs: 70
; NumVgprs: 40
; NumAgprs: 0
; TotalNumVgprs: 40
; ScratchSize: 80
; MemoryBound: 0
; FloatMode: 240
; IeeeMode: 1
; LDSByteSize: 0 bytes/workgroup (compile time only)
; SGPRBlocks: 8
; VGPRBlocks: 4
; NumSGPRsForWavesPerEU: 70
; NumVGPRsForWavesPerEU: 40
; AccumOffset: 40
; Occupancy: 8
; WaveLimiterHint : 1
; COMPUTE_PGM_RSRC2:SCRATCH_EN: 1
; COMPUTE_PGM_RSRC2:USER_SGPR: 2
; COMPUTE_PGM_RSRC2:TRAP_HANDLER: 0
; COMPUTE_PGM_RSRC2:TGID_X_EN: 1
; COMPUTE_PGM_RSRC2:TGID_Y_EN: 0
; COMPUTE_PGM_RSRC2:TGID_Z_EN: 0
; COMPUTE_PGM_RSRC2:TIDIG_COMP_CNT: 1
; COMPUTE_PGM_RSRC3_GFX90A:ACCUM_OFFSET: 9
; COMPUTE_PGM_RSRC3_GFX90A:TG_SPLIT: 0
	.section	.text._ZN4vllm3moe22topkGatingSoftplusSqrtILi16ELi512ELi4ELi16ELi32ELb0EifEEvPKT6_PKbPfiPT5_PiiiibdPKfPKS8_SE_,"axG",@progbits,_ZN4vllm3moe22topkGatingSoftplusSqrtILi16ELi512ELi4ELi16ELi32ELb0EifEEvPKT6_PKbPfiPT5_PiiiibdPKfPKS8_SE_,comdat
	.protected	_ZN4vllm3moe22topkGatingSoftplusSqrtILi16ELi512ELi4ELi16ELi32ELb0EifEEvPKT6_PKbPfiPT5_PiiiibdPKfPKS8_SE_ ; -- Begin function _ZN4vllm3moe22topkGatingSoftplusSqrtILi16ELi512ELi4ELi16ELi32ELb0EifEEvPKT6_PKbPfiPT5_PiiiibdPKfPKS8_SE_
	.globl	_ZN4vllm3moe22topkGatingSoftplusSqrtILi16ELi512ELi4ELi16ELi32ELb0EifEEvPKT6_PKbPfiPT5_PiiiibdPKfPKS8_SE_
	.p2align	8
	.type	_ZN4vllm3moe22topkGatingSoftplusSqrtILi16ELi512ELi4ELi16ELi32ELb0EifEEvPKT6_PKbPfiPT5_PiiiibdPKfPKS8_SE_,@function
_ZN4vllm3moe22topkGatingSoftplusSqrtILi16ELi512ELi4ELi16ELi32ELb0EifEEvPKT6_PKbPfiPT5_PiiiibdPKfPKS8_SE_: ; @_ZN4vllm3moe22topkGatingSoftplusSqrtILi16ELi512ELi4ELi16ELi32ELb0EifEEvPKT6_PKbPfiPT5_PiiiibdPKfPKS8_SE_
; %bb.0:
	s_load_dword s30, s[0:1], 0x18
	v_and_b32_e32 v2, 0x3ff, v0
	s_lshl_b32 s2, s2, 2
	v_lshrrev_b32_e32 v1, 5, v2
	v_bfe_u32 v0, v0, 10, 10
	v_add3_u32 v0, s2, v0, v1
	s_waitcnt lgkmcnt(0)
	v_cmp_gt_i32_e32 vcc, s30, v0
	s_and_saveexec_b64 s[2:3], vcc
	s_cbranch_execz .LBB39_79
; %bb.1:
	s_load_dwordx4 s[4:7], s[0:1], 0x0
	s_load_dwordx2 s[20:21], s[0:1], 0x10
	s_waitcnt lgkmcnt(0)
	s_cmp_eq_u64 s[6:7], 0
	s_cbranch_scc1 .LBB39_3
; %bb.2:
	v_ashrrev_i32_e32 v1, 31, v0
	v_lshl_add_u64 v[4:5], s[6:7], 0, v[0:1]
	global_load_ubyte v1, v[4:5], off
	s_waitcnt vmcnt(0)
	v_and_b32_e32 v1, 1, v1
	v_cmp_eq_u32_e32 vcc, 1, v1
	s_xor_b64 s[2:3], vcc, -1
	s_orn2_b64 s[22:23], s[2:3], exec
	s_branch .LBB39_4
.LBB39_3:
	s_mov_b64 s[22:23], -1
.LBB39_4:
	v_lshlrev_b32_e32 v6, 9, v0
	v_mov_b32_e32 v4, s4
	v_mov_b32_e32 v5, s5
	v_ashrrev_i32_e32 v7, 31, v6
	v_and_b32_e32 v1, 31, v2
	v_lshl_add_u64 v[4:5], v[6:7], 2, v[4:5]
	v_mov_b32_e32 v3, 0
	v_lshlrev_b32_e32 v2, 4, v1
	v_lshl_add_u64 v[6:7], v[4:5], 0, v[2:3]
	global_load_dwordx4 v[2:5], v[6:7], off
	global_load_dwordx4 v[8:11], v[6:7], off offset:512
	s_mov_b32 s16, 0x800000
	s_mov_b32 s13, 0x3f317217
	;; [unrolled: 1-line block ×5, first 2 shown]
	s_load_dwordx4 s[8:11], s[0:1], 0x40
	s_waitcnt lgkmcnt(0)
	s_cmp_lg_u64 s[10:11], 0
	s_cselect_b64 s[6:7], -1, 0
	s_and_b64 s[2:3], exec, s[6:7]
	s_waitcnt vmcnt(1)
	scratch_store_dwordx4 off, v[2:5], off
	scratch_load_dword v20, off, off
	global_load_dwordx4 v[12:15], v[6:7], off offset:1024
	global_load_dwordx4 v[16:19], v[6:7], off offset:1536
	v_mov_b32_e32 v5, 0x4f800000
	v_mov_b32_e32 v6, 0x41b17218
	;; [unrolled: 1-line block ×3, first 2 shown]
	v_lshlrev_b32_e32 v4, 2, v1
	s_waitcnt vmcnt(4)
	scratch_store_dwordx4 off, v[8:11], off offset:16
	s_waitcnt vmcnt(2)
	scratch_store_dwordx4 off, v[12:15], off offset:32
	;; [unrolled: 2-line block ×3, first 2 shown]
	v_mul_f32_e32 v2, 0x3fb8aa3b, v20
	v_exp_f32_e32 v7, v2
	v_lshlrev_b32_e32 v2, 2, v4
	v_add_f32_e32 v7, 1.0, v7
	v_cmp_gt_f32_e32 vcc, s16, v7
	s_nop 1
	v_cndmask_b32_e32 v21, 1.0, v5, vcc
	v_mul_f32_e32 v7, v7, v21
	v_log_f32_e32 v7, v7
	v_cndmask_b32_e32 v21, 0, v6, vcc
	v_mul_f32_e32 v22, 0x3f317217, v7
	v_fma_f32 v22, v7, s13, -v22
	v_fmac_f32_e32 v22, 0x3377d1cf, v7
	v_fmac_f32_e32 v22, 0x3f317217, v7
	v_cmp_lt_f32_e64 vcc, |v7|, s14
	s_nop 1
	v_cndmask_b32_e32 v7, v7, v22, vcc
	v_sub_f32_e32 v7, v7, v21
	v_cmp_lt_f32_e32 vcc, s12, v20
	s_nop 1
	v_cndmask_b32_e32 v7, v7, v20, vcc
	v_mul_f32_e32 v20, 0x4f800000, v7
	v_cmp_gt_f32_e32 vcc, s15, v7
	s_nop 1
	v_cndmask_b32_e32 v7, v7, v20, vcc
	v_sqrt_f32_e32 v20, v7
	s_nop 0
	v_add_u32_e32 v8, -1, v20
	v_add_u32_e32 v9, 1, v20
	v_fma_f32 v10, -v8, v20, v7
	v_fma_f32 v11, -v9, v20, v7
	v_cmp_ge_f32_e64 s[4:5], 0, v10
	s_nop 1
	v_cndmask_b32_e64 v8, v20, v8, s[4:5]
	v_cmp_lt_f32_e64 s[4:5], 0, v11
	s_nop 1
	v_cndmask_b32_e64 v8, v8, v9, s[4:5]
	v_mul_f32_e32 v9, 0x37800000, v8
	v_cndmask_b32_e32 v8, v8, v9, vcc
	v_cmp_class_f32_e32 vcc, v7, v3
	s_nop 1
	v_cndmask_b32_e32 v7, v8, v7, vcc
	s_mov_b64 vcc, s[2:3]
	s_cbranch_vccz .LBB39_6
; %bb.5:
	global_load_dword v8, v2, s[10:11]
	s_waitcnt vmcnt(0)
	v_add_f32_e32 v7, v7, v8
.LBB39_6:
	scratch_load_dword v8, off, off offset:4
	s_waitcnt vmcnt(0)
	v_mul_f32_e32 v9, 0x3fb8aa3b, v8
	v_exp_f32_e32 v9, v9
	scratch_store_dword off, v7, off
	v_add_f32_e32 v9, 1.0, v9
	v_cmp_gt_f32_e32 vcc, s16, v9
	s_nop 1
	v_cndmask_b32_e32 v5, 1.0, v5, vcc
	v_mul_f32_e32 v5, v9, v5
	v_log_f32_e32 v5, v5
	v_cndmask_b32_e32 v6, 0, v6, vcc
	v_mul_f32_e32 v7, 0x3f317217, v5
	v_fma_f32 v7, v5, s13, -v7
	v_fmac_f32_e32 v7, 0x3377d1cf, v5
	v_fmac_f32_e32 v7, 0x3f317217, v5
	v_cmp_lt_f32_e64 vcc, |v5|, s14
	s_nop 1
	v_cndmask_b32_e32 v5, v5, v7, vcc
	v_sub_f32_e32 v5, v5, v6
	v_cmp_lt_f32_e32 vcc, s12, v8
	v_cndmask_b32_e64 v7, 0, 1, s[6:7]
	v_cmp_ne_u32_e64 s[2:3], 1, v7
	v_cndmask_b32_e32 v5, v5, v8, vcc
	v_mul_f32_e32 v6, 0x4f800000, v5
	v_cmp_gt_f32_e64 s[4:5], s15, v5
	s_andn2_b64 vcc, exec, s[6:7]
	s_nop 0
	v_cndmask_b32_e64 v5, v5, v6, s[4:5]
	v_sqrt_f32_e32 v6, v5
	s_nop 0
	v_add_u32_e32 v7, -1, v6
	v_add_u32_e32 v8, 1, v6
	v_fma_f32 v9, -v7, v6, v5
	v_fma_f32 v10, -v8, v6, v5
	v_cmp_ge_f32_e64 s[6:7], 0, v9
	s_nop 1
	v_cndmask_b32_e64 v6, v6, v7, s[6:7]
	v_cmp_lt_f32_e64 s[6:7], 0, v10
	s_nop 1
	v_cndmask_b32_e64 v6, v6, v8, s[6:7]
	v_mul_f32_e32 v7, 0x37800000, v6
	v_cndmask_b32_e64 v6, v6, v7, s[4:5]
	v_cmp_class_f32_e64 s[4:5], v5, v3
	s_nop 1
	v_cndmask_b32_e64 v5, v6, v5, s[4:5]
	s_cbranch_vccnz .LBB39_8
; %bb.7:
	global_load_dword v3, v2, s[10:11] offset:4
	s_waitcnt vmcnt(0)
	v_add_f32_e32 v5, v5, v3
.LBB39_8:
	scratch_load_dword v7, off, off offset:8
	s_mov_b32 s15, 0x800000
	s_mov_b32 s16, 0xf800000
	scratch_store_dword off, v5, off offset:4
	v_mov_b32_e32 v5, 0x260
	s_waitcnt vmcnt(1)
	v_mul_f32_e32 v3, 0x3fb8aa3b, v7
	v_exp_f32_e32 v6, v3
	v_mov_b32_e32 v3, 0x4f800000
	v_add_f32_e32 v6, 1.0, v6
	v_cmp_gt_f32_e32 vcc, s15, v6
	s_nop 1
	v_cndmask_b32_e32 v8, 1.0, v3, vcc
	v_mul_f32_e32 v6, v6, v8
	v_log_f32_e32 v8, v6
	v_mov_b32_e32 v6, 0x41b17218
	v_cndmask_b32_e32 v9, 0, v6, vcc
	v_mul_f32_e32 v10, 0x3f317217, v8
	v_fma_f32 v10, v8, s13, -v10
	v_fmac_f32_e32 v10, 0x3377d1cf, v8
	v_fmac_f32_e32 v10, 0x3f317217, v8
	v_cmp_lt_f32_e64 vcc, |v8|, s14
	s_nop 1
	v_cndmask_b32_e32 v8, v8, v10, vcc
	v_sub_f32_e32 v8, v8, v9
	v_cmp_lt_f32_e32 vcc, s12, v7
	s_nop 1
	v_cndmask_b32_e32 v7, v8, v7, vcc
	v_mul_f32_e32 v8, 0x4f800000, v7
	v_cmp_gt_f32_e64 s[4:5], s16, v7
	s_and_b64 vcc, exec, s[2:3]
	s_nop 0
	v_cndmask_b32_e64 v7, v7, v8, s[4:5]
	v_sqrt_f32_e32 v8, v7
	s_nop 0
	v_add_u32_e32 v9, -1, v8
	v_add_u32_e32 v10, 1, v8
	v_fma_f32 v11, -v9, v8, v7
	v_fma_f32 v12, -v10, v8, v7
	v_cmp_ge_f32_e64 s[6:7], 0, v11
	s_nop 1
	v_cndmask_b32_e64 v8, v8, v9, s[6:7]
	v_cmp_lt_f32_e64 s[6:7], 0, v12
	s_nop 1
	v_cndmask_b32_e64 v8, v8, v10, s[6:7]
	v_mul_f32_e32 v9, 0x37800000, v8
	v_cndmask_b32_e64 v8, v8, v9, s[4:5]
	v_cmp_class_f32_e64 s[4:5], v7, v5
	s_nop 1
	v_cndmask_b32_e64 v7, v8, v7, s[4:5]
	s_cbranch_vccnz .LBB39_10
; %bb.9:
	global_load_dword v8, v2, s[10:11] offset:8
	s_waitcnt vmcnt(0)
	v_add_f32_e32 v7, v7, v8
.LBB39_10:
	scratch_load_dword v8, off, off offset:12
	s_waitcnt vmcnt(0)
	v_mul_f32_e32 v9, 0x3fb8aa3b, v8
	v_exp_f32_e32 v9, v9
	scratch_store_dword off, v7, off offset:8
	v_add_f32_e32 v9, 1.0, v9
	v_cmp_gt_f32_e32 vcc, s15, v9
	s_nop 1
	v_cndmask_b32_e32 v3, 1.0, v3, vcc
	v_mul_f32_e32 v3, v9, v3
	v_log_f32_e32 v3, v3
	v_cndmask_b32_e32 v6, 0, v6, vcc
	v_mul_f32_e32 v9, 0x3f317217, v3
	v_fma_f32 v9, v3, s13, -v9
	v_fmac_f32_e32 v9, 0x3377d1cf, v3
	v_fmac_f32_e32 v9, 0x3f317217, v3
	v_cmp_lt_f32_e64 vcc, |v3|, s14
	s_nop 1
	v_cndmask_b32_e32 v3, v3, v9, vcc
	v_sub_f32_e32 v3, v3, v6
	v_cmp_lt_f32_e32 vcc, s12, v8
	s_nop 1
	v_cndmask_b32_e32 v3, v3, v8, vcc
	v_mul_f32_e32 v6, 0x4f800000, v3
	v_cmp_gt_f32_e64 s[4:5], s16, v3
	s_and_b64 vcc, exec, s[2:3]
	s_nop 0
	v_cndmask_b32_e64 v3, v3, v6, s[4:5]
	v_sqrt_f32_e32 v6, v3
	s_nop 0
	v_add_u32_e32 v7, -1, v6
	v_add_u32_e32 v8, 1, v6
	v_fma_f32 v9, -v7, v6, v3
	v_fma_f32 v10, -v8, v6, v3
	v_cmp_ge_f32_e64 s[6:7], 0, v9
	s_nop 1
	v_cndmask_b32_e64 v6, v6, v7, s[6:7]
	v_cmp_lt_f32_e64 s[6:7], 0, v10
	s_nop 1
	v_cndmask_b32_e64 v6, v6, v8, s[6:7]
	v_mul_f32_e32 v7, 0x37800000, v6
	v_cndmask_b32_e64 v6, v6, v7, s[4:5]
	v_cmp_class_f32_e64 s[4:5], v3, v5
	s_nop 1
	v_cndmask_b32_e64 v5, v6, v3, s[4:5]
	s_cbranch_vccnz .LBB39_12
; %bb.11:
	global_load_dword v3, v2, s[10:11] offset:12
	s_waitcnt vmcnt(0)
	v_add_f32_e32 v5, v5, v3
.LBB39_12:
	scratch_load_dword v7, off, off offset:16
	s_waitcnt vmcnt(0)
	v_mul_f32_e32 v3, 0x3fb8aa3b, v7
	v_exp_f32_e32 v6, v3
	v_mov_b32_e32 v3, 0x4f800000
	scratch_store_dword off, v5, off offset:12
	v_mov_b32_e32 v5, 0x260
	v_add_f32_e32 v6, 1.0, v6
	v_cmp_gt_f32_e32 vcc, s15, v6
	s_nop 1
	v_cndmask_b32_e32 v8, 1.0, v3, vcc
	v_mul_f32_e32 v6, v6, v8
	v_log_f32_e32 v8, v6
	v_mov_b32_e32 v6, 0x41b17218
	v_cndmask_b32_e32 v9, 0, v6, vcc
	v_mul_f32_e32 v10, 0x3f317217, v8
	v_fma_f32 v10, v8, s13, -v10
	v_fmac_f32_e32 v10, 0x3377d1cf, v8
	v_fmac_f32_e32 v10, 0x3f317217, v8
	v_cmp_lt_f32_e64 vcc, |v8|, s14
	s_nop 1
	v_cndmask_b32_e32 v8, v8, v10, vcc
	v_sub_f32_e32 v8, v8, v9
	v_cmp_lt_f32_e32 vcc, s12, v7
	s_nop 1
	v_cndmask_b32_e32 v7, v8, v7, vcc
	v_mul_f32_e32 v8, 0x4f800000, v7
	v_cmp_gt_f32_e64 s[4:5], s16, v7
	s_and_b64 vcc, exec, s[2:3]
	s_nop 0
	v_cndmask_b32_e64 v7, v7, v8, s[4:5]
	v_sqrt_f32_e32 v8, v7
	s_nop 0
	v_add_u32_e32 v9, -1, v8
	v_add_u32_e32 v10, 1, v8
	v_fma_f32 v11, -v9, v8, v7
	v_fma_f32 v12, -v10, v8, v7
	v_cmp_ge_f32_e64 s[6:7], 0, v11
	s_nop 1
	v_cndmask_b32_e64 v8, v8, v9, s[6:7]
	v_cmp_lt_f32_e64 s[6:7], 0, v12
	s_nop 1
	v_cndmask_b32_e64 v8, v8, v10, s[6:7]
	v_mul_f32_e32 v9, 0x37800000, v8
	v_cndmask_b32_e64 v8, v8, v9, s[4:5]
	v_cmp_class_f32_e64 s[4:5], v7, v5
	s_nop 1
	v_cndmask_b32_e64 v7, v8, v7, s[4:5]
	s_cbranch_vccnz .LBB39_14
; %bb.13:
	global_load_dword v8, v2, s[10:11] offset:512
	s_waitcnt vmcnt(0)
	v_add_f32_e32 v7, v7, v8
.LBB39_14:
	scratch_load_dword v8, off, off offset:20
	s_waitcnt vmcnt(0)
	v_mul_f32_e32 v9, 0x3fb8aa3b, v8
	v_exp_f32_e32 v9, v9
	scratch_store_dword off, v7, off offset:16
	v_add_f32_e32 v9, 1.0, v9
	v_cmp_gt_f32_e32 vcc, s15, v9
	s_nop 1
	v_cndmask_b32_e32 v3, 1.0, v3, vcc
	v_mul_f32_e32 v3, v9, v3
	v_log_f32_e32 v3, v3
	v_cndmask_b32_e32 v6, 0, v6, vcc
	v_mul_f32_e32 v9, 0x3f317217, v3
	v_fma_f32 v9, v3, s13, -v9
	v_fmac_f32_e32 v9, 0x3377d1cf, v3
	v_fmac_f32_e32 v9, 0x3f317217, v3
	v_cmp_lt_f32_e64 vcc, |v3|, s14
	s_nop 1
	v_cndmask_b32_e32 v3, v3, v9, vcc
	v_sub_f32_e32 v3, v3, v6
	v_cmp_lt_f32_e32 vcc, s12, v8
	s_nop 1
	v_cndmask_b32_e32 v3, v3, v8, vcc
	v_mul_f32_e32 v6, 0x4f800000, v3
	v_cmp_gt_f32_e64 s[4:5], s16, v3
	s_and_b64 vcc, exec, s[2:3]
	s_nop 0
	v_cndmask_b32_e64 v3, v3, v6, s[4:5]
	v_sqrt_f32_e32 v6, v3
	s_nop 0
	v_add_u32_e32 v7, -1, v6
	v_add_u32_e32 v8, 1, v6
	v_fma_f32 v9, -v7, v6, v3
	v_fma_f32 v10, -v8, v6, v3
	v_cmp_ge_f32_e64 s[6:7], 0, v9
	s_nop 1
	v_cndmask_b32_e64 v6, v6, v7, s[6:7]
	v_cmp_lt_f32_e64 s[6:7], 0, v10
	s_nop 1
	v_cndmask_b32_e64 v6, v6, v8, s[6:7]
	v_mul_f32_e32 v7, 0x37800000, v6
	v_cndmask_b32_e64 v6, v6, v7, s[4:5]
	v_cmp_class_f32_e64 s[4:5], v3, v5
	s_nop 1
	v_cndmask_b32_e64 v5, v6, v3, s[4:5]
	s_cbranch_vccnz .LBB39_16
; %bb.15:
	global_load_dword v3, v2, s[10:11] offset:516
	s_waitcnt vmcnt(0)
	v_add_f32_e32 v5, v5, v3
.LBB39_16:
	scratch_load_dword v7, off, off offset:24
	s_waitcnt vmcnt(0)
	v_mul_f32_e32 v3, 0x3fb8aa3b, v7
	v_exp_f32_e32 v6, v3
	v_mov_b32_e32 v3, 0x4f800000
	scratch_store_dword off, v5, off offset:20
	v_mov_b32_e32 v5, 0x260
	v_add_f32_e32 v6, 1.0, v6
	v_cmp_gt_f32_e32 vcc, s15, v6
	s_nop 1
	v_cndmask_b32_e32 v8, 1.0, v3, vcc
	v_mul_f32_e32 v6, v6, v8
	v_log_f32_e32 v8, v6
	v_mov_b32_e32 v6, 0x41b17218
	v_cndmask_b32_e32 v9, 0, v6, vcc
	v_mul_f32_e32 v10, 0x3f317217, v8
	v_fma_f32 v10, v8, s13, -v10
	v_fmac_f32_e32 v10, 0x3377d1cf, v8
	v_fmac_f32_e32 v10, 0x3f317217, v8
	v_cmp_lt_f32_e64 vcc, |v8|, s14
	s_nop 1
	v_cndmask_b32_e32 v8, v8, v10, vcc
	v_sub_f32_e32 v8, v8, v9
	v_cmp_lt_f32_e32 vcc, s12, v7
	s_nop 1
	v_cndmask_b32_e32 v7, v8, v7, vcc
	v_mul_f32_e32 v8, 0x4f800000, v7
	v_cmp_gt_f32_e64 s[4:5], s16, v7
	s_and_b64 vcc, exec, s[2:3]
	s_nop 0
	v_cndmask_b32_e64 v7, v7, v8, s[4:5]
	v_sqrt_f32_e32 v8, v7
	s_nop 0
	v_add_u32_e32 v9, -1, v8
	v_add_u32_e32 v10, 1, v8
	v_fma_f32 v11, -v9, v8, v7
	v_fma_f32 v12, -v10, v8, v7
	v_cmp_ge_f32_e64 s[6:7], 0, v11
	s_nop 1
	v_cndmask_b32_e64 v8, v8, v9, s[6:7]
	v_cmp_lt_f32_e64 s[6:7], 0, v12
	s_nop 1
	v_cndmask_b32_e64 v8, v8, v10, s[6:7]
	v_mul_f32_e32 v9, 0x37800000, v8
	v_cndmask_b32_e64 v8, v8, v9, s[4:5]
	v_cmp_class_f32_e64 s[4:5], v7, v5
	s_nop 1
	v_cndmask_b32_e64 v7, v8, v7, s[4:5]
	s_cbranch_vccnz .LBB39_18
; %bb.17:
	global_load_dword v8, v2, s[10:11] offset:520
	s_waitcnt vmcnt(0)
	v_add_f32_e32 v7, v7, v8
.LBB39_18:
	scratch_load_dword v8, off, off offset:28
	s_waitcnt vmcnt(0)
	v_mul_f32_e32 v9, 0x3fb8aa3b, v8
	v_exp_f32_e32 v9, v9
	scratch_store_dword off, v7, off offset:24
	v_add_f32_e32 v9, 1.0, v9
	v_cmp_gt_f32_e32 vcc, s15, v9
	s_nop 1
	v_cndmask_b32_e32 v3, 1.0, v3, vcc
	v_mul_f32_e32 v3, v9, v3
	v_log_f32_e32 v3, v3
	v_cndmask_b32_e32 v6, 0, v6, vcc
	v_mul_f32_e32 v9, 0x3f317217, v3
	v_fma_f32 v9, v3, s13, -v9
	v_fmac_f32_e32 v9, 0x3377d1cf, v3
	v_fmac_f32_e32 v9, 0x3f317217, v3
	v_cmp_lt_f32_e64 vcc, |v3|, s14
	s_nop 1
	v_cndmask_b32_e32 v3, v3, v9, vcc
	v_sub_f32_e32 v3, v3, v6
	v_cmp_lt_f32_e32 vcc, s12, v8
	s_nop 1
	v_cndmask_b32_e32 v3, v3, v8, vcc
	v_mul_f32_e32 v6, 0x4f800000, v3
	v_cmp_gt_f32_e64 s[4:5], s16, v3
	s_and_b64 vcc, exec, s[2:3]
	s_nop 0
	v_cndmask_b32_e64 v3, v3, v6, s[4:5]
	v_sqrt_f32_e32 v6, v3
	s_nop 0
	v_add_u32_e32 v7, -1, v6
	v_add_u32_e32 v8, 1, v6
	v_fma_f32 v9, -v7, v6, v3
	v_fma_f32 v10, -v8, v6, v3
	v_cmp_ge_f32_e64 s[6:7], 0, v9
	s_nop 1
	v_cndmask_b32_e64 v6, v6, v7, s[6:7]
	v_cmp_lt_f32_e64 s[6:7], 0, v10
	s_nop 1
	v_cndmask_b32_e64 v6, v6, v8, s[6:7]
	v_mul_f32_e32 v7, 0x37800000, v6
	v_cndmask_b32_e64 v6, v6, v7, s[4:5]
	v_cmp_class_f32_e64 s[4:5], v3, v5
	s_nop 1
	v_cndmask_b32_e64 v5, v6, v3, s[4:5]
	s_cbranch_vccnz .LBB39_20
; %bb.19:
	global_load_dword v3, v2, s[10:11] offset:524
	s_waitcnt vmcnt(0)
	v_add_f32_e32 v5, v5, v3
.LBB39_20:
	scratch_load_dword v7, off, off offset:32
	s_waitcnt vmcnt(0)
	v_mul_f32_e32 v3, 0x3fb8aa3b, v7
	v_exp_f32_e32 v6, v3
	v_mov_b32_e32 v3, 0x4f800000
	scratch_store_dword off, v5, off offset:28
	v_mov_b32_e32 v5, 0x260
	v_add_f32_e32 v6, 1.0, v6
	v_cmp_gt_f32_e32 vcc, s15, v6
	s_nop 1
	v_cndmask_b32_e32 v8, 1.0, v3, vcc
	v_mul_f32_e32 v6, v6, v8
	v_log_f32_e32 v8, v6
	v_mov_b32_e32 v6, 0x41b17218
	v_cndmask_b32_e32 v9, 0, v6, vcc
	v_mul_f32_e32 v10, 0x3f317217, v8
	v_fma_f32 v10, v8, s13, -v10
	v_fmac_f32_e32 v10, 0x3377d1cf, v8
	v_fmac_f32_e32 v10, 0x3f317217, v8
	v_cmp_lt_f32_e64 vcc, |v8|, s14
	s_nop 1
	v_cndmask_b32_e32 v8, v8, v10, vcc
	v_sub_f32_e32 v8, v8, v9
	v_cmp_lt_f32_e32 vcc, s12, v7
	s_nop 1
	v_cndmask_b32_e32 v7, v8, v7, vcc
	v_mul_f32_e32 v8, 0x4f800000, v7
	v_cmp_gt_f32_e64 s[4:5], s16, v7
	s_and_b64 vcc, exec, s[2:3]
	s_nop 0
	v_cndmask_b32_e64 v7, v7, v8, s[4:5]
	v_sqrt_f32_e32 v8, v7
	s_nop 0
	v_add_u32_e32 v9, -1, v8
	v_add_u32_e32 v10, 1, v8
	v_fma_f32 v11, -v9, v8, v7
	v_fma_f32 v12, -v10, v8, v7
	v_cmp_ge_f32_e64 s[6:7], 0, v11
	s_nop 1
	v_cndmask_b32_e64 v8, v8, v9, s[6:7]
	v_cmp_lt_f32_e64 s[6:7], 0, v12
	s_nop 1
	v_cndmask_b32_e64 v8, v8, v10, s[6:7]
	v_mul_f32_e32 v9, 0x37800000, v8
	v_cndmask_b32_e64 v8, v8, v9, s[4:5]
	v_cmp_class_f32_e64 s[4:5], v7, v5
	s_nop 1
	v_cndmask_b32_e64 v7, v8, v7, s[4:5]
	s_cbranch_vccnz .LBB39_22
; %bb.21:
	global_load_dword v8, v2, s[10:11] offset:1024
	s_waitcnt vmcnt(0)
	v_add_f32_e32 v7, v7, v8
.LBB39_22:
	scratch_load_dword v8, off, off offset:36
	s_waitcnt vmcnt(0)
	v_mul_f32_e32 v9, 0x3fb8aa3b, v8
	v_exp_f32_e32 v9, v9
	scratch_store_dword off, v7, off offset:32
	v_add_f32_e32 v9, 1.0, v9
	v_cmp_gt_f32_e32 vcc, s15, v9
	s_nop 1
	v_cndmask_b32_e32 v3, 1.0, v3, vcc
	v_mul_f32_e32 v3, v9, v3
	v_log_f32_e32 v3, v3
	v_cndmask_b32_e32 v6, 0, v6, vcc
	v_mul_f32_e32 v9, 0x3f317217, v3
	v_fma_f32 v9, v3, s13, -v9
	v_fmac_f32_e32 v9, 0x3377d1cf, v3
	v_fmac_f32_e32 v9, 0x3f317217, v3
	v_cmp_lt_f32_e64 vcc, |v3|, s14
	s_nop 1
	v_cndmask_b32_e32 v3, v3, v9, vcc
	v_sub_f32_e32 v3, v3, v6
	v_cmp_lt_f32_e32 vcc, s12, v8
	s_nop 1
	v_cndmask_b32_e32 v3, v3, v8, vcc
	v_mul_f32_e32 v6, 0x4f800000, v3
	v_cmp_gt_f32_e64 s[4:5], s16, v3
	s_and_b64 vcc, exec, s[2:3]
	s_nop 0
	v_cndmask_b32_e64 v3, v3, v6, s[4:5]
	v_sqrt_f32_e32 v6, v3
	s_nop 0
	v_add_u32_e32 v7, -1, v6
	v_add_u32_e32 v8, 1, v6
	v_fma_f32 v9, -v7, v6, v3
	v_fma_f32 v10, -v8, v6, v3
	v_cmp_ge_f32_e64 s[6:7], 0, v9
	s_nop 1
	v_cndmask_b32_e64 v6, v6, v7, s[6:7]
	v_cmp_lt_f32_e64 s[6:7], 0, v10
	s_nop 1
	v_cndmask_b32_e64 v6, v6, v8, s[6:7]
	v_mul_f32_e32 v7, 0x37800000, v6
	v_cndmask_b32_e64 v6, v6, v7, s[4:5]
	v_cmp_class_f32_e64 s[4:5], v3, v5
	s_nop 1
	v_cndmask_b32_e64 v5, v6, v3, s[4:5]
	s_cbranch_vccnz .LBB39_24
; %bb.23:
	global_load_dword v3, v2, s[10:11] offset:1028
	s_waitcnt vmcnt(0)
	v_add_f32_e32 v5, v5, v3
.LBB39_24:
	scratch_load_dword v7, off, off offset:40
	s_waitcnt vmcnt(0)
	v_mul_f32_e32 v3, 0x3fb8aa3b, v7
	v_exp_f32_e32 v6, v3
	v_mov_b32_e32 v3, 0x4f800000
	scratch_store_dword off, v5, off offset:36
	v_mov_b32_e32 v5, 0x260
	v_add_f32_e32 v6, 1.0, v6
	v_cmp_gt_f32_e32 vcc, s15, v6
	s_nop 1
	v_cndmask_b32_e32 v8, 1.0, v3, vcc
	v_mul_f32_e32 v6, v6, v8
	v_log_f32_e32 v8, v6
	v_mov_b32_e32 v6, 0x41b17218
	v_cndmask_b32_e32 v9, 0, v6, vcc
	v_mul_f32_e32 v10, 0x3f317217, v8
	v_fma_f32 v10, v8, s13, -v10
	v_fmac_f32_e32 v10, 0x3377d1cf, v8
	v_fmac_f32_e32 v10, 0x3f317217, v8
	v_cmp_lt_f32_e64 vcc, |v8|, s14
	s_nop 1
	v_cndmask_b32_e32 v8, v8, v10, vcc
	v_sub_f32_e32 v8, v8, v9
	v_cmp_lt_f32_e32 vcc, s12, v7
	s_nop 1
	v_cndmask_b32_e32 v7, v8, v7, vcc
	v_mul_f32_e32 v8, 0x4f800000, v7
	v_cmp_gt_f32_e64 s[4:5], s16, v7
	s_and_b64 vcc, exec, s[2:3]
	s_nop 0
	v_cndmask_b32_e64 v7, v7, v8, s[4:5]
	v_sqrt_f32_e32 v8, v7
	s_nop 0
	v_add_u32_e32 v9, -1, v8
	v_add_u32_e32 v10, 1, v8
	v_fma_f32 v11, -v9, v8, v7
	v_fma_f32 v12, -v10, v8, v7
	v_cmp_ge_f32_e64 s[6:7], 0, v11
	s_nop 1
	v_cndmask_b32_e64 v8, v8, v9, s[6:7]
	v_cmp_lt_f32_e64 s[6:7], 0, v12
	s_nop 1
	v_cndmask_b32_e64 v8, v8, v10, s[6:7]
	v_mul_f32_e32 v9, 0x37800000, v8
	v_cndmask_b32_e64 v8, v8, v9, s[4:5]
	v_cmp_class_f32_e64 s[4:5], v7, v5
	s_nop 1
	v_cndmask_b32_e64 v7, v8, v7, s[4:5]
	s_cbranch_vccnz .LBB39_26
; %bb.25:
	global_load_dword v8, v2, s[10:11] offset:1032
	s_waitcnt vmcnt(0)
	v_add_f32_e32 v7, v7, v8
.LBB39_26:
	scratch_load_dword v8, off, off offset:44
	s_waitcnt vmcnt(0)
	v_mul_f32_e32 v9, 0x3fb8aa3b, v8
	v_exp_f32_e32 v9, v9
	scratch_store_dword off, v7, off offset:40
	v_add_f32_e32 v9, 1.0, v9
	v_cmp_gt_f32_e32 vcc, s15, v9
	s_nop 1
	v_cndmask_b32_e32 v3, 1.0, v3, vcc
	v_mul_f32_e32 v3, v9, v3
	v_log_f32_e32 v3, v3
	v_cndmask_b32_e32 v6, 0, v6, vcc
	v_mul_f32_e32 v9, 0x3f317217, v3
	v_fma_f32 v9, v3, s13, -v9
	v_fmac_f32_e32 v9, 0x3377d1cf, v3
	v_fmac_f32_e32 v9, 0x3f317217, v3
	v_cmp_lt_f32_e64 vcc, |v3|, s14
	s_nop 1
	v_cndmask_b32_e32 v3, v3, v9, vcc
	v_sub_f32_e32 v3, v3, v6
	v_cmp_lt_f32_e32 vcc, s12, v8
	s_nop 1
	v_cndmask_b32_e32 v3, v3, v8, vcc
	v_mul_f32_e32 v6, 0x4f800000, v3
	v_cmp_gt_f32_e64 s[4:5], s16, v3
	s_and_b64 vcc, exec, s[2:3]
	s_nop 0
	v_cndmask_b32_e64 v3, v3, v6, s[4:5]
	v_sqrt_f32_e32 v6, v3
	s_nop 0
	v_add_u32_e32 v7, -1, v6
	v_add_u32_e32 v8, 1, v6
	v_fma_f32 v9, -v7, v6, v3
	v_fma_f32 v10, -v8, v6, v3
	v_cmp_ge_f32_e64 s[6:7], 0, v9
	s_nop 1
	v_cndmask_b32_e64 v6, v6, v7, s[6:7]
	v_cmp_lt_f32_e64 s[6:7], 0, v10
	s_nop 1
	v_cndmask_b32_e64 v6, v6, v8, s[6:7]
	v_mul_f32_e32 v7, 0x37800000, v6
	v_cndmask_b32_e64 v6, v6, v7, s[4:5]
	v_cmp_class_f32_e64 s[4:5], v3, v5
	s_nop 1
	v_cndmask_b32_e64 v5, v6, v3, s[4:5]
	s_cbranch_vccnz .LBB39_28
; %bb.27:
	global_load_dword v3, v2, s[10:11] offset:1036
	s_waitcnt vmcnt(0)
	v_add_f32_e32 v5, v5, v3
.LBB39_28:
	scratch_load_dword v7, off, off offset:48
	s_waitcnt vmcnt(0)
	v_mul_f32_e32 v3, 0x3fb8aa3b, v7
	v_exp_f32_e32 v6, v3
	v_mov_b32_e32 v3, 0x4f800000
	scratch_store_dword off, v5, off offset:44
	v_mov_b32_e32 v5, 0x260
	v_add_f32_e32 v6, 1.0, v6
	v_cmp_gt_f32_e32 vcc, s15, v6
	s_nop 1
	v_cndmask_b32_e32 v8, 1.0, v3, vcc
	v_mul_f32_e32 v6, v6, v8
	v_log_f32_e32 v8, v6
	v_mov_b32_e32 v6, 0x41b17218
	v_cndmask_b32_e32 v9, 0, v6, vcc
	v_mul_f32_e32 v10, 0x3f317217, v8
	v_fma_f32 v10, v8, s13, -v10
	v_fmac_f32_e32 v10, 0x3377d1cf, v8
	v_fmac_f32_e32 v10, 0x3f317217, v8
	v_cmp_lt_f32_e64 vcc, |v8|, s14
	s_nop 1
	v_cndmask_b32_e32 v8, v8, v10, vcc
	v_sub_f32_e32 v8, v8, v9
	v_cmp_lt_f32_e32 vcc, s12, v7
	s_nop 1
	v_cndmask_b32_e32 v7, v8, v7, vcc
	v_mul_f32_e32 v8, 0x4f800000, v7
	v_cmp_gt_f32_e64 s[4:5], s16, v7
	s_and_b64 vcc, exec, s[2:3]
	s_nop 0
	v_cndmask_b32_e64 v7, v7, v8, s[4:5]
	v_sqrt_f32_e32 v8, v7
	s_nop 0
	v_add_u32_e32 v9, -1, v8
	v_add_u32_e32 v10, 1, v8
	v_fma_f32 v11, -v9, v8, v7
	v_fma_f32 v12, -v10, v8, v7
	v_cmp_ge_f32_e64 s[6:7], 0, v11
	s_nop 1
	v_cndmask_b32_e64 v8, v8, v9, s[6:7]
	v_cmp_lt_f32_e64 s[6:7], 0, v12
	s_nop 1
	v_cndmask_b32_e64 v8, v8, v10, s[6:7]
	v_mul_f32_e32 v9, 0x37800000, v8
	v_cndmask_b32_e64 v8, v8, v9, s[4:5]
	v_cmp_class_f32_e64 s[4:5], v7, v5
	s_nop 1
	v_cndmask_b32_e64 v7, v8, v7, s[4:5]
	s_cbranch_vccnz .LBB39_30
; %bb.29:
	global_load_dword v8, v2, s[10:11] offset:1536
	s_waitcnt vmcnt(0)
	v_add_f32_e32 v7, v7, v8
.LBB39_30:
	scratch_load_dword v8, off, off offset:52
	s_waitcnt vmcnt(0)
	v_mul_f32_e32 v9, 0x3fb8aa3b, v8
	v_exp_f32_e32 v9, v9
	scratch_store_dword off, v7, off offset:48
	v_add_f32_e32 v9, 1.0, v9
	v_cmp_gt_f32_e32 vcc, s15, v9
	s_nop 1
	v_cndmask_b32_e32 v3, 1.0, v3, vcc
	v_mul_f32_e32 v3, v9, v3
	v_log_f32_e32 v3, v3
	v_cndmask_b32_e32 v6, 0, v6, vcc
	v_mul_f32_e32 v9, 0x3f317217, v3
	v_fma_f32 v9, v3, s13, -v9
	v_fmac_f32_e32 v9, 0x3377d1cf, v3
	v_fmac_f32_e32 v9, 0x3f317217, v3
	v_cmp_lt_f32_e64 vcc, |v3|, s14
	s_nop 1
	v_cndmask_b32_e32 v3, v3, v9, vcc
	v_sub_f32_e32 v3, v3, v6
	v_cmp_lt_f32_e32 vcc, s12, v8
	s_nop 1
	v_cndmask_b32_e32 v3, v3, v8, vcc
	v_mul_f32_e32 v6, 0x4f800000, v3
	v_cmp_gt_f32_e64 s[4:5], s16, v3
	s_and_b64 vcc, exec, s[2:3]
	s_nop 0
	v_cndmask_b32_e64 v3, v3, v6, s[4:5]
	v_sqrt_f32_e32 v6, v3
	s_nop 0
	v_add_u32_e32 v7, -1, v6
	v_add_u32_e32 v8, 1, v6
	v_fma_f32 v9, -v7, v6, v3
	v_fma_f32 v10, -v8, v6, v3
	v_cmp_ge_f32_e64 s[6:7], 0, v9
	s_nop 1
	v_cndmask_b32_e64 v6, v6, v7, s[6:7]
	v_cmp_lt_f32_e64 s[6:7], 0, v10
	s_nop 1
	v_cndmask_b32_e64 v6, v6, v8, s[6:7]
	v_mul_f32_e32 v7, 0x37800000, v6
	v_cndmask_b32_e64 v6, v6, v7, s[4:5]
	v_cmp_class_f32_e64 s[4:5], v3, v5
	s_nop 1
	v_cndmask_b32_e64 v5, v6, v3, s[4:5]
	s_cbranch_vccnz .LBB39_32
; %bb.31:
	global_load_dword v3, v2, s[10:11] offset:1540
	s_waitcnt vmcnt(0)
	v_add_f32_e32 v5, v5, v3
.LBB39_32:
	scratch_load_dword v7, off, off offset:56
	s_waitcnt vmcnt(0)
	v_mul_f32_e32 v3, 0x3fb8aa3b, v7
	v_exp_f32_e32 v6, v3
	v_mov_b32_e32 v3, 0x4f800000
	scratch_store_dword off, v5, off offset:52
	v_mov_b32_e32 v5, 0x260
	v_add_f32_e32 v6, 1.0, v6
	v_cmp_gt_f32_e32 vcc, s15, v6
	s_nop 1
	v_cndmask_b32_e32 v8, 1.0, v3, vcc
	v_mul_f32_e32 v6, v6, v8
	v_log_f32_e32 v8, v6
	v_mov_b32_e32 v6, 0x41b17218
	v_cndmask_b32_e32 v9, 0, v6, vcc
	v_mul_f32_e32 v10, 0x3f317217, v8
	v_fma_f32 v10, v8, s13, -v10
	v_fmac_f32_e32 v10, 0x3377d1cf, v8
	v_fmac_f32_e32 v10, 0x3f317217, v8
	v_cmp_lt_f32_e64 vcc, |v8|, s14
	s_nop 1
	v_cndmask_b32_e32 v8, v8, v10, vcc
	v_sub_f32_e32 v8, v8, v9
	v_cmp_lt_f32_e32 vcc, s12, v7
	s_nop 1
	v_cndmask_b32_e32 v7, v8, v7, vcc
	v_mul_f32_e32 v8, 0x4f800000, v7
	v_cmp_gt_f32_e64 s[4:5], s16, v7
	s_and_b64 vcc, exec, s[2:3]
	s_nop 0
	v_cndmask_b32_e64 v7, v7, v8, s[4:5]
	v_sqrt_f32_e32 v8, v7
	s_nop 0
	v_add_u32_e32 v9, -1, v8
	v_add_u32_e32 v10, 1, v8
	v_fma_f32 v11, -v9, v8, v7
	v_fma_f32 v12, -v10, v8, v7
	v_cmp_ge_f32_e64 s[6:7], 0, v11
	s_nop 1
	v_cndmask_b32_e64 v8, v8, v9, s[6:7]
	v_cmp_lt_f32_e64 s[6:7], 0, v12
	s_nop 1
	v_cndmask_b32_e64 v8, v8, v10, s[6:7]
	v_mul_f32_e32 v9, 0x37800000, v8
	v_cndmask_b32_e64 v8, v8, v9, s[4:5]
	v_cmp_class_f32_e64 s[4:5], v7, v5
	s_nop 1
	v_cndmask_b32_e64 v7, v8, v7, s[4:5]
	s_cbranch_vccnz .LBB39_34
; %bb.33:
	global_load_dword v8, v2, s[10:11] offset:1544
	s_waitcnt vmcnt(0)
	v_add_f32_e32 v7, v7, v8
.LBB39_34:
	scratch_load_dword v8, off, off offset:60
	s_waitcnt vmcnt(0)
	v_mul_f32_e32 v9, 0x3fb8aa3b, v8
	v_exp_f32_e32 v9, v9
	scratch_store_dword off, v7, off offset:56
	v_add_f32_e32 v9, 1.0, v9
	v_cmp_gt_f32_e32 vcc, s15, v9
	s_nop 1
	v_cndmask_b32_e32 v3, 1.0, v3, vcc
	v_mul_f32_e32 v3, v9, v3
	v_log_f32_e32 v3, v3
	v_cndmask_b32_e32 v6, 0, v6, vcc
	v_mul_f32_e32 v9, 0x3f317217, v3
	v_fma_f32 v9, v3, s13, -v9
	v_fmac_f32_e32 v9, 0x3377d1cf, v3
	v_fmac_f32_e32 v9, 0x3f317217, v3
	v_cmp_lt_f32_e64 vcc, |v3|, s14
	s_nop 1
	v_cndmask_b32_e32 v3, v3, v9, vcc
	v_sub_f32_e32 v3, v3, v6
	v_cmp_lt_f32_e32 vcc, s12, v8
	s_nop 1
	v_cndmask_b32_e32 v3, v3, v8, vcc
	v_mul_f32_e32 v6, 0x4f800000, v3
	v_cmp_gt_f32_e64 s[4:5], s16, v3
	s_and_b64 vcc, exec, s[2:3]
	s_nop 0
	v_cndmask_b32_e64 v3, v3, v6, s[4:5]
	v_sqrt_f32_e32 v6, v3
	s_nop 0
	v_add_u32_e32 v7, -1, v6
	v_add_u32_e32 v8, 1, v6
	v_fma_f32 v9, -v7, v6, v3
	v_fma_f32 v10, -v8, v6, v3
	v_cmp_ge_f32_e64 s[6:7], 0, v9
	s_nop 1
	v_cndmask_b32_e64 v6, v6, v7, s[6:7]
	v_cmp_lt_f32_e64 s[6:7], 0, v10
	s_nop 1
	v_cndmask_b32_e64 v6, v6, v8, s[6:7]
	v_mul_f32_e32 v7, 0x37800000, v6
	v_cndmask_b32_e64 v6, v6, v7, s[4:5]
	v_cmp_class_f32_e64 s[4:5], v3, v5
	s_nop 1
	v_cndmask_b32_e64 v3, v6, v3, s[4:5]
	s_cbranch_vccnz .LBB39_36
; %bb.35:
	global_load_dword v2, v2, s[10:11] offset:1548
	s_waitcnt vmcnt(0)
	v_add_f32_e32 v3, v3, v2
.LBB39_36:
	s_load_dwordx4 s[12:15], s[0:1], 0x30
	s_mov_b32 s31, 0
	v_cmp_eq_u32_e64 s[6:7], 0, v1
	scratch_store_dword off, v3, off offset:60
	s_waitcnt lgkmcnt(0)
	s_bitcmp1_b32 s15, 0
	s_cselect_b64 s[4:5], -1, 0
	s_cmp_gt_i32 s12, 0
	s_cselect_b64 s[24:25], -1, 0
	s_and_b64 vcc, exec, s[24:25]
	s_cbranch_vccz .LBB39_65
; %bb.37:
	v_mbcnt_lo_u32_b32 v2, -1, 0
	v_mbcnt_hi_u32_b32 v2, -1, v2
	v_and_b32_e32 v3, 0x60, v2
	v_add_u32_e32 v3, 32, v3
	v_xor_b32_e32 v5, 16, v2
	v_cmp_lt_i32_e32 vcc, v5, v3
	s_load_dwordx4 s[16:19], s[0:1], 0x20
	v_mul_lo_u32 v6, v0, s12
	v_cndmask_b32_e32 v5, v2, v5, vcc
	v_lshlrev_b32_e32 v7, 2, v5
	v_xor_b32_e32 v5, 8, v2
	v_cmp_lt_i32_e32 vcc, v5, v3
	v_mov_b32_e32 v12, 0x80
	v_mov_b32_e32 v13, 0x81
	v_cndmask_b32_e32 v5, v2, v5, vcc
	v_lshlrev_b32_e32 v8, 2, v5
	v_xor_b32_e32 v5, 4, v2
	v_cmp_lt_i32_e32 vcc, v5, v3
	v_mov_b32_e32 v14, 0x82
	v_mov_b32_e32 v15, 0x83
	;; [unrolled: 6-line block ×3, first 2 shown]
	v_cndmask_b32_e32 v5, v2, v5, vcc
	v_lshlrev_b32_e32 v10, 2, v5
	v_xor_b32_e32 v5, 1, v2
	v_cmp_lt_i32_e32 vcc, v5, v3
	v_bfrev_b32_e32 v18, 4.0
	v_bfrev_b32_e32 v19, -4.0
	v_cndmask_b32_e32 v2, v2, v5, vcc
	v_lshlrev_b32_e32 v11, 2, v2
	v_mov_b32_e32 v5, 0
	v_mov_b32_e32 v20, 0x180
	;; [unrolled: 1-line block ×9, first 2 shown]
	s_branch .LBB39_39
.LBB39_38:                              ;   in Loop: Header=BB39_39 Depth=1
	s_or_b64 exec, exec, s[0:1]
	s_cmp_eq_u32 s12, s31
	v_add_u32_e32 v27, s30, v27
	s_cbranch_scc1 .LBB39_66
.LBB39_39:                              ; =>This Inner Loop Header: Depth=1
	scratch_load_dwordx4 v[28:31], off, off
	scratch_load_dwordx4 v[32:35], off, off offset:16
	scratch_load_dwordx4 v[36:39], off, off offset:32
	;; [unrolled: 1-line block ×3, first 2 shown]
	s_waitcnt vmcnt(3)
	v_cmp_gt_f32_e32 vcc, v29, v28
	s_nop 1
	v_cndmask_b32_e32 v3, v28, v29, vcc
	v_cndmask_b32_e64 v2, 0, 1, vcc
	v_cmp_gt_f32_e32 vcc, v30, v3
	s_nop 1
	v_cndmask_b32_e32 v3, v3, v30, vcc
	v_cndmask_b32_e64 v2, v2, 2, vcc
	;; [unrolled: 4-line block ×3, first 2 shown]
	s_waitcnt vmcnt(2)
	v_cmp_gt_f32_e32 vcc, v32, v3
	s_nop 1
	v_cndmask_b32_e32 v3, v3, v32, vcc
	v_cndmask_b32_e32 v2, v2, v12, vcc
	v_cmp_gt_f32_e32 vcc, v33, v3
	s_nop 1
	v_cndmask_b32_e32 v3, v3, v33, vcc
	v_cndmask_b32_e32 v2, v2, v13, vcc
	v_cmp_gt_f32_e32 vcc, v34, v3
	s_nop 1
	v_cndmask_b32_e32 v3, v3, v34, vcc
	v_cndmask_b32_e32 v2, v2, v14, vcc
	v_cmp_gt_f32_e32 vcc, v35, v3
	s_nop 1
	v_cndmask_b32_e32 v3, v3, v35, vcc
	v_cndmask_b32_e32 v2, v2, v15, vcc
	s_waitcnt vmcnt(1)
	v_cmp_gt_f32_e32 vcc, v36, v3
	s_nop 1
	v_cndmask_b32_e32 v3, v3, v36, vcc
	v_cndmask_b32_e32 v2, v2, v16, vcc
	v_cmp_gt_f32_e32 vcc, v37, v3
	s_nop 1
	v_cndmask_b32_e32 v3, v3, v37, vcc
	v_cndmask_b32_e32 v2, v2, v17, vcc
	v_cmp_gt_f32_e32 vcc, v38, v3
	s_nop 1
	v_cndmask_b32_e32 v3, v3, v38, vcc
	v_cndmask_b32_e32 v2, v2, v18, vcc
	v_cmp_gt_f32_e32 vcc, v39, v3
	s_nop 1
	v_cndmask_b32_e32 v3, v3, v39, vcc
	v_cndmask_b32_e32 v2, v2, v19, vcc
	;; [unrolled: 17-line block ×3, first 2 shown]
	ds_bpermute_b32 v3, v7, v28
	v_or_b32_e32 v2, v4, v2
	ds_bpermute_b32 v29, v7, v2
	s_waitcnt lgkmcnt(0)
	v_cmp_lt_f32_e64 s[26:27], v28, v3
	v_cmp_nlt_f32_e32 vcc, v28, v3
	s_and_saveexec_b64 s[28:29], vcc
; %bb.40:                               ;   in Loop: Header=BB39_39 Depth=1
	v_cmp_eq_f32_e32 vcc, v28, v3
	v_cmp_lt_i32_e64 s[0:1], v29, v2
	s_and_b64 s[0:1], vcc, s[0:1]
	s_andn2_b64 s[26:27], s[26:27], exec
	s_and_b64 s[0:1], s[0:1], exec
	s_or_b64 s[26:27], s[26:27], s[0:1]
; %bb.41:                               ;   in Loop: Header=BB39_39 Depth=1
	s_or_b64 exec, exec, s[28:29]
	s_and_saveexec_b64 s[0:1], s[26:27]
; %bb.42:                               ;   in Loop: Header=BB39_39 Depth=1
	v_mov_b32_e32 v28, v3
	v_mov_b32_e32 v2, v29
; %bb.43:                               ;   in Loop: Header=BB39_39 Depth=1
	s_or_b64 exec, exec, s[0:1]
	ds_bpermute_b32 v3, v8, v28
	ds_bpermute_b32 v29, v8, v2
	s_waitcnt lgkmcnt(1)
	v_cmp_lt_f32_e64 s[26:27], v28, v3
	v_cmp_nlt_f32_e32 vcc, v28, v3
	s_and_saveexec_b64 s[28:29], vcc
	s_cbranch_execz .LBB39_45
; %bb.44:                               ;   in Loop: Header=BB39_39 Depth=1
	v_cmp_eq_f32_e32 vcc, v28, v3
	s_waitcnt lgkmcnt(0)
	v_cmp_lt_i32_e64 s[0:1], v29, v2
	s_and_b64 s[0:1], vcc, s[0:1]
	s_andn2_b64 s[26:27], s[26:27], exec
	s_and_b64 s[0:1], s[0:1], exec
	s_or_b64 s[26:27], s[26:27], s[0:1]
.LBB39_45:                              ;   in Loop: Header=BB39_39 Depth=1
	s_or_b64 exec, exec, s[28:29]
	s_and_saveexec_b64 s[0:1], s[26:27]
	s_cbranch_execz .LBB39_47
; %bb.46:                               ;   in Loop: Header=BB39_39 Depth=1
	v_mov_b32_e32 v28, v3
	s_waitcnt lgkmcnt(0)
	v_mov_b32_e32 v2, v29
.LBB39_47:                              ;   in Loop: Header=BB39_39 Depth=1
	s_or_b64 exec, exec, s[0:1]
	ds_bpermute_b32 v3, v9, v28
	s_waitcnt lgkmcnt(1)
	ds_bpermute_b32 v29, v9, v2
	s_waitcnt lgkmcnt(1)
	v_cmp_lt_f32_e64 s[26:27], v28, v3
	v_cmp_nlt_f32_e32 vcc, v28, v3
	s_and_saveexec_b64 s[28:29], vcc
	s_cbranch_execz .LBB39_49
; %bb.48:                               ;   in Loop: Header=BB39_39 Depth=1
	v_cmp_eq_f32_e32 vcc, v28, v3
	s_waitcnt lgkmcnt(0)
	v_cmp_lt_i32_e64 s[0:1], v29, v2
	s_and_b64 s[0:1], vcc, s[0:1]
	s_andn2_b64 s[26:27], s[26:27], exec
	s_and_b64 s[0:1], s[0:1], exec
	s_or_b64 s[26:27], s[26:27], s[0:1]
.LBB39_49:                              ;   in Loop: Header=BB39_39 Depth=1
	s_or_b64 exec, exec, s[28:29]
	s_and_saveexec_b64 s[0:1], s[26:27]
	s_cbranch_execz .LBB39_51
; %bb.50:                               ;   in Loop: Header=BB39_39 Depth=1
	v_mov_b32_e32 v28, v3
	s_waitcnt lgkmcnt(0)
	v_mov_b32_e32 v2, v29
.LBB39_51:                              ;   in Loop: Header=BB39_39 Depth=1
	s_or_b64 exec, exec, s[0:1]
	ds_bpermute_b32 v3, v10, v28
	s_waitcnt lgkmcnt(1)
	;; [unrolled: 26-line block ×3, first 2 shown]
	ds_bpermute_b32 v29, v11, v2
	s_waitcnt lgkmcnt(1)
	v_cmp_lt_f32_e64 s[26:27], v28, v3
	v_cmp_nlt_f32_e32 vcc, v28, v3
	s_and_saveexec_b64 s[28:29], vcc
	s_cbranch_execnz .LBB39_58
; %bb.56:                               ;   in Loop: Header=BB39_39 Depth=1
	s_or_b64 exec, exec, s[28:29]
	s_and_saveexec_b64 s[0:1], s[26:27]
	s_cbranch_execnz .LBB39_59
.LBB39_57:                              ;   in Loop: Header=BB39_39 Depth=1
	s_or_b64 exec, exec, s[0:1]
	s_and_saveexec_b64 s[26:27], s[6:7]
	s_cbranch_execnz .LBB39_60
	s_branch .LBB39_63
.LBB39_58:                              ;   in Loop: Header=BB39_39 Depth=1
	v_cmp_eq_f32_e32 vcc, v28, v3
	s_waitcnt lgkmcnt(0)
	v_cmp_lt_i32_e64 s[0:1], v29, v2
	s_and_b64 s[0:1], vcc, s[0:1]
	s_andn2_b64 s[26:27], s[26:27], exec
	s_and_b64 s[0:1], s[0:1], exec
	s_or_b64 s[26:27], s[26:27], s[0:1]
	s_or_b64 exec, exec, s[28:29]
	s_and_saveexec_b64 s[0:1], s[26:27]
	s_cbranch_execz .LBB39_57
.LBB39_59:                              ;   in Loop: Header=BB39_39 Depth=1
	s_waitcnt lgkmcnt(0)
	v_mov_b32_e32 v2, v29
	v_mov_b32_e32 v28, v3
	s_or_b64 exec, exec, s[0:1]
	s_and_saveexec_b64 s[26:27], s[6:7]
	s_cbranch_execz .LBB39_63
.LBB39_60:                              ;   in Loop: Header=BB39_39 Depth=1
	s_and_b64 vcc, exec, s[2:3]
	s_cbranch_vccnz .LBB39_62
; %bb.61:                               ;   in Loop: Header=BB39_39 Depth=1
	v_ashrrev_i32_e32 v3, 31, v2
	v_lshl_add_u64 v[30:31], v[2:3], 2, s[10:11]
	global_load_dword v3, v[30:31], off
	s_waitcnt vmcnt(0)
	v_sub_f32_e32 v28, v28, v3
.LBB39_62:                              ;   in Loop: Header=BB39_39 Depth=1
	v_add_u32_e32 v30, s31, v6
	v_cmp_le_i32_e32 vcc, s13, v2
	v_cmp_gt_i32_e64 s[0:1], s14, v2
	v_ashrrev_i32_e32 v31, 31, v30
	s_and_b64 s[0:1], vcc, s[0:1]
	v_lshlrev_b64 v[30:31], 2, v[30:31]
	v_lshl_add_u64 v[32:33], s[20:21], 0, v[30:31]
	v_subrev_u32_e32 v3, s13, v2
	s_and_b64 vcc, s[22:23], s[0:1]
	global_store_dword v[32:33], v28, off
	v_cndmask_b32_e32 v3, v26, v3, vcc
	v_lshl_add_u64 v[32:33], s[16:17], 0, v[30:31]
	global_store_dword v[32:33], v3, off
	v_add_f32_e32 v3, v5, v28
	v_lshl_add_u64 v[30:31], s[18:19], 0, v[30:31]
	v_cndmask_b32_e64 v5, v5, v3, s[4:5]
	global_store_dword v[30:31], v27, off
.LBB39_63:                              ;   in Loop: Header=BB39_39 Depth=1
	s_or_b64 exec, exec, s[26:27]
	v_ashrrev_i32_e32 v28, 31, v2
	v_lshrrev_b32_e32 v3, 30, v28
	s_waitcnt lgkmcnt(0)
	v_add_u32_e32 v29, v2, v3
	v_ashrrev_i32_e32 v3, 2, v29
	v_ashrrev_i32_e32 v29, 31, v29
	v_lshrrev_b32_e32 v29, 27, v29
	v_add_u32_e32 v29, v3, v29
	s_add_i32 s31, s31, 1
	v_and_b32_e32 v29, 0xffffffe0, v29
	s_cmp_lt_i32 s31, s12
	v_sub_u32_e32 v29, v3, v29
	s_cselect_b64 s[0:1], -1, 0
	v_cmp_eq_u32_e32 vcc, v1, v29
	s_and_b64 s[26:27], s[0:1], vcc
	s_and_saveexec_b64 s[0:1], s[26:27]
	s_cbranch_execz .LBB39_38
; %bb.64:                               ;   in Loop: Header=BB39_39 Depth=1
	v_lshrrev_b32_e32 v28, 25, v28
	v_add_u32_e32 v28, v2, v28
	v_lshlrev_b32_e32 v3, 2, v3
	v_ashrrev_i32_e32 v28, 7, v28
	v_sub_u32_e32 v2, v2, v3
	v_lshl_add_u32 v2, v28, 2, v2
	v_lshl_add_u32 v2, v2, 2, v24
	scratch_store_dword v2, v25, off
	s_branch .LBB39_38
.LBB39_65:
	v_mov_b32_e32 v5, 0
.LBB39_66:
	v_cmp_eq_u32_e32 vcc, 0, v1
	s_and_b64 exec, exec, vcc
	s_cbranch_execz .LBB39_79
; %bb.67:
	s_andn2_b64 vcc, exec, s[4:5]
	v_cvt_f32_f64_e32 v2, s[8:9]
	s_cbranch_vccnz .LBB39_69
; %bb.68:
	v_cmp_lt_f32_e32 vcc, 0, v5
	s_nop 1
	v_cndmask_b32_e32 v1, 1.0, v5, vcc
	v_div_scale_f32 v3, s[0:1], v1, v1, v2
	v_rcp_f32_e32 v4, v3
	s_nop 0
	v_fma_f32 v5, -v3, v4, 1.0
	v_fmac_f32_e32 v4, v5, v4
	v_div_scale_f32 v5, vcc, v2, v1, v2
	v_mul_f32_e32 v6, v5, v4
	v_fma_f32 v7, -v3, v6, v5
	v_fmac_f32_e32 v6, v7, v4
	v_fma_f32 v3, -v3, v6, v5
	v_div_fmas_f32 v3, v3, v4, v6
	v_div_fixup_f32 v2, v3, v1, v2
.LBB39_69:
	s_andn2_b64 vcc, exec, s[24:25]
	s_cbranch_vccnz .LBB39_79
; %bb.70:
	v_mul_lo_u32 v0, v0, s12
	s_cmp_gt_u32 s12, 3
	v_ashrrev_i32_e32 v1, 31, v0
	s_cbranch_scc0 .LBB39_74
; %bb.71:
	s_and_b32 s0, s12, 0x7ffffffc
	v_lshl_add_u64 v[4:5], v[0:1], 2, s[20:21]
	v_mov_b32_e32 v3, v2
	v_lshl_add_u64 v[4:5], v[4:5], 0, 8
	s_mov_b32 s1, s0
.LBB39_72:                              ; =>This Inner Loop Header: Depth=1
	global_load_dwordx4 v[6:9], v[4:5], off offset:-8
	s_add_i32 s1, s1, -4
	s_cmp_lg_u32 s1, 0
	s_waitcnt vmcnt(0)
	v_pk_mul_f32 v[6:7], v[2:3], v[6:7]
	v_pk_mul_f32 v[8:9], v[2:3], v[8:9]
	global_store_dwordx4 v[4:5], v[6:9], off offset:-8
	v_lshl_add_u64 v[4:5], v[4:5], 0, 16
	s_cbranch_scc1 .LBB39_72
; %bb.73:
	s_cmp_lg_u32 s0, s12
	s_cselect_b64 s[2:3], -1, 0
	s_branch .LBB39_76
.LBB39_74:
	s_mov_b64 s[2:3], 0
                                        ; implicit-def: $sgpr0
	s_cbranch_execz .LBB39_76
; %bb.75:
	s_mov_b64 s[2:3], -1
	s_mov_b32 s0, 0
.LBB39_76:
	s_andn2_b64 vcc, exec, s[2:3]
	s_cbranch_vccnz .LBB39_79
; %bb.77:
	s_mov_b32 s1, 0
	v_lshl_add_u64 v[0:1], v[0:1], 0, s[0:1]
	s_sub_i32 s2, s12, s0
	v_lshl_add_u64 v[0:1], v[0:1], 2, s[20:21]
.LBB39_78:                              ; =>This Inner Loop Header: Depth=1
	global_load_dword v3, v[0:1], off
	s_add_i32 s2, s2, -1
	s_cmp_lg_u32 s2, 0
	s_waitcnt vmcnt(0)
	v_mul_f32_e32 v3, v2, v3
	global_store_dword v[0:1], v3, off
	v_lshl_add_u64 v[0:1], v[0:1], 0, 4
	s_cbranch_scc1 .LBB39_78
.LBB39_79:
	s_endpgm
	.section	.rodata,"a",@progbits
	.p2align	6, 0x0
	.amdhsa_kernel _ZN4vllm3moe22topkGatingSoftplusSqrtILi16ELi512ELi4ELi16ELi32ELb0EifEEvPKT6_PKbPfiPT5_PiiiibdPKfPKS8_SE_
		.amdhsa_group_segment_fixed_size 0
		.amdhsa_private_segment_fixed_size 80
		.amdhsa_kernarg_size 96
		.amdhsa_user_sgpr_count 2
		.amdhsa_user_sgpr_dispatch_ptr 0
		.amdhsa_user_sgpr_queue_ptr 0
		.amdhsa_user_sgpr_kernarg_segment_ptr 1
		.amdhsa_user_sgpr_dispatch_id 0
		.amdhsa_user_sgpr_kernarg_preload_length 0
		.amdhsa_user_sgpr_kernarg_preload_offset 0
		.amdhsa_user_sgpr_private_segment_size 0
		.amdhsa_uses_dynamic_stack 0
		.amdhsa_enable_private_segment 1
		.amdhsa_system_sgpr_workgroup_id_x 1
		.amdhsa_system_sgpr_workgroup_id_y 0
		.amdhsa_system_sgpr_workgroup_id_z 0
		.amdhsa_system_sgpr_workgroup_info 0
		.amdhsa_system_vgpr_workitem_id 1
		.amdhsa_next_free_vgpr 44
		.amdhsa_next_free_sgpr 32
		.amdhsa_accum_offset 44
		.amdhsa_reserve_vcc 1
		.amdhsa_float_round_mode_32 0
		.amdhsa_float_round_mode_16_64 0
		.amdhsa_float_denorm_mode_32 3
		.amdhsa_float_denorm_mode_16_64 3
		.amdhsa_dx10_clamp 1
		.amdhsa_ieee_mode 1
		.amdhsa_fp16_overflow 0
		.amdhsa_tg_split 0
		.amdhsa_exception_fp_ieee_invalid_op 0
		.amdhsa_exception_fp_denorm_src 0
		.amdhsa_exception_fp_ieee_div_zero 0
		.amdhsa_exception_fp_ieee_overflow 0
		.amdhsa_exception_fp_ieee_underflow 0
		.amdhsa_exception_fp_ieee_inexact 0
		.amdhsa_exception_int_div_zero 0
	.end_amdhsa_kernel
	.section	.text._ZN4vllm3moe22topkGatingSoftplusSqrtILi16ELi512ELi4ELi16ELi32ELb0EifEEvPKT6_PKbPfiPT5_PiiiibdPKfPKS8_SE_,"axG",@progbits,_ZN4vllm3moe22topkGatingSoftplusSqrtILi16ELi512ELi4ELi16ELi32ELb0EifEEvPKT6_PKbPfiPT5_PiiiibdPKfPKS8_SE_,comdat
.Lfunc_end39:
	.size	_ZN4vllm3moe22topkGatingSoftplusSqrtILi16ELi512ELi4ELi16ELi32ELb0EifEEvPKT6_PKbPfiPT5_PiiiibdPKfPKS8_SE_, .Lfunc_end39-_ZN4vllm3moe22topkGatingSoftplusSqrtILi16ELi512ELi4ELi16ELi32ELb0EifEEvPKT6_PKbPfiPT5_PiiiibdPKfPKS8_SE_
                                        ; -- End function
	.section	.AMDGPU.csdata,"",@progbits
; Kernel info:
; codeLenInByte = 6816
; NumSgprs: 38
; NumVgprs: 44
; NumAgprs: 0
; TotalNumVgprs: 44
; ScratchSize: 80
; MemoryBound: 0
; FloatMode: 240
; IeeeMode: 1
; LDSByteSize: 0 bytes/workgroup (compile time only)
; SGPRBlocks: 4
; VGPRBlocks: 5
; NumSGPRsForWavesPerEU: 38
; NumVGPRsForWavesPerEU: 44
; AccumOffset: 44
; Occupancy: 8
; WaveLimiterHint : 0
; COMPUTE_PGM_RSRC2:SCRATCH_EN: 1
; COMPUTE_PGM_RSRC2:USER_SGPR: 2
; COMPUTE_PGM_RSRC2:TRAP_HANDLER: 0
; COMPUTE_PGM_RSRC2:TGID_X_EN: 1
; COMPUTE_PGM_RSRC2:TGID_Y_EN: 0
; COMPUTE_PGM_RSRC2:TGID_Z_EN: 0
; COMPUTE_PGM_RSRC2:TIDIG_COMP_CNT: 1
; COMPUTE_PGM_RSRC3_GFX90A:ACCUM_OFFSET: 10
; COMPUTE_PGM_RSRC3_GFX90A:TG_SPLIT: 0
	.section	.text._ZN4vllm3moe22topkGatingSoftplusSqrtILi3ELi192ELi4ELi4ELi64ELb1EifEEvPKT6_PKbPfiPT5_PiiiibdPKfPKS8_SE_,"axG",@progbits,_ZN4vllm3moe22topkGatingSoftplusSqrtILi3ELi192ELi4ELi4ELi64ELb1EifEEvPKT6_PKbPfiPT5_PiiiibdPKfPKS8_SE_,comdat
	.protected	_ZN4vllm3moe22topkGatingSoftplusSqrtILi3ELi192ELi4ELi4ELi64ELb1EifEEvPKT6_PKbPfiPT5_PiiiibdPKfPKS8_SE_ ; -- Begin function _ZN4vllm3moe22topkGatingSoftplusSqrtILi3ELi192ELi4ELi4ELi64ELb1EifEEvPKT6_PKbPfiPT5_PiiiibdPKfPKS8_SE_
	.globl	_ZN4vllm3moe22topkGatingSoftplusSqrtILi3ELi192ELi4ELi4ELi64ELb1EifEEvPKT6_PKbPfiPT5_PiiiibdPKfPKS8_SE_
	.p2align	8
	.type	_ZN4vllm3moe22topkGatingSoftplusSqrtILi3ELi192ELi4ELi4ELi64ELb1EifEEvPKT6_PKbPfiPT5_PiiiibdPKfPKS8_SE_,@function
_ZN4vllm3moe22topkGatingSoftplusSqrtILi3ELi192ELi4ELi4ELi64ELb1EifEEvPKT6_PKbPfiPT5_PiiiibdPKfPKS8_SE_: ; @_ZN4vllm3moe22topkGatingSoftplusSqrtILi3ELi192ELi4ELi4ELi64ELb1EifEEvPKT6_PKbPfiPT5_PiiiibdPKfPKS8_SE_
; %bb.0:
	s_load_dword s3, s[0:1], 0x18
	v_and_b32_e32 v1, 0x3ff, v0
	s_lshl_b32 s2, s2, 2
	v_lshrrev_b32_e32 v2, 6, v1
	v_bfe_u32 v0, v0, 10, 10
	v_add3_u32 v2, s2, v0, v2
	s_waitcnt lgkmcnt(0)
	v_cmp_gt_i32_e32 vcc, s3, v2
	s_and_saveexec_b64 s[2:3], vcc
	s_cbranch_execz .LBB40_69
; %bb.1:
	s_load_dwordx4 s[8:11], s[0:1], 0x50
	s_load_dwordx2 s[2:3], s[0:1], 0x0
	s_load_dword s20, s[0:1], 0x30
	s_movk_i32 s4, 0xc0
	v_mul_lo_u32 v4, v2, s4
	v_ashrrev_i32_e32 v5, 31, v4
	v_and_b32_e32 v12, 63, v1
	s_waitcnt lgkmcnt(0)
	v_lshl_add_u64 v[4:5], v[4:5], 2, s[2:3]
	v_lshlrev_b32_e32 v6, 2, v12
	v_mov_b32_e32 v7, 0
	v_lshl_add_u64 v[4:5], v[4:5], 0, v[6:7]
	global_load_dword v6, v[4:5], off
	global_load_dword v8, v[4:5], off offset:256
	global_load_dword v9, v[4:5], off offset:512
	v_mov_b32_e32 v0, s8
	v_mov_b32_e32 v1, s9
	v_ashrrev_i32_e32 v3, 31, v2
	v_lshl_add_u64 v[0:1], v[2:3], 2, v[0:1]
	global_load_dword v0, v[0:1], off
	s_mov_b32 s4, 0x800000
	v_mov_b32_e32 v3, 0x4f800000
	s_mov_b32 s7, 0x3f317217
	s_mov_b32 s9, 0x7f800000
	v_mov_b32_e32 v10, 0x41b17218
	s_mov_b32 s6, 0x41a00000
	s_mov_b32 s12, 0xf800000
	v_mov_b32_e32 v11, 0x260
	s_cmp_gt_i32 s20, 0
	s_mov_b32 s8, 0
	v_mul_lo_u32 v2, v2, s20
	s_waitcnt vmcnt(3)
	v_mul_f32_e32 v1, 0x3fb8aa3b, v6
	s_waitcnt vmcnt(2)
	v_mul_f32_e32 v5, 0x3fb8aa3b, v8
	v_exp_f32_e32 v4, v1
	v_exp_f32_e32 v5, v5
	s_waitcnt vmcnt(1)
	v_mul_f32_e32 v13, 0x3fb8aa3b, v9
	v_exp_f32_e32 v13, v13
	v_pk_add_f32 v[4:5], v[4:5], 1.0 op_sel_hi:[1,0]
	s_nop 0
	v_cmp_gt_f32_e32 vcc, s4, v5
	v_add_f32_e32 v13, 1.0, v13
	v_cmp_gt_f32_e64 s[2:3], s4, v4
	v_cndmask_b32_e32 v14, 1.0, v3, vcc
	v_cmp_gt_f32_e64 s[4:5], s4, v13
	v_cndmask_b32_e64 v15, 1.0, v3, s[2:3]
	v_mul_f32_e32 v5, v5, v14
	v_cndmask_b32_e64 v3, 1.0, v3, s[4:5]
	v_mul_f32_e32 v4, v4, v15
	v_log_f32_e32 v5, v5
	v_mul_f32_e32 v3, v13, v3
	v_log_f32_e32 v4, v4
	v_log_f32_e32 v3, v3
	v_mul_f32_e32 v13, 0x3f317217, v5
	v_fma_f32 v13, v5, s7, -v13
	v_mul_f32_e32 v16, 0x3f317217, v4
	v_mul_f32_e32 v17, 0x3f317217, v3
	v_fma_f32 v16, v4, s7, -v16
	v_fmac_f32_e32 v13, 0x3377d1cf, v5
	v_cndmask_b32_e32 v14, 0, v10, vcc
	v_fma_f32 v17, v3, s7, -v17
	v_fmac_f32_e32 v16, 0x3377d1cf, v4
	v_fmac_f32_e32 v13, 0x3f317217, v5
	v_cmp_lt_f32_e64 vcc, |v5|, s9
	v_fmac_f32_e32 v17, 0x3377d1cf, v3
	v_fmac_f32_e32 v16, 0x3f317217, v4
	v_cndmask_b32_e32 v5, v5, v13, vcc
	v_cmp_lt_f32_e64 vcc, |v4|, s9
	v_cndmask_b32_e64 v15, 0, v10, s[2:3]
	v_fmac_f32_e32 v17, 0x3f317217, v3
	v_cndmask_b32_e32 v4, v4, v16, vcc
	v_cmp_lt_f32_e64 vcc, |v3|, s9
	v_sub_f32_e32 v4, v4, v15
	v_cndmask_b32_e64 v10, 0, v10, s[4:5]
	v_cndmask_b32_e32 v3, v3, v17, vcc
	v_cmp_lt_f32_e32 vcc, s6, v6
	v_sub_f32_e32 v5, v5, v14
	v_sub_f32_e32 v3, v3, v10
	v_cndmask_b32_e32 v4, v4, v6, vcc
	v_cmp_lt_f32_e32 vcc, s6, v8
	v_cmp_gt_f32_e64 s[2:3], s12, v4
	s_waitcnt vmcnt(0)
	v_mul_lo_u32 v0, v0, s20
	v_cndmask_b32_e32 v5, v5, v8, vcc
	v_cmp_lt_f32_e32 vcc, s6, v9
	v_mul_f32_e32 v6, 0x4f800000, v5
	v_mul_f32_e32 v8, 0x4f800000, v4
	v_cndmask_b32_e32 v3, v3, v9, vcc
	v_cmp_gt_f32_e32 vcc, s12, v5
	v_cndmask_b32_e64 v4, v4, v8, s[2:3]
	v_sqrt_f32_e32 v8, v4
	v_cndmask_b32_e32 v5, v5, v6, vcc
	v_sqrt_f32_e32 v6, v5
	v_mul_f32_e32 v9, 0x4f800000, v3
	v_cmp_gt_f32_e64 s[4:5], s12, v3
	v_add_u32_e32 v14, -1, v8
	v_add_u32_e32 v10, -1, v6
	v_fma_f32 v17, -v10, v6, v5
	v_cndmask_b32_e64 v3, v3, v9, s[4:5]
	v_add_u32_e32 v13, 1, v6
	v_fma_f32 v19, -v14, v8, v4
	v_cmp_ge_f32_e64 s[6:7], 0, v17
	v_sqrt_f32_e32 v9, v3
	v_add_u32_e32 v15, 1, v8
	v_fma_f32 v18, -v13, v6, v5
	v_cndmask_b32_e64 v6, v6, v10, s[6:7]
	v_cmp_ge_f32_e64 s[6:7], 0, v19
	v_fma_f32 v20, -v15, v8, v4
	v_add_u32_e32 v16, -1, v9
	v_cndmask_b32_e64 v8, v8, v14, s[6:7]
	v_cmp_lt_f32_e64 s[6:7], 0, v18
	v_fma_f32 v21, -v16, v9, v3
	v_ashrrev_i32_e32 v1, 31, v0
	v_cndmask_b32_e64 v6, v6, v13, s[6:7]
	v_cmp_lt_f32_e64 s[6:7], 0, v20
	v_mul_f32_e32 v10, 0x37800000, v6
	v_cndmask_b32_e32 v6, v6, v10, vcc
	v_cndmask_b32_e64 v8, v8, v15, s[6:7]
	v_mul_f32_e32 v13, 0x37800000, v8
	v_cmp_class_f32_e32 vcc, v5, v11
	v_cndmask_b32_e64 v8, v8, v13, s[2:3]
	s_nop 0
	v_cndmask_b32_e32 v13, v6, v5, vcc
	v_cmp_class_f32_e32 vcc, v4, v11
	v_add_u32_e32 v5, 1, v9
	v_fma_f32 v6, -v5, v9, v3
	v_cndmask_b32_e32 v14, v8, v4, vcc
	v_cmp_ge_f32_e32 vcc, 0, v21
	s_nop 1
	v_cndmask_b32_e32 v4, v9, v16, vcc
	v_cmp_lt_f32_e32 vcc, 0, v6
	s_nop 1
	v_cndmask_b32_e32 v4, v4, v5, vcc
	v_mul_f32_e32 v5, 0x37800000, v4
	v_cndmask_b32_e64 v4, v4, v5, s[4:5]
	v_cmp_class_f32_e32 vcc, v3, v11
	s_cselect_b64 s[4:5], -1, 0
	s_cmp_lt_i32 s20, 1
	v_cndmask_b32_e32 v15, v4, v3, vcc
	v_lshl_add_u64 v[4:5], v[0:1], 2, s[10:11]
	s_cbranch_scc1 .LBB40_28
; %bb.2:
	s_load_dwordx2 s[6:7], s[0:1], 0x20
	s_cmp_lt_u32 s20, 4
	s_cbranch_scc1 .LBB40_21
; %bb.3:
	s_mov_b32 s13, 0
	s_and_b32 s8, s20, 0x7ffffffc
	v_ashrrev_i32_e32 v3, 31, v2
	v_mov_b32_e32 v7, 0
	s_mov_b32 s12, s13
	s_branch .LBB40_5
.LBB40_4:                               ;   in Loop: Header=BB40_5 Depth=1
	s_or_b64 exec, exec, s[14:15]
	s_add_i32 s12, s12, 4
	s_cmp_eq_u32 s12, s8
	s_cbranch_scc1 .LBB40_21
.LBB40_5:                               ; =>This Loop Header: Depth=1
                                        ;     Child Loop BB40_7 Depth 2
                                        ;     Child Loop BB40_11 Depth 2
	;; [unrolled: 1-line block ×4, first 2 shown]
	v_lshl_add_u64 v[8:9], s[12:13], 2, v[4:5]
	global_load_dword v6, v[8:9], off
	v_add_u32_e32 v10, s12, v2
	v_ashrrev_i32_e32 v11, 31, v10
	s_waitcnt lgkmcnt(0)
	v_lshl_add_u64 v[10:11], v[10:11], 2, s[6:7]
	s_mov_b64 s[14:15], 0
	v_mov_b32_e32 v16, v12
	s_mov_b64 s[16:17], 0
	s_waitcnt vmcnt(0)
	s_branch .LBB40_7
.LBB40_6:                               ;   in Loop: Header=BB40_7 Depth=2
	s_or_b64 exec, exec, s[18:19]
	s_cmp_gt_u32 s16, 1
	s_cselect_b64 s[2:3], -1, 0
	s_xor_b64 s[18:19], vcc, -1
	s_or_b64 s[2:3], s[18:19], s[2:3]
	s_add_u32 s16, s16, 1
	s_addc_u32 s17, s17, 0
	s_and_b64 s[2:3], exec, s[2:3]
	s_or_b64 s[14:15], s[2:3], s[14:15]
	v_add_u32_e32 v16, 64, v16
	s_andn2_b64 exec, exec, s[14:15]
	s_cbranch_execz .LBB40_9
.LBB40_7:                               ;   Parent Loop BB40_5 Depth=1
                                        ; =>  This Inner Loop Header: Depth=2
	v_cmp_ne_u32_e32 vcc, v6, v16
	v_cmp_eq_u32_e64 s[2:3], v6, v16
	s_and_saveexec_b64 s[18:19], s[2:3]
	s_cbranch_execz .LBB40_6
; %bb.8:                                ;   in Loop: Header=BB40_7 Depth=2
	s_cmp_eq_u32 s16, 1
	s_cselect_b64 s[2:3], -1, 0
	s_cmp_eq_u32 s16, 2
	v_cndmask_b32_e64 v17, v14, v13, s[2:3]
	s_cselect_b64 s[2:3], -1, 0
	v_cndmask_b32_e64 v17, v17, v15, s[2:3]
	v_add_f32_e32 v7, v7, v17
	global_store_dword v[10:11], v6, off
	s_branch .LBB40_6
.LBB40_9:                               ;   in Loop: Header=BB40_5 Depth=1
	s_or_b64 exec, exec, s[14:15]
	global_load_dword v6, v[8:9], off offset:4
	s_ashr_i32 s3, s12, 31
	s_mov_b32 s2, s12
	v_lshl_add_u64 v[10:11], s[2:3], 0, v[2:3]
	v_lshl_add_u64 v[10:11], v[10:11], 2, s[6:7]
	s_mov_b64 s[14:15], 0
	v_mov_b32_e32 v16, v12
	s_mov_b64 s[16:17], 0
	s_waitcnt vmcnt(0)
	s_branch .LBB40_11
.LBB40_10:                              ;   in Loop: Header=BB40_11 Depth=2
	s_or_b64 exec, exec, s[18:19]
	s_cmp_gt_u32 s16, 1
	s_cselect_b64 s[2:3], -1, 0
	s_xor_b64 s[18:19], vcc, -1
	s_or_b64 s[2:3], s[18:19], s[2:3]
	s_add_u32 s16, s16, 1
	s_addc_u32 s17, s17, 0
	s_and_b64 s[2:3], exec, s[2:3]
	s_or_b64 s[14:15], s[2:3], s[14:15]
	v_add_u32_e32 v16, 64, v16
	s_andn2_b64 exec, exec, s[14:15]
	s_cbranch_execz .LBB40_13
.LBB40_11:                              ;   Parent Loop BB40_5 Depth=1
                                        ; =>  This Inner Loop Header: Depth=2
	v_cmp_ne_u32_e32 vcc, v6, v16
	v_cmp_eq_u32_e64 s[2:3], v6, v16
	s_and_saveexec_b64 s[18:19], s[2:3]
	s_cbranch_execz .LBB40_10
; %bb.12:                               ;   in Loop: Header=BB40_11 Depth=2
	s_cmp_eq_u32 s16, 1
	s_cselect_b64 s[2:3], -1, 0
	s_cmp_eq_u32 s16, 2
	v_cndmask_b32_e64 v17, v14, v13, s[2:3]
	s_cselect_b64 s[2:3], -1, 0
	v_cndmask_b32_e64 v17, v17, v15, s[2:3]
	v_add_f32_e32 v7, v7, v17
	global_store_dword v[10:11], v6, off offset:4
	s_branch .LBB40_10
.LBB40_13:                              ;   in Loop: Header=BB40_5 Depth=1
	s_or_b64 exec, exec, s[14:15]
	global_load_dword v6, v[8:9], off offset:8
	s_mov_b64 s[14:15], 0
	v_mov_b32_e32 v16, v12
	s_mov_b64 s[16:17], 0
	s_waitcnt vmcnt(0)
	s_branch .LBB40_15
.LBB40_14:                              ;   in Loop: Header=BB40_15 Depth=2
	s_or_b64 exec, exec, s[18:19]
	s_cmp_gt_u32 s16, 1
	s_cselect_b64 s[2:3], -1, 0
	s_xor_b64 s[18:19], vcc, -1
	s_or_b64 s[2:3], s[18:19], s[2:3]
	s_add_u32 s16, s16, 1
	s_addc_u32 s17, s17, 0
	s_and_b64 s[2:3], exec, s[2:3]
	s_or_b64 s[14:15], s[2:3], s[14:15]
	v_add_u32_e32 v16, 64, v16
	s_andn2_b64 exec, exec, s[14:15]
	s_cbranch_execz .LBB40_17
.LBB40_15:                              ;   Parent Loop BB40_5 Depth=1
                                        ; =>  This Inner Loop Header: Depth=2
	v_cmp_ne_u32_e32 vcc, v6, v16
	v_cmp_eq_u32_e64 s[2:3], v6, v16
	s_and_saveexec_b64 s[18:19], s[2:3]
	s_cbranch_execz .LBB40_14
; %bb.16:                               ;   in Loop: Header=BB40_15 Depth=2
	s_cmp_eq_u32 s16, 1
	s_cselect_b64 s[2:3], -1, 0
	s_cmp_eq_u32 s16, 2
	v_cndmask_b32_e64 v17, v14, v13, s[2:3]
	s_cselect_b64 s[2:3], -1, 0
	v_cndmask_b32_e64 v17, v17, v15, s[2:3]
	v_add_f32_e32 v7, v7, v17
	global_store_dword v[10:11], v6, off offset:8
	s_branch .LBB40_14
.LBB40_17:                              ;   in Loop: Header=BB40_5 Depth=1
	s_or_b64 exec, exec, s[14:15]
	global_load_dword v6, v[8:9], off offset:12
	s_mov_b64 s[14:15], 0
	v_mov_b32_e32 v8, v12
	s_mov_b64 s[16:17], 0
	s_waitcnt vmcnt(0)
	s_branch .LBB40_19
.LBB40_18:                              ;   in Loop: Header=BB40_19 Depth=2
	s_or_b64 exec, exec, s[18:19]
	s_cmp_gt_u32 s16, 1
	s_cselect_b64 s[2:3], -1, 0
	s_xor_b64 s[18:19], vcc, -1
	s_or_b64 s[2:3], s[18:19], s[2:3]
	s_add_u32 s16, s16, 1
	s_addc_u32 s17, s17, 0
	s_and_b64 s[2:3], exec, s[2:3]
	s_or_b64 s[14:15], s[2:3], s[14:15]
	v_add_u32_e32 v8, 64, v8
	s_andn2_b64 exec, exec, s[14:15]
	s_cbranch_execz .LBB40_4
.LBB40_19:                              ;   Parent Loop BB40_5 Depth=1
                                        ; =>  This Inner Loop Header: Depth=2
	v_cmp_ne_u32_e32 vcc, v6, v8
	v_cmp_eq_u32_e64 s[2:3], v6, v8
	s_and_saveexec_b64 s[18:19], s[2:3]
	s_cbranch_execz .LBB40_18
; %bb.20:                               ;   in Loop: Header=BB40_19 Depth=2
	s_cmp_eq_u32 s16, 1
	s_cselect_b64 s[2:3], -1, 0
	s_cmp_eq_u32 s16, 2
	v_cndmask_b32_e64 v9, v14, v13, s[2:3]
	s_cselect_b64 s[2:3], -1, 0
	v_cndmask_b32_e64 v9, v9, v15, s[2:3]
	v_add_f32_e32 v7, v7, v9
	global_store_dword v[10:11], v6, off offset:12
	s_branch .LBB40_18
.LBB40_21:
	s_and_b32 s18, s20, 3
	s_cmp_eq_u32 s18, 0
	s_mov_b32 s9, 0
	s_cbranch_scc1 .LBB40_28
; %bb.22:
	s_mov_b32 s19, s9
	s_branch .LBB40_24
.LBB40_23:                              ;   in Loop: Header=BB40_24 Depth=1
	s_or_b64 exec, exec, s[12:13]
	s_add_i32 s8, s8, 1
	s_add_i32 s19, s19, 1
	s_cmp_lg_u32 s19, s18
	s_cbranch_scc0 .LBB40_28
.LBB40_24:                              ; =>This Loop Header: Depth=1
                                        ;     Child Loop BB40_26 Depth 2
	v_lshl_add_u64 v[8:9], s[8:9], 2, v[4:5]
	global_load_dword v3, v[8:9], off
	v_add_u32_e32 v8, s8, v2
	v_ashrrev_i32_e32 v9, 31, v8
	s_waitcnt lgkmcnt(0)
	v_lshl_add_u64 v[8:9], v[8:9], 2, s[6:7]
	s_mov_b64 s[12:13], 0
	v_mov_b32_e32 v6, v12
	s_mov_b64 s[14:15], 0
	s_waitcnt vmcnt(0)
	s_branch .LBB40_26
.LBB40_25:                              ;   in Loop: Header=BB40_26 Depth=2
	s_or_b64 exec, exec, s[16:17]
	s_cmp_gt_u32 s14, 1
	s_cselect_b64 s[2:3], -1, 0
	s_xor_b64 s[16:17], vcc, -1
	s_or_b64 s[2:3], s[16:17], s[2:3]
	s_add_u32 s14, s14, 1
	s_addc_u32 s15, s15, 0
	s_and_b64 s[2:3], exec, s[2:3]
	s_or_b64 s[12:13], s[2:3], s[12:13]
	v_add_u32_e32 v6, 64, v6
	s_andn2_b64 exec, exec, s[12:13]
	s_cbranch_execz .LBB40_23
.LBB40_26:                              ;   Parent Loop BB40_24 Depth=1
                                        ; =>  This Inner Loop Header: Depth=2
	v_cmp_ne_u32_e32 vcc, v3, v6
	v_cmp_eq_u32_e64 s[2:3], v3, v6
	s_and_saveexec_b64 s[16:17], s[2:3]
	s_cbranch_execz .LBB40_25
; %bb.27:                               ;   in Loop: Header=BB40_26 Depth=2
	s_cmp_eq_u32 s14, 1
	s_cselect_b64 s[2:3], -1, 0
	s_cmp_eq_u32 s14, 2
	v_cndmask_b32_e64 v10, v14, v13, s[2:3]
	s_cselect_b64 s[2:3], -1, 0
	v_cndmask_b32_e64 v10, v10, v15, s[2:3]
	v_add_f32_e32 v7, v7, v10
	global_store_dword v[8:9], v3, off
	s_branch .LBB40_25
.LBB40_28:
	s_waitcnt lgkmcnt(0)
	s_load_dword s6, s[0:1], 0x3c
	s_waitcnt lgkmcnt(0)
	s_bitcmp1_b32 s6, 0
	s_cselect_b64 s[2:3], -1, 0
	s_bitcmp0_b32 s6, 0
	s_cbranch_scc0 .LBB40_31
; %bb.29:
	s_load_dwordx2 s[6:7], s[0:1], 0x40
	s_andn2_b64 vcc, exec, s[2:3]
	s_waitcnt lgkmcnt(0)
	v_cvt_f32_f64_e32 v16, s[6:7]
	s_cbranch_vccz .LBB40_32
.LBB40_30:
	s_andn2_b64 vcc, exec, s[4:5]
	s_cbranch_vccz .LBB40_33
	s_branch .LBB40_69
.LBB40_31:
	v_mbcnt_lo_u32_b32 v3, -1, 0
	v_mbcnt_hi_u32_b32 v3, -1, v3
	v_and_b32_e32 v6, 64, v3
	v_add_u32_e32 v6, 64, v6
	v_xor_b32_e32 v8, 32, v3
	v_cmp_lt_i32_e32 vcc, v8, v6
	v_xor_b32_e32 v9, 16, v3
	s_nop 0
	v_cndmask_b32_e32 v8, v3, v8, vcc
	v_lshlrev_b32_e32 v8, 2, v8
	ds_bpermute_b32 v8, v8, v7
	v_cmp_lt_i32_e32 vcc, v9, v6
	s_waitcnt lgkmcnt(0)
	v_add_f32_e32 v7, v7, v8
	v_cndmask_b32_e32 v8, v3, v9, vcc
	v_lshlrev_b32_e32 v8, 2, v8
	ds_bpermute_b32 v8, v8, v7
	v_xor_b32_e32 v9, 8, v3
	v_cmp_lt_i32_e32 vcc, v9, v6
	s_waitcnt lgkmcnt(0)
	v_add_f32_e32 v7, v7, v8
	v_cndmask_b32_e32 v8, v3, v9, vcc
	v_lshlrev_b32_e32 v8, 2, v8
	ds_bpermute_b32 v8, v8, v7
	v_xor_b32_e32 v9, 4, v3
	;; [unrolled: 7-line block ×4, first 2 shown]
	v_cmp_lt_i32_e32 vcc, v9, v6
	s_waitcnt lgkmcnt(0)
	v_add_f32_e32 v7, v7, v8
	v_cndmask_b32_e32 v3, v3, v9, vcc
	v_lshlrev_b32_e32 v3, 2, v3
	ds_bpermute_b32 v3, v3, v7
	s_waitcnt lgkmcnt(0)
	v_add_f32_e32 v7, v7, v3
	s_load_dwordx2 s[6:7], s[0:1], 0x40
	s_andn2_b64 vcc, exec, s[2:3]
	s_waitcnt lgkmcnt(0)
	v_cvt_f32_f64_e32 v16, s[6:7]
	s_cbranch_vccnz .LBB40_30
.LBB40_32:
	v_cmp_lt_f32_e32 vcc, 0, v7
	s_nop 1
	v_cndmask_b32_e32 v3, 1.0, v7, vcc
	v_div_scale_f32 v6, s[2:3], v3, v3, v16
	v_rcp_f32_e32 v7, v6
	s_nop 0
	v_fma_f32 v8, -v6, v7, 1.0
	v_fmac_f32_e32 v7, v8, v7
	v_div_scale_f32 v8, vcc, v16, v3, v16
	v_mul_f32_e32 v9, v8, v7
	v_fma_f32 v10, -v6, v9, v8
	v_fmac_f32_e32 v9, v10, v7
	v_fma_f32 v6, -v6, v9, v8
	v_div_fmas_f32 v6, v6, v7, v9
	v_div_fixup_f32 v16, v6, v3, v16
	s_andn2_b64 vcc, exec, s[4:5]
	s_cbranch_vccnz .LBB40_69
.LBB40_33:
	s_load_dwordx2 s[0:1], s[0:1], 0x10
	v_or_b32_e32 v17, 64, v12
	v_or_b32_e32 v18, 0x80, v12
	s_cmp_lt_u32 s20, 4
	s_mov_b32 s2, 0
	s_cbranch_scc1 .LBB40_60
; %bb.34:
	v_ashrrev_i32_e32 v3, 31, v2
	s_and_b32 s2, s20, 0x7ffffffc
	s_waitcnt lgkmcnt(0)
	v_lshl_add_u64 v[6:7], v[2:3], 2, s[0:1]
	s_mov_b32 s3, 0
	s_mov_b64 s[4:5], 0
	s_branch .LBB40_36
.LBB40_35:                              ;   in Loop: Header=BB40_36 Depth=1
	s_or_b64 exec, exec, s[8:9]
	s_add_i32 s3, s3, 4
	s_add_u32 s4, s4, 16
	s_addc_u32 s5, s5, 0
	s_cmp_lg_u32 s2, s3
	s_cbranch_scc0 .LBB40_60
.LBB40_36:                              ; =>This Inner Loop Header: Depth=1
	v_lshl_add_u64 v[8:9], v[4:5], 0, s[4:5]
	global_load_dword v3, v[8:9], off
	v_mov_b64_e32 v[10:11], 0
	s_waitcnt vmcnt(0)
	v_cmp_eq_u32_e64 s[6:7], v3, v12
	v_cmp_ne_u32_e32 vcc, v3, v12
	s_and_saveexec_b64 s[8:9], vcc
	s_cbranch_execz .LBB40_40
; %bb.37:                               ;   in Loop: Header=BB40_36 Depth=1
	v_cmp_eq_u32_e64 s[12:13], v3, v17
	v_cmp_ne_u32_e32 vcc, v3, v17
	v_mov_b64_e32 v[10:11], 1
	s_and_saveexec_b64 s[14:15], vcc
	s_xor_b64 s[14:15], exec, s[14:15]
; %bb.38:                               ;   in Loop: Header=BB40_36 Depth=1
	v_cmp_eq_u32_e32 vcc, v3, v18
	s_andn2_b64 s[12:13], s[12:13], exec
	s_and_b64 s[16:17], vcc, exec
	v_mov_b64_e32 v[10:11], 2
	s_or_b64 s[12:13], s[12:13], s[16:17]
; %bb.39:                               ;   in Loop: Header=BB40_36 Depth=1
	s_or_b64 exec, exec, s[14:15]
	s_andn2_b64 s[6:7], s[6:7], exec
	s_and_b64 s[12:13], s[12:13], exec
	s_or_b64 s[6:7], s[6:7], s[12:13]
.LBB40_40:                              ;   in Loop: Header=BB40_36 Depth=1
	s_or_b64 exec, exec, s[8:9]
	s_and_saveexec_b64 s[8:9], s[6:7]
	s_cbranch_execz .LBB40_42
; %bb.41:                               ;   in Loop: Header=BB40_36 Depth=1
	v_cmp_eq_u32_e32 vcc, 1, v10
	v_add_u32_e32 v20, s3, v2
	v_ashrrev_i32_e32 v21, 31, v20
	v_cndmask_b32_e32 v3, v14, v13, vcc
	v_cmp_eq_u32_e32 vcc, 2, v10
	v_lshl_add_u64 v[10:11], v[20:21], 2, s[0:1]
	s_nop 0
	v_cndmask_b32_e32 v3, v3, v15, vcc
	v_mul_f32_e32 v3, v16, v3
	global_store_dword v[10:11], v3, off
.LBB40_42:                              ;   in Loop: Header=BB40_36 Depth=1
	s_or_b64 exec, exec, s[8:9]
	global_load_dword v3, v[8:9], off offset:4
	v_mov_b64_e32 v[10:11], 0
	s_waitcnt vmcnt(0)
	v_cmp_eq_u32_e64 s[6:7], v3, v12
	v_cmp_ne_u32_e32 vcc, v3, v12
	s_and_saveexec_b64 s[8:9], vcc
	s_cbranch_execz .LBB40_46
; %bb.43:                               ;   in Loop: Header=BB40_36 Depth=1
	v_cmp_eq_u32_e64 s[12:13], v3, v17
	v_cmp_ne_u32_e32 vcc, v3, v17
	v_mov_b64_e32 v[10:11], 1
	s_and_saveexec_b64 s[14:15], vcc
; %bb.44:                               ;   in Loop: Header=BB40_36 Depth=1
	v_cmp_eq_u32_e32 vcc, v3, v18
	s_andn2_b64 s[12:13], s[12:13], exec
	s_and_b64 s[16:17], vcc, exec
	v_mov_b64_e32 v[10:11], 2
	s_or_b64 s[12:13], s[12:13], s[16:17]
; %bb.45:                               ;   in Loop: Header=BB40_36 Depth=1
	s_or_b64 exec, exec, s[14:15]
	s_andn2_b64 s[6:7], s[6:7], exec
	s_and_b64 s[12:13], s[12:13], exec
	s_or_b64 s[6:7], s[6:7], s[12:13]
.LBB40_46:                              ;   in Loop: Header=BB40_36 Depth=1
	s_or_b64 exec, exec, s[8:9]
	s_and_saveexec_b64 s[8:9], s[6:7]
	s_cbranch_execz .LBB40_48
; %bb.47:                               ;   in Loop: Header=BB40_36 Depth=1
	v_cmp_eq_u32_e32 vcc, 1, v10
	s_nop 1
	v_cndmask_b32_e32 v3, v14, v13, vcc
	v_cmp_eq_u32_e32 vcc, 2, v10
	v_lshl_add_u64 v[10:11], v[6:7], 0, s[4:5]
	s_nop 0
	v_cndmask_b32_e32 v3, v3, v15, vcc
	v_mul_f32_e32 v3, v16, v3
	global_store_dword v[10:11], v3, off offset:4
.LBB40_48:                              ;   in Loop: Header=BB40_36 Depth=1
	s_or_b64 exec, exec, s[8:9]
	global_load_dword v3, v[8:9], off offset:8
	v_mov_b64_e32 v[10:11], 0
	s_waitcnt vmcnt(0)
	v_cmp_eq_u32_e64 s[6:7], v3, v12
	v_cmp_ne_u32_e32 vcc, v3, v12
	s_and_saveexec_b64 s[8:9], vcc
	s_cbranch_execz .LBB40_52
; %bb.49:                               ;   in Loop: Header=BB40_36 Depth=1
	v_cmp_eq_u32_e64 s[12:13], v3, v17
	v_cmp_ne_u32_e32 vcc, v3, v17
	v_mov_b64_e32 v[10:11], 1
	s_and_saveexec_b64 s[14:15], vcc
; %bb.50:                               ;   in Loop: Header=BB40_36 Depth=1
	v_cmp_eq_u32_e32 vcc, v3, v18
	s_andn2_b64 s[12:13], s[12:13], exec
	s_and_b64 s[16:17], vcc, exec
	v_mov_b64_e32 v[10:11], 2
	s_or_b64 s[12:13], s[12:13], s[16:17]
; %bb.51:                               ;   in Loop: Header=BB40_36 Depth=1
	s_or_b64 exec, exec, s[14:15]
	s_andn2_b64 s[6:7], s[6:7], exec
	s_and_b64 s[12:13], s[12:13], exec
	s_or_b64 s[6:7], s[6:7], s[12:13]
.LBB40_52:                              ;   in Loop: Header=BB40_36 Depth=1
	s_or_b64 exec, exec, s[8:9]
	s_and_saveexec_b64 s[8:9], s[6:7]
	s_cbranch_execz .LBB40_54
; %bb.53:                               ;   in Loop: Header=BB40_36 Depth=1
	v_cmp_eq_u32_e32 vcc, 1, v10
	s_nop 1
	v_cndmask_b32_e32 v3, v14, v13, vcc
	v_cmp_eq_u32_e32 vcc, 2, v10
	v_lshl_add_u64 v[10:11], v[6:7], 0, s[4:5]
	s_nop 0
	v_cndmask_b32_e32 v3, v3, v15, vcc
	v_mul_f32_e32 v3, v16, v3
	global_store_dword v[10:11], v3, off offset:8
.LBB40_54:                              ;   in Loop: Header=BB40_36 Depth=1
	s_or_b64 exec, exec, s[8:9]
	global_load_dword v3, v[8:9], off offset:12
	v_mov_b64_e32 v[8:9], 0
	s_waitcnt vmcnt(0)
	v_cmp_eq_u32_e64 s[6:7], v3, v12
	v_cmp_ne_u32_e32 vcc, v3, v12
	s_and_saveexec_b64 s[8:9], vcc
	s_cbranch_execz .LBB40_58
; %bb.55:                               ;   in Loop: Header=BB40_36 Depth=1
	v_cmp_eq_u32_e64 s[12:13], v3, v17
	v_cmp_ne_u32_e32 vcc, v3, v17
	v_mov_b64_e32 v[8:9], 1
	s_and_saveexec_b64 s[14:15], vcc
; %bb.56:                               ;   in Loop: Header=BB40_36 Depth=1
	v_cmp_eq_u32_e32 vcc, v3, v18
	s_andn2_b64 s[12:13], s[12:13], exec
	s_and_b64 s[16:17], vcc, exec
	v_mov_b64_e32 v[8:9], 2
	s_or_b64 s[12:13], s[12:13], s[16:17]
; %bb.57:                               ;   in Loop: Header=BB40_36 Depth=1
	s_or_b64 exec, exec, s[14:15]
	s_andn2_b64 s[6:7], s[6:7], exec
	s_and_b64 s[12:13], s[12:13], exec
	s_or_b64 s[6:7], s[6:7], s[12:13]
.LBB40_58:                              ;   in Loop: Header=BB40_36 Depth=1
	s_or_b64 exec, exec, s[8:9]
	s_and_saveexec_b64 s[8:9], s[6:7]
	s_cbranch_execz .LBB40_35
; %bb.59:                               ;   in Loop: Header=BB40_36 Depth=1
	v_cmp_eq_u32_e32 vcc, 1, v8
	s_nop 1
	v_cndmask_b32_e32 v3, v14, v13, vcc
	v_cmp_eq_u32_e32 vcc, 2, v8
	v_lshl_add_u64 v[8:9], v[6:7], 0, s[4:5]
	s_nop 0
	v_cndmask_b32_e32 v3, v3, v15, vcc
	v_mul_f32_e32 v3, v16, v3
	global_store_dword v[8:9], v3, off offset:12
	s_branch .LBB40_35
.LBB40_60:
	s_and_b32 s12, s20, 3
	s_cmp_eq_u32 s12, 0
	s_mov_b32 s3, 0
	s_cbranch_scc1 .LBB40_69
; %bb.61:
	v_add_u32_e32 v2, s2, v2
	s_lshl_b64 s[2:3], s[2:3], 2
	s_add_u32 s2, s10, s2
	s_addc_u32 s3, s11, s3
	v_lshl_add_u64 v[0:1], v[0:1], 2, s[2:3]
	s_branch .LBB40_63
.LBB40_62:                              ;   in Loop: Header=BB40_63 Depth=1
	s_or_b64 exec, exec, s[4:5]
	s_add_i32 s12, s12, -1
	v_add_u32_e32 v2, 1, v2
	s_cmp_lg_u32 s12, 0
	v_lshl_add_u64 v[0:1], v[0:1], 0, 4
	s_cbranch_scc0 .LBB40_69
.LBB40_63:                              ; =>This Inner Loop Header: Depth=1
	global_load_dword v3, v[0:1], off
	v_mov_b64_e32 v[4:5], 0
	s_waitcnt vmcnt(0)
	v_cmp_eq_u32_e64 s[2:3], v3, v12
	v_cmp_ne_u32_e32 vcc, v3, v12
	s_and_saveexec_b64 s[4:5], vcc
	s_cbranch_execz .LBB40_67
; %bb.64:                               ;   in Loop: Header=BB40_63 Depth=1
	v_cmp_eq_u32_e64 s[6:7], v3, v17
	v_cmp_ne_u32_e32 vcc, v3, v17
	v_mov_b64_e32 v[4:5], 1
	s_and_saveexec_b64 s[8:9], vcc
; %bb.65:                               ;   in Loop: Header=BB40_63 Depth=1
	v_cmp_eq_u32_e32 vcc, v3, v18
	s_andn2_b64 s[6:7], s[6:7], exec
	s_and_b64 s[10:11], vcc, exec
	v_mov_b64_e32 v[4:5], 2
	s_or_b64 s[6:7], s[6:7], s[10:11]
; %bb.66:                               ;   in Loop: Header=BB40_63 Depth=1
	s_or_b64 exec, exec, s[8:9]
	s_andn2_b64 s[2:3], s[2:3], exec
	s_and_b64 s[6:7], s[6:7], exec
	s_or_b64 s[2:3], s[2:3], s[6:7]
.LBB40_67:                              ;   in Loop: Header=BB40_63 Depth=1
	s_or_b64 exec, exec, s[4:5]
	s_and_saveexec_b64 s[4:5], s[2:3]
	s_cbranch_execz .LBB40_62
; %bb.68:                               ;   in Loop: Header=BB40_63 Depth=1
	v_cmp_eq_u32_e32 vcc, 1, v4
	s_nop 1
	v_cndmask_b32_e32 v3, v14, v13, vcc
	v_cmp_eq_u32_e32 vcc, 2, v4
	s_nop 1
	v_cndmask_b32_e32 v3, v3, v15, vcc
	v_mul_f32_e32 v6, v16, v3
	v_ashrrev_i32_e32 v3, 31, v2
	s_waitcnt lgkmcnt(0)
	v_lshl_add_u64 v[4:5], v[2:3], 2, s[0:1]
	global_store_dword v[4:5], v6, off
	s_branch .LBB40_62
.LBB40_69:
	s_endpgm
	.section	.rodata,"a",@progbits
	.p2align	6, 0x0
	.amdhsa_kernel _ZN4vllm3moe22topkGatingSoftplusSqrtILi3ELi192ELi4ELi4ELi64ELb1EifEEvPKT6_PKbPfiPT5_PiiiibdPKfPKS8_SE_
		.amdhsa_group_segment_fixed_size 0
		.amdhsa_private_segment_fixed_size 0
		.amdhsa_kernarg_size 96
		.amdhsa_user_sgpr_count 2
		.amdhsa_user_sgpr_dispatch_ptr 0
		.amdhsa_user_sgpr_queue_ptr 0
		.amdhsa_user_sgpr_kernarg_segment_ptr 1
		.amdhsa_user_sgpr_dispatch_id 0
		.amdhsa_user_sgpr_kernarg_preload_length 0
		.amdhsa_user_sgpr_kernarg_preload_offset 0
		.amdhsa_user_sgpr_private_segment_size 0
		.amdhsa_uses_dynamic_stack 0
		.amdhsa_enable_private_segment 0
		.amdhsa_system_sgpr_workgroup_id_x 1
		.amdhsa_system_sgpr_workgroup_id_y 0
		.amdhsa_system_sgpr_workgroup_id_z 0
		.amdhsa_system_sgpr_workgroup_info 0
		.amdhsa_system_vgpr_workitem_id 1
		.amdhsa_next_free_vgpr 22
		.amdhsa_next_free_sgpr 21
		.amdhsa_accum_offset 24
		.amdhsa_reserve_vcc 1
		.amdhsa_float_round_mode_32 0
		.amdhsa_float_round_mode_16_64 0
		.amdhsa_float_denorm_mode_32 3
		.amdhsa_float_denorm_mode_16_64 3
		.amdhsa_dx10_clamp 1
		.amdhsa_ieee_mode 1
		.amdhsa_fp16_overflow 0
		.amdhsa_tg_split 0
		.amdhsa_exception_fp_ieee_invalid_op 0
		.amdhsa_exception_fp_denorm_src 0
		.amdhsa_exception_fp_ieee_div_zero 0
		.amdhsa_exception_fp_ieee_overflow 0
		.amdhsa_exception_fp_ieee_underflow 0
		.amdhsa_exception_fp_ieee_inexact 0
		.amdhsa_exception_int_div_zero 0
	.end_amdhsa_kernel
	.section	.text._ZN4vllm3moe22topkGatingSoftplusSqrtILi3ELi192ELi4ELi4ELi64ELb1EifEEvPKT6_PKbPfiPT5_PiiiibdPKfPKS8_SE_,"axG",@progbits,_ZN4vllm3moe22topkGatingSoftplusSqrtILi3ELi192ELi4ELi4ELi64ELb1EifEEvPKT6_PKbPfiPT5_PiiiibdPKfPKS8_SE_,comdat
.Lfunc_end40:
	.size	_ZN4vllm3moe22topkGatingSoftplusSqrtILi3ELi192ELi4ELi4ELi64ELb1EifEEvPKT6_PKbPfiPT5_PiiiibdPKfPKS8_SE_, .Lfunc_end40-_ZN4vllm3moe22topkGatingSoftplusSqrtILi3ELi192ELi4ELi4ELi64ELb1EifEEvPKT6_PKbPfiPT5_PiiiibdPKfPKS8_SE_
                                        ; -- End function
	.section	.AMDGPU.csdata,"",@progbits
; Kernel info:
; codeLenInByte = 3196
; NumSgprs: 27
; NumVgprs: 22
; NumAgprs: 0
; TotalNumVgprs: 22
; ScratchSize: 0
; MemoryBound: 0
; FloatMode: 240
; IeeeMode: 1
; LDSByteSize: 0 bytes/workgroup (compile time only)
; SGPRBlocks: 3
; VGPRBlocks: 2
; NumSGPRsForWavesPerEU: 27
; NumVGPRsForWavesPerEU: 22
; AccumOffset: 24
; Occupancy: 8
; WaveLimiterHint : 1
; COMPUTE_PGM_RSRC2:SCRATCH_EN: 0
; COMPUTE_PGM_RSRC2:USER_SGPR: 2
; COMPUTE_PGM_RSRC2:TRAP_HANDLER: 0
; COMPUTE_PGM_RSRC2:TGID_X_EN: 1
; COMPUTE_PGM_RSRC2:TGID_Y_EN: 0
; COMPUTE_PGM_RSRC2:TGID_Z_EN: 0
; COMPUTE_PGM_RSRC2:TIDIG_COMP_CNT: 1
; COMPUTE_PGM_RSRC3_GFX90A:ACCUM_OFFSET: 5
; COMPUTE_PGM_RSRC3_GFX90A:TG_SPLIT: 0
	.section	.text._ZN4vllm3moe22topkGatingSoftplusSqrtILi3ELi192ELi4ELi4ELi64ELb0EifEEvPKT6_PKbPfiPT5_PiiiibdPKfPKS8_SE_,"axG",@progbits,_ZN4vllm3moe22topkGatingSoftplusSqrtILi3ELi192ELi4ELi4ELi64ELb0EifEEvPKT6_PKbPfiPT5_PiiiibdPKfPKS8_SE_,comdat
	.protected	_ZN4vllm3moe22topkGatingSoftplusSqrtILi3ELi192ELi4ELi4ELi64ELb0EifEEvPKT6_PKbPfiPT5_PiiiibdPKfPKS8_SE_ ; -- Begin function _ZN4vllm3moe22topkGatingSoftplusSqrtILi3ELi192ELi4ELi4ELi64ELb0EifEEvPKT6_PKbPfiPT5_PiiiibdPKfPKS8_SE_
	.globl	_ZN4vllm3moe22topkGatingSoftplusSqrtILi3ELi192ELi4ELi4ELi64ELb0EifEEvPKT6_PKbPfiPT5_PiiiibdPKfPKS8_SE_
	.p2align	8
	.type	_ZN4vllm3moe22topkGatingSoftplusSqrtILi3ELi192ELi4ELi4ELi64ELb0EifEEvPKT6_PKbPfiPT5_PiiiibdPKfPKS8_SE_,@function
_ZN4vllm3moe22topkGatingSoftplusSqrtILi3ELi192ELi4ELi4ELi64ELb0EifEEvPKT6_PKbPfiPT5_PiiiibdPKfPKS8_SE_: ; @_ZN4vllm3moe22topkGatingSoftplusSqrtILi3ELi192ELi4ELi4ELi64ELb0EifEEvPKT6_PKbPfiPT5_PiiiibdPKfPKS8_SE_
; %bb.0:
	s_load_dword s30, s[0:1], 0x18
	v_and_b32_e32 v1, 0x3ff, v0
	s_lshl_b32 s2, s2, 2
	v_lshrrev_b32_e32 v2, 6, v1
	v_bfe_u32 v0, v0, 10, 10
	v_add3_u32 v4, s2, v0, v2
	s_waitcnt lgkmcnt(0)
	v_cmp_gt_i32_e32 vcc, s30, v4
	s_and_saveexec_b64 s[2:3], vcc
	s_cbranch_execz .LBB41_55
; %bb.1:
	s_load_dwordx4 s[4:7], s[0:1], 0x0
	s_load_dwordx2 s[20:21], s[0:1], 0x10
	s_waitcnt lgkmcnt(0)
	s_cmp_eq_u64 s[6:7], 0
	s_cbranch_scc1 .LBB41_3
; %bb.2:
	v_ashrrev_i32_e32 v5, 31, v4
	v_lshl_add_u64 v[2:3], s[6:7], 0, v[4:5]
	global_load_ubyte v0, v[2:3], off
	s_waitcnt vmcnt(0)
	v_and_b32_e32 v0, 1, v0
	v_cmp_eq_u32_e32 vcc, 1, v0
	s_xor_b64 s[2:3], vcc, -1
	s_orn2_b64 s[22:23], s[2:3], exec
	s_branch .LBB41_4
.LBB41_3:
	s_mov_b64 s[22:23], -1
.LBB41_4:
	s_movk_i32 s2, 0xc0
	v_mul_lo_u32 v6, v4, s2
	v_mov_b32_e32 v2, s4
	v_mov_b32_e32 v3, s5
	v_ashrrev_i32_e32 v7, 31, v6
	v_lshl_add_u64 v[2:3], v[6:7], 2, v[2:3]
	v_and_b32_e32 v6, 63, v1
	v_mov_b32_e32 v9, 0
	v_lshlrev_b32_e32 v8, 2, v6
	v_lshl_add_u64 v[10:11], v[2:3], 0, v[8:9]
	global_load_dword v0, v[10:11], off
	global_load_dword v1, v[10:11], off offset:256
	global_load_dword v2, v[10:11], off offset:512
	s_mov_b32 s16, 0x800000
	v_mov_b32_e32 v7, 0x4f800000
	s_mov_b32 s7, 0x3f317217
	s_mov_b32 s14, 0x7f800000
	v_mov_b32_e32 v5, 0x41b17218
	s_mov_b32 s6, 0x41a00000
	s_mov_b32 s15, 0xf800000
	s_load_dwordx4 s[8:11], s[0:1], 0x40
	s_waitcnt lgkmcnt(0)
	s_cmp_lg_u64 s[10:11], 0
	s_cselect_b64 s[12:13], -1, 0
	s_and_b64 s[2:3], exec, s[12:13]
	s_waitcnt vmcnt(2)
	v_mul_f32_e32 v3, 0x3fb8aa3b, v0
	v_exp_f32_e32 v3, v3
	s_nop 0
	v_add_f32_e32 v3, 1.0, v3
	v_cmp_gt_f32_e32 vcc, s16, v3
	s_nop 1
	v_cndmask_b32_e32 v9, 1.0, v7, vcc
	v_mul_f32_e32 v3, v3, v9
	v_log_f32_e32 v9, v3
	v_cndmask_b32_e32 v10, 0, v5, vcc
	v_mov_b32_e32 v3, 0x260
	v_mul_f32_e32 v11, 0x3f317217, v9
	v_fma_f32 v11, v9, s7, -v11
	v_fmac_f32_e32 v11, 0x3377d1cf, v9
	v_fmac_f32_e32 v11, 0x3f317217, v9
	v_cmp_lt_f32_e64 vcc, |v9|, s14
	s_nop 1
	v_cndmask_b32_e32 v9, v9, v11, vcc
	v_sub_f32_e32 v9, v9, v10
	v_cmp_lt_f32_e32 vcc, s6, v0
	s_nop 1
	v_cndmask_b32_e32 v0, v9, v0, vcc
	v_mul_f32_e32 v9, 0x4f800000, v0
	v_cmp_gt_f32_e32 vcc, s15, v0
	s_nop 1
	v_cndmask_b32_e32 v0, v0, v9, vcc
	v_sqrt_f32_e32 v9, v0
	s_nop 0
	v_add_u32_e32 v10, -1, v9
	v_add_u32_e32 v11, 1, v9
	v_fma_f32 v12, -v10, v9, v0
	v_fma_f32 v13, -v11, v9, v0
	v_cmp_ge_f32_e64 s[4:5], 0, v12
	s_nop 1
	v_cndmask_b32_e64 v9, v9, v10, s[4:5]
	v_cmp_lt_f32_e64 s[4:5], 0, v13
	s_nop 1
	v_cndmask_b32_e64 v9, v9, v11, s[4:5]
	v_mul_f32_e32 v10, 0x37800000, v9
	v_cndmask_b32_e32 v9, v9, v10, vcc
	v_cmp_class_f32_e32 vcc, v0, v3
	s_nop 1
	v_cndmask_b32_e32 v0, v9, v0, vcc
	s_mov_b64 vcc, s[2:3]
	s_cbranch_vccz .LBB41_6
; %bb.5:
	global_load_dword v9, v8, s[10:11]
	s_waitcnt vmcnt(0)
	v_add_f32_e32 v0, v0, v9
.LBB41_6:
	s_waitcnt vmcnt(1)
	v_mul_f32_e32 v9, 0x3fb8aa3b, v1
	v_exp_f32_e32 v9, v9
	s_nop 0
	v_add_f32_e32 v9, 1.0, v9
	v_cmp_gt_f32_e32 vcc, s16, v9
	s_nop 1
	v_cndmask_b32_e32 v7, 1.0, v7, vcc
	v_mul_f32_e32 v7, v9, v7
	v_log_f32_e32 v7, v7
	v_cndmask_b32_e32 v5, 0, v5, vcc
	v_mul_f32_e32 v9, 0x3f317217, v7
	v_fma_f32 v9, v7, s7, -v9
	v_fmac_f32_e32 v9, 0x3377d1cf, v7
	v_fmac_f32_e32 v9, 0x3f317217, v7
	v_cmp_lt_f32_e64 vcc, |v7|, s14
	s_nop 1
	v_cndmask_b32_e32 v7, v7, v9, vcc
	v_sub_f32_e32 v5, v7, v5
	v_cmp_lt_f32_e32 vcc, s6, v1
	s_nop 1
	v_cndmask_b32_e32 v1, v5, v1, vcc
	v_mul_f32_e32 v5, 0x4f800000, v1
	v_cmp_gt_f32_e32 vcc, s15, v1
	s_nop 1
	v_cndmask_b32_e32 v1, v1, v5, vcc
	v_sqrt_f32_e32 v5, v1
	s_nop 0
	v_add_u32_e32 v7, -1, v5
	v_add_u32_e32 v9, 1, v5
	v_fma_f32 v10, -v7, v5, v1
	v_fma_f32 v11, -v9, v5, v1
	v_cmp_ge_f32_e64 s[2:3], 0, v10
	s_nop 1
	v_cndmask_b32_e64 v5, v5, v7, s[2:3]
	v_cmp_lt_f32_e64 s[2:3], 0, v11
	s_nop 1
	v_cndmask_b32_e64 v5, v5, v9, s[2:3]
	v_mul_f32_e32 v7, 0x37800000, v5
	v_cndmask_b32_e32 v5, v5, v7, vcc
	v_cndmask_b32_e64 v7, 0, 1, s[12:13]
	v_cmp_class_f32_e64 s[2:3], v1, v3
	v_cmp_ne_u32_e64 s[6:7], 1, v7
	s_andn2_b64 vcc, exec, s[12:13]
	v_cndmask_b32_e64 v1, v5, v1, s[2:3]
	s_cbranch_vccnz .LBB41_8
; %bb.7:
	global_load_dword v3, v8, s[10:11] offset:256
	s_waitcnt vmcnt(0)
	v_add_f32_e32 v1, v1, v3
.LBB41_8:
	s_waitcnt vmcnt(0)
	v_mul_f32_e32 v3, 0x3fb8aa3b, v2
	v_exp_f32_e32 v3, v3
	s_mov_b32 s2, 0x800000
	v_mov_b32_e32 v5, 0x4f800000
	s_mov_b32 s3, 0x7f800000
	v_add_f32_e32 v3, 1.0, v3
	v_cmp_gt_f32_e32 vcc, s2, v3
	s_mov_b32 s2, 0x3f317217
	s_mov_b32 s4, 0x41a00000
	v_cndmask_b32_e32 v5, 1.0, v5, vcc
	v_mul_f32_e32 v3, v3, v5
	v_log_f32_e32 v3, v3
	s_nop 0
	v_mul_f32_e32 v5, 0x3f317217, v3
	v_fma_f32 v5, v3, s2, -v5
	v_fmamk_f32 v5, v3, 0x3377d1cf, v5
	v_fmac_f32_e32 v5, 0x3f317217, v3
	v_cmp_lt_f32_e64 s[2:3], |v3|, s3
	s_nop 1
	v_cndmask_b32_e64 v3, v3, v5, s[2:3]
	v_mov_b32_e32 v5, 0x41b17218
	v_cndmask_b32_e32 v5, 0, v5, vcc
	v_sub_f32_e32 v3, v3, v5
	v_cmp_lt_f32_e32 vcc, s4, v2
	s_mov_b32 s2, 0xf800000
	s_nop 0
	v_cndmask_b32_e32 v2, v3, v2, vcc
	v_mul_f32_e32 v3, 0x4f800000, v2
	v_cmp_gt_f32_e32 vcc, s2, v2
	s_nop 1
	v_cndmask_b32_e32 v2, v2, v3, vcc
	v_sqrt_f32_e32 v3, v2
	s_nop 0
	v_add_u32_e32 v5, -1, v3
	v_fma_f32 v7, -v5, v3, v2
	v_cmp_ge_f32_e64 s[2:3], 0, v7
	v_add_u32_e32 v7, 1, v3
	s_nop 0
	v_cndmask_b32_e64 v5, v3, v5, s[2:3]
	v_fma_f32 v3, -v7, v3, v2
	v_cmp_lt_f32_e64 s[2:3], 0, v3
	s_nop 1
	v_cndmask_b32_e64 v3, v5, v7, s[2:3]
	v_mul_f32_e32 v5, 0x37800000, v3
	v_cndmask_b32_e32 v3, v3, v5, vcc
	v_mov_b32_e32 v5, 0x260
	v_cmp_class_f32_e64 s[2:3], v2, v5
	s_and_b64 vcc, exec, s[6:7]
	s_nop 0
	v_cndmask_b32_e64 v2, v3, v2, s[2:3]
	s_cbranch_vccnz .LBB41_10
; %bb.9:
	global_load_dword v3, v8, s[10:11] offset:512
	s_waitcnt vmcnt(0)
	v_add_f32_e32 v2, v2, v3
.LBB41_10:
	s_load_dwordx4 s[12:15], s[0:1], 0x30
	v_cmp_eq_u32_e64 s[4:5], 0, v6
	s_waitcnt lgkmcnt(0)
	s_bitcmp1_b32 s15, 0
	s_cselect_b64 s[2:3], -1, 0
	s_cmp_gt_i32 s12, 0
	s_cselect_b64 s[24:25], -1, 0
	s_and_b64 vcc, exec, s[24:25]
	s_cbranch_vccz .LBB41_41
; %bb.11:
	v_mbcnt_lo_u32_b32 v3, -1, 0
	v_mbcnt_hi_u32_b32 v3, -1, v3
	v_and_b32_e32 v5, 64, v3
	v_add_u32_e32 v8, 64, v5
	v_xor_b32_e32 v9, 32, v3
	v_cmp_lt_i32_e32 vcc, v9, v8
	s_load_dwordx4 s[16:19], s[0:1], 0x20
	s_mov_b32 s15, 0
	v_cndmask_b32_e32 v9, v3, v9, vcc
	v_lshlrev_b32_e32 v11, 2, v9
	v_xor_b32_e32 v9, 16, v3
	v_cmp_lt_i32_e32 vcc, v9, v8
	v_mul_lo_u32 v5, v4, s12
	v_or_b32_e32 v7, 64, v6
	v_cndmask_b32_e32 v9, v3, v9, vcc
	v_lshlrev_b32_e32 v12, 2, v9
	v_xor_b32_e32 v9, 8, v3
	v_cmp_lt_i32_e32 vcc, v9, v8
	v_or_b32_e32 v10, 0x80, v6
	v_mov_b32_e32 v17, 0xc0
	v_cndmask_b32_e32 v9, v3, v9, vcc
	v_lshlrev_b32_e32 v13, 2, v9
	v_xor_b32_e32 v9, 4, v3
	v_cmp_lt_i32_e32 vcc, v9, v8
	v_mov_b32_e32 v18, 0xc61c4000
	v_mov_b32_e32 v19, v4
	v_cndmask_b32_e32 v9, v3, v9, vcc
	v_lshlrev_b32_e32 v14, 2, v9
	v_xor_b32_e32 v9, 2, v3
	v_cmp_lt_i32_e32 vcc, v9, v8
	s_nop 1
	v_cndmask_b32_e32 v9, v3, v9, vcc
	v_lshlrev_b32_e32 v15, 2, v9
	v_xor_b32_e32 v9, 1, v3
	v_cmp_lt_i32_e32 vcc, v9, v8
	s_nop 1
	v_cndmask_b32_e32 v3, v3, v9, vcc
	v_lshlrev_b32_e32 v16, 2, v3
	v_mov_b32_e32 v3, 0
	s_branch .LBB41_14
.LBB41_12:                              ;   in Loop: Header=BB41_14 Depth=1
	v_add_u32_e32 v22, s15, v5
	v_cmp_le_i32_e32 vcc, s13, v8
	v_cmp_gt_i32_e64 s[0:1], s14, v8
	v_ashrrev_i32_e32 v23, 31, v22
	s_and_b64 s[0:1], vcc, s[0:1]
	v_lshlrev_b64 v[22:23], 2, v[22:23]
	v_lshl_add_u64 v[24:25], s[20:21], 0, v[22:23]
	v_subrev_u32_e32 v9, s13, v8
	s_and_b64 vcc, s[22:23], s[0:1]
	global_store_dword v[24:25], v20, off
	v_cndmask_b32_e32 v9, v17, v9, vcc
	v_lshl_add_u64 v[24:25], s[16:17], 0, v[22:23]
	global_store_dword v[24:25], v9, off
	v_add_f32_e32 v9, v3, v20
	v_lshl_add_u64 v[22:23], s[18:19], 0, v[22:23]
	v_cndmask_b32_e64 v3, v3, v9, s[2:3]
	global_store_dword v[22:23], v19, off
.LBB41_13:                              ;   in Loop: Header=BB41_14 Depth=1
	s_or_b64 exec, exec, s[26:27]
	v_ashrrev_i32_e32 v9, 31, v8
	v_lshrrev_b32_e32 v9, 26, v9
	v_add_u32_e32 v9, v8, v9
	v_ashrrev_i32_e32 v20, 6, v9
	v_and_b32_e32 v9, 0xffffffc0, v9
	s_add_i32 s15, s15, 1
	v_sub_u32_e32 v8, v8, v9
	v_cmp_ne_u32_e64 s[0:1], 0, v20
	s_cmp_lt_i32 s15, s12
	v_cmp_eq_u32_e32 vcc, v6, v8
	v_cndmask_b32_e64 v8, v18, v0, s[0:1]
	v_cmp_ne_u32_e64 s[0:1], 1, v20
	s_cselect_b64 s[26:27], -1, 0
	s_and_b64 vcc, s[26:27], vcc
	v_cndmask_b32_e64 v9, v18, v1, s[0:1]
	v_cmp_ne_u32_e64 s[0:1], 2, v20
	v_cndmask_b32_e32 v1, v1, v9, vcc
	v_cndmask_b32_e32 v0, v0, v8, vcc
	v_cndmask_b32_e64 v20, v18, v2, s[0:1]
	v_cndmask_b32_e32 v2, v2, v20, vcc
	s_cmp_eq_u32 s12, s15
	v_add_u32_e32 v19, s30, v19
	s_cbranch_scc1 .LBB41_42
.LBB41_14:                              ; =>This Inner Loop Header: Depth=1
	v_cmp_gt_f32_e32 vcc, v1, v0
	s_nop 1
	v_cndmask_b32_e32 v9, v0, v1, vcc
	v_cndmask_b32_e32 v8, v6, v7, vcc
	v_cmp_gt_f32_e32 vcc, v2, v9
	s_nop 1
	v_cndmask_b32_e32 v20, v9, v2, vcc
	v_cndmask_b32_e32 v8, v8, v10, vcc
	ds_bpermute_b32 v9, v11, v20
	s_waitcnt lgkmcnt(0)
	ds_bpermute_b32 v21, v11, v8
	s_waitcnt lgkmcnt(0)
	v_cmp_lt_f32_e64 s[26:27], v20, v9
	v_cmp_nlt_f32_e32 vcc, v20, v9
	s_and_saveexec_b64 s[28:29], vcc
; %bb.15:                               ;   in Loop: Header=BB41_14 Depth=1
	v_cmp_eq_f32_e32 vcc, v20, v9
	v_cmp_lt_i32_e64 s[0:1], v21, v8
	s_and_b64 s[0:1], vcc, s[0:1]
	s_andn2_b64 s[26:27], s[26:27], exec
	s_and_b64 s[0:1], s[0:1], exec
	s_or_b64 s[26:27], s[26:27], s[0:1]
; %bb.16:                               ;   in Loop: Header=BB41_14 Depth=1
	s_or_b64 exec, exec, s[28:29]
	s_and_saveexec_b64 s[0:1], s[26:27]
; %bb.17:                               ;   in Loop: Header=BB41_14 Depth=1
	v_mov_b32_e32 v20, v9
	v_mov_b32_e32 v8, v21
; %bb.18:                               ;   in Loop: Header=BB41_14 Depth=1
	s_or_b64 exec, exec, s[0:1]
	ds_bpermute_b32 v9, v12, v20
	ds_bpermute_b32 v21, v12, v8
	s_waitcnt lgkmcnt(1)
	v_cmp_lt_f32_e64 s[26:27], v20, v9
	v_cmp_nlt_f32_e32 vcc, v20, v9
	s_and_saveexec_b64 s[28:29], vcc
	s_cbranch_execz .LBB41_20
; %bb.19:                               ;   in Loop: Header=BB41_14 Depth=1
	v_cmp_eq_f32_e32 vcc, v20, v9
	s_waitcnt lgkmcnt(0)
	v_cmp_lt_i32_e64 s[0:1], v21, v8
	s_and_b64 s[0:1], vcc, s[0:1]
	s_andn2_b64 s[26:27], s[26:27], exec
	s_and_b64 s[0:1], s[0:1], exec
	s_or_b64 s[26:27], s[26:27], s[0:1]
.LBB41_20:                              ;   in Loop: Header=BB41_14 Depth=1
	s_or_b64 exec, exec, s[28:29]
	s_and_saveexec_b64 s[0:1], s[26:27]
	s_cbranch_execz .LBB41_22
; %bb.21:                               ;   in Loop: Header=BB41_14 Depth=1
	v_mov_b32_e32 v20, v9
	s_waitcnt lgkmcnt(0)
	v_mov_b32_e32 v8, v21
.LBB41_22:                              ;   in Loop: Header=BB41_14 Depth=1
	s_or_b64 exec, exec, s[0:1]
	ds_bpermute_b32 v9, v13, v20
	s_waitcnt lgkmcnt(1)
	ds_bpermute_b32 v21, v13, v8
	s_waitcnt lgkmcnt(1)
	v_cmp_lt_f32_e64 s[26:27], v20, v9
	v_cmp_nlt_f32_e32 vcc, v20, v9
	s_and_saveexec_b64 s[28:29], vcc
	s_cbranch_execz .LBB41_24
; %bb.23:                               ;   in Loop: Header=BB41_14 Depth=1
	v_cmp_eq_f32_e32 vcc, v20, v9
	s_waitcnt lgkmcnt(0)
	v_cmp_lt_i32_e64 s[0:1], v21, v8
	s_and_b64 s[0:1], vcc, s[0:1]
	s_andn2_b64 s[26:27], s[26:27], exec
	s_and_b64 s[0:1], s[0:1], exec
	s_or_b64 s[26:27], s[26:27], s[0:1]
.LBB41_24:                              ;   in Loop: Header=BB41_14 Depth=1
	s_or_b64 exec, exec, s[28:29]
	s_and_saveexec_b64 s[0:1], s[26:27]
	s_cbranch_execz .LBB41_26
; %bb.25:                               ;   in Loop: Header=BB41_14 Depth=1
	v_mov_b32_e32 v20, v9
	s_waitcnt lgkmcnt(0)
	v_mov_b32_e32 v8, v21
.LBB41_26:                              ;   in Loop: Header=BB41_14 Depth=1
	s_or_b64 exec, exec, s[0:1]
	ds_bpermute_b32 v9, v14, v20
	s_waitcnt lgkmcnt(1)
	;; [unrolled: 26-line block ×4, first 2 shown]
	ds_bpermute_b32 v21, v16, v8
	s_waitcnt lgkmcnt(1)
	v_cmp_lt_f32_e64 s[26:27], v20, v9
	v_cmp_nlt_f32_e32 vcc, v20, v9
	s_and_saveexec_b64 s[28:29], vcc
	s_cbranch_execnz .LBB41_37
; %bb.35:                               ;   in Loop: Header=BB41_14 Depth=1
	s_or_b64 exec, exec, s[28:29]
	s_and_saveexec_b64 s[0:1], s[26:27]
	s_cbranch_execnz .LBB41_38
.LBB41_36:                              ;   in Loop: Header=BB41_14 Depth=1
	s_or_b64 exec, exec, s[0:1]
	s_and_saveexec_b64 s[26:27], s[4:5]
	s_cbranch_execz .LBB41_13
	s_branch .LBB41_39
.LBB41_37:                              ;   in Loop: Header=BB41_14 Depth=1
	v_cmp_eq_f32_e32 vcc, v20, v9
	s_waitcnt lgkmcnt(0)
	v_cmp_lt_i32_e64 s[0:1], v21, v8
	s_and_b64 s[0:1], vcc, s[0:1]
	s_andn2_b64 s[26:27], s[26:27], exec
	s_and_b64 s[0:1], s[0:1], exec
	s_or_b64 s[26:27], s[26:27], s[0:1]
	s_or_b64 exec, exec, s[28:29]
	s_and_saveexec_b64 s[0:1], s[26:27]
	s_cbranch_execz .LBB41_36
.LBB41_38:                              ;   in Loop: Header=BB41_14 Depth=1
	s_waitcnt lgkmcnt(0)
	v_mov_b32_e32 v8, v21
	v_mov_b32_e32 v20, v9
	s_or_b64 exec, exec, s[0:1]
	s_and_saveexec_b64 s[26:27], s[4:5]
	s_cbranch_execz .LBB41_13
.LBB41_39:                              ;   in Loop: Header=BB41_14 Depth=1
	s_and_b64 vcc, exec, s[6:7]
	s_cbranch_vccnz .LBB41_12
; %bb.40:                               ;   in Loop: Header=BB41_14 Depth=1
	v_ashrrev_i32_e32 v9, 31, v8
	v_lshl_add_u64 v[22:23], v[8:9], 2, s[10:11]
	global_load_dword v9, v[22:23], off
	s_waitcnt vmcnt(0)
	v_sub_f32_e32 v20, v20, v9
	s_branch .LBB41_12
.LBB41_41:
	v_mov_b32_e32 v3, 0
.LBB41_42:
	v_cmp_eq_u32_e32 vcc, 0, v6
	s_and_b64 exec, exec, vcc
	s_cbranch_execz .LBB41_55
; %bb.43:
	s_andn2_b64 vcc, exec, s[2:3]
	v_cvt_f32_f64_e32 v0, s[8:9]
	s_cbranch_vccnz .LBB41_45
; %bb.44:
	v_cmp_lt_f32_e32 vcc, 0, v3
	s_nop 1
	v_cndmask_b32_e32 v1, 1.0, v3, vcc
	v_div_scale_f32 v2, s[0:1], v1, v1, v0
	v_rcp_f32_e32 v3, v2
	s_nop 0
	v_fma_f32 v5, -v2, v3, 1.0
	v_fmac_f32_e32 v3, v5, v3
	v_div_scale_f32 v5, vcc, v0, v1, v0
	v_mul_f32_e32 v6, v5, v3
	v_fma_f32 v7, -v2, v6, v5
	v_fmac_f32_e32 v6, v7, v3
	v_fma_f32 v2, -v2, v6, v5
	v_div_fmas_f32 v2, v2, v3, v6
	v_div_fixup_f32 v0, v2, v1, v0
.LBB41_45:
	s_andn2_b64 vcc, exec, s[24:25]
	s_cbranch_vccnz .LBB41_55
; %bb.46:
	v_mul_lo_u32 v2, v4, s12
	s_cmp_gt_u32 s12, 3
	v_ashrrev_i32_e32 v3, 31, v2
	s_cbranch_scc0 .LBB41_50
; %bb.47:
	s_and_b32 s0, s12, 0x7ffffffc
	v_lshl_add_u64 v[4:5], v[2:3], 2, s[20:21]
	v_mov_b32_e32 v1, v0
	v_lshl_add_u64 v[4:5], v[4:5], 0, 8
	s_mov_b32 s1, s0
.LBB41_48:                              ; =>This Inner Loop Header: Depth=1
	global_load_dwordx4 v[6:9], v[4:5], off offset:-8
	s_add_i32 s1, s1, -4
	s_cmp_lg_u32 s1, 0
	s_waitcnt vmcnt(0)
	v_pk_mul_f32 v[6:7], v[0:1], v[6:7]
	v_pk_mul_f32 v[8:9], v[0:1], v[8:9]
	global_store_dwordx4 v[4:5], v[6:9], off offset:-8
	v_lshl_add_u64 v[4:5], v[4:5], 0, 16
	s_cbranch_scc1 .LBB41_48
; %bb.49:
	s_cmp_lg_u32 s0, s12
	s_cselect_b64 s[2:3], -1, 0
	s_branch .LBB41_52
.LBB41_50:
	s_mov_b64 s[2:3], 0
                                        ; implicit-def: $sgpr0
	s_cbranch_execz .LBB41_52
; %bb.51:
	s_mov_b64 s[2:3], -1
	s_mov_b32 s0, 0
.LBB41_52:
	s_andn2_b64 vcc, exec, s[2:3]
	s_cbranch_vccnz .LBB41_55
; %bb.53:
	s_mov_b32 s1, 0
	v_lshl_add_u64 v[2:3], v[2:3], 0, s[0:1]
	s_sub_i32 s2, s12, s0
	v_lshl_add_u64 v[2:3], v[2:3], 2, s[20:21]
.LBB41_54:                              ; =>This Inner Loop Header: Depth=1
	global_load_dword v1, v[2:3], off
	s_add_i32 s2, s2, -1
	s_cmp_lg_u32 s2, 0
	s_waitcnt vmcnt(0)
	v_mul_f32_e32 v1, v0, v1
	global_store_dword v[2:3], v1, off
	v_lshl_add_u64 v[2:3], v[2:3], 0, 4
	s_cbranch_scc1 .LBB41_54
.LBB41_55:
	s_endpgm
	.section	.rodata,"a",@progbits
	.p2align	6, 0x0
	.amdhsa_kernel _ZN4vllm3moe22topkGatingSoftplusSqrtILi3ELi192ELi4ELi4ELi64ELb0EifEEvPKT6_PKbPfiPT5_PiiiibdPKfPKS8_SE_
		.amdhsa_group_segment_fixed_size 0
		.amdhsa_private_segment_fixed_size 0
		.amdhsa_kernarg_size 96
		.amdhsa_user_sgpr_count 2
		.amdhsa_user_sgpr_dispatch_ptr 0
		.amdhsa_user_sgpr_queue_ptr 0
		.amdhsa_user_sgpr_kernarg_segment_ptr 1
		.amdhsa_user_sgpr_dispatch_id 0
		.amdhsa_user_sgpr_kernarg_preload_length 0
		.amdhsa_user_sgpr_kernarg_preload_offset 0
		.amdhsa_user_sgpr_private_segment_size 0
		.amdhsa_uses_dynamic_stack 0
		.amdhsa_enable_private_segment 0
		.amdhsa_system_sgpr_workgroup_id_x 1
		.amdhsa_system_sgpr_workgroup_id_y 0
		.amdhsa_system_sgpr_workgroup_id_z 0
		.amdhsa_system_sgpr_workgroup_info 0
		.amdhsa_system_vgpr_workitem_id 1
		.amdhsa_next_free_vgpr 26
		.amdhsa_next_free_sgpr 31
		.amdhsa_accum_offset 28
		.amdhsa_reserve_vcc 1
		.amdhsa_float_round_mode_32 0
		.amdhsa_float_round_mode_16_64 0
		.amdhsa_float_denorm_mode_32 3
		.amdhsa_float_denorm_mode_16_64 3
		.amdhsa_dx10_clamp 1
		.amdhsa_ieee_mode 1
		.amdhsa_fp16_overflow 0
		.amdhsa_tg_split 0
		.amdhsa_exception_fp_ieee_invalid_op 0
		.amdhsa_exception_fp_denorm_src 0
		.amdhsa_exception_fp_ieee_div_zero 0
		.amdhsa_exception_fp_ieee_overflow 0
		.amdhsa_exception_fp_ieee_underflow 0
		.amdhsa_exception_fp_ieee_inexact 0
		.amdhsa_exception_int_div_zero 0
	.end_amdhsa_kernel
	.section	.text._ZN4vllm3moe22topkGatingSoftplusSqrtILi3ELi192ELi4ELi4ELi64ELb0EifEEvPKT6_PKbPfiPT5_PiiiibdPKfPKS8_SE_,"axG",@progbits,_ZN4vllm3moe22topkGatingSoftplusSqrtILi3ELi192ELi4ELi4ELi64ELb0EifEEvPKT6_PKbPfiPT5_PiiiibdPKfPKS8_SE_,comdat
.Lfunc_end41:
	.size	_ZN4vllm3moe22topkGatingSoftplusSqrtILi3ELi192ELi4ELi4ELi64ELb0EifEEvPKT6_PKbPfiPT5_PiiiibdPKfPKS8_SE_, .Lfunc_end41-_ZN4vllm3moe22topkGatingSoftplusSqrtILi3ELi192ELi4ELi4ELi64ELb0EifEEvPKT6_PKbPfiPT5_PiiiibdPKfPKS8_SE_
                                        ; -- End function
	.section	.AMDGPU.csdata,"",@progbits
; Kernel info:
; codeLenInByte = 2656
; NumSgprs: 37
; NumVgprs: 26
; NumAgprs: 0
; TotalNumVgprs: 26
; ScratchSize: 0
; MemoryBound: 0
; FloatMode: 240
; IeeeMode: 1
; LDSByteSize: 0 bytes/workgroup (compile time only)
; SGPRBlocks: 4
; VGPRBlocks: 3
; NumSGPRsForWavesPerEU: 37
; NumVGPRsForWavesPerEU: 26
; AccumOffset: 28
; Occupancy: 8
; WaveLimiterHint : 1
; COMPUTE_PGM_RSRC2:SCRATCH_EN: 0
; COMPUTE_PGM_RSRC2:USER_SGPR: 2
; COMPUTE_PGM_RSRC2:TRAP_HANDLER: 0
; COMPUTE_PGM_RSRC2:TGID_X_EN: 1
; COMPUTE_PGM_RSRC2:TGID_Y_EN: 0
; COMPUTE_PGM_RSRC2:TGID_Z_EN: 0
; COMPUTE_PGM_RSRC2:TIDIG_COMP_CNT: 1
; COMPUTE_PGM_RSRC3_GFX90A:ACCUM_OFFSET: 6
; COMPUTE_PGM_RSRC3_GFX90A:TG_SPLIT: 0
	.section	.text._ZN4vllm3moe22topkGatingSoftplusSqrtILi6ELi192ELi4ELi4ELi32ELb1EifEEvPKT6_PKbPfiPT5_PiiiibdPKfPKS8_SE_,"axG",@progbits,_ZN4vllm3moe22topkGatingSoftplusSqrtILi6ELi192ELi4ELi4ELi32ELb1EifEEvPKT6_PKbPfiPT5_PiiiibdPKfPKS8_SE_,comdat
	.protected	_ZN4vllm3moe22topkGatingSoftplusSqrtILi6ELi192ELi4ELi4ELi32ELb1EifEEvPKT6_PKbPfiPT5_PiiiibdPKfPKS8_SE_ ; -- Begin function _ZN4vllm3moe22topkGatingSoftplusSqrtILi6ELi192ELi4ELi4ELi32ELb1EifEEvPKT6_PKbPfiPT5_PiiiibdPKfPKS8_SE_
	.globl	_ZN4vllm3moe22topkGatingSoftplusSqrtILi6ELi192ELi4ELi4ELi32ELb1EifEEvPKT6_PKbPfiPT5_PiiiibdPKfPKS8_SE_
	.p2align	8
	.type	_ZN4vllm3moe22topkGatingSoftplusSqrtILi6ELi192ELi4ELi4ELi32ELb1EifEEvPKT6_PKbPfiPT5_PiiiibdPKfPKS8_SE_,@function
_ZN4vllm3moe22topkGatingSoftplusSqrtILi6ELi192ELi4ELi4ELi32ELb1EifEEvPKT6_PKbPfiPT5_PiiiibdPKfPKS8_SE_: ; @_ZN4vllm3moe22topkGatingSoftplusSqrtILi6ELi192ELi4ELi4ELi32ELb1EifEEvPKT6_PKbPfiPT5_PiiiibdPKfPKS8_SE_
; %bb.0:
	s_load_dword s3, s[0:1], 0x18
	v_and_b32_e32 v1, 0x3ff, v0
	s_lshl_b32 s2, s2, 2
	v_lshrrev_b32_e32 v2, 5, v1
	v_bfe_u32 v0, v0, 10, 10
	v_add3_u32 v0, s2, v0, v2
	s_waitcnt lgkmcnt(0)
	v_cmp_gt_i32_e32 vcc, s3, v0
	s_and_saveexec_b64 s[2:3], vcc
	s_cbranch_execz .LBB42_31
; %bb.1:
	s_load_dwordx2 s[2:3], s[0:1], 0x0
	s_load_dword s24, s[0:1], 0x30
	s_load_dwordx4 s[8:11], s[0:1], 0x50
	s_movk_i32 s4, 0xc0
	v_mul_lo_u32 v2, v0, s4
	v_ashrrev_i32_e32 v3, 31, v2
	v_and_b32_e32 v10, 31, v1
	s_waitcnt lgkmcnt(0)
	v_lshl_add_u64 v[2:3], v[2:3], 2, s[2:3]
	v_lshlrev_b32_e32 v4, 2, v10
	v_mov_b32_e32 v5, 0
	v_lshl_add_u64 v[2:3], v[2:3], 0, v[4:5]
	global_load_dword v4, v[2:3], off
	global_load_dword v11, v[2:3], off offset:128
	global_load_dword v13, v[2:3], off offset:256
	;; [unrolled: 1-line block ×3, first 2 shown]
	v_mov_b32_e32 v6, s8
	v_mov_b32_e32 v7, s9
	v_ashrrev_i32_e32 v1, 31, v0
	v_lshl_add_u64 v[6:7], v[0:1], 2, v[6:7]
	global_load_dword v1, v[6:7], off
	global_load_dword v18, v[2:3], off offset:512
	global_load_dword v19, v[2:3], off offset:640
	s_mov_b32 s15, 0x800000
	v_mov_b32_e32 v15, 0x4f800000
	s_mov_b32 s13, 0x3f317217
	s_mov_b32 s14, 0x7f800000
	v_mov_b32_e32 v16, 0x41b17218
	s_mov_b32 s9, 0x41a00000
	s_mov_b32 s12, 0xf800000
	v_mov_b32_e32 v17, 0x260
	s_cmp_gt_i32 s24, 0
	s_mov_b32 s8, 0
	v_mul_lo_u32 v0, v0, s24
	s_waitcnt vmcnt(6)
	v_mul_f32_e32 v2, 0x3fb8aa3b, v4
	s_waitcnt vmcnt(5)
	v_mul_f32_e32 v3, 0x3fb8aa3b, v11
	v_exp_f32_e32 v2, v2
	v_exp_f32_e32 v3, v3
	s_waitcnt vmcnt(4)
	v_mul_f32_e32 v6, 0x3fb8aa3b, v13
	s_waitcnt vmcnt(3)
	v_mul_f32_e32 v7, 0x3fb8aa3b, v14
	v_exp_f32_e32 v6, v6
	v_exp_f32_e32 v7, v7
	v_pk_add_f32 v[2:3], v[2:3], 1.0 op_sel_hi:[1,0]
	s_waitcnt vmcnt(2)
	v_mul_lo_u32 v8, v1, s24
	v_cmp_gt_f32_e32 vcc, s15, v3
	v_pk_add_f32 v[6:7], v[6:7], 1.0 op_sel_hi:[1,0]
	v_cmp_gt_f32_e64 s[2:3], s15, v2
	v_cndmask_b32_e32 v1, 1.0, v15, vcc
	v_cmp_gt_f32_e64 s[4:5], s15, v7
	v_cndmask_b32_e64 v12, 1.0, v15, s[2:3]
	v_mul_f32_e32 v1, v3, v1
	v_cndmask_b32_e64 v20, 1.0, v15, s[4:5]
	v_mul_f32_e32 v2, v2, v12
	v_log_f32_e32 v1, v1
	v_mul_f32_e32 v7, v7, v20
	v_log_f32_e32 v2, v2
	v_cmp_gt_f32_e64 s[6:7], s15, v6
	v_log_f32_e32 v7, v7
	v_cndmask_b32_e32 v3, 0, v16, vcc
	v_cndmask_b32_e64 v21, 1.0, v15, s[6:7]
	v_mul_f32_e32 v6, v6, v21
	v_mul_f32_e32 v21, 0x3f317217, v1
	;; [unrolled: 1-line block ×3, first 2 shown]
	v_fma_f32 v21, v1, s13, -v21
	v_mul_f32_e32 v23, 0x3f317217, v7
	v_fma_f32 v22, v2, s13, -v22
	v_fmac_f32_e32 v21, 0x3377d1cf, v1
	v_fma_f32 v23, v7, s13, -v23
	v_fmac_f32_e32 v22, 0x3377d1cf, v2
	v_fmac_f32_e32 v21, 0x3f317217, v1
	v_cmp_lt_f32_e64 vcc, |v1|, s14
	v_fmac_f32_e32 v23, 0x3377d1cf, v7
	v_fmac_f32_e32 v22, 0x3f317217, v2
	v_cndmask_b32_e32 v1, v1, v21, vcc
	v_cmp_lt_f32_e64 vcc, |v2|, s14
	v_cndmask_b32_e64 v12, 0, v16, s[2:3]
	v_fmac_f32_e32 v23, 0x3f317217, v7
	v_cndmask_b32_e32 v2, v2, v22, vcc
	v_cmp_lt_f32_e64 vcc, |v7|, s14
	v_sub_f32_e32 v2, v2, v12
	v_sub_f32_e32 v1, v1, v3
	v_cndmask_b32_e32 v7, v7, v23, vcc
	v_cmp_lt_f32_e32 vcc, s9, v4
	v_cndmask_b32_e64 v20, 0, v16, s[4:5]
	v_sub_f32_e32 v7, v7, v20
	v_cndmask_b32_e32 v2, v2, v4, vcc
	v_cmp_lt_f32_e32 vcc, s9, v11
	v_mul_f32_e32 v4, 0x4f800000, v2
	v_cmp_gt_f32_e64 s[2:3], s12, v2
	v_cndmask_b32_e32 v1, v1, v11, vcc
	v_mul_f32_e32 v3, 0x4f800000, v1
	v_cmp_gt_f32_e32 vcc, s12, v1
	v_cndmask_b32_e64 v2, v2, v4, s[2:3]
	v_sqrt_f32_e32 v4, v2
	v_cndmask_b32_e32 v1, v1, v3, vcc
	v_sqrt_f32_e32 v3, v1
	v_log_f32_e32 v6, v6
	v_add_u32_e32 v20, -1, v4
	v_fma_f32 v24, -v20, v4, v2
	v_add_u32_e32 v11, -1, v3
	v_fma_f32 v22, -v11, v3, v1
	v_add_u32_e32 v12, 1, v3
	v_cmp_ge_f32_e64 s[4:5], 0, v22
	v_add_u32_e32 v21, 1, v4
	v_fma_f32 v23, -v12, v3, v1
	v_cndmask_b32_e64 v3, v3, v11, s[4:5]
	v_cmp_ge_f32_e64 s[4:5], 0, v24
	v_fma_f32 v25, -v21, v4, v2
	v_ashrrev_i32_e32 v9, 31, v8
	v_cndmask_b32_e64 v4, v4, v20, s[4:5]
	v_cmp_lt_f32_e64 s[4:5], 0, v23
	s_nop 1
	v_cndmask_b32_e64 v3, v3, v12, s[4:5]
	v_mul_f32_e32 v11, 0x37800000, v3
	v_cmp_lt_f32_e64 s[4:5], 0, v25
	v_cndmask_b32_e32 v3, v3, v11, vcc
	v_cmp_class_f32_e32 vcc, v1, v17
	v_cndmask_b32_e64 v4, v4, v21, s[4:5]
	v_mul_f32_e32 v12, 0x37800000, v4
	v_cndmask_b32_e32 v11, v3, v1, vcc
	v_mul_f32_e32 v1, 0x3f317217, v6
	v_fma_f32 v1, v6, s13, -v1
	v_cndmask_b32_e64 v4, v4, v12, s[2:3]
	v_cmp_class_f32_e32 vcc, v2, v17
	v_fmac_f32_e32 v1, 0x3377d1cf, v6
	v_fmac_f32_e32 v1, 0x3f317217, v6
	v_cndmask_b32_e32 v12, v4, v2, vcc
	v_cmp_lt_f32_e64 vcc, |v6|, s14
	v_cndmask_b32_e64 v2, 0, v16, s[6:7]
	v_cmp_lt_f32_e64 s[2:3], s9, v13
	v_cndmask_b32_e32 v1, v6, v1, vcc
	v_cmp_lt_f32_e32 vcc, s9, v14
	v_sub_f32_e32 v1, v1, v2
	v_cndmask_b32_e64 v1, v1, v13, s[2:3]
	v_cndmask_b32_e32 v3, v7, v14, vcc
	v_mul_f32_e32 v4, 0x4f800000, v3
	v_cmp_gt_f32_e32 vcc, s12, v3
	s_nop 1
	v_cndmask_b32_e32 v3, v3, v4, vcc
	v_sqrt_f32_e32 v4, v3
	s_nop 0
	v_add_u32_e32 v2, -1, v4
	v_fma_f32 v6, -v2, v4, v3
	v_cmp_ge_f32_e64 s[2:3], 0, v6
	v_add_u32_e32 v6, 1, v4
	s_nop 0
	v_cndmask_b32_e64 v2, v4, v2, s[2:3]
	v_fma_f32 v4, -v6, v4, v3
	v_cmp_lt_f32_e64 s[2:3], 0, v4
	s_nop 1
	v_cndmask_b32_e64 v2, v2, v6, s[2:3]
	v_mul_f32_e32 v6, 0x4f800000, v1
	v_cmp_gt_f32_e64 s[2:3], s12, v1
	v_mul_f32_e32 v4, 0x37800000, v2
	v_cndmask_b32_e32 v2, v2, v4, vcc
	v_cndmask_b32_e64 v1, v1, v6, s[2:3]
	v_sqrt_f32_e32 v6, v1
	v_cmp_class_f32_e32 vcc, v3, v17
	v_add_u32_e32 v7, 1, v6
	s_nop 0
	v_cndmask_b32_e32 v13, v2, v3, vcc
	v_add_u32_e32 v2, -1, v6
	v_fma_f32 v3, -v2, v6, v1
	v_cmp_ge_f32_e32 vcc, 0, v3
	s_waitcnt vmcnt(0)
	v_mul_f32_e32 v3, 0x3fb8aa3b, v19
	v_exp_f32_e32 v3, v3
	v_cndmask_b32_e32 v4, v6, v2, vcc
	v_mul_f32_e32 v2, 0x3fb8aa3b, v18
	v_exp_f32_e32 v2, v2
	v_fma_f32 v6, -v7, v6, v1
	v_cmp_lt_f32_e32 vcc, 0, v6
	v_pk_add_f32 v[2:3], v[2:3], 1.0 op_sel_hi:[1,0]
	s_nop 0
	v_cndmask_b32_e32 v4, v4, v7, vcc
	v_cmp_gt_f32_e32 vcc, s15, v3
	v_mul_f32_e32 v6, 0x37800000, v4
	v_cndmask_b32_e64 v4, v4, v6, s[2:3]
	v_cndmask_b32_e32 v7, 1.0, v15, vcc
	v_mul_f32_e32 v3, v3, v7
	v_log_f32_e32 v3, v3
	v_cmp_class_f32_e64 s[2:3], v1, v17
	v_cmp_lt_f32_e64 s[4:5], |v3|, s14
	s_nop 0
	v_cndmask_b32_e64 v14, v4, v1, s[2:3]
	v_cmp_gt_f32_e64 s[2:3], s15, v2
	v_mul_f32_e32 v1, 0x3f317217, v3
	v_fma_f32 v1, v3, s13, -v1
	v_cndmask_b32_e64 v4, 1.0, v15, s[2:3]
	v_mul_f32_e32 v2, v2, v4
	v_log_f32_e32 v2, v2
	v_fmac_f32_e32 v1, 0x3377d1cf, v3
	v_fmac_f32_e32 v1, 0x3f317217, v3
	v_cndmask_b32_e64 v1, v3, v1, s[4:5]
	v_cndmask_b32_e32 v3, 0, v16, vcc
	v_sub_f32_e32 v1, v1, v3
	v_mul_f32_e32 v3, 0x3f317217, v2
	v_fma_f32 v3, v2, s13, -v3
	v_fmac_f32_e32 v3, 0x3377d1cf, v2
	v_fmac_f32_e32 v3, 0x3f317217, v2
	v_cmp_lt_f32_e64 vcc, |v2|, s14
	s_cselect_b64 s[4:5], -1, 0
	s_cmp_lt_i32 s24, 1
	v_cndmask_b32_e32 v2, v2, v3, vcc
	v_cmp_lt_f32_e32 vcc, s9, v19
	v_cndmask_b32_e64 v3, 0, v16, s[2:3]
	v_sub_f32_e32 v2, v2, v3
	v_cndmask_b32_e32 v1, v1, v19, vcc
	v_mul_f32_e32 v4, 0x4f800000, v1
	v_cmp_gt_f32_e32 vcc, s12, v1
	v_cmp_lt_f32_e64 s[2:3], s9, v18
	s_nop 0
	v_cndmask_b32_e32 v1, v1, v4, vcc
	v_sqrt_f32_e32 v4, v1
	v_cndmask_b32_e64 v2, v2, v18, s[2:3]
	v_add_u32_e32 v3, -1, v4
	v_fma_f32 v6, -v3, v4, v1
	v_cmp_ge_f32_e64 s[2:3], 0, v6
	v_add_u32_e32 v6, 1, v4
	s_nop 0
	v_cndmask_b32_e64 v3, v4, v3, s[2:3]
	v_fma_f32 v4, -v6, v4, v1
	v_cmp_lt_f32_e64 s[2:3], 0, v4
	s_nop 1
	v_cndmask_b32_e64 v3, v3, v6, s[2:3]
	v_mul_f32_e32 v6, 0x4f800000, v2
	v_cmp_gt_f32_e64 s[2:3], s12, v2
	v_mul_f32_e32 v4, 0x37800000, v3
	v_cndmask_b32_e32 v3, v3, v4, vcc
	v_cndmask_b32_e64 v2, v2, v6, s[2:3]
	v_sqrt_f32_e32 v6, v2
	v_cmp_class_f32_e32 vcc, v1, v17
	s_nop 1
	v_cndmask_b32_e32 v15, v3, v1, vcc
	v_add_u32_e32 v1, -1, v6
	v_fma_f32 v3, -v1, v6, v2
	v_cmp_ge_f32_e32 vcc, 0, v3
	v_add_u32_e32 v3, 1, v6
	v_fma_f32 v4, -v3, v6, v2
	v_cndmask_b32_e32 v1, v6, v1, vcc
	v_cmp_lt_f32_e32 vcc, 0, v4
	s_nop 1
	v_cndmask_b32_e32 v1, v1, v3, vcc
	v_mul_f32_e32 v3, 0x37800000, v1
	v_cndmask_b32_e64 v1, v1, v3, s[2:3]
	v_cmp_class_f32_e32 vcc, v2, v17
	s_nop 1
	v_cndmask_b32_e32 v16, v1, v2, vcc
	v_lshl_add_u64 v[2:3], v[8:9], 2, s[10:11]
	s_cbranch_scc1 .LBB42_28
; %bb.2:
	s_load_dwordx2 s[6:7], s[0:1], 0x20
	s_cmp_lt_u32 s24, 4
	s_cbranch_scc1 .LBB42_21
; %bb.3:
	s_mov_b32 s11, 0
	s_and_b32 s8, s24, 0x7ffffffc
	v_ashrrev_i32_e32 v1, 31, v0
	v_mov_b32_e32 v5, 0
	s_mov_b32 s10, s11
	s_branch .LBB42_5
.LBB42_4:                               ;   in Loop: Header=BB42_5 Depth=1
	s_or_b64 exec, exec, s[12:13]
	s_add_i32 s10, s10, 4
	s_cmp_eq_u32 s10, s8
	s_cbranch_scc1 .LBB42_21
.LBB42_5:                               ; =>This Loop Header: Depth=1
                                        ;     Child Loop BB42_7 Depth 2
                                        ;     Child Loop BB42_11 Depth 2
	;; [unrolled: 1-line block ×4, first 2 shown]
	v_lshl_add_u64 v[6:7], s[10:11], 2, v[2:3]
	global_load_dword v4, v[6:7], off
	v_add_u32_e32 v8, s10, v0
	v_ashrrev_i32_e32 v9, 31, v8
	s_waitcnt lgkmcnt(0)
	v_lshl_add_u64 v[8:9], v[8:9], 2, s[6:7]
	s_mov_b64 s[12:13], 0
	v_mov_b32_e32 v17, v10
	s_mov_b64 s[14:15], 0
	s_waitcnt vmcnt(0)
	s_branch .LBB42_7
.LBB42_6:                               ;   in Loop: Header=BB42_7 Depth=2
	s_or_b64 exec, exec, s[16:17]
	s_cmp_gt_u32 s14, 4
	s_cselect_b64 s[2:3], -1, 0
	s_xor_b64 s[16:17], vcc, -1
	s_or_b64 s[2:3], s[16:17], s[2:3]
	s_add_u32 s14, s14, 1
	s_addc_u32 s15, s15, 0
	s_and_b64 s[2:3], exec, s[2:3]
	s_or_b64 s[12:13], s[2:3], s[12:13]
	v_add_u32_e32 v17, 32, v17
	s_andn2_b64 exec, exec, s[12:13]
	s_cbranch_execz .LBB42_9
.LBB42_7:                               ;   Parent Loop BB42_5 Depth=1
                                        ; =>  This Inner Loop Header: Depth=2
	v_cmp_ne_u32_e32 vcc, v4, v17
	v_cmp_eq_u32_e64 s[2:3], v4, v17
	s_and_saveexec_b64 s[16:17], s[2:3]
	s_cbranch_execz .LBB42_6
; %bb.8:                                ;   in Loop: Header=BB42_7 Depth=2
	s_cmp_eq_u32 s14, 1
	s_cselect_b64 s[2:3], -1, 0
	s_cmp_eq_u32 s14, 2
	v_cndmask_b32_e64 v18, v12, v11, s[2:3]
	s_cselect_b64 s[2:3], -1, 0
	s_cmp_eq_u32 s14, 3
	v_cndmask_b32_e64 v18, v18, v14, s[2:3]
	;; [unrolled: 3-line block ×4, first 2 shown]
	s_cselect_b64 s[2:3], -1, 0
	v_cndmask_b32_e64 v18, v18, v15, s[2:3]
	v_add_f32_e32 v5, v5, v18
	global_store_dword v[8:9], v4, off
	s_branch .LBB42_6
.LBB42_9:                               ;   in Loop: Header=BB42_5 Depth=1
	s_or_b64 exec, exec, s[12:13]
	global_load_dword v4, v[6:7], off offset:4
	s_ashr_i32 s3, s10, 31
	s_mov_b32 s2, s10
	v_lshl_add_u64 v[8:9], s[2:3], 0, v[0:1]
	v_lshl_add_u64 v[8:9], v[8:9], 2, s[6:7]
	s_mov_b64 s[12:13], 0
	v_mov_b32_e32 v17, v10
	s_mov_b64 s[14:15], 0
	s_waitcnt vmcnt(0)
	s_branch .LBB42_11
.LBB42_10:                              ;   in Loop: Header=BB42_11 Depth=2
	s_or_b64 exec, exec, s[16:17]
	s_cmp_gt_u32 s14, 4
	s_cselect_b64 s[2:3], -1, 0
	s_xor_b64 s[16:17], vcc, -1
	s_or_b64 s[2:3], s[16:17], s[2:3]
	s_add_u32 s14, s14, 1
	s_addc_u32 s15, s15, 0
	s_and_b64 s[2:3], exec, s[2:3]
	s_or_b64 s[12:13], s[2:3], s[12:13]
	v_add_u32_e32 v17, 32, v17
	s_andn2_b64 exec, exec, s[12:13]
	s_cbranch_execz .LBB42_13
.LBB42_11:                              ;   Parent Loop BB42_5 Depth=1
                                        ; =>  This Inner Loop Header: Depth=2
	v_cmp_ne_u32_e32 vcc, v4, v17
	v_cmp_eq_u32_e64 s[2:3], v4, v17
	s_and_saveexec_b64 s[16:17], s[2:3]
	s_cbranch_execz .LBB42_10
; %bb.12:                               ;   in Loop: Header=BB42_11 Depth=2
	s_cmp_eq_u32 s14, 1
	s_cselect_b64 s[2:3], -1, 0
	s_cmp_eq_u32 s14, 2
	v_cndmask_b32_e64 v18, v12, v11, s[2:3]
	s_cselect_b64 s[2:3], -1, 0
	s_cmp_eq_u32 s14, 3
	v_cndmask_b32_e64 v18, v18, v14, s[2:3]
	s_cselect_b64 s[2:3], -1, 0
	s_cmp_eq_u32 s14, 4
	v_cndmask_b32_e64 v18, v18, v13, s[2:3]
	s_cselect_b64 s[2:3], -1, 0
	s_cmp_eq_u32 s14, 5
	v_cndmask_b32_e64 v18, v18, v16, s[2:3]
	s_cselect_b64 s[2:3], -1, 0
	v_cndmask_b32_e64 v18, v18, v15, s[2:3]
	v_add_f32_e32 v5, v5, v18
	global_store_dword v[8:9], v4, off offset:4
	s_branch .LBB42_10
.LBB42_13:                              ;   in Loop: Header=BB42_5 Depth=1
	s_or_b64 exec, exec, s[12:13]
	global_load_dword v4, v[6:7], off offset:8
	s_mov_b64 s[12:13], 0
	v_mov_b32_e32 v17, v10
	s_mov_b64 s[14:15], 0
	s_waitcnt vmcnt(0)
	s_branch .LBB42_15
.LBB42_14:                              ;   in Loop: Header=BB42_15 Depth=2
	s_or_b64 exec, exec, s[16:17]
	s_cmp_gt_u32 s14, 4
	s_cselect_b64 s[2:3], -1, 0
	s_xor_b64 s[16:17], vcc, -1
	s_or_b64 s[2:3], s[16:17], s[2:3]
	s_add_u32 s14, s14, 1
	s_addc_u32 s15, s15, 0
	s_and_b64 s[2:3], exec, s[2:3]
	s_or_b64 s[12:13], s[2:3], s[12:13]
	v_add_u32_e32 v17, 32, v17
	s_andn2_b64 exec, exec, s[12:13]
	s_cbranch_execz .LBB42_17
.LBB42_15:                              ;   Parent Loop BB42_5 Depth=1
                                        ; =>  This Inner Loop Header: Depth=2
	v_cmp_ne_u32_e32 vcc, v4, v17
	v_cmp_eq_u32_e64 s[2:3], v4, v17
	s_and_saveexec_b64 s[16:17], s[2:3]
	s_cbranch_execz .LBB42_14
; %bb.16:                               ;   in Loop: Header=BB42_15 Depth=2
	s_cmp_eq_u32 s14, 1
	s_cselect_b64 s[2:3], -1, 0
	s_cmp_eq_u32 s14, 2
	v_cndmask_b32_e64 v18, v12, v11, s[2:3]
	s_cselect_b64 s[2:3], -1, 0
	s_cmp_eq_u32 s14, 3
	v_cndmask_b32_e64 v18, v18, v14, s[2:3]
	;; [unrolled: 3-line block ×4, first 2 shown]
	s_cselect_b64 s[2:3], -1, 0
	v_cndmask_b32_e64 v18, v18, v15, s[2:3]
	v_add_f32_e32 v5, v5, v18
	global_store_dword v[8:9], v4, off offset:8
	s_branch .LBB42_14
.LBB42_17:                              ;   in Loop: Header=BB42_5 Depth=1
	s_or_b64 exec, exec, s[12:13]
	global_load_dword v4, v[6:7], off offset:12
	s_mov_b64 s[12:13], 0
	v_mov_b32_e32 v6, v10
	s_mov_b64 s[14:15], 0
	s_waitcnt vmcnt(0)
	s_branch .LBB42_19
.LBB42_18:                              ;   in Loop: Header=BB42_19 Depth=2
	s_or_b64 exec, exec, s[16:17]
	s_cmp_gt_u32 s14, 4
	s_cselect_b64 s[2:3], -1, 0
	s_xor_b64 s[16:17], vcc, -1
	s_or_b64 s[2:3], s[16:17], s[2:3]
	s_add_u32 s14, s14, 1
	s_addc_u32 s15, s15, 0
	s_and_b64 s[2:3], exec, s[2:3]
	s_or_b64 s[12:13], s[2:3], s[12:13]
	v_add_u32_e32 v6, 32, v6
	s_andn2_b64 exec, exec, s[12:13]
	s_cbranch_execz .LBB42_4
.LBB42_19:                              ;   Parent Loop BB42_5 Depth=1
                                        ; =>  This Inner Loop Header: Depth=2
	v_cmp_ne_u32_e32 vcc, v4, v6
	v_cmp_eq_u32_e64 s[2:3], v4, v6
	s_and_saveexec_b64 s[16:17], s[2:3]
	s_cbranch_execz .LBB42_18
; %bb.20:                               ;   in Loop: Header=BB42_19 Depth=2
	s_cmp_eq_u32 s14, 1
	s_cselect_b64 s[2:3], -1, 0
	s_cmp_eq_u32 s14, 2
	v_cndmask_b32_e64 v7, v12, v11, s[2:3]
	s_cselect_b64 s[2:3], -1, 0
	s_cmp_eq_u32 s14, 3
	v_cndmask_b32_e64 v7, v7, v14, s[2:3]
	;; [unrolled: 3-line block ×4, first 2 shown]
	s_cselect_b64 s[2:3], -1, 0
	v_cndmask_b32_e64 v7, v7, v15, s[2:3]
	v_add_f32_e32 v5, v5, v7
	global_store_dword v[8:9], v4, off offset:12
	s_branch .LBB42_18
.LBB42_21:
	s_and_b32 s16, s24, 3
	s_cmp_eq_u32 s16, 0
	s_mov_b32 s9, 0
	s_cbranch_scc1 .LBB42_28
; %bb.22:
	s_mov_b32 s17, s9
	s_branch .LBB42_24
.LBB42_23:                              ;   in Loop: Header=BB42_24 Depth=1
	s_or_b64 exec, exec, s[10:11]
	s_add_i32 s8, s8, 1
	s_add_i32 s17, s17, 1
	s_cmp_lg_u32 s17, s16
	s_cbranch_scc0 .LBB42_28
.LBB42_24:                              ; =>This Loop Header: Depth=1
                                        ;     Child Loop BB42_26 Depth 2
	v_lshl_add_u64 v[6:7], s[8:9], 2, v[2:3]
	global_load_dword v1, v[6:7], off
	v_add_u32_e32 v6, s8, v0
	v_ashrrev_i32_e32 v7, 31, v6
	s_waitcnt lgkmcnt(0)
	v_lshl_add_u64 v[6:7], v[6:7], 2, s[6:7]
	s_mov_b64 s[10:11], 0
	v_mov_b32_e32 v4, v10
	s_mov_b64 s[12:13], 0
	s_waitcnt vmcnt(0)
	s_branch .LBB42_26
.LBB42_25:                              ;   in Loop: Header=BB42_26 Depth=2
	s_or_b64 exec, exec, s[14:15]
	s_cmp_gt_u32 s12, 4
	s_cselect_b64 s[2:3], -1, 0
	s_xor_b64 s[14:15], vcc, -1
	s_or_b64 s[2:3], s[14:15], s[2:3]
	s_add_u32 s12, s12, 1
	s_addc_u32 s13, s13, 0
	s_and_b64 s[2:3], exec, s[2:3]
	s_or_b64 s[10:11], s[2:3], s[10:11]
	v_add_u32_e32 v4, 32, v4
	s_andn2_b64 exec, exec, s[10:11]
	s_cbranch_execz .LBB42_23
.LBB42_26:                              ;   Parent Loop BB42_24 Depth=1
                                        ; =>  This Inner Loop Header: Depth=2
	v_cmp_ne_u32_e32 vcc, v1, v4
	v_cmp_eq_u32_e64 s[2:3], v1, v4
	s_and_saveexec_b64 s[14:15], s[2:3]
	s_cbranch_execz .LBB42_25
; %bb.27:                               ;   in Loop: Header=BB42_26 Depth=2
	s_cmp_eq_u32 s12, 1
	s_cselect_b64 s[2:3], -1, 0
	s_cmp_eq_u32 s12, 2
	v_cndmask_b32_e64 v8, v12, v11, s[2:3]
	s_cselect_b64 s[2:3], -1, 0
	s_cmp_eq_u32 s12, 3
	v_cndmask_b32_e64 v8, v8, v14, s[2:3]
	;; [unrolled: 3-line block ×4, first 2 shown]
	s_cselect_b64 s[2:3], -1, 0
	v_cndmask_b32_e64 v8, v8, v15, s[2:3]
	v_add_f32_e32 v5, v5, v8
	global_store_dword v[6:7], v1, off
	s_branch .LBB42_25
.LBB42_28:
	s_waitcnt lgkmcnt(0)
	s_load_dword s6, s[0:1], 0x3c
	s_waitcnt lgkmcnt(0)
	s_bitcmp1_b32 s6, 0
	s_cselect_b64 s[2:3], -1, 0
	s_bitcmp0_b32 s6, 0
	s_cbranch_scc0 .LBB42_32
; %bb.29:
	s_load_dwordx2 s[6:7], s[0:1], 0x40
	s_andn2_b64 vcc, exec, s[2:3]
	s_waitcnt lgkmcnt(0)
	v_cvt_f32_f64_e32 v17, s[6:7]
	s_cbranch_vccz .LBB42_33
.LBB42_30:
	s_andn2_b64 vcc, exec, s[4:5]
	s_cbranch_vccz .LBB42_34
.LBB42_31:
	s_endpgm
.LBB42_32:
	v_mbcnt_lo_u32_b32 v1, -1, 0
	v_mbcnt_hi_u32_b32 v1, -1, v1
	v_and_b32_e32 v4, 0x60, v1
	v_add_u32_e32 v4, 32, v4
	v_xor_b32_e32 v6, 16, v1
	v_cmp_lt_i32_e32 vcc, v6, v4
	v_xor_b32_e32 v7, 8, v1
	s_nop 0
	v_cndmask_b32_e32 v6, v1, v6, vcc
	v_lshlrev_b32_e32 v6, 2, v6
	ds_bpermute_b32 v6, v6, v5
	v_cmp_lt_i32_e32 vcc, v7, v4
	s_waitcnt lgkmcnt(0)
	v_add_f32_e32 v5, v5, v6
	v_cndmask_b32_e32 v6, v1, v7, vcc
	v_lshlrev_b32_e32 v6, 2, v6
	ds_bpermute_b32 v6, v6, v5
	v_xor_b32_e32 v7, 4, v1
	v_cmp_lt_i32_e32 vcc, v7, v4
	s_waitcnt lgkmcnt(0)
	v_add_f32_e32 v5, v5, v6
	v_cndmask_b32_e32 v6, v1, v7, vcc
	v_lshlrev_b32_e32 v6, 2, v6
	ds_bpermute_b32 v6, v6, v5
	v_xor_b32_e32 v7, 2, v1
	;; [unrolled: 7-line block ×3, first 2 shown]
	v_cmp_lt_i32_e32 vcc, v7, v4
	s_waitcnt lgkmcnt(0)
	v_add_f32_e32 v5, v5, v6
	v_cndmask_b32_e32 v1, v1, v7, vcc
	v_lshlrev_b32_e32 v1, 2, v1
	ds_bpermute_b32 v1, v1, v5
	s_waitcnt lgkmcnt(0)
	v_add_f32_e32 v5, v5, v1
	s_load_dwordx2 s[6:7], s[0:1], 0x40
	s_andn2_b64 vcc, exec, s[2:3]
	s_waitcnt lgkmcnt(0)
	v_cvt_f32_f64_e32 v17, s[6:7]
	s_cbranch_vccnz .LBB42_30
.LBB42_33:
	v_cmp_lt_f32_e32 vcc, 0, v5
	s_nop 1
	v_cndmask_b32_e32 v1, 1.0, v5, vcc
	v_div_scale_f32 v4, s[2:3], v1, v1, v17
	v_rcp_f32_e32 v5, v4
	s_nop 0
	v_fma_f32 v6, -v4, v5, 1.0
	v_fmac_f32_e32 v5, v6, v5
	v_div_scale_f32 v6, vcc, v17, v1, v17
	v_mul_f32_e32 v7, v6, v5
	v_fma_f32 v8, -v4, v7, v6
	v_fmac_f32_e32 v7, v8, v5
	v_fma_f32 v4, -v4, v7, v6
	v_div_fmas_f32 v4, v4, v5, v7
	v_div_fixup_f32 v17, v4, v1, v17
	s_andn2_b64 vcc, exec, s[4:5]
	s_cbranch_vccnz .LBB42_31
.LBB42_34:
	s_load_dwordx2 s[8:9], s[0:1], 0x10
	v_or_b32_e32 v22, 32, v10
	v_or_b32_e32 v21, 64, v10
	;; [unrolled: 1-line block ×5, first 2 shown]
	s_cmp_eq_u32 s24, 1
	s_mov_b32 s10, 0
	s_cbranch_scc1 .LBB42_61
; %bb.35:
	v_ashrrev_i32_e32 v1, 31, v0
	s_waitcnt lgkmcnt(0)
	v_lshl_add_u64 v[4:5], v[0:1], 2, s[8:9]
	s_and_b32 s10, s24, 0x7ffffffe
	v_lshl_add_u64 v[4:5], v[4:5], 0, 4
	v_lshl_add_u64 v[6:7], v[2:3], 0, 4
	s_mov_b32 s11, 0
	s_branch .LBB42_37
.LBB42_36:                              ;   in Loop: Header=BB42_37 Depth=1
	s_or_b64 exec, exec, s[0:1]
	s_add_i32 s11, s11, 2
	v_lshl_add_u64 v[4:5], v[4:5], 0, 8
	s_cmp_lg_u32 s10, s11
	v_lshl_add_u64 v[6:7], v[6:7], 0, 8
	s_cbranch_scc0 .LBB42_61
.LBB42_37:                              ; =>This Inner Loop Header: Depth=1
	global_load_dword v1, v[6:7], off offset:-4
	v_mov_b64_e32 v[8:9], 0
	s_waitcnt vmcnt(0)
	v_cmp_eq_u32_e32 vcc, v1, v10
	v_cmp_ne_u32_e64 s[0:1], v1, v10
	s_and_saveexec_b64 s[12:13], s[0:1]
	s_cbranch_execz .LBB42_47
; %bb.38:                               ;   in Loop: Header=BB42_37 Depth=1
	v_cmp_eq_u32_e64 s[0:1], v1, v22
	v_cmp_ne_u32_e64 s[2:3], v1, v22
	v_mov_b64_e32 v[8:9], 1
	s_and_saveexec_b64 s[14:15], s[2:3]
	s_cbranch_execz .LBB42_46
; %bb.39:                               ;   in Loop: Header=BB42_37 Depth=1
	v_cmp_eq_u32_e64 s[2:3], v1, v21
	v_cmp_ne_u32_e64 s[4:5], v1, v21
	v_mov_b64_e32 v[8:9], 2
	;; [unrolled: 6-line block ×4, first 2 shown]
	s_and_saveexec_b64 s[22:23], s[6:7]
	s_xor_b64 s[22:23], exec, s[22:23]
; %bb.42:                               ;   in Loop: Header=BB42_37 Depth=1
	v_cmp_eq_u32_e64 s[6:7], v1, v18
	s_andn2_b64 s[20:21], s[20:21], exec
	s_and_b64 s[6:7], s[6:7], exec
	v_mov_b64_e32 v[8:9], 5
	s_or_b64 s[20:21], s[20:21], s[6:7]
; %bb.43:                               ;   in Loop: Header=BB42_37 Depth=1
	s_or_b64 exec, exec, s[22:23]
	s_andn2_b64 s[4:5], s[4:5], exec
	s_and_b64 s[6:7], s[20:21], exec
	s_or_b64 s[4:5], s[4:5], s[6:7]
.LBB42_44:                              ;   in Loop: Header=BB42_37 Depth=1
	s_or_b64 exec, exec, s[18:19]
	s_andn2_b64 s[2:3], s[2:3], exec
	s_and_b64 s[4:5], s[4:5], exec
	s_or_b64 s[2:3], s[2:3], s[4:5]
.LBB42_45:                              ;   in Loop: Header=BB42_37 Depth=1
	s_or_b64 exec, exec, s[16:17]
	s_andn2_b64 s[0:1], s[0:1], exec
	s_and_b64 s[2:3], s[2:3], exec
	s_or_b64 s[0:1], s[0:1], s[2:3]
.LBB42_46:                              ;   in Loop: Header=BB42_37 Depth=1
	s_or_b64 exec, exec, s[14:15]
	s_andn2_b64 s[2:3], vcc, exec
	s_and_b64 s[0:1], s[0:1], exec
	s_or_b64 vcc, s[2:3], s[0:1]
.LBB42_47:                              ;   in Loop: Header=BB42_37 Depth=1
	s_or_b64 exec, exec, s[12:13]
	s_and_saveexec_b64 s[0:1], vcc
	s_cbranch_execz .LBB42_49
; %bb.48:                               ;   in Loop: Header=BB42_37 Depth=1
	v_cmp_eq_u32_e32 vcc, 1, v8
	v_add_u32_e32 v24, s11, v0
	v_ashrrev_i32_e32 v25, 31, v24
	v_cndmask_b32_e32 v1, v12, v11, vcc
	v_cmp_eq_u32_e32 vcc, 2, v8
	s_nop 1
	v_cndmask_b32_e32 v1, v1, v14, vcc
	v_cmp_eq_u32_e32 vcc, 3, v8
	s_nop 1
	v_cndmask_b32_e32 v1, v1, v13, vcc
	v_cmp_eq_u32_e32 vcc, 4, v8
	s_nop 1
	v_cndmask_b32_e32 v1, v1, v16, vcc
	v_cmp_eq_u32_e32 vcc, 5, v8
	v_lshl_add_u64 v[8:9], v[24:25], 2, s[8:9]
	s_nop 0
	v_cndmask_b32_e32 v1, v1, v15, vcc
	v_mul_f32_e32 v1, v17, v1
	global_store_dword v[8:9], v1, off
.LBB42_49:                              ;   in Loop: Header=BB42_37 Depth=1
	s_or_b64 exec, exec, s[0:1]
	global_load_dword v1, v[6:7], off
	v_mov_b64_e32 v[8:9], 0
	s_waitcnt vmcnt(0)
	v_cmp_eq_u32_e64 s[4:5], v1, v10
	v_cmp_ne_u32_e32 vcc, v1, v10
	s_and_saveexec_b64 s[6:7], vcc
	s_cbranch_execz .LBB42_59
; %bb.50:                               ;   in Loop: Header=BB42_37 Depth=1
	v_cmp_eq_u32_e32 vcc, v1, v22
	v_cmp_ne_u32_e64 s[0:1], v1, v22
	v_mov_b64_e32 v[8:9], 1
	s_and_saveexec_b64 s[12:13], s[0:1]
	s_cbranch_execz .LBB42_58
; %bb.51:                               ;   in Loop: Header=BB42_37 Depth=1
	v_cmp_eq_u32_e64 s[0:1], v1, v21
	v_cmp_ne_u32_e64 s[2:3], v1, v21
	v_mov_b64_e32 v[8:9], 2
	s_and_saveexec_b64 s[14:15], s[2:3]
	s_cbranch_execz .LBB42_57
; %bb.52:                               ;   in Loop: Header=BB42_37 Depth=1
	v_cmp_eq_u32_e64 s[16:17], v1, v20
	;; [unrolled: 6-line block ×3, first 2 shown]
	v_cmp_ne_u32_e64 s[2:3], v1, v19
	v_mov_b64_e32 v[8:9], 4
	s_and_saveexec_b64 s[22:23], s[2:3]
; %bb.54:                               ;   in Loop: Header=BB42_37 Depth=1
	v_cmp_eq_u32_e64 s[2:3], v1, v18
	s_andn2_b64 s[20:21], s[20:21], exec
	s_and_b64 s[2:3], s[2:3], exec
	v_mov_b64_e32 v[8:9], 5
	s_or_b64 s[20:21], s[20:21], s[2:3]
; %bb.55:                               ;   in Loop: Header=BB42_37 Depth=1
	s_or_b64 exec, exec, s[22:23]
	s_andn2_b64 s[2:3], s[16:17], exec
	s_and_b64 s[16:17], s[20:21], exec
	s_or_b64 s[16:17], s[2:3], s[16:17]
.LBB42_56:                              ;   in Loop: Header=BB42_37 Depth=1
	s_or_b64 exec, exec, s[18:19]
	s_andn2_b64 s[0:1], s[0:1], exec
	s_and_b64 s[2:3], s[16:17], exec
	s_or_b64 s[0:1], s[0:1], s[2:3]
.LBB42_57:                              ;   in Loop: Header=BB42_37 Depth=1
	s_or_b64 exec, exec, s[14:15]
	s_andn2_b64 s[2:3], vcc, exec
	s_and_b64 s[0:1], s[0:1], exec
	s_or_b64 vcc, s[2:3], s[0:1]
.LBB42_58:                              ;   in Loop: Header=BB42_37 Depth=1
	s_or_b64 exec, exec, s[12:13]
	s_andn2_b64 s[0:1], s[4:5], exec
	s_and_b64 s[2:3], vcc, exec
	s_or_b64 s[4:5], s[0:1], s[2:3]
.LBB42_59:                              ;   in Loop: Header=BB42_37 Depth=1
	s_or_b64 exec, exec, s[6:7]
	s_and_saveexec_b64 s[0:1], s[4:5]
	s_cbranch_execz .LBB42_36
; %bb.60:                               ;   in Loop: Header=BB42_37 Depth=1
	v_cmp_eq_u32_e32 vcc, 1, v8
	s_nop 1
	v_cndmask_b32_e32 v1, v12, v11, vcc
	v_cmp_eq_u32_e32 vcc, 2, v8
	s_nop 1
	v_cndmask_b32_e32 v1, v1, v14, vcc
	;; [unrolled: 3-line block ×5, first 2 shown]
	v_mul_f32_e32 v1, v17, v1
	global_store_dword v[4:5], v1, off
	s_branch .LBB42_36
.LBB42_61:
	s_bitcmp0_b32 s24, 0
	s_mov_b32 s11, 0
	s_cbranch_scc1 .LBB42_31
; %bb.62:
	v_lshl_add_u64 v[2:3], s[10:11], 2, v[2:3]
	global_load_dword v1, v[2:3], off
	v_mov_b64_e32 v[2:3], 0
	s_waitcnt vmcnt(0)
	v_cmp_eq_u32_e64 s[4:5], v1, v10
	v_cmp_ne_u32_e32 vcc, v1, v10
	s_and_saveexec_b64 s[6:7], vcc
	s_cbranch_execz .LBB42_72
; %bb.63:
	v_cmp_eq_u32_e32 vcc, v1, v22
	v_cmp_ne_u32_e64 s[0:1], v1, v22
	v_mov_b64_e32 v[2:3], 1
	s_and_saveexec_b64 s[12:13], s[0:1]
	s_cbranch_execz .LBB42_71
; %bb.64:
	v_cmp_eq_u32_e64 s[0:1], v1, v21
	v_cmp_ne_u32_e64 s[2:3], v1, v21
	v_mov_b64_e32 v[2:3], 2
	s_and_saveexec_b64 s[14:15], s[2:3]
	s_cbranch_execz .LBB42_70
; %bb.65:
	v_cmp_eq_u32_e64 s[16:17], v1, v20
	;; [unrolled: 6-line block ×3, first 2 shown]
	v_cmp_ne_u32_e64 s[2:3], v1, v19
	v_mov_b64_e32 v[2:3], 4
	s_and_saveexec_b64 s[22:23], s[2:3]
; %bb.67:
	v_cmp_eq_u32_e64 s[2:3], v1, v18
	s_andn2_b64 s[20:21], s[20:21], exec
	s_and_b64 s[2:3], s[2:3], exec
	v_mov_b64_e32 v[2:3], 5
	s_or_b64 s[20:21], s[20:21], s[2:3]
; %bb.68:
	s_or_b64 exec, exec, s[22:23]
	s_andn2_b64 s[2:3], s[16:17], exec
	s_and_b64 s[16:17], s[20:21], exec
	s_or_b64 s[16:17], s[2:3], s[16:17]
.LBB42_69:
	s_or_b64 exec, exec, s[18:19]
	s_andn2_b64 s[0:1], s[0:1], exec
	s_and_b64 s[2:3], s[16:17], exec
	s_or_b64 s[0:1], s[0:1], s[2:3]
.LBB42_70:
	s_or_b64 exec, exec, s[14:15]
	s_andn2_b64 s[2:3], vcc, exec
	s_and_b64 s[0:1], s[0:1], exec
	s_or_b64 vcc, s[2:3], s[0:1]
.LBB42_71:
	s_or_b64 exec, exec, s[12:13]
	s_andn2_b64 s[0:1], s[4:5], exec
	s_and_b64 s[2:3], vcc, exec
	s_or_b64 s[4:5], s[0:1], s[2:3]
.LBB42_72:
	s_or_b64 exec, exec, s[6:7]
	s_and_b64 exec, exec, s[4:5]
	s_cbranch_execz .LBB42_31
; %bb.73:
	v_cmp_eq_u32_e32 vcc, 1, v2
	v_add_u32_e32 v0, s10, v0
	s_nop 0
	v_cndmask_b32_e32 v1, v12, v11, vcc
	v_cmp_eq_u32_e32 vcc, 2, v2
	s_nop 1
	v_cndmask_b32_e32 v1, v1, v14, vcc
	v_cmp_eq_u32_e32 vcc, 3, v2
	;; [unrolled: 3-line block ×4, first 2 shown]
	s_nop 1
	v_cndmask_b32_e32 v1, v1, v15, vcc
	v_mul_f32_e32 v2, v17, v1
	v_ashrrev_i32_e32 v1, 31, v0
	s_waitcnt lgkmcnt(0)
	v_lshl_add_u64 v[0:1], v[0:1], 2, s[8:9]
	global_store_dword v[0:1], v2, off
	s_endpgm
	.section	.rodata,"a",@progbits
	.p2align	6, 0x0
	.amdhsa_kernel _ZN4vllm3moe22topkGatingSoftplusSqrtILi6ELi192ELi4ELi4ELi32ELb1EifEEvPKT6_PKbPfiPT5_PiiiibdPKfPKS8_SE_
		.amdhsa_group_segment_fixed_size 0
		.amdhsa_private_segment_fixed_size 0
		.amdhsa_kernarg_size 96
		.amdhsa_user_sgpr_count 2
		.amdhsa_user_sgpr_dispatch_ptr 0
		.amdhsa_user_sgpr_queue_ptr 0
		.amdhsa_user_sgpr_kernarg_segment_ptr 1
		.amdhsa_user_sgpr_dispatch_id 0
		.amdhsa_user_sgpr_kernarg_preload_length 0
		.amdhsa_user_sgpr_kernarg_preload_offset 0
		.amdhsa_user_sgpr_private_segment_size 0
		.amdhsa_uses_dynamic_stack 0
		.amdhsa_enable_private_segment 0
		.amdhsa_system_sgpr_workgroup_id_x 1
		.amdhsa_system_sgpr_workgroup_id_y 0
		.amdhsa_system_sgpr_workgroup_id_z 0
		.amdhsa_system_sgpr_workgroup_info 0
		.amdhsa_system_vgpr_workitem_id 1
		.amdhsa_next_free_vgpr 26
		.amdhsa_next_free_sgpr 25
		.amdhsa_accum_offset 28
		.amdhsa_reserve_vcc 1
		.amdhsa_float_round_mode_32 0
		.amdhsa_float_round_mode_16_64 0
		.amdhsa_float_denorm_mode_32 3
		.amdhsa_float_denorm_mode_16_64 3
		.amdhsa_dx10_clamp 1
		.amdhsa_ieee_mode 1
		.amdhsa_fp16_overflow 0
		.amdhsa_tg_split 0
		.amdhsa_exception_fp_ieee_invalid_op 0
		.amdhsa_exception_fp_denorm_src 0
		.amdhsa_exception_fp_ieee_div_zero 0
		.amdhsa_exception_fp_ieee_overflow 0
		.amdhsa_exception_fp_ieee_underflow 0
		.amdhsa_exception_fp_ieee_inexact 0
		.amdhsa_exception_int_div_zero 0
	.end_amdhsa_kernel
	.section	.text._ZN4vllm3moe22topkGatingSoftplusSqrtILi6ELi192ELi4ELi4ELi32ELb1EifEEvPKT6_PKbPfiPT5_PiiiibdPKfPKS8_SE_,"axG",@progbits,_ZN4vllm3moe22topkGatingSoftplusSqrtILi6ELi192ELi4ELi4ELi32ELb1EifEEvPKT6_PKbPfiPT5_PiiiibdPKfPKS8_SE_,comdat
.Lfunc_end42:
	.size	_ZN4vllm3moe22topkGatingSoftplusSqrtILi6ELi192ELi4ELi4ELi32ELb1EifEEvPKT6_PKbPfiPT5_PiiiibdPKfPKS8_SE_, .Lfunc_end42-_ZN4vllm3moe22topkGatingSoftplusSqrtILi6ELi192ELi4ELi4ELi32ELb1EifEEvPKT6_PKbPfiPT5_PiiiibdPKfPKS8_SE_
                                        ; -- End function
	.section	.AMDGPU.csdata,"",@progbits
; Kernel info:
; codeLenInByte = 4280
; NumSgprs: 31
; NumVgprs: 26
; NumAgprs: 0
; TotalNumVgprs: 26
; ScratchSize: 0
; MemoryBound: 0
; FloatMode: 240
; IeeeMode: 1
; LDSByteSize: 0 bytes/workgroup (compile time only)
; SGPRBlocks: 3
; VGPRBlocks: 3
; NumSGPRsForWavesPerEU: 31
; NumVGPRsForWavesPerEU: 26
; AccumOffset: 28
; Occupancy: 8
; WaveLimiterHint : 1
; COMPUTE_PGM_RSRC2:SCRATCH_EN: 0
; COMPUTE_PGM_RSRC2:USER_SGPR: 2
; COMPUTE_PGM_RSRC2:TRAP_HANDLER: 0
; COMPUTE_PGM_RSRC2:TGID_X_EN: 1
; COMPUTE_PGM_RSRC2:TGID_Y_EN: 0
; COMPUTE_PGM_RSRC2:TGID_Z_EN: 0
; COMPUTE_PGM_RSRC2:TIDIG_COMP_CNT: 1
; COMPUTE_PGM_RSRC3_GFX90A:ACCUM_OFFSET: 6
; COMPUTE_PGM_RSRC3_GFX90A:TG_SPLIT: 0
	.section	.text._ZN4vllm3moe22topkGatingSoftplusSqrtILi6ELi192ELi4ELi4ELi32ELb0EifEEvPKT6_PKbPfiPT5_PiiiibdPKfPKS8_SE_,"axG",@progbits,_ZN4vllm3moe22topkGatingSoftplusSqrtILi6ELi192ELi4ELi4ELi32ELb0EifEEvPKT6_PKbPfiPT5_PiiiibdPKfPKS8_SE_,comdat
	.protected	_ZN4vllm3moe22topkGatingSoftplusSqrtILi6ELi192ELi4ELi4ELi32ELb0EifEEvPKT6_PKbPfiPT5_PiiiibdPKfPKS8_SE_ ; -- Begin function _ZN4vllm3moe22topkGatingSoftplusSqrtILi6ELi192ELi4ELi4ELi32ELb0EifEEvPKT6_PKbPfiPT5_PiiiibdPKfPKS8_SE_
	.globl	_ZN4vllm3moe22topkGatingSoftplusSqrtILi6ELi192ELi4ELi4ELi32ELb0EifEEvPKT6_PKbPfiPT5_PiiiibdPKfPKS8_SE_
	.p2align	8
	.type	_ZN4vllm3moe22topkGatingSoftplusSqrtILi6ELi192ELi4ELi4ELi32ELb0EifEEvPKT6_PKbPfiPT5_PiiiibdPKfPKS8_SE_,@function
_ZN4vllm3moe22topkGatingSoftplusSqrtILi6ELi192ELi4ELi4ELi32ELb0EifEEvPKT6_PKbPfiPT5_PiiiibdPKfPKS8_SE_: ; @_ZN4vllm3moe22topkGatingSoftplusSqrtILi6ELi192ELi4ELi4ELi32ELb0EifEEvPKT6_PKbPfiPT5_PiiiibdPKfPKS8_SE_
; %bb.0:
	s_load_dword s30, s[0:1], 0x18
	v_and_b32_e32 v1, 0x3ff, v0
	s_lshl_b32 s2, s2, 2
	v_lshrrev_b32_e32 v2, 5, v1
	v_bfe_u32 v0, v0, 10, 10
	v_add3_u32 v6, s2, v0, v2
	s_waitcnt lgkmcnt(0)
	v_cmp_gt_i32_e32 vcc, s30, v6
	s_and_saveexec_b64 s[2:3], vcc
	s_cbranch_execz .LBB43_57
; %bb.1:
	s_load_dwordx4 s[4:7], s[0:1], 0x0
	s_load_dwordx2 s[20:21], s[0:1], 0x10
	s_waitcnt lgkmcnt(0)
	s_cmp_eq_u64 s[6:7], 0
	s_cbranch_scc1 .LBB43_3
; %bb.2:
	v_ashrrev_i32_e32 v7, 31, v6
	v_lshl_add_u64 v[2:3], s[6:7], 0, v[6:7]
	global_load_ubyte v0, v[2:3], off
	s_waitcnt vmcnt(0)
	v_and_b32_e32 v0, 1, v0
	v_cmp_eq_u32_e32 vcc, 1, v0
	s_xor_b64 s[2:3], vcc, -1
	s_orn2_b64 s[22:23], s[2:3], exec
	s_branch .LBB43_4
.LBB43_3:
	s_mov_b64 s[22:23], -1
.LBB43_4:
	s_movk_i32 s2, 0xc0
	v_mul_lo_u32 v4, v6, s2
	v_mov_b32_e32 v2, s4
	v_mov_b32_e32 v3, s5
	v_ashrrev_i32_e32 v5, 31, v4
	v_and_b32_e32 v8, 31, v1
	v_lshl_add_u64 v[2:3], v[4:5], 2, v[2:3]
	v_mov_b32_e32 v11, 0
	v_lshlrev_b32_e32 v10, 2, v8
	v_lshl_add_u64 v[12:13], v[2:3], 0, v[10:11]
	global_load_dword v0, v[12:13], off
	global_load_dword v1, v[12:13], off offset:128
	global_load_dword v2, v[12:13], off offset:256
	;; [unrolled: 1-line block ×5, first 2 shown]
	s_mov_b32 s16, 0x800000
	v_mov_b32_e32 v11, 0x4f800000
	s_mov_b32 s13, 0x3f317217
	s_mov_b32 s14, 0x7f800000
	v_mov_b32_e32 v9, 0x41b17218
	s_mov_b32 s12, 0x41a00000
	s_mov_b32 s15, 0xf800000
	s_load_dwordx4 s[8:11], s[0:1], 0x40
	s_waitcnt lgkmcnt(0)
	s_cmp_lg_u64 s[10:11], 0
	s_cselect_b64 s[6:7], -1, 0
	s_and_b64 s[2:3], exec, s[6:7]
	s_waitcnt vmcnt(5)
	v_mul_f32_e32 v7, 0x3fb8aa3b, v0
	v_exp_f32_e32 v7, v7
	s_nop 0
	v_add_f32_e32 v7, 1.0, v7
	v_cmp_gt_f32_e32 vcc, s16, v7
	s_nop 1
	v_cndmask_b32_e32 v12, 1.0, v11, vcc
	v_mul_f32_e32 v7, v7, v12
	v_log_f32_e32 v12, v7
	v_cndmask_b32_e32 v13, 0, v9, vcc
	v_mov_b32_e32 v7, 0x260
	v_mul_f32_e32 v14, 0x3f317217, v12
	v_fma_f32 v14, v12, s13, -v14
	v_fmac_f32_e32 v14, 0x3377d1cf, v12
	v_fmac_f32_e32 v14, 0x3f317217, v12
	v_cmp_lt_f32_e64 vcc, |v12|, s14
	s_nop 1
	v_cndmask_b32_e32 v12, v12, v14, vcc
	v_sub_f32_e32 v12, v12, v13
	v_cmp_lt_f32_e32 vcc, s12, v0
	s_nop 1
	v_cndmask_b32_e32 v0, v12, v0, vcc
	v_mul_f32_e32 v12, 0x4f800000, v0
	v_cmp_gt_f32_e32 vcc, s15, v0
	s_nop 1
	v_cndmask_b32_e32 v0, v0, v12, vcc
	v_sqrt_f32_e32 v12, v0
	s_nop 0
	v_add_u32_e32 v13, -1, v12
	v_add_u32_e32 v14, 1, v12
	v_fma_f32 v15, -v13, v12, v0
	v_fma_f32 v16, -v14, v12, v0
	v_cmp_ge_f32_e64 s[4:5], 0, v15
	s_nop 1
	v_cndmask_b32_e64 v12, v12, v13, s[4:5]
	v_cmp_lt_f32_e64 s[4:5], 0, v16
	s_nop 1
	v_cndmask_b32_e64 v12, v12, v14, s[4:5]
	v_mul_f32_e32 v13, 0x37800000, v12
	v_cndmask_b32_e32 v12, v12, v13, vcc
	v_cmp_class_f32_e32 vcc, v0, v7
	s_nop 1
	v_cndmask_b32_e32 v0, v12, v0, vcc
	s_mov_b64 vcc, s[2:3]
	s_cbranch_vccz .LBB43_6
; %bb.5:
	global_load_dword v12, v10, s[10:11]
	s_waitcnt vmcnt(0)
	v_add_f32_e32 v0, v0, v12
.LBB43_6:
	s_waitcnt vmcnt(4)
	v_mul_f32_e32 v12, 0x3fb8aa3b, v1
	v_exp_f32_e32 v12, v12
	s_nop 0
	v_add_f32_e32 v12, 1.0, v12
	v_cmp_gt_f32_e32 vcc, s16, v12
	s_nop 1
	v_cndmask_b32_e32 v11, 1.0, v11, vcc
	v_mul_f32_e32 v11, v12, v11
	v_log_f32_e32 v11, v11
	v_cndmask_b32_e32 v9, 0, v9, vcc
	v_mul_f32_e32 v12, 0x3f317217, v11
	v_fma_f32 v12, v11, s13, -v12
	v_fmac_f32_e32 v12, 0x3377d1cf, v11
	v_fmac_f32_e32 v12, 0x3f317217, v11
	v_cmp_lt_f32_e64 vcc, |v11|, s14
	s_nop 1
	v_cndmask_b32_e32 v11, v11, v12, vcc
	v_sub_f32_e32 v9, v11, v9
	v_cmp_lt_f32_e32 vcc, s12, v1
	s_nop 1
	v_cndmask_b32_e32 v1, v9, v1, vcc
	v_mul_f32_e32 v9, 0x4f800000, v1
	v_cmp_gt_f32_e32 vcc, s15, v1
	s_nop 1
	v_cndmask_b32_e32 v1, v1, v9, vcc
	v_sqrt_f32_e32 v9, v1
	v_cmp_class_f32_e64 s[4:5], v1, v7
	v_add_u32_e32 v11, -1, v9
	v_add_u32_e32 v12, 1, v9
	v_fma_f32 v13, -v11, v9, v1
	v_fma_f32 v14, -v12, v9, v1
	v_cmp_ge_f32_e64 s[2:3], 0, v13
	s_nop 1
	v_cndmask_b32_e64 v9, v9, v11, s[2:3]
	v_cmp_lt_f32_e64 s[2:3], 0, v14
	s_nop 1
	v_cndmask_b32_e64 v9, v9, v12, s[2:3]
	v_mul_f32_e32 v11, 0x37800000, v9
	v_cndmask_b32_e32 v9, v9, v11, vcc
	v_cndmask_b32_e64 v11, 0, 1, s[6:7]
	v_cmp_ne_u32_e64 s[2:3], 1, v11
	s_andn2_b64 vcc, exec, s[6:7]
	v_cndmask_b32_e64 v1, v9, v1, s[4:5]
	s_cbranch_vccnz .LBB43_8
; %bb.7:
	global_load_dword v7, v10, s[10:11] offset:128
	s_waitcnt vmcnt(0)
	v_add_f32_e32 v1, v1, v7
.LBB43_8:
	s_waitcnt vmcnt(3)
	v_mul_f32_e32 v7, 0x3fb8aa3b, v2
	v_exp_f32_e32 v7, v7
	s_mov_b32 s14, 0x800000
	v_mov_b32_e32 v9, 0x4f800000
	s_mov_b32 s7, 0x3f317217
	v_add_f32_e32 v7, 1.0, v7
	v_cmp_gt_f32_e32 vcc, s14, v7
	s_mov_b32 s12, 0x7f800000
	s_mov_b32 s6, 0x41a00000
	v_cndmask_b32_e32 v11, 1.0, v9, vcc
	v_mul_f32_e32 v7, v7, v11
	v_log_f32_e32 v7, v7
	s_mov_b32 s13, 0xf800000
	v_mul_f32_e32 v11, 0x3f317217, v7
	v_fma_f32 v11, v7, s7, -v11
	v_fmac_f32_e32 v11, 0x3377d1cf, v7
	v_fmac_f32_e32 v11, 0x3f317217, v7
	v_cmp_lt_f32_e64 s[4:5], |v7|, s12
	s_nop 1
	v_cndmask_b32_e64 v7, v7, v11, s[4:5]
	v_mov_b32_e32 v11, 0x41b17218
	v_cndmask_b32_e32 v12, 0, v11, vcc
	v_sub_f32_e32 v7, v7, v12
	v_cmp_lt_f32_e32 vcc, s6, v2
	s_nop 1
	v_cndmask_b32_e32 v2, v7, v2, vcc
	v_mul_f32_e32 v7, 0x4f800000, v2
	v_cmp_gt_f32_e32 vcc, s13, v2
	s_nop 1
	v_cndmask_b32_e32 v2, v2, v7, vcc
	v_sqrt_f32_e32 v7, v2
	s_nop 0
	v_add_u32_e32 v12, -1, v7
	v_fma_f32 v13, -v12, v7, v2
	v_cmp_ge_f32_e64 s[4:5], 0, v13
	v_add_u32_e32 v13, 1, v7
	s_nop 0
	v_cndmask_b32_e64 v12, v7, v12, s[4:5]
	v_fma_f32 v7, -v13, v7, v2
	v_cmp_lt_f32_e64 s[4:5], 0, v7
	s_nop 1
	v_cndmask_b32_e64 v7, v12, v13, s[4:5]
	v_mul_f32_e32 v12, 0x37800000, v7
	v_cndmask_b32_e32 v12, v7, v12, vcc
	v_mov_b32_e32 v7, 0x260
	v_cmp_class_f32_e64 s[4:5], v2, v7
	s_and_b64 vcc, exec, s[2:3]
	s_nop 0
	v_cndmask_b32_e64 v2, v12, v2, s[4:5]
	s_cbranch_vccnz .LBB43_10
; %bb.9:
	global_load_dword v12, v10, s[10:11] offset:256
	s_waitcnt vmcnt(0)
	v_add_f32_e32 v2, v2, v12
.LBB43_10:
	s_waitcnt vmcnt(2)
	v_mul_f32_e32 v12, 0x3fb8aa3b, v3
	v_exp_f32_e32 v12, v12
	s_nop 0
	v_add_f32_e32 v12, 1.0, v12
	v_cmp_gt_f32_e32 vcc, s14, v12
	s_nop 1
	v_cndmask_b32_e32 v9, 1.0, v9, vcc
	v_mul_f32_e32 v9, v12, v9
	v_log_f32_e32 v9, v9
	v_cndmask_b32_e32 v11, 0, v11, vcc
	v_mul_f32_e32 v12, 0x3f317217, v9
	v_fma_f32 v12, v9, s7, -v12
	v_fmac_f32_e32 v12, 0x3377d1cf, v9
	v_fmac_f32_e32 v12, 0x3f317217, v9
	v_cmp_lt_f32_e64 vcc, |v9|, s12
	s_nop 1
	v_cndmask_b32_e32 v9, v9, v12, vcc
	v_sub_f32_e32 v9, v9, v11
	v_cmp_lt_f32_e32 vcc, s6, v3
	s_nop 1
	v_cndmask_b32_e32 v3, v9, v3, vcc
	v_mul_f32_e32 v9, 0x4f800000, v3
	v_cmp_gt_f32_e32 vcc, s13, v3
	s_nop 1
	v_cndmask_b32_e32 v3, v3, v9, vcc
	v_sqrt_f32_e32 v9, v3
	s_nop 0
	v_add_u32_e32 v11, -1, v9
	v_add_u32_e32 v12, 1, v9
	v_fma_f32 v13, -v11, v9, v3
	v_fma_f32 v14, -v12, v9, v3
	v_cmp_ge_f32_e64 s[4:5], 0, v13
	s_nop 1
	v_cndmask_b32_e64 v9, v9, v11, s[4:5]
	v_cmp_lt_f32_e64 s[4:5], 0, v14
	s_nop 1
	v_cndmask_b32_e64 v9, v9, v12, s[4:5]
	v_mul_f32_e32 v11, 0x37800000, v9
	v_cndmask_b32_e32 v9, v9, v11, vcc
	v_cmp_class_f32_e64 s[4:5], v3, v7
	s_and_b64 vcc, exec, s[2:3]
	s_nop 0
	v_cndmask_b32_e64 v3, v9, v3, s[4:5]
	s_cbranch_vccnz .LBB43_12
; %bb.11:
	global_load_dword v7, v10, s[10:11] offset:384
	s_waitcnt vmcnt(0)
	v_add_f32_e32 v3, v3, v7
.LBB43_12:
	s_waitcnt vmcnt(1)
	v_mul_f32_e32 v7, 0x3fb8aa3b, v4
	v_exp_f32_e32 v7, v7
	v_mov_b32_e32 v9, 0x4f800000
	v_add_f32_e32 v7, 1.0, v7
	v_cmp_gt_f32_e32 vcc, s14, v7
	s_nop 1
	v_cndmask_b32_e32 v11, 1.0, v9, vcc
	v_mul_f32_e32 v7, v7, v11
	v_log_f32_e32 v7, v7
	s_nop 0
	v_mul_f32_e32 v11, 0x3f317217, v7
	v_fma_f32 v11, v7, s7, -v11
	v_fmac_f32_e32 v11, 0x3377d1cf, v7
	v_fmac_f32_e32 v11, 0x3f317217, v7
	v_cmp_lt_f32_e64 s[4:5], |v7|, s12
	s_nop 1
	v_cndmask_b32_e64 v7, v7, v11, s[4:5]
	v_mov_b32_e32 v11, 0x41b17218
	v_cndmask_b32_e32 v12, 0, v11, vcc
	v_sub_f32_e32 v7, v7, v12
	v_cmp_lt_f32_e32 vcc, s6, v4
	s_nop 1
	v_cndmask_b32_e32 v4, v7, v4, vcc
	v_mul_f32_e32 v7, 0x4f800000, v4
	v_cmp_gt_f32_e32 vcc, s13, v4
	s_nop 1
	v_cndmask_b32_e32 v4, v4, v7, vcc
	v_sqrt_f32_e32 v7, v4
	s_nop 0
	v_add_u32_e32 v12, -1, v7
	v_fma_f32 v13, -v12, v7, v4
	v_cmp_ge_f32_e64 s[4:5], 0, v13
	v_add_u32_e32 v13, 1, v7
	s_nop 0
	v_cndmask_b32_e64 v12, v7, v12, s[4:5]
	v_fma_f32 v7, -v13, v7, v4
	v_cmp_lt_f32_e64 s[4:5], 0, v7
	s_nop 1
	v_cndmask_b32_e64 v7, v12, v13, s[4:5]
	v_mul_f32_e32 v12, 0x37800000, v7
	v_cndmask_b32_e32 v12, v7, v12, vcc
	v_mov_b32_e32 v7, 0x260
	v_cmp_class_f32_e64 s[4:5], v4, v7
	s_and_b64 vcc, exec, s[2:3]
	s_nop 0
	v_cndmask_b32_e64 v4, v12, v4, s[4:5]
	s_cbranch_vccnz .LBB43_14
; %bb.13:
	global_load_dword v12, v10, s[10:11] offset:512
	s_waitcnt vmcnt(0)
	v_add_f32_e32 v4, v4, v12
.LBB43_14:
	s_waitcnt vmcnt(0)
	v_mul_f32_e32 v12, 0x3fb8aa3b, v5
	v_exp_f32_e32 v12, v12
	s_nop 0
	v_add_f32_e32 v12, 1.0, v12
	v_cmp_gt_f32_e32 vcc, s14, v12
	s_nop 1
	v_cndmask_b32_e32 v9, 1.0, v9, vcc
	v_mul_f32_e32 v9, v12, v9
	v_log_f32_e32 v9, v9
	v_cndmask_b32_e32 v11, 0, v11, vcc
	v_mul_f32_e32 v12, 0x3f317217, v9
	v_fma_f32 v12, v9, s7, -v12
	v_fmac_f32_e32 v12, 0x3377d1cf, v9
	v_fmac_f32_e32 v12, 0x3f317217, v9
	v_cmp_lt_f32_e64 vcc, |v9|, s12
	s_nop 1
	v_cndmask_b32_e32 v9, v9, v12, vcc
	v_sub_f32_e32 v9, v9, v11
	v_cmp_lt_f32_e32 vcc, s6, v5
	s_nop 1
	v_cndmask_b32_e32 v5, v9, v5, vcc
	v_mul_f32_e32 v9, 0x4f800000, v5
	v_cmp_gt_f32_e32 vcc, s13, v5
	s_nop 1
	v_cndmask_b32_e32 v5, v5, v9, vcc
	v_sqrt_f32_e32 v9, v5
	s_nop 0
	v_add_u32_e32 v11, -1, v9
	v_add_u32_e32 v12, 1, v9
	v_fma_f32 v13, -v11, v9, v5
	v_fma_f32 v14, -v12, v9, v5
	v_cmp_ge_f32_e64 s[4:5], 0, v13
	s_nop 1
	v_cndmask_b32_e64 v9, v9, v11, s[4:5]
	v_cmp_lt_f32_e64 s[4:5], 0, v14
	s_nop 1
	v_cndmask_b32_e64 v9, v9, v12, s[4:5]
	v_mul_f32_e32 v11, 0x37800000, v9
	v_cndmask_b32_e32 v9, v9, v11, vcc
	v_cmp_class_f32_e64 s[4:5], v5, v7
	s_and_b64 vcc, exec, s[2:3]
	s_nop 0
	v_cndmask_b32_e64 v5, v9, v5, s[4:5]
	s_cbranch_vccnz .LBB43_16
; %bb.15:
	global_load_dword v7, v10, s[10:11] offset:640
	s_waitcnt vmcnt(0)
	v_add_f32_e32 v5, v5, v7
.LBB43_16:
	s_load_dwordx4 s[12:15], s[0:1], 0x30
	s_mov_b32 s31, 0
	v_cmp_eq_u32_e64 s[6:7], 0, v8
	s_waitcnt lgkmcnt(0)
	s_bitcmp1_b32 s15, 0
	s_cselect_b64 s[4:5], -1, 0
	s_cmp_gt_i32 s12, 0
	s_cselect_b64 s[24:25], -1, 0
	s_and_b64 vcc, exec, s[24:25]
	s_cbranch_vccz .LBB43_43
; %bb.17:
	v_mbcnt_lo_u32_b32 v7, -1, 0
	v_mbcnt_hi_u32_b32 v7, -1, v7
	v_and_b32_e32 v9, 0x60, v7
	v_add_u32_e32 v10, 32, v9
	v_xor_b32_e32 v11, 16, v7
	v_cmp_lt_i32_e32 vcc, v11, v10
	s_load_dwordx4 s[16:19], s[0:1], 0x20
	v_mul_lo_u32 v9, v6, s12
	v_cndmask_b32_e32 v11, v7, v11, vcc
	v_lshlrev_b32_e32 v17, 2, v11
	v_xor_b32_e32 v11, 8, v7
	v_cmp_lt_i32_e32 vcc, v11, v10
	v_or_b32_e32 v12, 32, v8
	v_or_b32_e32 v13, 64, v8
	v_cndmask_b32_e32 v11, v7, v11, vcc
	v_lshlrev_b32_e32 v18, 2, v11
	v_xor_b32_e32 v11, 4, v7
	v_cmp_lt_i32_e32 vcc, v11, v10
	v_or_b32_e32 v14, 0x60, v8
	v_or_b32_e32 v15, 0x80, v8
	v_cndmask_b32_e32 v11, v7, v11, vcc
	v_lshlrev_b32_e32 v19, 2, v11
	v_xor_b32_e32 v11, 2, v7
	v_cmp_lt_i32_e32 vcc, v11, v10
	v_or_b32_e32 v16, 0xa0, v8
	v_mov_b32_e32 v22, 0xc0
	v_cndmask_b32_e32 v11, v7, v11, vcc
	v_lshlrev_b32_e32 v20, 2, v11
	v_xor_b32_e32 v11, 1, v7
	v_cmp_lt_i32_e32 vcc, v11, v10
	v_mov_b32_e32 v23, 0xc61c4000
	v_mov_b32_e32 v24, v6
	v_cndmask_b32_e32 v7, v7, v11, vcc
	v_lshlrev_b32_e32 v21, 2, v7
	v_mov_b32_e32 v7, 0
	s_branch .LBB43_20
.LBB43_18:                              ;   in Loop: Header=BB43_20 Depth=1
	s_waitcnt lgkmcnt(0)
	v_add_u32_e32 v26, s31, v9
	v_cmp_le_i32_e32 vcc, s13, v10
	v_cmp_gt_i32_e64 s[0:1], s14, v10
	v_ashrrev_i32_e32 v27, 31, v26
	s_and_b64 s[0:1], vcc, s[0:1]
	v_lshlrev_b64 v[26:27], 2, v[26:27]
	v_lshl_add_u64 v[28:29], s[20:21], 0, v[26:27]
	v_subrev_u32_e32 v11, s13, v10
	s_and_b64 vcc, s[22:23], s[0:1]
	global_store_dword v[28:29], v25, off
	v_cndmask_b32_e32 v11, v22, v11, vcc
	v_lshl_add_u64 v[28:29], s[16:17], 0, v[26:27]
	global_store_dword v[28:29], v11, off
	v_add_f32_e32 v11, v7, v25
	v_lshl_add_u64 v[26:27], s[18:19], 0, v[26:27]
	v_cndmask_b32_e64 v7, v7, v11, s[4:5]
	global_store_dword v[26:27], v24, off
.LBB43_19:                              ;   in Loop: Header=BB43_20 Depth=1
	s_or_b64 exec, exec, s[26:27]
	v_ashrrev_i32_e32 v11, 31, v10
	v_lshrrev_b32_e32 v11, 27, v11
	v_add_u32_e32 v11, v10, v11
	v_ashrrev_i32_e32 v25, 5, v11
	v_and_b32_e32 v11, 0xffffffe0, v11
	v_sub_u32_e32 v10, v10, v11
	v_cmp_ne_u32_e64 s[0:1], 0, v25
	v_cmp_eq_u32_e32 vcc, v8, v10
	s_add_i32 s31, s31, 1
	v_cndmask_b32_e64 v10, v23, v0, s[0:1]
	v_cmp_ne_u32_e64 s[0:1], 1, v25
	s_cmp_lt_i32 s31, s12
	s_cselect_b64 s[26:27], -1, 0
	v_cndmask_b32_e64 v11, v23, v1, s[0:1]
	v_cmp_ne_u32_e64 s[0:1], 2, v25
	s_and_b64 vcc, s[26:27], vcc
	v_cndmask_b32_e32 v1, v1, v11, vcc
	s_waitcnt lgkmcnt(0)
	v_cndmask_b32_e64 v26, v23, v2, s[0:1]
	v_cmp_ne_u32_e64 s[0:1], 3, v25
	v_cndmask_b32_e32 v2, v2, v26, vcc
	v_cndmask_b32_e32 v0, v0, v10, vcc
	v_cndmask_b32_e64 v27, v23, v3, s[0:1]
	v_cmp_ne_u32_e64 s[0:1], 4, v25
	v_cndmask_b32_e32 v3, v3, v27, vcc
	s_cmp_eq_u32 s12, s31
	v_cndmask_b32_e64 v28, v23, v4, s[0:1]
	v_cmp_ne_u32_e64 s[0:1], 5, v25
	v_cndmask_b32_e32 v4, v4, v28, vcc
	v_add_u32_e32 v24, s30, v24
	v_cndmask_b32_e64 v25, v23, v5, s[0:1]
	v_cndmask_b32_e32 v5, v5, v25, vcc
	s_cbranch_scc1 .LBB43_44
.LBB43_20:                              ; =>This Inner Loop Header: Depth=1
	v_cmp_gt_f32_e32 vcc, v1, v0
	s_nop 1
	v_cndmask_b32_e32 v11, v0, v1, vcc
	v_cndmask_b32_e32 v10, v8, v12, vcc
	v_cmp_gt_f32_e32 vcc, v2, v11
	s_nop 1
	v_cndmask_b32_e32 v11, v11, v2, vcc
	v_cndmask_b32_e32 v10, v10, v13, vcc
	;; [unrolled: 4-line block ×5, first 2 shown]
	ds_bpermute_b32 v11, v17, v25
	ds_bpermute_b32 v26, v17, v10
	s_waitcnt lgkmcnt(0)
	v_cmp_lt_f32_e64 s[26:27], v25, v11
	v_cmp_nlt_f32_e32 vcc, v25, v11
	s_and_saveexec_b64 s[28:29], vcc
; %bb.21:                               ;   in Loop: Header=BB43_20 Depth=1
	v_cmp_eq_f32_e32 vcc, v25, v11
	v_cmp_lt_i32_e64 s[0:1], v26, v10
	s_and_b64 s[0:1], vcc, s[0:1]
	s_andn2_b64 s[26:27], s[26:27], exec
	s_and_b64 s[0:1], s[0:1], exec
	s_or_b64 s[26:27], s[26:27], s[0:1]
; %bb.22:                               ;   in Loop: Header=BB43_20 Depth=1
	s_or_b64 exec, exec, s[28:29]
	s_and_saveexec_b64 s[0:1], s[26:27]
; %bb.23:                               ;   in Loop: Header=BB43_20 Depth=1
	v_mov_b32_e32 v25, v11
	v_mov_b32_e32 v10, v26
; %bb.24:                               ;   in Loop: Header=BB43_20 Depth=1
	s_or_b64 exec, exec, s[0:1]
	ds_bpermute_b32 v11, v18, v25
	ds_bpermute_b32 v26, v18, v10
	s_waitcnt lgkmcnt(1)
	v_cmp_lt_f32_e64 s[26:27], v25, v11
	v_cmp_nlt_f32_e32 vcc, v25, v11
	s_and_saveexec_b64 s[28:29], vcc
	s_cbranch_execz .LBB43_26
; %bb.25:                               ;   in Loop: Header=BB43_20 Depth=1
	v_cmp_eq_f32_e32 vcc, v25, v11
	s_waitcnt lgkmcnt(0)
	v_cmp_lt_i32_e64 s[0:1], v26, v10
	s_and_b64 s[0:1], vcc, s[0:1]
	s_andn2_b64 s[26:27], s[26:27], exec
	s_and_b64 s[0:1], s[0:1], exec
	s_or_b64 s[26:27], s[26:27], s[0:1]
.LBB43_26:                              ;   in Loop: Header=BB43_20 Depth=1
	s_or_b64 exec, exec, s[28:29]
	s_and_saveexec_b64 s[0:1], s[26:27]
	s_cbranch_execz .LBB43_28
; %bb.27:                               ;   in Loop: Header=BB43_20 Depth=1
	v_mov_b32_e32 v25, v11
	s_waitcnt lgkmcnt(0)
	v_mov_b32_e32 v10, v26
.LBB43_28:                              ;   in Loop: Header=BB43_20 Depth=1
	s_or_b64 exec, exec, s[0:1]
	ds_bpermute_b32 v11, v19, v25
	s_waitcnt lgkmcnt(1)
	ds_bpermute_b32 v26, v19, v10
	s_waitcnt lgkmcnt(1)
	v_cmp_lt_f32_e64 s[26:27], v25, v11
	v_cmp_nlt_f32_e32 vcc, v25, v11
	s_and_saveexec_b64 s[28:29], vcc
	s_cbranch_execz .LBB43_30
; %bb.29:                               ;   in Loop: Header=BB43_20 Depth=1
	v_cmp_eq_f32_e32 vcc, v25, v11
	s_waitcnt lgkmcnt(0)
	v_cmp_lt_i32_e64 s[0:1], v26, v10
	s_and_b64 s[0:1], vcc, s[0:1]
	s_andn2_b64 s[26:27], s[26:27], exec
	s_and_b64 s[0:1], s[0:1], exec
	s_or_b64 s[26:27], s[26:27], s[0:1]
.LBB43_30:                              ;   in Loop: Header=BB43_20 Depth=1
	s_or_b64 exec, exec, s[28:29]
	s_and_saveexec_b64 s[0:1], s[26:27]
	s_cbranch_execz .LBB43_32
; %bb.31:                               ;   in Loop: Header=BB43_20 Depth=1
	v_mov_b32_e32 v25, v11
	s_waitcnt lgkmcnt(0)
	v_mov_b32_e32 v10, v26
.LBB43_32:                              ;   in Loop: Header=BB43_20 Depth=1
	s_or_b64 exec, exec, s[0:1]
	ds_bpermute_b32 v11, v20, v25
	s_waitcnt lgkmcnt(1)
	ds_bpermute_b32 v26, v20, v10
	s_waitcnt lgkmcnt(1)
	v_cmp_lt_f32_e64 s[26:27], v25, v11
	v_cmp_nlt_f32_e32 vcc, v25, v11
	s_and_saveexec_b64 s[28:29], vcc
	s_cbranch_execz .LBB43_34
; %bb.33:                               ;   in Loop: Header=BB43_20 Depth=1
	v_cmp_eq_f32_e32 vcc, v25, v11
	s_waitcnt lgkmcnt(0)
	v_cmp_lt_i32_e64 s[0:1], v26, v10
	s_and_b64 s[0:1], vcc, s[0:1]
	s_andn2_b64 s[26:27], s[26:27], exec
	s_and_b64 s[0:1], s[0:1], exec
	s_or_b64 s[26:27], s[26:27], s[0:1]
.LBB43_34:                              ;   in Loop: Header=BB43_20 Depth=1
	s_or_b64 exec, exec, s[28:29]
	s_and_saveexec_b64 s[0:1], s[26:27]
	s_cbranch_execz .LBB43_36
; %bb.35:                               ;   in Loop: Header=BB43_20 Depth=1
	v_mov_b32_e32 v25, v11
	s_waitcnt lgkmcnt(0)
	v_mov_b32_e32 v10, v26
.LBB43_36:                              ;   in Loop: Header=BB43_20 Depth=1
	s_or_b64 exec, exec, s[0:1]
	ds_bpermute_b32 v11, v21, v25
	s_waitcnt lgkmcnt(1)
	ds_bpermute_b32 v26, v21, v10
	s_waitcnt lgkmcnt(1)
	v_cmp_lt_f32_e64 s[26:27], v25, v11
	v_cmp_nlt_f32_e32 vcc, v25, v11
	s_and_saveexec_b64 s[28:29], vcc
	s_cbranch_execnz .LBB43_39
; %bb.37:                               ;   in Loop: Header=BB43_20 Depth=1
	s_or_b64 exec, exec, s[28:29]
	s_and_saveexec_b64 s[0:1], s[26:27]
	s_cbranch_execnz .LBB43_40
.LBB43_38:                              ;   in Loop: Header=BB43_20 Depth=1
	s_or_b64 exec, exec, s[0:1]
	s_and_saveexec_b64 s[26:27], s[6:7]
	s_cbranch_execz .LBB43_19
	s_branch .LBB43_41
.LBB43_39:                              ;   in Loop: Header=BB43_20 Depth=1
	v_cmp_eq_f32_e32 vcc, v25, v11
	s_waitcnt lgkmcnt(0)
	v_cmp_lt_i32_e64 s[0:1], v26, v10
	s_and_b64 s[0:1], vcc, s[0:1]
	s_andn2_b64 s[26:27], s[26:27], exec
	s_and_b64 s[0:1], s[0:1], exec
	s_or_b64 s[26:27], s[26:27], s[0:1]
	s_or_b64 exec, exec, s[28:29]
	s_and_saveexec_b64 s[0:1], s[26:27]
	s_cbranch_execz .LBB43_38
.LBB43_40:                              ;   in Loop: Header=BB43_20 Depth=1
	s_waitcnt lgkmcnt(0)
	v_mov_b32_e32 v10, v26
	v_mov_b32_e32 v25, v11
	s_or_b64 exec, exec, s[0:1]
	s_and_saveexec_b64 s[26:27], s[6:7]
	s_cbranch_execz .LBB43_19
.LBB43_41:                              ;   in Loop: Header=BB43_20 Depth=1
	s_and_b64 vcc, exec, s[2:3]
	s_cbranch_vccnz .LBB43_18
; %bb.42:                               ;   in Loop: Header=BB43_20 Depth=1
	v_ashrrev_i32_e32 v11, 31, v10
	s_waitcnt lgkmcnt(0)
	v_lshl_add_u64 v[26:27], v[10:11], 2, s[10:11]
	global_load_dword v11, v[26:27], off
	s_waitcnt vmcnt(0)
	v_sub_f32_e32 v25, v25, v11
	s_branch .LBB43_18
.LBB43_43:
	v_mov_b32_e32 v7, 0
.LBB43_44:
	v_cmp_eq_u32_e32 vcc, 0, v8
	s_and_b64 exec, exec, vcc
	s_cbranch_execz .LBB43_57
; %bb.45:
	s_andn2_b64 vcc, exec, s[4:5]
	v_cvt_f32_f64_e32 v0, s[8:9]
	s_cbranch_vccnz .LBB43_47
; %bb.46:
	v_cmp_lt_f32_e32 vcc, 0, v7
	s_nop 1
	v_cndmask_b32_e32 v1, 1.0, v7, vcc
	v_div_scale_f32 v2, s[0:1], v1, v1, v0
	v_rcp_f32_e32 v3, v2
	s_nop 0
	v_fma_f32 v4, -v2, v3, 1.0
	v_fmac_f32_e32 v3, v4, v3
	v_div_scale_f32 v4, vcc, v0, v1, v0
	v_mul_f32_e32 v5, v4, v3
	v_fma_f32 v7, -v2, v5, v4
	v_fmac_f32_e32 v5, v7, v3
	v_fma_f32 v2, -v2, v5, v4
	v_div_fmas_f32 v2, v2, v3, v5
	v_div_fixup_f32 v0, v2, v1, v0
.LBB43_47:
	s_andn2_b64 vcc, exec, s[24:25]
	s_cbranch_vccnz .LBB43_57
; %bb.48:
	v_mul_lo_u32 v2, v6, s12
	s_cmp_gt_u32 s12, 3
	v_ashrrev_i32_e32 v3, 31, v2
	s_cbranch_scc0 .LBB43_52
; %bb.49:
	s_and_b32 s0, s12, 0x7ffffffc
	v_lshl_add_u64 v[4:5], v[2:3], 2, s[20:21]
	v_mov_b32_e32 v1, v0
	v_lshl_add_u64 v[4:5], v[4:5], 0, 8
	s_mov_b32 s1, s0
.LBB43_50:                              ; =>This Inner Loop Header: Depth=1
	global_load_dwordx4 v[6:9], v[4:5], off offset:-8
	s_add_i32 s1, s1, -4
	s_cmp_lg_u32 s1, 0
	s_waitcnt vmcnt(0)
	v_pk_mul_f32 v[6:7], v[0:1], v[6:7]
	v_pk_mul_f32 v[8:9], v[0:1], v[8:9]
	global_store_dwordx4 v[4:5], v[6:9], off offset:-8
	v_lshl_add_u64 v[4:5], v[4:5], 0, 16
	s_cbranch_scc1 .LBB43_50
; %bb.51:
	s_cmp_lg_u32 s0, s12
	s_cselect_b64 s[2:3], -1, 0
	s_branch .LBB43_54
.LBB43_52:
	s_mov_b64 s[2:3], 0
                                        ; implicit-def: $sgpr0
	s_cbranch_execz .LBB43_54
; %bb.53:
	s_mov_b64 s[2:3], -1
	s_mov_b32 s0, 0
.LBB43_54:
	s_andn2_b64 vcc, exec, s[2:3]
	s_cbranch_vccnz .LBB43_57
; %bb.55:
	s_mov_b32 s1, 0
	v_lshl_add_u64 v[2:3], v[2:3], 0, s[0:1]
	s_sub_i32 s2, s12, s0
	v_lshl_add_u64 v[2:3], v[2:3], 2, s[20:21]
.LBB43_56:                              ; =>This Inner Loop Header: Depth=1
	global_load_dword v1, v[2:3], off
	s_add_i32 s2, s2, -1
	s_cmp_lg_u32 s2, 0
	s_waitcnt vmcnt(0)
	v_mul_f32_e32 v1, v0, v1
	global_store_dword v[2:3], v1, off
	v_lshl_add_u64 v[2:3], v[2:3], 0, 4
	s_cbranch_scc1 .LBB43_56
.LBB43_57:
	s_endpgm
	.section	.rodata,"a",@progbits
	.p2align	6, 0x0
	.amdhsa_kernel _ZN4vllm3moe22topkGatingSoftplusSqrtILi6ELi192ELi4ELi4ELi32ELb0EifEEvPKT6_PKbPfiPT5_PiiiibdPKfPKS8_SE_
		.amdhsa_group_segment_fixed_size 0
		.amdhsa_private_segment_fixed_size 0
		.amdhsa_kernarg_size 96
		.amdhsa_user_sgpr_count 2
		.amdhsa_user_sgpr_dispatch_ptr 0
		.amdhsa_user_sgpr_queue_ptr 0
		.amdhsa_user_sgpr_kernarg_segment_ptr 1
		.amdhsa_user_sgpr_dispatch_id 0
		.amdhsa_user_sgpr_kernarg_preload_length 0
		.amdhsa_user_sgpr_kernarg_preload_offset 0
		.amdhsa_user_sgpr_private_segment_size 0
		.amdhsa_uses_dynamic_stack 0
		.amdhsa_enable_private_segment 0
		.amdhsa_system_sgpr_workgroup_id_x 1
		.amdhsa_system_sgpr_workgroup_id_y 0
		.amdhsa_system_sgpr_workgroup_id_z 0
		.amdhsa_system_sgpr_workgroup_info 0
		.amdhsa_system_vgpr_workitem_id 1
		.amdhsa_next_free_vgpr 30
		.amdhsa_next_free_sgpr 32
		.amdhsa_accum_offset 32
		.amdhsa_reserve_vcc 1
		.amdhsa_float_round_mode_32 0
		.amdhsa_float_round_mode_16_64 0
		.amdhsa_float_denorm_mode_32 3
		.amdhsa_float_denorm_mode_16_64 3
		.amdhsa_dx10_clamp 1
		.amdhsa_ieee_mode 1
		.amdhsa_fp16_overflow 0
		.amdhsa_tg_split 0
		.amdhsa_exception_fp_ieee_invalid_op 0
		.amdhsa_exception_fp_denorm_src 0
		.amdhsa_exception_fp_ieee_div_zero 0
		.amdhsa_exception_fp_ieee_overflow 0
		.amdhsa_exception_fp_ieee_underflow 0
		.amdhsa_exception_fp_ieee_inexact 0
		.amdhsa_exception_int_div_zero 0
	.end_amdhsa_kernel
	.section	.text._ZN4vllm3moe22topkGatingSoftplusSqrtILi6ELi192ELi4ELi4ELi32ELb0EifEEvPKT6_PKbPfiPT5_PiiiibdPKfPKS8_SE_,"axG",@progbits,_ZN4vllm3moe22topkGatingSoftplusSqrtILi6ELi192ELi4ELi4ELi32ELb0EifEEvPKT6_PKbPfiPT5_PiiiibdPKfPKS8_SE_,comdat
.Lfunc_end43:
	.size	_ZN4vllm3moe22topkGatingSoftplusSqrtILi6ELi192ELi4ELi4ELi32ELb0EifEEvPKT6_PKbPfiPT5_PiiiibdPKfPKS8_SE_, .Lfunc_end43-_ZN4vllm3moe22topkGatingSoftplusSqrtILi6ELi192ELi4ELi4ELi32ELb0EifEEvPKT6_PKbPfiPT5_PiiiibdPKfPKS8_SE_
                                        ; -- End function
	.section	.AMDGPU.csdata,"",@progbits
; Kernel info:
; codeLenInByte = 3492
; NumSgprs: 38
; NumVgprs: 30
; NumAgprs: 0
; TotalNumVgprs: 30
; ScratchSize: 0
; MemoryBound: 0
; FloatMode: 240
; IeeeMode: 1
; LDSByteSize: 0 bytes/workgroup (compile time only)
; SGPRBlocks: 4
; VGPRBlocks: 3
; NumSGPRsForWavesPerEU: 38
; NumVGPRsForWavesPerEU: 30
; AccumOffset: 32
; Occupancy: 8
; WaveLimiterHint : 1
; COMPUTE_PGM_RSRC2:SCRATCH_EN: 0
; COMPUTE_PGM_RSRC2:USER_SGPR: 2
; COMPUTE_PGM_RSRC2:TRAP_HANDLER: 0
; COMPUTE_PGM_RSRC2:TGID_X_EN: 1
; COMPUTE_PGM_RSRC2:TGID_Y_EN: 0
; COMPUTE_PGM_RSRC2:TGID_Z_EN: 0
; COMPUTE_PGM_RSRC2:TIDIG_COMP_CNT: 1
; COMPUTE_PGM_RSRC3_GFX90A:ACCUM_OFFSET: 7
; COMPUTE_PGM_RSRC3_GFX90A:TG_SPLIT: 0
	.section	.text._ZN4vllm3moe22topkGatingSoftplusSqrtILi5ELi320ELi4ELi4ELi64ELb1EifEEvPKT6_PKbPfiPT5_PiiiibdPKfPKS8_SE_,"axG",@progbits,_ZN4vllm3moe22topkGatingSoftplusSqrtILi5ELi320ELi4ELi4ELi64ELb1EifEEvPKT6_PKbPfiPT5_PiiiibdPKfPKS8_SE_,comdat
	.protected	_ZN4vllm3moe22topkGatingSoftplusSqrtILi5ELi320ELi4ELi4ELi64ELb1EifEEvPKT6_PKbPfiPT5_PiiiibdPKfPKS8_SE_ ; -- Begin function _ZN4vllm3moe22topkGatingSoftplusSqrtILi5ELi320ELi4ELi4ELi64ELb1EifEEvPKT6_PKbPfiPT5_PiiiibdPKfPKS8_SE_
	.globl	_ZN4vllm3moe22topkGatingSoftplusSqrtILi5ELi320ELi4ELi4ELi64ELb1EifEEvPKT6_PKbPfiPT5_PiiiibdPKfPKS8_SE_
	.p2align	8
	.type	_ZN4vllm3moe22topkGatingSoftplusSqrtILi5ELi320ELi4ELi4ELi64ELb1EifEEvPKT6_PKbPfiPT5_PiiiibdPKfPKS8_SE_,@function
_ZN4vllm3moe22topkGatingSoftplusSqrtILi5ELi320ELi4ELi4ELi64ELb1EifEEvPKT6_PKbPfiPT5_PiiiibdPKfPKS8_SE_: ; @_ZN4vllm3moe22topkGatingSoftplusSqrtILi5ELi320ELi4ELi4ELi64ELb1EifEEvPKT6_PKbPfiPT5_PiiiibdPKfPKS8_SE_
; %bb.0:
	s_load_dword s3, s[0:1], 0x18
	v_and_b32_e32 v1, 0x3ff, v0
	s_lshl_b32 s2, s2, 2
	v_lshrrev_b32_e32 v2, 6, v1
	v_bfe_u32 v0, v0, 10, 10
	v_add3_u32 v0, s2, v0, v2
	s_waitcnt lgkmcnt(0)
	v_cmp_gt_i32_e32 vcc, s3, v0
	s_and_saveexec_b64 s[2:3], vcc
	s_cbranch_execz .LBB44_31
; %bb.1:
	s_load_dwordx2 s[2:3], s[0:1], 0x0
	s_load_dword s20, s[0:1], 0x30
	s_load_dwordx4 s[8:11], s[0:1], 0x50
	s_movk_i32 s4, 0x140
	v_mul_lo_u32 v2, v0, s4
	v_ashrrev_i32_e32 v3, 31, v2
	v_and_b32_e32 v10, 63, v1
	s_waitcnt lgkmcnt(0)
	v_lshl_add_u64 v[2:3], v[2:3], 2, s[2:3]
	v_lshlrev_b32_e32 v4, 2, v10
	v_mov_b32_e32 v5, 0
	v_lshl_add_u64 v[2:3], v[2:3], 0, v[4:5]
	global_load_dword v4, v[2:3], off
	global_load_dword v11, v[2:3], off offset:256
	global_load_dword v13, v[2:3], off offset:512
	;; [unrolled: 1-line block ×3, first 2 shown]
	v_mov_b32_e32 v6, s8
	v_mov_b32_e32 v7, s9
	v_ashrrev_i32_e32 v1, 31, v0
	v_lshl_add_u64 v[6:7], v[0:1], 2, v[6:7]
	global_load_dword v1, v[6:7], off
	global_load_dword v18, v[2:3], off offset:1024
	s_mov_b32 s13, 0x800000
	v_mov_b32_e32 v15, 0x4f800000
	s_mov_b32 s12, 0x3f317217
	s_mov_b32 s14, 0x7f800000
	v_mov_b32_e32 v16, 0x41b17218
	s_mov_b32 s9, 0x41a00000
	s_mov_b32 s15, 0xf800000
	v_mov_b32_e32 v17, 0x260
	s_cmp_gt_i32 s20, 0
	s_mov_b32 s8, 0
	v_mul_lo_u32 v0, v0, s20
	s_waitcnt vmcnt(5)
	v_mul_f32_e32 v2, 0x3fb8aa3b, v4
	s_waitcnt vmcnt(4)
	v_mul_f32_e32 v3, 0x3fb8aa3b, v11
	v_exp_f32_e32 v2, v2
	v_exp_f32_e32 v3, v3
	s_waitcnt vmcnt(3)
	v_mul_f32_e32 v6, 0x3fb8aa3b, v13
	s_waitcnt vmcnt(2)
	v_mul_f32_e32 v7, 0x3fb8aa3b, v14
	v_exp_f32_e32 v6, v6
	v_exp_f32_e32 v7, v7
	v_pk_add_f32 v[2:3], v[2:3], 1.0 op_sel_hi:[1,0]
	s_waitcnt vmcnt(1)
	v_mul_lo_u32 v8, v1, s20
	v_cmp_gt_f32_e32 vcc, s13, v3
	v_pk_add_f32 v[6:7], v[6:7], 1.0 op_sel_hi:[1,0]
	v_cmp_gt_f32_e64 s[2:3], s13, v2
	v_cndmask_b32_e32 v1, 1.0, v15, vcc
	v_cmp_gt_f32_e64 s[4:5], s13, v7
	v_cndmask_b32_e64 v12, 1.0, v15, s[2:3]
	v_mul_f32_e32 v1, v3, v1
	v_cndmask_b32_e64 v19, 1.0, v15, s[4:5]
	v_mul_f32_e32 v2, v2, v12
	v_log_f32_e32 v1, v1
	v_mul_f32_e32 v7, v7, v19
	v_log_f32_e32 v2, v2
	v_cmp_gt_f32_e64 s[6:7], s13, v6
	v_log_f32_e32 v7, v7
	v_cndmask_b32_e32 v3, 0, v16, vcc
	v_cndmask_b32_e64 v20, 1.0, v15, s[6:7]
	v_mul_f32_e32 v6, v6, v20
	v_mul_f32_e32 v20, 0x3f317217, v1
	;; [unrolled: 1-line block ×3, first 2 shown]
	v_fma_f32 v20, v1, s12, -v20
	v_mul_f32_e32 v22, 0x3f317217, v7
	v_fma_f32 v21, v2, s12, -v21
	v_fmac_f32_e32 v20, 0x3377d1cf, v1
	v_fma_f32 v22, v7, s12, -v22
	v_fmac_f32_e32 v21, 0x3377d1cf, v2
	v_fmac_f32_e32 v20, 0x3f317217, v1
	v_cmp_lt_f32_e64 vcc, |v1|, s14
	v_fmac_f32_e32 v22, 0x3377d1cf, v7
	v_fmac_f32_e32 v21, 0x3f317217, v2
	v_cndmask_b32_e32 v1, v1, v20, vcc
	v_cmp_lt_f32_e64 vcc, |v2|, s14
	v_cndmask_b32_e64 v12, 0, v16, s[2:3]
	v_fmac_f32_e32 v22, 0x3f317217, v7
	v_cndmask_b32_e32 v2, v2, v21, vcc
	v_cmp_lt_f32_e64 vcc, |v7|, s14
	v_sub_f32_e32 v2, v2, v12
	v_sub_f32_e32 v1, v1, v3
	v_cndmask_b32_e32 v7, v7, v22, vcc
	v_cmp_lt_f32_e32 vcc, s9, v4
	v_cndmask_b32_e64 v19, 0, v16, s[4:5]
	v_sub_f32_e32 v7, v7, v19
	v_cndmask_b32_e32 v2, v2, v4, vcc
	v_cmp_lt_f32_e32 vcc, s9, v11
	v_mul_f32_e32 v4, 0x4f800000, v2
	v_cmp_gt_f32_e64 s[2:3], s15, v2
	v_cndmask_b32_e32 v1, v1, v11, vcc
	v_mul_f32_e32 v3, 0x4f800000, v1
	v_cmp_gt_f32_e32 vcc, s15, v1
	v_cndmask_b32_e64 v2, v2, v4, s[2:3]
	v_sqrt_f32_e32 v4, v2
	v_cndmask_b32_e32 v1, v1, v3, vcc
	v_sqrt_f32_e32 v3, v1
	v_log_f32_e32 v6, v6
	v_add_u32_e32 v19, -1, v4
	v_fma_f32 v24, -v19, v4, v2
	v_add_u32_e32 v11, -1, v3
	v_fma_f32 v21, -v11, v3, v1
	v_add_u32_e32 v12, 1, v3
	v_cmp_ge_f32_e64 s[4:5], 0, v21
	v_add_u32_e32 v20, 1, v4
	v_fma_f32 v22, -v12, v3, v1
	v_cndmask_b32_e64 v3, v3, v11, s[4:5]
	v_cmp_ge_f32_e64 s[4:5], 0, v24
	v_fma_f32 v25, -v20, v4, v2
	v_mul_f32_e32 v23, 0x3f317217, v6
	v_cndmask_b32_e64 v4, v4, v19, s[4:5]
	v_cmp_lt_f32_e64 s[4:5], 0, v22
	v_ashrrev_i32_e32 v9, 31, v8
	s_nop 0
	v_cndmask_b32_e64 v3, v3, v12, s[4:5]
	v_cmp_lt_f32_e64 s[4:5], 0, v25
	v_mul_f32_e32 v11, 0x37800000, v3
	v_cndmask_b32_e32 v3, v3, v11, vcc
	v_cndmask_b32_e64 v4, v4, v20, s[4:5]
	v_cmp_class_f32_e32 vcc, v1, v17
	v_mul_f32_e32 v12, 0x37800000, v4
	v_cndmask_b32_e64 v4, v4, v12, s[2:3]
	v_cndmask_b32_e32 v11, v3, v1, vcc
	v_fma_f32 v1, v6, s12, -v23
	v_cmp_class_f32_e32 vcc, v2, v17
	v_fmac_f32_e32 v1, 0x3377d1cf, v6
	v_fmac_f32_e32 v1, 0x3f317217, v6
	v_cndmask_b32_e32 v12, v4, v2, vcc
	v_cmp_lt_f32_e64 vcc, |v6|, s14
	v_cndmask_b32_e64 v2, 0, v16, s[6:7]
	v_cmp_lt_f32_e64 s[2:3], s9, v13
	v_cndmask_b32_e32 v1, v6, v1, vcc
	v_cmp_lt_f32_e32 vcc, s9, v14
	v_sub_f32_e32 v1, v1, v2
	v_cndmask_b32_e64 v1, v1, v13, s[2:3]
	v_cndmask_b32_e32 v3, v7, v14, vcc
	v_mul_f32_e32 v4, 0x4f800000, v3
	v_cmp_gt_f32_e32 vcc, s15, v3
	s_nop 1
	v_cndmask_b32_e32 v3, v3, v4, vcc
	v_sqrt_f32_e32 v4, v3
	s_nop 0
	v_add_u32_e32 v2, -1, v4
	v_fma_f32 v6, -v2, v4, v3
	v_cmp_ge_f32_e64 s[2:3], 0, v6
	v_add_u32_e32 v6, 1, v4
	s_nop 0
	v_cndmask_b32_e64 v2, v4, v2, s[2:3]
	v_fma_f32 v4, -v6, v4, v3
	v_cmp_lt_f32_e64 s[2:3], 0, v4
	s_nop 1
	v_cndmask_b32_e64 v2, v2, v6, s[2:3]
	v_mul_f32_e32 v6, 0x4f800000, v1
	v_cmp_gt_f32_e64 s[2:3], s15, v1
	v_mul_f32_e32 v4, 0x37800000, v2
	v_cndmask_b32_e32 v2, v2, v4, vcc
	v_cndmask_b32_e64 v1, v1, v6, s[2:3]
	v_sqrt_f32_e32 v6, v1
	s_waitcnt vmcnt(0)
	v_mul_f32_e32 v4, 0x3fb8aa3b, v18
	v_exp_f32_e32 v4, v4
	v_cmp_class_f32_e32 vcc, v3, v17
	v_add_f32_e32 v4, 1.0, v4
	s_nop 0
	v_cndmask_b32_e32 v13, v2, v3, vcc
	v_add_u32_e32 v2, -1, v6
	v_fma_f32 v3, -v2, v6, v1
	v_cmp_ge_f32_e32 vcc, 0, v3
	v_add_u32_e32 v3, 1, v6
	s_nop 0
	v_cndmask_b32_e32 v2, v6, v2, vcc
	v_cmp_gt_f32_e32 vcc, s13, v4
	v_fma_f32 v6, -v3, v6, v1
	v_cmp_lt_f32_e64 s[4:5], 0, v6
	v_cndmask_b32_e32 v7, 1.0, v15, vcc
	v_mul_f32_e32 v4, v4, v7
	v_log_f32_e32 v4, v4
	v_cndmask_b32_e64 v2, v2, v3, s[4:5]
	v_mul_f32_e32 v3, 0x37800000, v2
	v_cndmask_b32_e64 v2, v2, v3, s[2:3]
	v_mul_f32_e32 v6, 0x3f317217, v4
	v_fma_f32 v6, v4, s12, -v6
	v_fmac_f32_e32 v6, 0x3377d1cf, v4
	v_fmac_f32_e32 v6, 0x3f317217, v4
	v_cmp_lt_f32_e64 s[4:5], |v4|, s14
	v_cmp_class_f32_e64 s[2:3], v1, v17
	s_nop 0
	v_cndmask_b32_e64 v4, v4, v6, s[4:5]
	v_cndmask_b32_e32 v6, 0, v16, vcc
	v_sub_f32_e32 v4, v4, v6
	v_cmp_lt_f32_e32 vcc, s9, v18
	v_cndmask_b32_e64 v14, v2, v1, s[2:3]
	s_cselect_b64 s[4:5], -1, 0
	v_cndmask_b32_e32 v4, v4, v18, vcc
	v_mul_f32_e32 v6, 0x4f800000, v4
	v_cmp_gt_f32_e32 vcc, s15, v4
	s_cmp_lt_i32 s20, 1
	s_nop 0
	v_cndmask_b32_e32 v4, v4, v6, vcc
	v_sqrt_f32_e32 v6, v4
	s_nop 0
	v_add_u32_e32 v1, -1, v6
	v_fma_f32 v2, -v1, v6, v4
	v_cmp_ge_f32_e64 s[2:3], 0, v2
	v_add_u32_e32 v2, 1, v6
	v_fma_f32 v3, -v2, v6, v4
	v_cndmask_b32_e64 v1, v6, v1, s[2:3]
	v_cmp_lt_f32_e64 s[2:3], 0, v3
	s_nop 1
	v_cndmask_b32_e64 v1, v1, v2, s[2:3]
	v_mul_f32_e32 v2, 0x37800000, v1
	v_cndmask_b32_e32 v1, v1, v2, vcc
	v_cmp_class_f32_e32 vcc, v4, v17
	v_lshl_add_u64 v[2:3], v[8:9], 2, s[10:11]
	s_nop 0
	v_cndmask_b32_e32 v15, v1, v4, vcc
	s_cbranch_scc1 .LBB44_28
; %bb.2:
	s_load_dwordx2 s[6:7], s[0:1], 0x20
	s_cmp_lt_u32 s20, 4
	s_cbranch_scc1 .LBB44_21
; %bb.3:
	s_mov_b32 s11, 0
	s_and_b32 s8, s20, 0x7ffffffc
	v_ashrrev_i32_e32 v1, 31, v0
	v_mov_b32_e32 v5, 0
	s_mov_b32 s10, s11
	s_branch .LBB44_5
.LBB44_4:                               ;   in Loop: Header=BB44_5 Depth=1
	s_or_b64 exec, exec, s[12:13]
	s_add_i32 s10, s10, 4
	s_cmp_eq_u32 s10, s8
	s_cbranch_scc1 .LBB44_21
.LBB44_5:                               ; =>This Loop Header: Depth=1
                                        ;     Child Loop BB44_7 Depth 2
                                        ;     Child Loop BB44_11 Depth 2
                                        ;     Child Loop BB44_15 Depth 2
                                        ;     Child Loop BB44_19 Depth 2
	v_lshl_add_u64 v[6:7], s[10:11], 2, v[2:3]
	global_load_dword v4, v[6:7], off
	v_add_u32_e32 v8, s10, v0
	v_ashrrev_i32_e32 v9, 31, v8
	s_waitcnt lgkmcnt(0)
	v_lshl_add_u64 v[8:9], v[8:9], 2, s[6:7]
	s_mov_b64 s[12:13], 0
	v_mov_b32_e32 v16, v10
	s_mov_b64 s[14:15], 0
	s_waitcnt vmcnt(0)
	s_branch .LBB44_7
.LBB44_6:                               ;   in Loop: Header=BB44_7 Depth=2
	s_or_b64 exec, exec, s[16:17]
	s_cmp_gt_u32 s14, 3
	s_cselect_b64 s[2:3], -1, 0
	s_xor_b64 s[16:17], vcc, -1
	s_or_b64 s[2:3], s[16:17], s[2:3]
	s_add_u32 s14, s14, 1
	s_addc_u32 s15, s15, 0
	s_and_b64 s[2:3], exec, s[2:3]
	s_or_b64 s[12:13], s[2:3], s[12:13]
	v_add_u32_e32 v16, 64, v16
	s_andn2_b64 exec, exec, s[12:13]
	s_cbranch_execz .LBB44_9
.LBB44_7:                               ;   Parent Loop BB44_5 Depth=1
                                        ; =>  This Inner Loop Header: Depth=2
	v_cmp_ne_u32_e32 vcc, v4, v16
	v_cmp_eq_u32_e64 s[2:3], v4, v16
	s_and_saveexec_b64 s[16:17], s[2:3]
	s_cbranch_execz .LBB44_6
; %bb.8:                                ;   in Loop: Header=BB44_7 Depth=2
	s_cmp_eq_u32 s14, 1
	s_cselect_b64 s[2:3], -1, 0
	s_cmp_eq_u32 s14, 2
	v_cndmask_b32_e64 v17, v12, v11, s[2:3]
	s_cselect_b64 s[2:3], -1, 0
	s_cmp_eq_u32 s14, 3
	v_cndmask_b32_e64 v17, v17, v14, s[2:3]
	s_cselect_b64 s[2:3], -1, 0
	s_cmp_eq_u32 s14, 4
	v_cndmask_b32_e64 v17, v17, v13, s[2:3]
	s_cselect_b64 s[2:3], -1, 0
	v_cndmask_b32_e64 v17, v17, v15, s[2:3]
	v_add_f32_e32 v5, v5, v17
	global_store_dword v[8:9], v4, off
	s_branch .LBB44_6
.LBB44_9:                               ;   in Loop: Header=BB44_5 Depth=1
	s_or_b64 exec, exec, s[12:13]
	global_load_dword v4, v[6:7], off offset:4
	s_ashr_i32 s3, s10, 31
	s_mov_b32 s2, s10
	v_lshl_add_u64 v[8:9], s[2:3], 0, v[0:1]
	v_lshl_add_u64 v[8:9], v[8:9], 2, s[6:7]
	s_mov_b64 s[12:13], 0
	v_mov_b32_e32 v16, v10
	s_mov_b64 s[14:15], 0
	s_waitcnt vmcnt(0)
	s_branch .LBB44_11
.LBB44_10:                              ;   in Loop: Header=BB44_11 Depth=2
	s_or_b64 exec, exec, s[16:17]
	s_cmp_gt_u32 s14, 3
	s_cselect_b64 s[2:3], -1, 0
	s_xor_b64 s[16:17], vcc, -1
	s_or_b64 s[2:3], s[16:17], s[2:3]
	s_add_u32 s14, s14, 1
	s_addc_u32 s15, s15, 0
	s_and_b64 s[2:3], exec, s[2:3]
	s_or_b64 s[12:13], s[2:3], s[12:13]
	v_add_u32_e32 v16, 64, v16
	s_andn2_b64 exec, exec, s[12:13]
	s_cbranch_execz .LBB44_13
.LBB44_11:                              ;   Parent Loop BB44_5 Depth=1
                                        ; =>  This Inner Loop Header: Depth=2
	v_cmp_ne_u32_e32 vcc, v4, v16
	v_cmp_eq_u32_e64 s[2:3], v4, v16
	s_and_saveexec_b64 s[16:17], s[2:3]
	s_cbranch_execz .LBB44_10
; %bb.12:                               ;   in Loop: Header=BB44_11 Depth=2
	s_cmp_eq_u32 s14, 1
	s_cselect_b64 s[2:3], -1, 0
	s_cmp_eq_u32 s14, 2
	v_cndmask_b32_e64 v17, v12, v11, s[2:3]
	s_cselect_b64 s[2:3], -1, 0
	s_cmp_eq_u32 s14, 3
	v_cndmask_b32_e64 v17, v17, v14, s[2:3]
	;; [unrolled: 3-line block ×3, first 2 shown]
	s_cselect_b64 s[2:3], -1, 0
	v_cndmask_b32_e64 v17, v17, v15, s[2:3]
	v_add_f32_e32 v5, v5, v17
	global_store_dword v[8:9], v4, off offset:4
	s_branch .LBB44_10
.LBB44_13:                              ;   in Loop: Header=BB44_5 Depth=1
	s_or_b64 exec, exec, s[12:13]
	global_load_dword v4, v[6:7], off offset:8
	s_mov_b64 s[12:13], 0
	v_mov_b32_e32 v16, v10
	s_mov_b64 s[14:15], 0
	s_waitcnt vmcnt(0)
	s_branch .LBB44_15
.LBB44_14:                              ;   in Loop: Header=BB44_15 Depth=2
	s_or_b64 exec, exec, s[16:17]
	s_cmp_gt_u32 s14, 3
	s_cselect_b64 s[2:3], -1, 0
	s_xor_b64 s[16:17], vcc, -1
	s_or_b64 s[2:3], s[16:17], s[2:3]
	s_add_u32 s14, s14, 1
	s_addc_u32 s15, s15, 0
	s_and_b64 s[2:3], exec, s[2:3]
	s_or_b64 s[12:13], s[2:3], s[12:13]
	v_add_u32_e32 v16, 64, v16
	s_andn2_b64 exec, exec, s[12:13]
	s_cbranch_execz .LBB44_17
.LBB44_15:                              ;   Parent Loop BB44_5 Depth=1
                                        ; =>  This Inner Loop Header: Depth=2
	v_cmp_ne_u32_e32 vcc, v4, v16
	v_cmp_eq_u32_e64 s[2:3], v4, v16
	s_and_saveexec_b64 s[16:17], s[2:3]
	s_cbranch_execz .LBB44_14
; %bb.16:                               ;   in Loop: Header=BB44_15 Depth=2
	s_cmp_eq_u32 s14, 1
	s_cselect_b64 s[2:3], -1, 0
	s_cmp_eq_u32 s14, 2
	v_cndmask_b32_e64 v17, v12, v11, s[2:3]
	s_cselect_b64 s[2:3], -1, 0
	s_cmp_eq_u32 s14, 3
	v_cndmask_b32_e64 v17, v17, v14, s[2:3]
	;; [unrolled: 3-line block ×3, first 2 shown]
	s_cselect_b64 s[2:3], -1, 0
	v_cndmask_b32_e64 v17, v17, v15, s[2:3]
	v_add_f32_e32 v5, v5, v17
	global_store_dword v[8:9], v4, off offset:8
	s_branch .LBB44_14
.LBB44_17:                              ;   in Loop: Header=BB44_5 Depth=1
	s_or_b64 exec, exec, s[12:13]
	global_load_dword v4, v[6:7], off offset:12
	s_mov_b64 s[12:13], 0
	v_mov_b32_e32 v6, v10
	s_mov_b64 s[14:15], 0
	s_waitcnt vmcnt(0)
	s_branch .LBB44_19
.LBB44_18:                              ;   in Loop: Header=BB44_19 Depth=2
	s_or_b64 exec, exec, s[16:17]
	s_cmp_gt_u32 s14, 3
	s_cselect_b64 s[2:3], -1, 0
	s_xor_b64 s[16:17], vcc, -1
	s_or_b64 s[2:3], s[16:17], s[2:3]
	s_add_u32 s14, s14, 1
	s_addc_u32 s15, s15, 0
	s_and_b64 s[2:3], exec, s[2:3]
	s_or_b64 s[12:13], s[2:3], s[12:13]
	v_add_u32_e32 v6, 64, v6
	s_andn2_b64 exec, exec, s[12:13]
	s_cbranch_execz .LBB44_4
.LBB44_19:                              ;   Parent Loop BB44_5 Depth=1
                                        ; =>  This Inner Loop Header: Depth=2
	v_cmp_ne_u32_e32 vcc, v4, v6
	v_cmp_eq_u32_e64 s[2:3], v4, v6
	s_and_saveexec_b64 s[16:17], s[2:3]
	s_cbranch_execz .LBB44_18
; %bb.20:                               ;   in Loop: Header=BB44_19 Depth=2
	s_cmp_eq_u32 s14, 1
	s_cselect_b64 s[2:3], -1, 0
	s_cmp_eq_u32 s14, 2
	v_cndmask_b32_e64 v7, v12, v11, s[2:3]
	s_cselect_b64 s[2:3], -1, 0
	s_cmp_eq_u32 s14, 3
	v_cndmask_b32_e64 v7, v7, v14, s[2:3]
	;; [unrolled: 3-line block ×3, first 2 shown]
	s_cselect_b64 s[2:3], -1, 0
	v_cndmask_b32_e64 v7, v7, v15, s[2:3]
	v_add_f32_e32 v5, v5, v7
	global_store_dword v[8:9], v4, off offset:12
	s_branch .LBB44_18
.LBB44_21:
	s_and_b32 s16, s20, 3
	s_cmp_eq_u32 s16, 0
	s_mov_b32 s9, 0
	s_cbranch_scc1 .LBB44_28
; %bb.22:
	s_mov_b32 s17, s9
	s_branch .LBB44_24
.LBB44_23:                              ;   in Loop: Header=BB44_24 Depth=1
	s_or_b64 exec, exec, s[10:11]
	s_add_i32 s8, s8, 1
	s_add_i32 s17, s17, 1
	s_cmp_lg_u32 s17, s16
	s_cbranch_scc0 .LBB44_28
.LBB44_24:                              ; =>This Loop Header: Depth=1
                                        ;     Child Loop BB44_26 Depth 2
	v_lshl_add_u64 v[6:7], s[8:9], 2, v[2:3]
	global_load_dword v1, v[6:7], off
	v_add_u32_e32 v6, s8, v0
	v_ashrrev_i32_e32 v7, 31, v6
	s_waitcnt lgkmcnt(0)
	v_lshl_add_u64 v[6:7], v[6:7], 2, s[6:7]
	s_mov_b64 s[10:11], 0
	v_mov_b32_e32 v4, v10
	s_mov_b64 s[12:13], 0
	s_waitcnt vmcnt(0)
	s_branch .LBB44_26
.LBB44_25:                              ;   in Loop: Header=BB44_26 Depth=2
	s_or_b64 exec, exec, s[14:15]
	s_cmp_gt_u32 s12, 3
	s_cselect_b64 s[2:3], -1, 0
	s_xor_b64 s[14:15], vcc, -1
	s_or_b64 s[2:3], s[14:15], s[2:3]
	s_add_u32 s12, s12, 1
	s_addc_u32 s13, s13, 0
	s_and_b64 s[2:3], exec, s[2:3]
	s_or_b64 s[10:11], s[2:3], s[10:11]
	v_add_u32_e32 v4, 64, v4
	s_andn2_b64 exec, exec, s[10:11]
	s_cbranch_execz .LBB44_23
.LBB44_26:                              ;   Parent Loop BB44_24 Depth=1
                                        ; =>  This Inner Loop Header: Depth=2
	v_cmp_ne_u32_e32 vcc, v1, v4
	v_cmp_eq_u32_e64 s[2:3], v1, v4
	s_and_saveexec_b64 s[14:15], s[2:3]
	s_cbranch_execz .LBB44_25
; %bb.27:                               ;   in Loop: Header=BB44_26 Depth=2
	s_cmp_eq_u32 s12, 1
	s_cselect_b64 s[2:3], -1, 0
	s_cmp_eq_u32 s12, 2
	v_cndmask_b32_e64 v8, v12, v11, s[2:3]
	s_cselect_b64 s[2:3], -1, 0
	s_cmp_eq_u32 s12, 3
	v_cndmask_b32_e64 v8, v8, v14, s[2:3]
	s_cselect_b64 s[2:3], -1, 0
	s_cmp_eq_u32 s12, 4
	v_cndmask_b32_e64 v8, v8, v13, s[2:3]
	s_cselect_b64 s[2:3], -1, 0
	v_cndmask_b32_e64 v8, v8, v15, s[2:3]
	v_add_f32_e32 v5, v5, v8
	global_store_dword v[6:7], v1, off
	s_branch .LBB44_25
.LBB44_28:
	s_waitcnt lgkmcnt(0)
	s_load_dword s6, s[0:1], 0x3c
	s_waitcnt lgkmcnt(0)
	s_bitcmp1_b32 s6, 0
	s_cselect_b64 s[2:3], -1, 0
	s_bitcmp0_b32 s6, 0
	s_cbranch_scc0 .LBB44_32
; %bb.29:
	s_load_dwordx2 s[6:7], s[0:1], 0x40
	s_andn2_b64 vcc, exec, s[2:3]
	s_waitcnt lgkmcnt(0)
	v_cvt_f32_f64_e32 v16, s[6:7]
	s_cbranch_vccz .LBB44_33
.LBB44_30:
	s_andn2_b64 vcc, exec, s[4:5]
	s_cbranch_vccz .LBB44_34
.LBB44_31:
	s_endpgm
.LBB44_32:
	v_mbcnt_lo_u32_b32 v1, -1, 0
	v_mbcnt_hi_u32_b32 v1, -1, v1
	v_and_b32_e32 v4, 64, v1
	v_add_u32_e32 v4, 64, v4
	v_xor_b32_e32 v6, 32, v1
	v_cmp_lt_i32_e32 vcc, v6, v4
	v_xor_b32_e32 v7, 16, v1
	s_nop 0
	v_cndmask_b32_e32 v6, v1, v6, vcc
	v_lshlrev_b32_e32 v6, 2, v6
	ds_bpermute_b32 v6, v6, v5
	v_cmp_lt_i32_e32 vcc, v7, v4
	s_waitcnt lgkmcnt(0)
	v_add_f32_e32 v5, v5, v6
	v_cndmask_b32_e32 v6, v1, v7, vcc
	v_lshlrev_b32_e32 v6, 2, v6
	ds_bpermute_b32 v6, v6, v5
	v_xor_b32_e32 v7, 8, v1
	v_cmp_lt_i32_e32 vcc, v7, v4
	s_waitcnt lgkmcnt(0)
	v_add_f32_e32 v5, v5, v6
	v_cndmask_b32_e32 v6, v1, v7, vcc
	v_lshlrev_b32_e32 v6, 2, v6
	ds_bpermute_b32 v6, v6, v5
	v_xor_b32_e32 v7, 4, v1
	;; [unrolled: 7-line block ×4, first 2 shown]
	v_cmp_lt_i32_e32 vcc, v7, v4
	s_waitcnt lgkmcnt(0)
	v_add_f32_e32 v5, v5, v6
	v_cndmask_b32_e32 v1, v1, v7, vcc
	v_lshlrev_b32_e32 v1, 2, v1
	ds_bpermute_b32 v1, v1, v5
	s_waitcnt lgkmcnt(0)
	v_add_f32_e32 v5, v5, v1
	s_load_dwordx2 s[6:7], s[0:1], 0x40
	s_andn2_b64 vcc, exec, s[2:3]
	s_waitcnt lgkmcnt(0)
	v_cvt_f32_f64_e32 v16, s[6:7]
	s_cbranch_vccnz .LBB44_30
.LBB44_33:
	v_cmp_lt_f32_e32 vcc, 0, v5
	s_nop 1
	v_cndmask_b32_e32 v1, 1.0, v5, vcc
	v_div_scale_f32 v4, s[2:3], v1, v1, v16
	v_rcp_f32_e32 v5, v4
	s_nop 0
	v_fma_f32 v6, -v4, v5, 1.0
	v_fmac_f32_e32 v5, v6, v5
	v_div_scale_f32 v6, vcc, v16, v1, v16
	v_mul_f32_e32 v7, v6, v5
	v_fma_f32 v8, -v4, v7, v6
	v_fmac_f32_e32 v7, v8, v5
	v_fma_f32 v4, -v4, v7, v6
	v_div_fmas_f32 v4, v4, v5, v7
	v_div_fixup_f32 v16, v4, v1, v16
	s_andn2_b64 vcc, exec, s[4:5]
	s_cbranch_vccnz .LBB44_31
.LBB44_34:
	s_load_dwordx2 s[6:7], s[0:1], 0x10
	v_or_b32_e32 v20, 64, v10
	v_or_b32_e32 v19, 0x80, v10
	;; [unrolled: 1-line block ×4, first 2 shown]
	s_cmp_eq_u32 s20, 1
	s_mov_b32 s8, 0
	s_cbranch_scc1 .LBB44_57
; %bb.35:
	v_ashrrev_i32_e32 v1, 31, v0
	s_waitcnt lgkmcnt(0)
	v_lshl_add_u64 v[4:5], v[0:1], 2, s[6:7]
	s_and_b32 s8, s20, 0x7ffffffe
	v_lshl_add_u64 v[4:5], v[4:5], 0, 4
	v_lshl_add_u64 v[6:7], v[2:3], 0, 4
	s_mov_b32 s9, 0
	s_branch .LBB44_37
.LBB44_36:                              ;   in Loop: Header=BB44_37 Depth=1
	s_or_b64 exec, exec, s[0:1]
	s_add_i32 s9, s9, 2
	v_lshl_add_u64 v[4:5], v[4:5], 0, 8
	s_cmp_lg_u32 s8, s9
	v_lshl_add_u64 v[6:7], v[6:7], 0, 8
	s_cbranch_scc0 .LBB44_57
.LBB44_37:                              ; =>This Inner Loop Header: Depth=1
	global_load_dword v1, v[6:7], off offset:-4
	v_mov_b64_e32 v[8:9], 0
	s_waitcnt vmcnt(0)
	v_cmp_eq_u32_e32 vcc, v1, v10
	v_cmp_ne_u32_e64 s[0:1], v1, v10
	s_and_saveexec_b64 s[10:11], s[0:1]
	s_cbranch_execz .LBB44_45
; %bb.38:                               ;   in Loop: Header=BB44_37 Depth=1
	v_cmp_eq_u32_e64 s[0:1], v1, v20
	v_cmp_ne_u32_e64 s[2:3], v1, v20
	v_mov_b64_e32 v[8:9], 1
	s_and_saveexec_b64 s[12:13], s[2:3]
	s_cbranch_execz .LBB44_44
; %bb.39:                               ;   in Loop: Header=BB44_37 Depth=1
	v_cmp_eq_u32_e64 s[2:3], v1, v19
	v_cmp_ne_u32_e64 s[4:5], v1, v19
	v_mov_b64_e32 v[8:9], 2
	;; [unrolled: 6-line block ×3, first 2 shown]
	s_and_saveexec_b64 s[18:19], s[4:5]
	s_xor_b64 s[18:19], exec, s[18:19]
; %bb.41:                               ;   in Loop: Header=BB44_37 Depth=1
	v_cmp_eq_u32_e64 s[4:5], v1, v17
	s_andn2_b64 s[16:17], s[16:17], exec
	s_and_b64 s[4:5], s[4:5], exec
	v_mov_b64_e32 v[8:9], 4
	s_or_b64 s[16:17], s[16:17], s[4:5]
; %bb.42:                               ;   in Loop: Header=BB44_37 Depth=1
	s_or_b64 exec, exec, s[18:19]
	s_andn2_b64 s[2:3], s[2:3], exec
	s_and_b64 s[4:5], s[16:17], exec
	s_or_b64 s[2:3], s[2:3], s[4:5]
.LBB44_43:                              ;   in Loop: Header=BB44_37 Depth=1
	s_or_b64 exec, exec, s[14:15]
	s_andn2_b64 s[0:1], s[0:1], exec
	s_and_b64 s[2:3], s[2:3], exec
	s_or_b64 s[0:1], s[0:1], s[2:3]
.LBB44_44:                              ;   in Loop: Header=BB44_37 Depth=1
	s_or_b64 exec, exec, s[12:13]
	s_andn2_b64 s[2:3], vcc, exec
	s_and_b64 s[0:1], s[0:1], exec
	s_or_b64 vcc, s[2:3], s[0:1]
.LBB44_45:                              ;   in Loop: Header=BB44_37 Depth=1
	s_or_b64 exec, exec, s[10:11]
	s_and_saveexec_b64 s[0:1], vcc
	s_cbranch_execz .LBB44_47
; %bb.46:                               ;   in Loop: Header=BB44_37 Depth=1
	v_cmp_eq_u32_e32 vcc, 1, v8
	v_add_u32_e32 v22, s9, v0
	v_ashrrev_i32_e32 v23, 31, v22
	v_cndmask_b32_e32 v1, v12, v11, vcc
	v_cmp_eq_u32_e32 vcc, 2, v8
	s_nop 1
	v_cndmask_b32_e32 v1, v1, v14, vcc
	v_cmp_eq_u32_e32 vcc, 3, v8
	s_nop 1
	v_cndmask_b32_e32 v1, v1, v13, vcc
	v_cmp_eq_u32_e32 vcc, 4, v8
	v_lshl_add_u64 v[8:9], v[22:23], 2, s[6:7]
	s_nop 0
	v_cndmask_b32_e32 v1, v1, v15, vcc
	v_mul_f32_e32 v1, v16, v1
	global_store_dword v[8:9], v1, off
.LBB44_47:                              ;   in Loop: Header=BB44_37 Depth=1
	s_or_b64 exec, exec, s[0:1]
	global_load_dword v1, v[6:7], off
	v_mov_b64_e32 v[8:9], 0
	s_waitcnt vmcnt(0)
	v_cmp_eq_u32_e64 s[2:3], v1, v10
	v_cmp_ne_u32_e32 vcc, v1, v10
	s_and_saveexec_b64 s[4:5], vcc
	s_cbranch_execz .LBB44_55
; %bb.48:                               ;   in Loop: Header=BB44_37 Depth=1
	v_cmp_eq_u32_e32 vcc, v1, v20
	v_cmp_ne_u32_e64 s[0:1], v1, v20
	v_mov_b64_e32 v[8:9], 1
	s_and_saveexec_b64 s[10:11], s[0:1]
	s_cbranch_execz .LBB44_54
; %bb.49:                               ;   in Loop: Header=BB44_37 Depth=1
	v_cmp_eq_u32_e64 s[12:13], v1, v19
	v_cmp_ne_u32_e64 s[0:1], v1, v19
	v_mov_b64_e32 v[8:9], 2
	s_and_saveexec_b64 s[14:15], s[0:1]
	s_cbranch_execz .LBB44_53
; %bb.50:                               ;   in Loop: Header=BB44_37 Depth=1
	v_cmp_eq_u32_e64 s[16:17], v1, v18
	v_cmp_ne_u32_e64 s[0:1], v1, v18
	v_mov_b64_e32 v[8:9], 3
	s_and_saveexec_b64 s[18:19], s[0:1]
; %bb.51:                               ;   in Loop: Header=BB44_37 Depth=1
	v_cmp_eq_u32_e64 s[0:1], v1, v17
	s_andn2_b64 s[16:17], s[16:17], exec
	s_and_b64 s[0:1], s[0:1], exec
	v_mov_b64_e32 v[8:9], 4
	s_or_b64 s[16:17], s[16:17], s[0:1]
; %bb.52:                               ;   in Loop: Header=BB44_37 Depth=1
	s_or_b64 exec, exec, s[18:19]
	s_andn2_b64 s[0:1], s[12:13], exec
	s_and_b64 s[12:13], s[16:17], exec
	s_or_b64 s[12:13], s[0:1], s[12:13]
.LBB44_53:                              ;   in Loop: Header=BB44_37 Depth=1
	s_or_b64 exec, exec, s[14:15]
	s_andn2_b64 s[0:1], vcc, exec
	s_and_b64 s[12:13], s[12:13], exec
	s_or_b64 vcc, s[0:1], s[12:13]
.LBB44_54:                              ;   in Loop: Header=BB44_37 Depth=1
	s_or_b64 exec, exec, s[10:11]
	s_andn2_b64 s[0:1], s[2:3], exec
	s_and_b64 s[2:3], vcc, exec
	s_or_b64 s[2:3], s[0:1], s[2:3]
.LBB44_55:                              ;   in Loop: Header=BB44_37 Depth=1
	s_or_b64 exec, exec, s[4:5]
	s_and_saveexec_b64 s[0:1], s[2:3]
	s_cbranch_execz .LBB44_36
; %bb.56:                               ;   in Loop: Header=BB44_37 Depth=1
	v_cmp_eq_u32_e32 vcc, 1, v8
	s_nop 1
	v_cndmask_b32_e32 v1, v12, v11, vcc
	v_cmp_eq_u32_e32 vcc, 2, v8
	s_nop 1
	v_cndmask_b32_e32 v1, v1, v14, vcc
	v_cmp_eq_u32_e32 vcc, 3, v8
	s_nop 1
	v_cndmask_b32_e32 v1, v1, v13, vcc
	v_cmp_eq_u32_e32 vcc, 4, v8
	s_nop 1
	v_cndmask_b32_e32 v1, v1, v15, vcc
	v_mul_f32_e32 v1, v16, v1
	global_store_dword v[4:5], v1, off
	s_branch .LBB44_36
.LBB44_57:
	s_bitcmp0_b32 s20, 0
	s_mov_b32 s9, 0
	s_cbranch_scc1 .LBB44_31
; %bb.58:
	v_lshl_add_u64 v[2:3], s[8:9], 2, v[2:3]
	global_load_dword v1, v[2:3], off
	v_mov_b64_e32 v[2:3], 0
	s_waitcnt vmcnt(0)
	v_cmp_eq_u32_e64 s[2:3], v1, v10
	v_cmp_ne_u32_e32 vcc, v1, v10
	s_and_saveexec_b64 s[4:5], vcc
	s_cbranch_execz .LBB44_66
; %bb.59:
	v_cmp_eq_u32_e32 vcc, v1, v20
	v_cmp_ne_u32_e64 s[0:1], v1, v20
	v_mov_b64_e32 v[2:3], 1
	s_and_saveexec_b64 s[10:11], s[0:1]
	s_cbranch_execz .LBB44_65
; %bb.60:
	v_cmp_eq_u32_e64 s[12:13], v1, v19
	v_cmp_ne_u32_e64 s[0:1], v1, v19
	v_mov_b64_e32 v[2:3], 2
	s_and_saveexec_b64 s[14:15], s[0:1]
	s_cbranch_execz .LBB44_64
; %bb.61:
	v_cmp_eq_u32_e64 s[16:17], v1, v18
	v_cmp_ne_u32_e64 s[0:1], v1, v18
	v_mov_b64_e32 v[2:3], 3
	s_and_saveexec_b64 s[18:19], s[0:1]
; %bb.62:
	v_cmp_eq_u32_e64 s[0:1], v1, v17
	s_andn2_b64 s[16:17], s[16:17], exec
	s_and_b64 s[0:1], s[0:1], exec
	v_mov_b64_e32 v[2:3], 4
	s_or_b64 s[16:17], s[16:17], s[0:1]
; %bb.63:
	s_or_b64 exec, exec, s[18:19]
	s_andn2_b64 s[0:1], s[12:13], exec
	s_and_b64 s[12:13], s[16:17], exec
	s_or_b64 s[12:13], s[0:1], s[12:13]
.LBB44_64:
	s_or_b64 exec, exec, s[14:15]
	s_andn2_b64 s[0:1], vcc, exec
	s_and_b64 s[12:13], s[12:13], exec
	s_or_b64 vcc, s[0:1], s[12:13]
.LBB44_65:
	s_or_b64 exec, exec, s[10:11]
	s_andn2_b64 s[0:1], s[2:3], exec
	s_and_b64 s[2:3], vcc, exec
	s_or_b64 s[2:3], s[0:1], s[2:3]
.LBB44_66:
	s_or_b64 exec, exec, s[4:5]
	s_and_b64 exec, exec, s[2:3]
	s_cbranch_execz .LBB44_31
; %bb.67:
	v_cmp_eq_u32_e32 vcc, 1, v2
	v_add_u32_e32 v0, s8, v0
	s_nop 0
	v_cndmask_b32_e32 v1, v12, v11, vcc
	v_cmp_eq_u32_e32 vcc, 2, v2
	s_nop 1
	v_cndmask_b32_e32 v1, v1, v14, vcc
	v_cmp_eq_u32_e32 vcc, 3, v2
	;; [unrolled: 3-line block ×3, first 2 shown]
	s_nop 1
	v_cndmask_b32_e32 v1, v1, v15, vcc
	v_mul_f32_e32 v2, v16, v1
	v_ashrrev_i32_e32 v1, 31, v0
	s_waitcnt lgkmcnt(0)
	v_lshl_add_u64 v[0:1], v[0:1], 2, s[6:7]
	global_store_dword v[0:1], v2, off
	s_endpgm
	.section	.rodata,"a",@progbits
	.p2align	6, 0x0
	.amdhsa_kernel _ZN4vllm3moe22topkGatingSoftplusSqrtILi5ELi320ELi4ELi4ELi64ELb1EifEEvPKT6_PKbPfiPT5_PiiiibdPKfPKS8_SE_
		.amdhsa_group_segment_fixed_size 0
		.amdhsa_private_segment_fixed_size 0
		.amdhsa_kernarg_size 96
		.amdhsa_user_sgpr_count 2
		.amdhsa_user_sgpr_dispatch_ptr 0
		.amdhsa_user_sgpr_queue_ptr 0
		.amdhsa_user_sgpr_kernarg_segment_ptr 1
		.amdhsa_user_sgpr_dispatch_id 0
		.amdhsa_user_sgpr_kernarg_preload_length 0
		.amdhsa_user_sgpr_kernarg_preload_offset 0
		.amdhsa_user_sgpr_private_segment_size 0
		.amdhsa_uses_dynamic_stack 0
		.amdhsa_enable_private_segment 0
		.amdhsa_system_sgpr_workgroup_id_x 1
		.amdhsa_system_sgpr_workgroup_id_y 0
		.amdhsa_system_sgpr_workgroup_id_z 0
		.amdhsa_system_sgpr_workgroup_info 0
		.amdhsa_system_vgpr_workitem_id 1
		.amdhsa_next_free_vgpr 26
		.amdhsa_next_free_sgpr 21
		.amdhsa_accum_offset 28
		.amdhsa_reserve_vcc 1
		.amdhsa_float_round_mode_32 0
		.amdhsa_float_round_mode_16_64 0
		.amdhsa_float_denorm_mode_32 3
		.amdhsa_float_denorm_mode_16_64 3
		.amdhsa_dx10_clamp 1
		.amdhsa_ieee_mode 1
		.amdhsa_fp16_overflow 0
		.amdhsa_tg_split 0
		.amdhsa_exception_fp_ieee_invalid_op 0
		.amdhsa_exception_fp_denorm_src 0
		.amdhsa_exception_fp_ieee_div_zero 0
		.amdhsa_exception_fp_ieee_overflow 0
		.amdhsa_exception_fp_ieee_underflow 0
		.amdhsa_exception_fp_ieee_inexact 0
		.amdhsa_exception_int_div_zero 0
	.end_amdhsa_kernel
	.section	.text._ZN4vllm3moe22topkGatingSoftplusSqrtILi5ELi320ELi4ELi4ELi64ELb1EifEEvPKT6_PKbPfiPT5_PiiiibdPKfPKS8_SE_,"axG",@progbits,_ZN4vllm3moe22topkGatingSoftplusSqrtILi5ELi320ELi4ELi4ELi64ELb1EifEEvPKT6_PKbPfiPT5_PiiiibdPKfPKS8_SE_,comdat
.Lfunc_end44:
	.size	_ZN4vllm3moe22topkGatingSoftplusSqrtILi5ELi320ELi4ELi4ELi64ELb1EifEEvPKT6_PKbPfiPT5_PiiiibdPKfPKS8_SE_, .Lfunc_end44-_ZN4vllm3moe22topkGatingSoftplusSqrtILi5ELi320ELi4ELi4ELi64ELb1EifEEvPKT6_PKbPfiPT5_PiiiibdPKfPKS8_SE_
                                        ; -- End function
	.section	.AMDGPU.csdata,"",@progbits
; Kernel info:
; codeLenInByte = 3844
; NumSgprs: 27
; NumVgprs: 26
; NumAgprs: 0
; TotalNumVgprs: 26
; ScratchSize: 0
; MemoryBound: 0
; FloatMode: 240
; IeeeMode: 1
; LDSByteSize: 0 bytes/workgroup (compile time only)
; SGPRBlocks: 3
; VGPRBlocks: 3
; NumSGPRsForWavesPerEU: 27
; NumVGPRsForWavesPerEU: 26
; AccumOffset: 28
; Occupancy: 8
; WaveLimiterHint : 1
; COMPUTE_PGM_RSRC2:SCRATCH_EN: 0
; COMPUTE_PGM_RSRC2:USER_SGPR: 2
; COMPUTE_PGM_RSRC2:TRAP_HANDLER: 0
; COMPUTE_PGM_RSRC2:TGID_X_EN: 1
; COMPUTE_PGM_RSRC2:TGID_Y_EN: 0
; COMPUTE_PGM_RSRC2:TGID_Z_EN: 0
; COMPUTE_PGM_RSRC2:TIDIG_COMP_CNT: 1
; COMPUTE_PGM_RSRC3_GFX90A:ACCUM_OFFSET: 6
; COMPUTE_PGM_RSRC3_GFX90A:TG_SPLIT: 0
	.section	.text._ZN4vllm3moe22topkGatingSoftplusSqrtILi5ELi320ELi4ELi4ELi64ELb0EifEEvPKT6_PKbPfiPT5_PiiiibdPKfPKS8_SE_,"axG",@progbits,_ZN4vllm3moe22topkGatingSoftplusSqrtILi5ELi320ELi4ELi4ELi64ELb0EifEEvPKT6_PKbPfiPT5_PiiiibdPKfPKS8_SE_,comdat
	.protected	_ZN4vllm3moe22topkGatingSoftplusSqrtILi5ELi320ELi4ELi4ELi64ELb0EifEEvPKT6_PKbPfiPT5_PiiiibdPKfPKS8_SE_ ; -- Begin function _ZN4vllm3moe22topkGatingSoftplusSqrtILi5ELi320ELi4ELi4ELi64ELb0EifEEvPKT6_PKbPfiPT5_PiiiibdPKfPKS8_SE_
	.globl	_ZN4vllm3moe22topkGatingSoftplusSqrtILi5ELi320ELi4ELi4ELi64ELb0EifEEvPKT6_PKbPfiPT5_PiiiibdPKfPKS8_SE_
	.p2align	8
	.type	_ZN4vllm3moe22topkGatingSoftplusSqrtILi5ELi320ELi4ELi4ELi64ELb0EifEEvPKT6_PKbPfiPT5_PiiiibdPKfPKS8_SE_,@function
_ZN4vllm3moe22topkGatingSoftplusSqrtILi5ELi320ELi4ELi4ELi64ELb0EifEEvPKT6_PKbPfiPT5_PiiiibdPKfPKS8_SE_: ; @_ZN4vllm3moe22topkGatingSoftplusSqrtILi5ELi320ELi4ELi4ELi64ELb0EifEEvPKT6_PKbPfiPT5_PiiiibdPKfPKS8_SE_
; %bb.0:
	s_load_dword s30, s[0:1], 0x18
	v_and_b32_e32 v1, 0x3ff, v0
	s_lshl_b32 s2, s2, 2
	v_lshrrev_b32_e32 v2, 6, v1
	v_bfe_u32 v0, v0, 10, 10
	v_add3_u32 v6, s2, v0, v2
	s_waitcnt lgkmcnt(0)
	v_cmp_gt_i32_e32 vcc, s30, v6
	s_and_saveexec_b64 s[2:3], vcc
	s_cbranch_execz .LBB45_59
; %bb.1:
	s_load_dwordx4 s[4:7], s[0:1], 0x0
	s_load_dwordx2 s[20:21], s[0:1], 0x10
	s_waitcnt lgkmcnt(0)
	s_cmp_eq_u64 s[6:7], 0
	s_cbranch_scc1 .LBB45_3
; %bb.2:
	v_ashrrev_i32_e32 v7, 31, v6
	v_lshl_add_u64 v[2:3], s[6:7], 0, v[6:7]
	global_load_ubyte v0, v[2:3], off
	s_waitcnt vmcnt(0)
	v_and_b32_e32 v0, 1, v0
	v_cmp_eq_u32_e32 vcc, 1, v0
	s_xor_b64 s[2:3], vcc, -1
	s_orn2_b64 s[22:23], s[2:3], exec
	s_branch .LBB45_4
.LBB45_3:
	s_mov_b64 s[22:23], -1
.LBB45_4:
	s_movk_i32 s2, 0x140
	v_mul_lo_u32 v4, v6, s2
	v_mov_b32_e32 v2, s4
	v_mov_b32_e32 v3, s5
	v_ashrrev_i32_e32 v5, 31, v4
	v_and_b32_e32 v8, 63, v1
	v_lshl_add_u64 v[2:3], v[4:5], 2, v[2:3]
	v_mov_b32_e32 v11, 0
	v_lshlrev_b32_e32 v10, 2, v8
	v_lshl_add_u64 v[12:13], v[2:3], 0, v[10:11]
	global_load_dword v0, v[12:13], off
	global_load_dword v1, v[12:13], off offset:256
	global_load_dword v2, v[12:13], off offset:512
	;; [unrolled: 1-line block ×4, first 2 shown]
	s_mov_b32 s16, 0x800000
	v_mov_b32_e32 v9, 0x4f800000
	s_mov_b32 s7, 0x3f317217
	s_mov_b32 s14, 0x7f800000
	v_mov_b32_e32 v7, 0x41b17218
	s_mov_b32 s6, 0x41a00000
	s_mov_b32 s15, 0xf800000
	s_load_dwordx4 s[8:11], s[0:1], 0x40
	s_waitcnt lgkmcnt(0)
	s_cmp_lg_u64 s[10:11], 0
	s_cselect_b64 s[12:13], -1, 0
	s_and_b64 s[2:3], exec, s[12:13]
	s_waitcnt vmcnt(4)
	v_mul_f32_e32 v5, 0x3fb8aa3b, v0
	v_exp_f32_e32 v5, v5
	s_nop 0
	v_add_f32_e32 v5, 1.0, v5
	v_cmp_gt_f32_e32 vcc, s16, v5
	s_nop 1
	v_cndmask_b32_e32 v11, 1.0, v9, vcc
	v_mul_f32_e32 v5, v5, v11
	v_log_f32_e32 v11, v5
	v_cndmask_b32_e32 v12, 0, v7, vcc
	v_mov_b32_e32 v5, 0x260
	v_mul_f32_e32 v13, 0x3f317217, v11
	v_fma_f32 v13, v11, s7, -v13
	v_fmac_f32_e32 v13, 0x3377d1cf, v11
	v_fmac_f32_e32 v13, 0x3f317217, v11
	v_cmp_lt_f32_e64 vcc, |v11|, s14
	s_nop 1
	v_cndmask_b32_e32 v11, v11, v13, vcc
	v_sub_f32_e32 v11, v11, v12
	v_cmp_lt_f32_e32 vcc, s6, v0
	s_nop 1
	v_cndmask_b32_e32 v0, v11, v0, vcc
	v_mul_f32_e32 v11, 0x4f800000, v0
	v_cmp_gt_f32_e32 vcc, s15, v0
	s_nop 1
	v_cndmask_b32_e32 v0, v0, v11, vcc
	v_sqrt_f32_e32 v11, v0
	s_nop 0
	v_add_u32_e32 v12, -1, v11
	v_add_u32_e32 v13, 1, v11
	v_fma_f32 v14, -v12, v11, v0
	v_fma_f32 v15, -v13, v11, v0
	v_cmp_ge_f32_e64 s[4:5], 0, v14
	s_nop 1
	v_cndmask_b32_e64 v11, v11, v12, s[4:5]
	v_cmp_lt_f32_e64 s[4:5], 0, v15
	s_nop 1
	v_cndmask_b32_e64 v11, v11, v13, s[4:5]
	v_mul_f32_e32 v12, 0x37800000, v11
	v_cndmask_b32_e32 v11, v11, v12, vcc
	v_cmp_class_f32_e32 vcc, v0, v5
	s_nop 1
	v_cndmask_b32_e32 v0, v11, v0, vcc
	s_mov_b64 vcc, s[2:3]
	s_cbranch_vccz .LBB45_6
; %bb.5:
	global_load_dword v11, v10, s[10:11]
	s_waitcnt vmcnt(0)
	v_add_f32_e32 v0, v0, v11
.LBB45_6:
	s_waitcnt vmcnt(3)
	v_mul_f32_e32 v11, 0x3fb8aa3b, v1
	v_exp_f32_e32 v11, v11
	s_nop 0
	v_add_f32_e32 v11, 1.0, v11
	v_cmp_gt_f32_e32 vcc, s16, v11
	s_nop 1
	v_cndmask_b32_e32 v9, 1.0, v9, vcc
	v_mul_f32_e32 v9, v11, v9
	v_log_f32_e32 v9, v9
	v_cndmask_b32_e32 v7, 0, v7, vcc
	v_mul_f32_e32 v11, 0x3f317217, v9
	v_fma_f32 v11, v9, s7, -v11
	v_fmac_f32_e32 v11, 0x3377d1cf, v9
	v_fmac_f32_e32 v11, 0x3f317217, v9
	v_cmp_lt_f32_e64 vcc, |v9|, s14
	s_nop 1
	v_cndmask_b32_e32 v9, v9, v11, vcc
	v_sub_f32_e32 v7, v9, v7
	v_cmp_lt_f32_e32 vcc, s6, v1
	s_nop 1
	v_cndmask_b32_e32 v1, v7, v1, vcc
	v_mul_f32_e32 v7, 0x4f800000, v1
	v_cmp_gt_f32_e32 vcc, s15, v1
	s_nop 1
	v_cndmask_b32_e32 v1, v1, v7, vcc
	v_sqrt_f32_e32 v7, v1
	s_nop 0
	v_add_u32_e32 v9, -1, v7
	v_add_u32_e32 v11, 1, v7
	v_fma_f32 v12, -v9, v7, v1
	v_fma_f32 v13, -v11, v7, v1
	v_cmp_ge_f32_e64 s[2:3], 0, v12
	s_nop 1
	v_cndmask_b32_e64 v7, v7, v9, s[2:3]
	v_cmp_lt_f32_e64 s[2:3], 0, v13
	s_nop 1
	v_cndmask_b32_e64 v7, v7, v11, s[2:3]
	v_mul_f32_e32 v9, 0x37800000, v7
	v_cndmask_b32_e32 v7, v7, v9, vcc
	v_cndmask_b32_e64 v9, 0, 1, s[12:13]
	v_cmp_class_f32_e64 s[2:3], v1, v5
	v_cmp_ne_u32_e64 s[6:7], 1, v9
	s_andn2_b64 vcc, exec, s[12:13]
	v_cndmask_b32_e64 v1, v7, v1, s[2:3]
	s_cbranch_vccnz .LBB45_8
; %bb.7:
	global_load_dword v5, v10, s[10:11] offset:256
	s_waitcnt vmcnt(0)
	v_add_f32_e32 v1, v1, v5
.LBB45_8:
	s_waitcnt vmcnt(2)
	v_mul_f32_e32 v5, 0x3fb8aa3b, v2
	v_exp_f32_e32 v5, v5
	s_mov_b32 s14, 0x800000
	v_mov_b32_e32 v7, 0x4f800000
	s_mov_b32 s5, 0x3f317217
	v_add_f32_e32 v5, 1.0, v5
	v_cmp_gt_f32_e32 vcc, s14, v5
	s_mov_b32 s12, 0x7f800000
	s_mov_b32 s4, 0x41a00000
	v_cndmask_b32_e32 v9, 1.0, v7, vcc
	v_mul_f32_e32 v5, v5, v9
	v_log_f32_e32 v5, v5
	s_mov_b32 s13, 0xf800000
	v_mul_f32_e32 v9, 0x3f317217, v5
	v_fma_f32 v9, v5, s5, -v9
	v_fmac_f32_e32 v9, 0x3377d1cf, v5
	v_fmac_f32_e32 v9, 0x3f317217, v5
	v_cmp_lt_f32_e64 s[2:3], |v5|, s12
	s_nop 1
	v_cndmask_b32_e64 v5, v5, v9, s[2:3]
	v_mov_b32_e32 v9, 0x41b17218
	v_cndmask_b32_e32 v11, 0, v9, vcc
	v_sub_f32_e32 v5, v5, v11
	v_cmp_lt_f32_e32 vcc, s4, v2
	s_nop 1
	v_cndmask_b32_e32 v2, v5, v2, vcc
	v_mul_f32_e32 v5, 0x4f800000, v2
	v_cmp_gt_f32_e32 vcc, s13, v2
	s_nop 1
	v_cndmask_b32_e32 v2, v2, v5, vcc
	v_sqrt_f32_e32 v5, v2
	s_nop 0
	v_add_u32_e32 v11, -1, v5
	v_fma_f32 v12, -v11, v5, v2
	v_cmp_ge_f32_e64 s[2:3], 0, v12
	v_add_u32_e32 v12, 1, v5
	s_nop 0
	v_cndmask_b32_e64 v11, v5, v11, s[2:3]
	v_fma_f32 v5, -v12, v5, v2
	v_cmp_lt_f32_e64 s[2:3], 0, v5
	s_nop 1
	v_cndmask_b32_e64 v5, v11, v12, s[2:3]
	v_mul_f32_e32 v11, 0x37800000, v5
	v_cndmask_b32_e32 v11, v5, v11, vcc
	v_mov_b32_e32 v5, 0x260
	v_cmp_class_f32_e64 s[2:3], v2, v5
	s_and_b64 vcc, exec, s[6:7]
	s_nop 0
	v_cndmask_b32_e64 v2, v11, v2, s[2:3]
	s_cbranch_vccnz .LBB45_10
; %bb.9:
	global_load_dword v11, v10, s[10:11] offset:512
	s_waitcnt vmcnt(0)
	v_add_f32_e32 v2, v2, v11
.LBB45_10:
	s_waitcnt vmcnt(1)
	v_mul_f32_e32 v11, 0x3fb8aa3b, v3
	v_exp_f32_e32 v11, v11
	s_nop 0
	v_add_f32_e32 v11, 1.0, v11
	v_cmp_gt_f32_e32 vcc, s14, v11
	s_nop 1
	v_cndmask_b32_e32 v7, 1.0, v7, vcc
	v_mul_f32_e32 v7, v11, v7
	v_log_f32_e32 v7, v7
	v_cndmask_b32_e32 v9, 0, v9, vcc
	v_mul_f32_e32 v11, 0x3f317217, v7
	v_fma_f32 v11, v7, s5, -v11
	v_fmac_f32_e32 v11, 0x3377d1cf, v7
	v_fmac_f32_e32 v11, 0x3f317217, v7
	v_cmp_lt_f32_e64 vcc, |v7|, s12
	s_nop 1
	v_cndmask_b32_e32 v7, v7, v11, vcc
	v_sub_f32_e32 v7, v7, v9
	v_cmp_lt_f32_e32 vcc, s4, v3
	s_nop 1
	v_cndmask_b32_e32 v3, v7, v3, vcc
	v_mul_f32_e32 v7, 0x4f800000, v3
	v_cmp_gt_f32_e32 vcc, s13, v3
	s_nop 1
	v_cndmask_b32_e32 v3, v3, v7, vcc
	v_sqrt_f32_e32 v7, v3
	s_nop 0
	v_add_u32_e32 v9, -1, v7
	v_add_u32_e32 v11, 1, v7
	v_fma_f32 v12, -v9, v7, v3
	v_fma_f32 v13, -v11, v7, v3
	v_cmp_ge_f32_e64 s[2:3], 0, v12
	s_nop 1
	v_cndmask_b32_e64 v7, v7, v9, s[2:3]
	v_cmp_lt_f32_e64 s[2:3], 0, v13
	s_nop 1
	v_cndmask_b32_e64 v7, v7, v11, s[2:3]
	v_mul_f32_e32 v9, 0x37800000, v7
	v_cndmask_b32_e32 v7, v7, v9, vcc
	v_cmp_class_f32_e64 s[2:3], v3, v5
	s_and_b64 vcc, exec, s[6:7]
	s_nop 0
	v_cndmask_b32_e64 v3, v7, v3, s[2:3]
	s_cbranch_vccnz .LBB45_12
; %bb.11:
	global_load_dword v5, v10, s[10:11] offset:768
	s_waitcnt vmcnt(0)
	v_add_f32_e32 v3, v3, v5
.LBB45_12:
	s_waitcnt vmcnt(0)
	v_mul_f32_e32 v5, 0x3fb8aa3b, v4
	v_exp_f32_e32 v5, v5
	s_mov_b32 s2, 0x800000
	v_mov_b32_e32 v7, 0x4f800000
	s_mov_b32 s3, 0x7f800000
	v_add_f32_e32 v5, 1.0, v5
	v_cmp_gt_f32_e32 vcc, s2, v5
	s_mov_b32 s2, 0x3f317217
	s_nop 0
	v_cndmask_b32_e32 v7, 1.0, v7, vcc
	v_mul_f32_e32 v5, v5, v7
	v_log_f32_e32 v5, v5
	s_nop 0
	v_mul_f32_e32 v7, 0x3f317217, v5
	v_fma_f32 v7, v5, s2, -v7
	v_fmamk_f32 v7, v5, 0x3377d1cf, v7
	v_fmac_f32_e32 v7, 0x3f317217, v5
	v_cmp_lt_f32_e64 s[2:3], |v5|, s3
	s_nop 1
	v_cndmask_b32_e64 v5, v5, v7, s[2:3]
	v_mov_b32_e32 v7, 0x41b17218
	v_cndmask_b32_e32 v7, 0, v7, vcc
	v_sub_f32_e32 v5, v5, v7
	v_cmp_lt_f32_e32 vcc, s4, v4
	s_mov_b32 s2, 0xf800000
	s_nop 0
	v_cndmask_b32_e32 v4, v5, v4, vcc
	v_mul_f32_e32 v5, 0x4f800000, v4
	v_cmp_gt_f32_e32 vcc, s2, v4
	s_nop 1
	v_cndmask_b32_e32 v4, v4, v5, vcc
	v_sqrt_f32_e32 v5, v4
	s_nop 0
	v_add_u32_e32 v7, -1, v5
	v_fma_f32 v9, -v7, v5, v4
	v_cmp_ge_f32_e64 s[2:3], 0, v9
	v_add_u32_e32 v9, 1, v5
	s_nop 0
	v_cndmask_b32_e64 v7, v5, v7, s[2:3]
	v_fma_f32 v5, -v9, v5, v4
	v_cmp_lt_f32_e64 s[2:3], 0, v5
	s_nop 1
	v_cndmask_b32_e64 v5, v7, v9, s[2:3]
	v_mul_f32_e32 v7, 0x37800000, v5
	v_cndmask_b32_e32 v5, v5, v7, vcc
	v_mov_b32_e32 v7, 0x260
	v_cmp_class_f32_e64 s[2:3], v4, v7
	s_and_b64 vcc, exec, s[6:7]
	s_nop 0
	v_cndmask_b32_e64 v4, v5, v4, s[2:3]
	s_cbranch_vccnz .LBB45_14
; %bb.13:
	global_load_dword v5, v10, s[10:11] offset:1024
	s_waitcnt vmcnt(0)
	v_add_f32_e32 v4, v4, v5
.LBB45_14:
	s_load_dwordx4 s[12:15], s[0:1], 0x30
	v_cmp_eq_u32_e64 s[4:5], 0, v8
	s_waitcnt lgkmcnt(0)
	s_bitcmp1_b32 s15, 0
	s_cselect_b64 s[2:3], -1, 0
	s_cmp_gt_i32 s12, 0
	s_cselect_b64 s[24:25], -1, 0
	s_and_b64 vcc, exec, s[24:25]
	s_cbranch_vccz .LBB45_45
; %bb.15:
	v_mbcnt_lo_u32_b32 v5, -1, 0
	v_mbcnt_hi_u32_b32 v7, -1, v5
	v_and_b32_e32 v5, 64, v7
	v_add_u32_e32 v10, 64, v5
	v_xor_b32_e32 v11, 32, v7
	v_cmp_lt_i32_e32 vcc, v11, v10
	s_load_dwordx4 s[16:19], s[0:1], 0x20
	s_mov_b32 s15, 0
	v_cndmask_b32_e32 v11, v7, v11, vcc
	v_lshlrev_b32_e32 v15, 2, v11
	v_xor_b32_e32 v11, 16, v7
	v_cmp_lt_i32_e32 vcc, v11, v10
	v_mul_lo_u32 v5, v6, s12
	v_or_b32_e32 v9, 64, v8
	v_cndmask_b32_e32 v11, v7, v11, vcc
	v_lshlrev_b32_e32 v16, 2, v11
	v_xor_b32_e32 v11, 8, v7
	v_cmp_lt_i32_e32 vcc, v11, v10
	v_or_b32_e32 v12, 0x80, v8
	v_or_b32_e32 v13, 0xc0, v8
	v_cndmask_b32_e32 v11, v7, v11, vcc
	v_lshlrev_b32_e32 v17, 2, v11
	v_xor_b32_e32 v11, 4, v7
	v_cmp_lt_i32_e32 vcc, v11, v10
	v_or_b32_e32 v14, 0x100, v8
	v_mov_b32_e32 v21, 0x140
	v_cndmask_b32_e32 v11, v7, v11, vcc
	v_lshlrev_b32_e32 v18, 2, v11
	v_xor_b32_e32 v11, 2, v7
	v_cmp_lt_i32_e32 vcc, v11, v10
	v_mov_b32_e32 v22, 0xc61c4000
	v_mov_b32_e32 v23, v6
	v_cndmask_b32_e32 v11, v7, v11, vcc
	v_lshlrev_b32_e32 v19, 2, v11
	v_xor_b32_e32 v11, 1, v7
	v_cmp_lt_i32_e32 vcc, v11, v10
	s_nop 1
	v_cndmask_b32_e32 v7, v7, v11, vcc
	v_lshlrev_b32_e32 v20, 2, v7
	v_mov_b32_e32 v7, 0
	s_branch .LBB45_18
.LBB45_16:                              ;   in Loop: Header=BB45_18 Depth=1
	v_add_u32_e32 v26, s15, v5
	v_cmp_le_i32_e32 vcc, s13, v10
	v_cmp_gt_i32_e64 s[0:1], s14, v10
	v_ashrrev_i32_e32 v27, 31, v26
	s_and_b64 s[0:1], vcc, s[0:1]
	v_lshlrev_b64 v[26:27], 2, v[26:27]
	v_lshl_add_u64 v[28:29], s[20:21], 0, v[26:27]
	v_subrev_u32_e32 v11, s13, v10
	s_and_b64 vcc, s[22:23], s[0:1]
	global_store_dword v[28:29], v24, off
	v_cndmask_b32_e32 v11, v21, v11, vcc
	v_lshl_add_u64 v[28:29], s[16:17], 0, v[26:27]
	global_store_dword v[28:29], v11, off
	v_add_f32_e32 v11, v7, v24
	v_lshl_add_u64 v[26:27], s[18:19], 0, v[26:27]
	v_cndmask_b32_e64 v7, v7, v11, s[2:3]
	global_store_dword v[26:27], v23, off
.LBB45_17:                              ;   in Loop: Header=BB45_18 Depth=1
	s_or_b64 exec, exec, s[26:27]
	v_ashrrev_i32_e32 v11, 31, v10
	v_lshrrev_b32_e32 v11, 26, v11
	v_add_u32_e32 v11, v10, v11
	v_ashrrev_i32_e32 v24, 6, v11
	v_and_b32_e32 v11, 0xffffffc0, v11
	v_sub_u32_e32 v10, v10, v11
	v_cmp_ne_u32_e64 s[0:1], 0, v24
	v_cmp_eq_u32_e32 vcc, v8, v10
	s_add_i32 s15, s15, 1
	v_cndmask_b32_e64 v10, v22, v0, s[0:1]
	v_cmp_ne_u32_e64 s[0:1], 1, v24
	s_cmp_lt_i32 s15, s12
	s_cselect_b64 s[26:27], -1, 0
	v_cndmask_b32_e64 v11, v22, v1, s[0:1]
	v_cmp_ne_u32_e64 s[0:1], 2, v24
	s_and_b64 vcc, s[26:27], vcc
	v_cndmask_b32_e32 v1, v1, v11, vcc
	s_waitcnt lgkmcnt(0)
	v_cndmask_b32_e64 v25, v22, v2, s[0:1]
	v_cmp_ne_u32_e64 s[0:1], 3, v24
	v_cndmask_b32_e32 v2, v2, v25, vcc
	v_cndmask_b32_e32 v0, v0, v10, vcc
	v_cndmask_b32_e64 v26, v22, v3, s[0:1]
	v_cmp_ne_u32_e64 s[0:1], 4, v24
	v_cndmask_b32_e32 v3, v3, v26, vcc
	s_cmp_eq_u32 s12, s15
	v_cndmask_b32_e64 v24, v22, v4, s[0:1]
	v_cndmask_b32_e32 v4, v4, v24, vcc
	v_add_u32_e32 v23, s30, v23
	s_cbranch_scc1 .LBB45_46
.LBB45_18:                              ; =>This Inner Loop Header: Depth=1
	v_cmp_gt_f32_e32 vcc, v1, v0
	s_nop 1
	v_cndmask_b32_e32 v11, v0, v1, vcc
	v_cndmask_b32_e32 v10, v8, v9, vcc
	v_cmp_gt_f32_e32 vcc, v2, v11
	s_nop 1
	v_cndmask_b32_e32 v11, v11, v2, vcc
	v_cndmask_b32_e32 v10, v10, v12, vcc
	;; [unrolled: 4-line block ×4, first 2 shown]
	ds_bpermute_b32 v11, v15, v24
	ds_bpermute_b32 v25, v15, v10
	s_waitcnt lgkmcnt(0)
	v_cmp_lt_f32_e64 s[26:27], v24, v11
	v_cmp_nlt_f32_e32 vcc, v24, v11
	s_and_saveexec_b64 s[28:29], vcc
; %bb.19:                               ;   in Loop: Header=BB45_18 Depth=1
	v_cmp_eq_f32_e32 vcc, v24, v11
	v_cmp_lt_i32_e64 s[0:1], v25, v10
	s_and_b64 s[0:1], vcc, s[0:1]
	s_andn2_b64 s[26:27], s[26:27], exec
	s_and_b64 s[0:1], s[0:1], exec
	s_or_b64 s[26:27], s[26:27], s[0:1]
; %bb.20:                               ;   in Loop: Header=BB45_18 Depth=1
	s_or_b64 exec, exec, s[28:29]
	s_and_saveexec_b64 s[0:1], s[26:27]
; %bb.21:                               ;   in Loop: Header=BB45_18 Depth=1
	v_mov_b32_e32 v24, v11
	v_mov_b32_e32 v10, v25
; %bb.22:                               ;   in Loop: Header=BB45_18 Depth=1
	s_or_b64 exec, exec, s[0:1]
	ds_bpermute_b32 v11, v16, v24
	ds_bpermute_b32 v25, v16, v10
	s_waitcnt lgkmcnt(1)
	v_cmp_lt_f32_e64 s[26:27], v24, v11
	v_cmp_nlt_f32_e32 vcc, v24, v11
	s_and_saveexec_b64 s[28:29], vcc
	s_cbranch_execz .LBB45_24
; %bb.23:                               ;   in Loop: Header=BB45_18 Depth=1
	v_cmp_eq_f32_e32 vcc, v24, v11
	s_waitcnt lgkmcnt(0)
	v_cmp_lt_i32_e64 s[0:1], v25, v10
	s_and_b64 s[0:1], vcc, s[0:1]
	s_andn2_b64 s[26:27], s[26:27], exec
	s_and_b64 s[0:1], s[0:1], exec
	s_or_b64 s[26:27], s[26:27], s[0:1]
.LBB45_24:                              ;   in Loop: Header=BB45_18 Depth=1
	s_or_b64 exec, exec, s[28:29]
	s_and_saveexec_b64 s[0:1], s[26:27]
	s_cbranch_execz .LBB45_26
; %bb.25:                               ;   in Loop: Header=BB45_18 Depth=1
	v_mov_b32_e32 v24, v11
	s_waitcnt lgkmcnt(0)
	v_mov_b32_e32 v10, v25
.LBB45_26:                              ;   in Loop: Header=BB45_18 Depth=1
	s_or_b64 exec, exec, s[0:1]
	ds_bpermute_b32 v11, v17, v24
	s_waitcnt lgkmcnt(1)
	ds_bpermute_b32 v25, v17, v10
	s_waitcnt lgkmcnt(1)
	v_cmp_lt_f32_e64 s[26:27], v24, v11
	v_cmp_nlt_f32_e32 vcc, v24, v11
	s_and_saveexec_b64 s[28:29], vcc
	s_cbranch_execz .LBB45_28
; %bb.27:                               ;   in Loop: Header=BB45_18 Depth=1
	v_cmp_eq_f32_e32 vcc, v24, v11
	s_waitcnt lgkmcnt(0)
	v_cmp_lt_i32_e64 s[0:1], v25, v10
	s_and_b64 s[0:1], vcc, s[0:1]
	s_andn2_b64 s[26:27], s[26:27], exec
	s_and_b64 s[0:1], s[0:1], exec
	s_or_b64 s[26:27], s[26:27], s[0:1]
.LBB45_28:                              ;   in Loop: Header=BB45_18 Depth=1
	s_or_b64 exec, exec, s[28:29]
	s_and_saveexec_b64 s[0:1], s[26:27]
	s_cbranch_execz .LBB45_30
; %bb.29:                               ;   in Loop: Header=BB45_18 Depth=1
	v_mov_b32_e32 v24, v11
	s_waitcnt lgkmcnt(0)
	v_mov_b32_e32 v10, v25
.LBB45_30:                              ;   in Loop: Header=BB45_18 Depth=1
	s_or_b64 exec, exec, s[0:1]
	ds_bpermute_b32 v11, v18, v24
	s_waitcnt lgkmcnt(1)
	;; [unrolled: 26-line block ×4, first 2 shown]
	ds_bpermute_b32 v25, v20, v10
	s_waitcnt lgkmcnt(1)
	v_cmp_lt_f32_e64 s[26:27], v24, v11
	v_cmp_nlt_f32_e32 vcc, v24, v11
	s_and_saveexec_b64 s[28:29], vcc
	s_cbranch_execnz .LBB45_41
; %bb.39:                               ;   in Loop: Header=BB45_18 Depth=1
	s_or_b64 exec, exec, s[28:29]
	s_and_saveexec_b64 s[0:1], s[26:27]
	s_cbranch_execnz .LBB45_42
.LBB45_40:                              ;   in Loop: Header=BB45_18 Depth=1
	s_or_b64 exec, exec, s[0:1]
	s_and_saveexec_b64 s[26:27], s[4:5]
	s_cbranch_execz .LBB45_17
	s_branch .LBB45_43
.LBB45_41:                              ;   in Loop: Header=BB45_18 Depth=1
	v_cmp_eq_f32_e32 vcc, v24, v11
	s_waitcnt lgkmcnt(0)
	v_cmp_lt_i32_e64 s[0:1], v25, v10
	s_and_b64 s[0:1], vcc, s[0:1]
	s_andn2_b64 s[26:27], s[26:27], exec
	s_and_b64 s[0:1], s[0:1], exec
	s_or_b64 s[26:27], s[26:27], s[0:1]
	s_or_b64 exec, exec, s[28:29]
	s_and_saveexec_b64 s[0:1], s[26:27]
	s_cbranch_execz .LBB45_40
.LBB45_42:                              ;   in Loop: Header=BB45_18 Depth=1
	s_waitcnt lgkmcnt(0)
	v_mov_b32_e32 v10, v25
	v_mov_b32_e32 v24, v11
	s_or_b64 exec, exec, s[0:1]
	s_and_saveexec_b64 s[26:27], s[4:5]
	s_cbranch_execz .LBB45_17
.LBB45_43:                              ;   in Loop: Header=BB45_18 Depth=1
	s_and_b64 vcc, exec, s[6:7]
	s_cbranch_vccnz .LBB45_16
; %bb.44:                               ;   in Loop: Header=BB45_18 Depth=1
	v_ashrrev_i32_e32 v11, 31, v10
	v_lshl_add_u64 v[26:27], v[10:11], 2, s[10:11]
	global_load_dword v11, v[26:27], off
	s_waitcnt vmcnt(0)
	v_sub_f32_e32 v24, v24, v11
	s_branch .LBB45_16
.LBB45_45:
	v_mov_b32_e32 v7, 0
.LBB45_46:
	v_cmp_eq_u32_e32 vcc, 0, v8
	s_and_b64 exec, exec, vcc
	s_cbranch_execz .LBB45_59
; %bb.47:
	s_andn2_b64 vcc, exec, s[2:3]
	v_cvt_f32_f64_e32 v0, s[8:9]
	s_cbranch_vccnz .LBB45_49
; %bb.48:
	v_cmp_lt_f32_e32 vcc, 0, v7
	s_nop 1
	v_cndmask_b32_e32 v1, 1.0, v7, vcc
	v_div_scale_f32 v2, s[0:1], v1, v1, v0
	v_rcp_f32_e32 v3, v2
	s_nop 0
	v_fma_f32 v4, -v2, v3, 1.0
	v_fmac_f32_e32 v3, v4, v3
	v_div_scale_f32 v4, vcc, v0, v1, v0
	v_mul_f32_e32 v5, v4, v3
	v_fma_f32 v7, -v2, v5, v4
	v_fmac_f32_e32 v5, v7, v3
	v_fma_f32 v2, -v2, v5, v4
	v_div_fmas_f32 v2, v2, v3, v5
	v_div_fixup_f32 v0, v2, v1, v0
.LBB45_49:
	s_andn2_b64 vcc, exec, s[24:25]
	s_cbranch_vccnz .LBB45_59
; %bb.50:
	v_mul_lo_u32 v2, v6, s12
	s_cmp_gt_u32 s12, 3
	v_ashrrev_i32_e32 v3, 31, v2
	s_cbranch_scc0 .LBB45_54
; %bb.51:
	s_and_b32 s0, s12, 0x7ffffffc
	v_lshl_add_u64 v[4:5], v[2:3], 2, s[20:21]
	v_mov_b32_e32 v1, v0
	v_lshl_add_u64 v[4:5], v[4:5], 0, 8
	s_mov_b32 s1, s0
.LBB45_52:                              ; =>This Inner Loop Header: Depth=1
	global_load_dwordx4 v[6:9], v[4:5], off offset:-8
	s_add_i32 s1, s1, -4
	s_cmp_lg_u32 s1, 0
	s_waitcnt vmcnt(0)
	v_pk_mul_f32 v[6:7], v[0:1], v[6:7]
	v_pk_mul_f32 v[8:9], v[0:1], v[8:9]
	global_store_dwordx4 v[4:5], v[6:9], off offset:-8
	v_lshl_add_u64 v[4:5], v[4:5], 0, 16
	s_cbranch_scc1 .LBB45_52
; %bb.53:
	s_cmp_lg_u32 s0, s12
	s_cselect_b64 s[2:3], -1, 0
	s_branch .LBB45_56
.LBB45_54:
	s_mov_b64 s[2:3], 0
                                        ; implicit-def: $sgpr0
	s_cbranch_execz .LBB45_56
; %bb.55:
	s_mov_b64 s[2:3], -1
	s_mov_b32 s0, 0
.LBB45_56:
	s_andn2_b64 vcc, exec, s[2:3]
	s_cbranch_vccnz .LBB45_59
; %bb.57:
	s_mov_b32 s1, 0
	v_lshl_add_u64 v[2:3], v[2:3], 0, s[0:1]
	s_sub_i32 s2, s12, s0
	v_lshl_add_u64 v[2:3], v[2:3], 2, s[20:21]
.LBB45_58:                              ; =>This Inner Loop Header: Depth=1
	global_load_dword v1, v[2:3], off
	s_add_i32 s2, s2, -1
	s_cmp_lg_u32 s2, 0
	s_waitcnt vmcnt(0)
	v_mul_f32_e32 v1, v0, v1
	global_store_dword v[2:3], v1, off
	v_lshl_add_u64 v[2:3], v[2:3], 0, 4
	s_cbranch_scc1 .LBB45_58
.LBB45_59:
	s_endpgm
	.section	.rodata,"a",@progbits
	.p2align	6, 0x0
	.amdhsa_kernel _ZN4vllm3moe22topkGatingSoftplusSqrtILi5ELi320ELi4ELi4ELi64ELb0EifEEvPKT6_PKbPfiPT5_PiiiibdPKfPKS8_SE_
		.amdhsa_group_segment_fixed_size 0
		.amdhsa_private_segment_fixed_size 0
		.amdhsa_kernarg_size 96
		.amdhsa_user_sgpr_count 2
		.amdhsa_user_sgpr_dispatch_ptr 0
		.amdhsa_user_sgpr_queue_ptr 0
		.amdhsa_user_sgpr_kernarg_segment_ptr 1
		.amdhsa_user_sgpr_dispatch_id 0
		.amdhsa_user_sgpr_kernarg_preload_length 0
		.amdhsa_user_sgpr_kernarg_preload_offset 0
		.amdhsa_user_sgpr_private_segment_size 0
		.amdhsa_uses_dynamic_stack 0
		.amdhsa_enable_private_segment 0
		.amdhsa_system_sgpr_workgroup_id_x 1
		.amdhsa_system_sgpr_workgroup_id_y 0
		.amdhsa_system_sgpr_workgroup_id_z 0
		.amdhsa_system_sgpr_workgroup_info 0
		.amdhsa_system_vgpr_workitem_id 1
		.amdhsa_next_free_vgpr 30
		.amdhsa_next_free_sgpr 31
		.amdhsa_accum_offset 32
		.amdhsa_reserve_vcc 1
		.amdhsa_float_round_mode_32 0
		.amdhsa_float_round_mode_16_64 0
		.amdhsa_float_denorm_mode_32 3
		.amdhsa_float_denorm_mode_16_64 3
		.amdhsa_dx10_clamp 1
		.amdhsa_ieee_mode 1
		.amdhsa_fp16_overflow 0
		.amdhsa_tg_split 0
		.amdhsa_exception_fp_ieee_invalid_op 0
		.amdhsa_exception_fp_denorm_src 0
		.amdhsa_exception_fp_ieee_div_zero 0
		.amdhsa_exception_fp_ieee_overflow 0
		.amdhsa_exception_fp_ieee_underflow 0
		.amdhsa_exception_fp_ieee_inexact 0
		.amdhsa_exception_int_div_zero 0
	.end_amdhsa_kernel
	.section	.text._ZN4vllm3moe22topkGatingSoftplusSqrtILi5ELi320ELi4ELi4ELi64ELb0EifEEvPKT6_PKbPfiPT5_PiiiibdPKfPKS8_SE_,"axG",@progbits,_ZN4vllm3moe22topkGatingSoftplusSqrtILi5ELi320ELi4ELi4ELi64ELb0EifEEvPKT6_PKbPfiPT5_PiiiibdPKfPKS8_SE_,comdat
.Lfunc_end45:
	.size	_ZN4vllm3moe22topkGatingSoftplusSqrtILi5ELi320ELi4ELi4ELi64ELb0EifEEvPKT6_PKbPfiPT5_PiiiibdPKfPKS8_SE_, .Lfunc_end45-_ZN4vllm3moe22topkGatingSoftplusSqrtILi5ELi320ELi4ELi4ELi64ELb0EifEEvPKT6_PKbPfiPT5_PiiiibdPKfPKS8_SE_
                                        ; -- End function
	.section	.AMDGPU.csdata,"",@progbits
; Kernel info:
; codeLenInByte = 3332
; NumSgprs: 37
; NumVgprs: 30
; NumAgprs: 0
; TotalNumVgprs: 30
; ScratchSize: 0
; MemoryBound: 0
; FloatMode: 240
; IeeeMode: 1
; LDSByteSize: 0 bytes/workgroup (compile time only)
; SGPRBlocks: 4
; VGPRBlocks: 3
; NumSGPRsForWavesPerEU: 37
; NumVGPRsForWavesPerEU: 30
; AccumOffset: 32
; Occupancy: 8
; WaveLimiterHint : 1
; COMPUTE_PGM_RSRC2:SCRATCH_EN: 0
; COMPUTE_PGM_RSRC2:USER_SGPR: 2
; COMPUTE_PGM_RSRC2:TRAP_HANDLER: 0
; COMPUTE_PGM_RSRC2:TGID_X_EN: 1
; COMPUTE_PGM_RSRC2:TGID_Y_EN: 0
; COMPUTE_PGM_RSRC2:TGID_Z_EN: 0
; COMPUTE_PGM_RSRC2:TIDIG_COMP_CNT: 1
; COMPUTE_PGM_RSRC3_GFX90A:ACCUM_OFFSET: 7
; COMPUTE_PGM_RSRC3_GFX90A:TG_SPLIT: 0
	.section	.text._ZN4vllm3moe22topkGatingSoftplusSqrtILi10ELi320ELi4ELi4ELi32ELb1EifEEvPKT6_PKbPfiPT5_PiiiibdPKfPKS8_SE_,"axG",@progbits,_ZN4vllm3moe22topkGatingSoftplusSqrtILi10ELi320ELi4ELi4ELi32ELb1EifEEvPKT6_PKbPfiPT5_PiiiibdPKfPKS8_SE_,comdat
	.protected	_ZN4vllm3moe22topkGatingSoftplusSqrtILi10ELi320ELi4ELi4ELi32ELb1EifEEvPKT6_PKbPfiPT5_PiiiibdPKfPKS8_SE_ ; -- Begin function _ZN4vllm3moe22topkGatingSoftplusSqrtILi10ELi320ELi4ELi4ELi32ELb1EifEEvPKT6_PKbPfiPT5_PiiiibdPKfPKS8_SE_
	.globl	_ZN4vllm3moe22topkGatingSoftplusSqrtILi10ELi320ELi4ELi4ELi32ELb1EifEEvPKT6_PKbPfiPT5_PiiiibdPKfPKS8_SE_
	.p2align	8
	.type	_ZN4vllm3moe22topkGatingSoftplusSqrtILi10ELi320ELi4ELi4ELi32ELb1EifEEvPKT6_PKbPfiPT5_PiiiibdPKfPKS8_SE_,@function
_ZN4vllm3moe22topkGatingSoftplusSqrtILi10ELi320ELi4ELi4ELi32ELb1EifEEvPKT6_PKbPfiPT5_PiiiibdPKfPKS8_SE_: ; @_ZN4vllm3moe22topkGatingSoftplusSqrtILi10ELi320ELi4ELi4ELi32ELb1EifEEvPKT6_PKbPfiPT5_PiiiibdPKfPKS8_SE_
; %bb.0:
	s_load_dword s3, s[0:1], 0x18
	v_and_b32_e32 v1, 0x3ff, v0
	s_lshl_b32 s2, s2, 2
	v_lshrrev_b32_e32 v2, 5, v1
	v_bfe_u32 v0, v0, 10, 10
	v_add3_u32 v10, s2, v0, v2
	s_waitcnt lgkmcnt(0)
	v_cmp_gt_i32_e32 vcc, s3, v10
	s_and_saveexec_b64 s[2:3], vcc
	s_cbranch_execz .LBB46_31
; %bb.1:
	s_load_dwordx2 s[2:3], s[0:1], 0x0
	s_load_dword s19, s[0:1], 0x30
	s_load_dwordx4 s[8:11], s[0:1], 0x50
	s_movk_i32 s4, 0x140
	v_mul_lo_u32 v2, v10, s4
	v_ashrrev_i32_e32 v3, 31, v2
	v_and_b32_e32 v20, 31, v1
	s_waitcnt lgkmcnt(0)
	v_lshl_add_u64 v[2:3], v[2:3], 2, s[2:3]
	v_lshlrev_b32_e32 v14, 2, v20
	v_mov_b32_e32 v15, 0
	v_lshl_add_u64 v[0:1], v[2:3], 0, v[14:15]
	global_load_dword v4, v[0:1], off
	global_load_dword v5, v[0:1], off offset:128
	global_load_dword v6, v[0:1], off offset:256
	;; [unrolled: 1-line block ×3, first 2 shown]
	v_mov_b32_e32 v2, s8
	v_mov_b32_e32 v3, s9
	v_ashrrev_i32_e32 v11, 31, v10
	v_lshl_add_u64 v[2:3], v[10:11], 2, v[2:3]
	global_load_dword v8, v[2:3], off
	global_load_dword v9, v[0:1], off offset:512
	global_load_dword v17, v[0:1], off offset:640
	;; [unrolled: 1-line block ×6, first 2 shown]
	s_mov_b32 s17, 0x800000
	v_mov_b32_e32 v11, 0x4f800000
	s_mov_b32 s15, 0x3f317217
	s_mov_b32 s16, 0x7f800000
	v_mov_b32_e32 v14, 0x41b17218
	s_mov_b32 s13, 0x41a00000
	s_mov_b32 s14, 0xf800000
	v_mov_b32_e32 v16, 0x260
	s_cmp_gt_i32 s19, 0
	s_mov_b32 s12, 0
	v_mul_lo_u32 v10, v10, s19
	s_waitcnt vmcnt(10)
	v_mul_f32_e32 v0, 0x3fb8aa3b, v4
	s_waitcnt vmcnt(9)
	v_mul_f32_e32 v1, 0x3fb8aa3b, v5
	v_exp_f32_e32 v0, v0
	v_exp_f32_e32 v1, v1
	s_waitcnt vmcnt(8)
	v_mul_f32_e32 v2, 0x3fb8aa3b, v6
	s_waitcnt vmcnt(7)
	v_mul_f32_e32 v3, 0x3fb8aa3b, v7
	v_exp_f32_e32 v2, v2
	v_pk_add_f32 v[0:1], v[0:1], 1.0 op_sel_hi:[1,0]
	v_exp_f32_e32 v3, v3
	v_cmp_gt_f32_e32 vcc, s17, v1
	s_waitcnt vmcnt(6)
	v_mul_lo_u32 v12, v8, s19
	v_cmp_gt_f32_e64 s[2:3], s17, v0
	v_cndmask_b32_e32 v8, 1.0, v11, vcc
	v_mul_f32_e32 v1, v1, v8
	v_cndmask_b32_e64 v23, 1.0, v11, s[2:3]
	v_mul_f32_e32 v0, v0, v23
	v_log_f32_e32 v1, v1
	v_pk_add_f32 v[2:3], v[2:3], 1.0 op_sel_hi:[1,0]
	v_log_f32_e32 v0, v0
	v_cmp_gt_f32_e64 s[4:5], s17, v3
	v_cmp_gt_f32_e64 s[6:7], s17, v2
	v_cndmask_b32_e32 v8, 0, v14, vcc
	v_cndmask_b32_e64 v24, 1.0, v11, s[4:5]
	v_cndmask_b32_e64 v25, 1.0, v11, s[6:7]
	v_mul_f32_e32 v3, v3, v24
	v_mul_f32_e32 v24, 0x3f317217, v1
	v_mul_f32_e32 v2, v2, v25
	v_mul_f32_e32 v25, 0x3f317217, v0
	v_fma_f32 v24, v1, s15, -v24
	v_fma_f32 v25, v0, s15, -v25
	v_fmac_f32_e32 v24, 0x3377d1cf, v1
	v_fmac_f32_e32 v25, 0x3377d1cf, v0
	v_fmac_f32_e32 v24, 0x3f317217, v1
	v_cmp_lt_f32_e64 vcc, |v1|, s16
	v_fmac_f32_e32 v25, 0x3f317217, v0
	v_cndmask_b32_e64 v23, 0, v14, s[2:3]
	v_cndmask_b32_e32 v1, v1, v24, vcc
	v_cmp_lt_f32_e64 vcc, |v0|, s16
	v_sub_f32_e32 v1, v1, v8
	v_log_f32_e32 v3, v3
	v_cndmask_b32_e32 v0, v0, v25, vcc
	v_sub_f32_e32 v0, v0, v23
	v_cmp_lt_f32_e32 vcc, s13, v4
	v_mul_f32_e32 v26, 0x3f317217, v3
	v_log_f32_e32 v2, v2
	v_cndmask_b32_e32 v0, v0, v4, vcc
	v_cmp_lt_f32_e32 vcc, s13, v5
	v_cmp_gt_f32_e64 s[2:3], s14, v0
	v_fma_f32 v26, v3, s15, -v26
	v_cndmask_b32_e32 v1, v1, v5, vcc
	v_mul_f32_e32 v4, 0x4f800000, v1
	v_cmp_gt_f32_e32 vcc, s14, v1
	v_mul_f32_e32 v5, 0x4f800000, v0
	v_cndmask_b32_e64 v0, v0, v5, s[2:3]
	v_cndmask_b32_e32 v1, v1, v4, vcc
	v_sqrt_f32_e32 v4, v1
	v_sqrt_f32_e32 v5, v0
	v_fmac_f32_e32 v26, 0x3377d1cf, v3
	v_fmac_f32_e32 v26, 0x3f317217, v3
	v_add_u32_e32 v8, -1, v4
	v_add_u32_e32 v24, -1, v5
	v_fma_f32 v27, -v8, v4, v1
	v_add_u32_e32 v23, 1, v4
	v_fma_f32 v29, -v24, v5, v0
	v_cmp_ge_f32_e64 s[8:9], 0, v27
	v_add_u32_e32 v25, 1, v5
	v_fma_f32 v28, -v23, v4, v1
	v_cndmask_b32_e64 v4, v4, v8, s[8:9]
	v_cmp_ge_f32_e64 s[8:9], 0, v29
	v_fma_f32 v30, -v25, v5, v0
	v_ashrrev_i32_e32 v13, 31, v12
	v_cndmask_b32_e64 v5, v5, v24, s[8:9]
	v_cmp_lt_f32_e64 s[8:9], 0, v28
	v_lshl_add_u64 v[12:13], v[12:13], 2, s[10:11]
	s_nop 0
	v_cndmask_b32_e64 v4, v4, v23, s[8:9]
	v_cmp_lt_f32_e64 s[8:9], 0, v30
	v_mul_f32_e32 v8, 0x37800000, v4
	v_cndmask_b32_e32 v4, v4, v8, vcc
	v_cndmask_b32_e64 v5, v5, v25, s[8:9]
	v_mul_f32_e32 v23, 0x37800000, v5
	v_cmp_class_f32_e32 vcc, v1, v16
	v_cndmask_b32_e64 v5, v5, v23, s[2:3]
	v_cmp_lt_f32_e64 s[2:3], s13, v6
	v_cndmask_b32_e32 v1, v4, v1, vcc
	v_cmp_class_f32_e32 vcc, v0, v16
	v_cndmask_b32_e64 v4, 0, v14, s[4:5]
	s_nop 0
	v_cndmask_b32_e32 v0, v5, v0, vcc
	v_cmp_lt_f32_e64 vcc, |v3|, s16
	s_nop 1
	v_cndmask_b32_e32 v3, v3, v26, vcc
	v_sub_f32_e32 v3, v3, v4
	v_mul_f32_e32 v4, 0x3f317217, v2
	v_fma_f32 v4, v2, s15, -v4
	v_fmac_f32_e32 v4, 0x3377d1cf, v2
	v_fmac_f32_e32 v4, 0x3f317217, v2
	v_cmp_lt_f32_e64 vcc, |v2|, s16
	s_nop 1
	v_cndmask_b32_e32 v2, v2, v4, vcc
	v_cmp_lt_f32_e32 vcc, s13, v7
	v_cndmask_b32_e64 v4, 0, v14, s[6:7]
	v_sub_f32_e32 v2, v2, v4
	v_cndmask_b32_e32 v3, v3, v7, vcc
	v_mul_f32_e32 v5, 0x4f800000, v3
	v_cmp_gt_f32_e32 vcc, s14, v3
	v_cndmask_b32_e64 v2, v2, v6, s[2:3]
	s_nop 0
	v_cndmask_b32_e32 v3, v3, v5, vcc
	v_sqrt_f32_e32 v5, v3
	s_nop 0
	v_add_u32_e32 v4, -1, v5
	v_fma_f32 v6, -v4, v5, v3
	v_cmp_ge_f32_e64 s[2:3], 0, v6
	v_add_u32_e32 v6, 1, v5
	s_nop 0
	v_cndmask_b32_e64 v4, v5, v4, s[2:3]
	v_fma_f32 v5, -v6, v5, v3
	v_cmp_lt_f32_e64 s[2:3], 0, v5
	s_nop 1
	v_cndmask_b32_e64 v4, v4, v6, s[2:3]
	v_mul_f32_e32 v6, 0x4f800000, v2
	v_cmp_gt_f32_e64 s[2:3], s14, v2
	v_mul_f32_e32 v5, 0x37800000, v4
	v_cndmask_b32_e32 v4, v4, v5, vcc
	v_cndmask_b32_e64 v2, v2, v6, s[2:3]
	v_sqrt_f32_e32 v6, v2
	v_cmp_class_f32_e32 vcc, v3, v16
	v_add_u32_e32 v8, 1, v6
	s_nop 0
	v_cndmask_b32_e32 v3, v4, v3, vcc
	v_add_u32_e32 v4, -1, v6
	v_fma_f32 v5, -v4, v6, v2
	v_cmp_ge_f32_e32 vcc, 0, v5
	s_waitcnt vmcnt(4)
	v_mul_f32_e32 v5, 0x3fb8aa3b, v17
	v_exp_f32_e32 v5, v5
	v_cndmask_b32_e32 v7, v6, v4, vcc
	v_mul_f32_e32 v4, 0x3fb8aa3b, v9
	v_exp_f32_e32 v4, v4
	v_fma_f32 v6, -v8, v6, v2
	v_cmp_lt_f32_e32 vcc, 0, v6
	v_pk_add_f32 v[4:5], v[4:5], 1.0 op_sel_hi:[1,0]
	s_nop 0
	v_cndmask_b32_e32 v6, v7, v8, vcc
	v_cmp_gt_f32_e32 vcc, s17, v5
	v_mul_f32_e32 v7, 0x37800000, v6
	v_cndmask_b32_e64 v6, v6, v7, s[2:3]
	v_cndmask_b32_e32 v8, 1.0, v11, vcc
	v_mul_f32_e32 v5, v5, v8
	v_log_f32_e32 v5, v5
	v_cmp_class_f32_e64 s[2:3], v2, v16
	v_cmp_lt_f32_e64 s[4:5], |v5|, s16
	s_nop 0
	v_cndmask_b32_e64 v2, v6, v2, s[2:3]
	v_cmp_gt_f32_e64 s[2:3], s17, v4
	v_mul_f32_e32 v6, 0x3f317217, v5
	v_fma_f32 v6, v5, s15, -v6
	v_cndmask_b32_e64 v7, 1.0, v11, s[2:3]
	v_mul_f32_e32 v4, v4, v7
	v_log_f32_e32 v4, v4
	v_fmac_f32_e32 v6, 0x3377d1cf, v5
	v_fmac_f32_e32 v6, 0x3f317217, v5
	v_cndmask_b32_e64 v5, v5, v6, s[4:5]
	v_cndmask_b32_e32 v6, 0, v14, vcc
	v_sub_f32_e32 v5, v5, v6
	v_mul_f32_e32 v6, 0x3f317217, v4
	v_fma_f32 v6, v4, s15, -v6
	v_fmac_f32_e32 v6, 0x3377d1cf, v4
	v_fmac_f32_e32 v6, 0x3f317217, v4
	v_cmp_lt_f32_e64 vcc, |v4|, s16
	s_nop 1
	v_cndmask_b32_e32 v4, v4, v6, vcc
	v_cmp_lt_f32_e32 vcc, s13, v17
	v_cndmask_b32_e64 v6, 0, v14, s[2:3]
	v_sub_f32_e32 v4, v4, v6
	v_cndmask_b32_e32 v5, v5, v17, vcc
	v_mul_f32_e32 v7, 0x4f800000, v5
	v_cmp_gt_f32_e32 vcc, s14, v5
	v_cmp_lt_f32_e64 s[2:3], s13, v9
	s_nop 0
	v_cndmask_b32_e32 v5, v5, v7, vcc
	v_sqrt_f32_e32 v7, v5
	v_cndmask_b32_e64 v4, v4, v9, s[2:3]
	v_add_u32_e32 v6, -1, v7
	v_fma_f32 v8, -v6, v7, v5
	v_cmp_ge_f32_e64 s[2:3], 0, v8
	v_add_u32_e32 v8, 1, v7
	s_nop 0
	v_cndmask_b32_e64 v6, v7, v6, s[2:3]
	v_fma_f32 v7, -v8, v7, v5
	v_cmp_lt_f32_e64 s[2:3], 0, v7
	s_nop 1
	v_cndmask_b32_e64 v6, v6, v8, s[2:3]
	v_mul_f32_e32 v8, 0x4f800000, v4
	v_cmp_gt_f32_e64 s[2:3], s14, v4
	v_mul_f32_e32 v7, 0x37800000, v6
	v_cndmask_b32_e32 v6, v6, v7, vcc
	v_cndmask_b32_e64 v4, v4, v8, s[2:3]
	v_sqrt_f32_e32 v8, v4
	v_cmp_class_f32_e32 vcc, v5, v16
	v_add_u32_e32 v17, 1, v8
	s_nop 0
	v_cndmask_b32_e32 v5, v6, v5, vcc
	v_add_u32_e32 v6, -1, v8
	v_fma_f32 v7, -v6, v8, v4
	v_cmp_ge_f32_e32 vcc, 0, v7
	s_waitcnt vmcnt(2)
	v_mul_f32_e32 v7, 0x3fb8aa3b, v19
	v_exp_f32_e32 v7, v7
	v_cndmask_b32_e32 v9, v8, v6, vcc
	v_mul_f32_e32 v6, 0x3fb8aa3b, v18
	v_exp_f32_e32 v6, v6
	v_fma_f32 v8, -v17, v8, v4
	v_cmp_lt_f32_e32 vcc, 0, v8
	v_pk_add_f32 v[6:7], v[6:7], 1.0 op_sel_hi:[1,0]
	s_nop 0
	v_cndmask_b32_e32 v8, v9, v17, vcc
	v_cmp_gt_f32_e32 vcc, s17, v7
	v_mul_f32_e32 v9, 0x37800000, v8
	v_cndmask_b32_e64 v8, v8, v9, s[2:3]
	v_cndmask_b32_e32 v17, 1.0, v11, vcc
	v_mul_f32_e32 v7, v7, v17
	v_log_f32_e32 v7, v7
	v_cmp_class_f32_e64 s[2:3], v4, v16
	v_cmp_lt_f32_e64 s[4:5], |v7|, s16
	s_nop 0
	v_cndmask_b32_e64 v4, v8, v4, s[2:3]
	v_cmp_gt_f32_e64 s[2:3], s17, v6
	v_mul_f32_e32 v8, 0x3f317217, v7
	v_fma_f32 v8, v7, s15, -v8
	v_cndmask_b32_e64 v9, 1.0, v11, s[2:3]
	v_mul_f32_e32 v6, v6, v9
	v_log_f32_e32 v6, v6
	v_fmac_f32_e32 v8, 0x3377d1cf, v7
	v_fmac_f32_e32 v8, 0x3f317217, v7
	v_cndmask_b32_e64 v7, v7, v8, s[4:5]
	v_cndmask_b32_e32 v8, 0, v14, vcc
	v_sub_f32_e32 v7, v7, v8
	v_mul_f32_e32 v8, 0x3f317217, v6
	v_fma_f32 v8, v6, s15, -v8
	v_fmac_f32_e32 v8, 0x3377d1cf, v6
	v_fmac_f32_e32 v8, 0x3f317217, v6
	v_cmp_lt_f32_e64 vcc, |v6|, s16
	s_nop 1
	v_cndmask_b32_e32 v6, v6, v8, vcc
	v_cmp_lt_f32_e32 vcc, s13, v19
	v_cndmask_b32_e64 v8, 0, v14, s[2:3]
	v_sub_f32_e32 v6, v6, v8
	v_cndmask_b32_e32 v7, v7, v19, vcc
	v_mul_f32_e32 v9, 0x4f800000, v7
	v_cmp_gt_f32_e32 vcc, s14, v7
	v_cmp_lt_f32_e64 s[2:3], s13, v18
	s_nop 0
	v_cndmask_b32_e32 v7, v7, v9, vcc
	v_sqrt_f32_e32 v9, v7
	v_cndmask_b32_e64 v6, v6, v18, s[2:3]
	v_add_u32_e32 v8, -1, v9
	v_fma_f32 v17, -v8, v9, v7
	v_cmp_ge_f32_e64 s[2:3], 0, v17
	v_add_u32_e32 v17, 1, v9
	s_nop 0
	v_cndmask_b32_e64 v8, v9, v8, s[2:3]
	v_fma_f32 v9, -v17, v9, v7
	v_cmp_lt_f32_e64 s[2:3], 0, v9
	s_nop 1
	v_cndmask_b32_e64 v8, v8, v17, s[2:3]
	v_mul_f32_e32 v17, 0x4f800000, v6
	v_cmp_gt_f32_e64 s[2:3], s14, v6
	v_mul_f32_e32 v9, 0x37800000, v8
	v_cndmask_b32_e32 v8, v8, v9, vcc
	v_cndmask_b32_e64 v6, v6, v17, s[2:3]
	v_sqrt_f32_e32 v17, v6
	v_cmp_class_f32_e32 vcc, v7, v16
	v_add_u32_e32 v19, 1, v17
	s_nop 0
	v_cndmask_b32_e32 v7, v8, v7, vcc
	v_add_u32_e32 v8, -1, v17
	v_fma_f32 v9, -v8, v17, v6
	v_cmp_ge_f32_e32 vcc, 0, v9
	s_waitcnt vmcnt(0)
	v_mul_f32_e32 v9, 0x3fb8aa3b, v22
	v_exp_f32_e32 v9, v9
	v_cndmask_b32_e32 v18, v17, v8, vcc
	v_mul_f32_e32 v8, 0x3fb8aa3b, v21
	v_exp_f32_e32 v8, v8
	v_fma_f32 v17, -v19, v17, v6
	v_cmp_lt_f32_e32 vcc, 0, v17
	v_pk_add_f32 v[8:9], v[8:9], 1.0 op_sel_hi:[1,0]
	s_nop 0
	v_cndmask_b32_e32 v17, v18, v19, vcc
	v_cmp_gt_f32_e32 vcc, s17, v9
	v_mul_f32_e32 v18, 0x37800000, v17
	v_cndmask_b32_e64 v17, v17, v18, s[2:3]
	v_cndmask_b32_e32 v19, 1.0, v11, vcc
	v_mul_f32_e32 v9, v9, v19
	v_log_f32_e32 v9, v9
	v_cmp_class_f32_e64 s[2:3], v6, v16
	v_cmp_lt_f32_e64 s[4:5], |v9|, s16
	s_nop 0
	v_cndmask_b32_e64 v6, v17, v6, s[2:3]
	v_cmp_gt_f32_e64 s[2:3], s17, v8
	v_mul_f32_e32 v17, 0x3f317217, v9
	v_fma_f32 v17, v9, s15, -v17
	v_cndmask_b32_e64 v11, 1.0, v11, s[2:3]
	v_mul_f32_e32 v8, v8, v11
	v_log_f32_e32 v8, v8
	v_fmac_f32_e32 v17, 0x3377d1cf, v9
	v_fmac_f32_e32 v17, 0x3f317217, v9
	v_cndmask_b32_e64 v9, v9, v17, s[4:5]
	v_cndmask_b32_e32 v11, 0, v14, vcc
	v_sub_f32_e32 v9, v9, v11
	v_mul_f32_e32 v11, 0x3f317217, v8
	v_fma_f32 v11, v8, s15, -v11
	v_fmac_f32_e32 v11, 0x3377d1cf, v8
	v_fmac_f32_e32 v11, 0x3f317217, v8
	v_cmp_lt_f32_e64 vcc, |v8|, s16
	s_cselect_b64 s[4:5], -1, 0
	s_cmp_lt_i32 s19, 1
	v_cndmask_b32_e32 v8, v8, v11, vcc
	v_cmp_lt_f32_e32 vcc, s13, v22
	v_cndmask_b32_e64 v11, 0, v14, s[2:3]
	v_sub_f32_e32 v8, v8, v11
	v_cndmask_b32_e32 v9, v9, v22, vcc
	v_mul_f32_e32 v14, 0x4f800000, v9
	v_cmp_gt_f32_e32 vcc, s14, v9
	v_cmp_lt_f32_e64 s[2:3], s13, v21
	s_nop 0
	v_cndmask_b32_e32 v9, v9, v14, vcc
	v_sqrt_f32_e32 v14, v9
	v_cndmask_b32_e64 v8, v8, v21, s[2:3]
	v_add_u32_e32 v11, -1, v14
	v_fma_f32 v17, -v11, v14, v9
	v_cmp_ge_f32_e64 s[2:3], 0, v17
	v_add_u32_e32 v17, 1, v14
	s_nop 0
	v_cndmask_b32_e64 v11, v14, v11, s[2:3]
	v_fma_f32 v14, -v17, v14, v9
	v_cmp_lt_f32_e64 s[2:3], 0, v14
	s_nop 1
	v_cndmask_b32_e64 v11, v11, v17, s[2:3]
	v_mul_f32_e32 v17, 0x4f800000, v8
	v_cmp_gt_f32_e64 s[2:3], s14, v8
	v_mul_f32_e32 v14, 0x37800000, v11
	v_cndmask_b32_e32 v11, v11, v14, vcc
	v_cndmask_b32_e64 v8, v8, v17, s[2:3]
	v_sqrt_f32_e32 v17, v8
	v_cmp_class_f32_e32 vcc, v9, v16
	s_nop 1
	v_cndmask_b32_e32 v9, v11, v9, vcc
	v_add_u32_e32 v11, -1, v17
	v_fma_f32 v14, -v11, v17, v8
	v_cmp_ge_f32_e32 vcc, 0, v14
	v_add_u32_e32 v14, 1, v17
	s_nop 0
	v_cndmask_b32_e32 v11, v17, v11, vcc
	v_fma_f32 v17, -v14, v17, v8
	v_cmp_lt_f32_e32 vcc, 0, v17
	s_nop 1
	v_cndmask_b32_e32 v11, v11, v14, vcc
	v_mul_f32_e32 v14, 0x37800000, v11
	v_cndmask_b32_e64 v11, v11, v14, s[2:3]
	v_cmp_class_f32_e32 vcc, v8, v16
	s_nop 1
	v_cndmask_b32_e32 v8, v11, v8, vcc
	s_cbranch_scc1 .LBB46_28
; %bb.2:
	s_load_dwordx2 s[6:7], s[0:1], 0x20
	s_cmp_lt_u32 s19, 4
	s_cbranch_scc1 .LBB46_21
; %bb.3:
	s_mov_b32 s9, 0
	s_and_b32 s12, s19, 0x7ffffffc
	v_ashrrev_i32_e32 v11, 31, v10
	v_mov_b32_e32 v15, 0
	s_mov_b32 s8, s9
	s_branch .LBB46_5
.LBB46_4:                               ;   in Loop: Header=BB46_5 Depth=1
	s_or_b64 exec, exec, s[10:11]
	s_add_i32 s8, s8, 4
	s_cmp_eq_u32 s8, s12
	s_cbranch_scc1 .LBB46_21
.LBB46_5:                               ; =>This Loop Header: Depth=1
                                        ;     Child Loop BB46_7 Depth 2
                                        ;     Child Loop BB46_11 Depth 2
                                        ;     Child Loop BB46_15 Depth 2
                                        ;     Child Loop BB46_19 Depth 2
	v_lshl_add_u64 v[16:17], s[8:9], 2, v[12:13]
	global_load_dword v14, v[16:17], off
	v_add_u32_e32 v18, s8, v10
	v_ashrrev_i32_e32 v19, 31, v18
	s_waitcnt lgkmcnt(0)
	v_lshl_add_u64 v[18:19], v[18:19], 2, s[6:7]
	s_mov_b64 s[10:11], 0
	v_mov_b32_e32 v21, v20
	s_mov_b64 s[14:15], 0
	s_waitcnt vmcnt(0)
	s_branch .LBB46_7
.LBB46_6:                               ;   in Loop: Header=BB46_7 Depth=2
	s_or_b64 exec, exec, s[16:17]
	s_cmp_gt_u32 s14, 8
	s_cselect_b64 s[2:3], -1, 0
	s_xor_b64 s[16:17], vcc, -1
	s_or_b64 s[2:3], s[16:17], s[2:3]
	s_add_u32 s14, s14, 1
	s_addc_u32 s15, s15, 0
	s_and_b64 s[2:3], exec, s[2:3]
	s_or_b64 s[10:11], s[2:3], s[10:11]
	v_add_u32_e32 v21, 32, v21
	s_andn2_b64 exec, exec, s[10:11]
	s_cbranch_execz .LBB46_9
.LBB46_7:                               ;   Parent Loop BB46_5 Depth=1
                                        ; =>  This Inner Loop Header: Depth=2
	v_cmp_ne_u32_e32 vcc, v14, v21
	v_cmp_eq_u32_e64 s[2:3], v14, v21
	s_and_saveexec_b64 s[16:17], s[2:3]
	s_cbranch_execz .LBB46_6
; %bb.8:                                ;   in Loop: Header=BB46_7 Depth=2
	s_set_gpr_idx_on s14, gpr_idx(SRC0)
	v_mov_b32_e32 v22, v0
	s_set_gpr_idx_off
	v_add_f32_e32 v15, v15, v22
	global_store_dword v[18:19], v14, off
	s_branch .LBB46_6
.LBB46_9:                               ;   in Loop: Header=BB46_5 Depth=1
	s_or_b64 exec, exec, s[10:11]
	global_load_dword v14, v[16:17], off offset:4
	s_ashr_i32 s3, s8, 31
	s_mov_b32 s2, s8
	v_lshl_add_u64 v[18:19], s[2:3], 0, v[10:11]
	v_lshl_add_u64 v[18:19], v[18:19], 2, s[6:7]
	s_mov_b64 s[10:11], 0
	v_mov_b32_e32 v21, v20
	s_mov_b64 s[14:15], 0
	s_waitcnt vmcnt(0)
	s_branch .LBB46_11
.LBB46_10:                              ;   in Loop: Header=BB46_11 Depth=2
	s_or_b64 exec, exec, s[16:17]
	s_cmp_gt_u32 s14, 8
	s_cselect_b64 s[2:3], -1, 0
	s_xor_b64 s[16:17], vcc, -1
	s_or_b64 s[2:3], s[16:17], s[2:3]
	s_add_u32 s14, s14, 1
	s_addc_u32 s15, s15, 0
	s_and_b64 s[2:3], exec, s[2:3]
	s_or_b64 s[10:11], s[2:3], s[10:11]
	v_add_u32_e32 v21, 32, v21
	s_andn2_b64 exec, exec, s[10:11]
	s_cbranch_execz .LBB46_13
.LBB46_11:                              ;   Parent Loop BB46_5 Depth=1
                                        ; =>  This Inner Loop Header: Depth=2
	v_cmp_ne_u32_e32 vcc, v14, v21
	v_cmp_eq_u32_e64 s[2:3], v14, v21
	s_and_saveexec_b64 s[16:17], s[2:3]
	s_cbranch_execz .LBB46_10
; %bb.12:                               ;   in Loop: Header=BB46_11 Depth=2
	s_set_gpr_idx_on s14, gpr_idx(SRC0)
	v_mov_b32_e32 v22, v0
	s_set_gpr_idx_off
	v_add_f32_e32 v15, v15, v22
	global_store_dword v[18:19], v14, off offset:4
	s_branch .LBB46_10
.LBB46_13:                              ;   in Loop: Header=BB46_5 Depth=1
	s_or_b64 exec, exec, s[10:11]
	global_load_dword v14, v[16:17], off offset:8
	s_mov_b64 s[10:11], 0
	v_mov_b32_e32 v21, v20
	s_mov_b64 s[14:15], 0
	s_waitcnt vmcnt(0)
	s_branch .LBB46_15
.LBB46_14:                              ;   in Loop: Header=BB46_15 Depth=2
	s_or_b64 exec, exec, s[16:17]
	s_cmp_gt_u32 s14, 8
	s_cselect_b64 s[2:3], -1, 0
	s_xor_b64 s[16:17], vcc, -1
	s_or_b64 s[2:3], s[16:17], s[2:3]
	s_add_u32 s14, s14, 1
	s_addc_u32 s15, s15, 0
	s_and_b64 s[2:3], exec, s[2:3]
	s_or_b64 s[10:11], s[2:3], s[10:11]
	v_add_u32_e32 v21, 32, v21
	s_andn2_b64 exec, exec, s[10:11]
	s_cbranch_execz .LBB46_17
.LBB46_15:                              ;   Parent Loop BB46_5 Depth=1
                                        ; =>  This Inner Loop Header: Depth=2
	v_cmp_ne_u32_e32 vcc, v14, v21
	v_cmp_eq_u32_e64 s[2:3], v14, v21
	s_and_saveexec_b64 s[16:17], s[2:3]
	s_cbranch_execz .LBB46_14
; %bb.16:                               ;   in Loop: Header=BB46_15 Depth=2
	s_set_gpr_idx_on s14, gpr_idx(SRC0)
	v_mov_b32_e32 v22, v0
	s_set_gpr_idx_off
	v_add_f32_e32 v15, v15, v22
	global_store_dword v[18:19], v14, off offset:8
	s_branch .LBB46_14
.LBB46_17:                              ;   in Loop: Header=BB46_5 Depth=1
	s_or_b64 exec, exec, s[10:11]
	global_load_dword v14, v[16:17], off offset:12
	s_mov_b64 s[10:11], 0
	v_mov_b32_e32 v16, v20
	s_mov_b64 s[14:15], 0
	s_waitcnt vmcnt(0)
	s_branch .LBB46_19
.LBB46_18:                              ;   in Loop: Header=BB46_19 Depth=2
	s_or_b64 exec, exec, s[16:17]
	s_cmp_gt_u32 s14, 8
	s_cselect_b64 s[2:3], -1, 0
	s_xor_b64 s[16:17], vcc, -1
	s_or_b64 s[2:3], s[16:17], s[2:3]
	s_add_u32 s14, s14, 1
	s_addc_u32 s15, s15, 0
	s_and_b64 s[2:3], exec, s[2:3]
	s_or_b64 s[10:11], s[2:3], s[10:11]
	v_add_u32_e32 v16, 32, v16
	s_andn2_b64 exec, exec, s[10:11]
	s_cbranch_execz .LBB46_4
.LBB46_19:                              ;   Parent Loop BB46_5 Depth=1
                                        ; =>  This Inner Loop Header: Depth=2
	v_cmp_ne_u32_e32 vcc, v14, v16
	v_cmp_eq_u32_e64 s[2:3], v14, v16
	s_and_saveexec_b64 s[16:17], s[2:3]
	s_cbranch_execz .LBB46_18
; %bb.20:                               ;   in Loop: Header=BB46_19 Depth=2
	s_set_gpr_idx_on s14, gpr_idx(SRC0)
	v_mov_b32_e32 v17, v0
	s_set_gpr_idx_off
	v_add_f32_e32 v15, v15, v17
	global_store_dword v[18:19], v14, off offset:12
	s_branch .LBB46_18
.LBB46_21:
	s_and_b32 s16, s19, 3
	s_cmp_eq_u32 s16, 0
	s_mov_b32 s13, 0
	s_cbranch_scc1 .LBB46_28
; %bb.22:
	s_mov_b32 s17, s13
	s_branch .LBB46_24
.LBB46_23:                              ;   in Loop: Header=BB46_24 Depth=1
	s_or_b64 exec, exec, s[8:9]
	s_add_i32 s12, s12, 1
	s_add_i32 s17, s17, 1
	s_cmp_lg_u32 s17, s16
	s_cbranch_scc0 .LBB46_28
.LBB46_24:                              ; =>This Loop Header: Depth=1
                                        ;     Child Loop BB46_26 Depth 2
	v_lshl_add_u64 v[16:17], s[12:13], 2, v[12:13]
	global_load_dword v11, v[16:17], off
	v_add_u32_e32 v16, s12, v10
	v_ashrrev_i32_e32 v17, 31, v16
	s_waitcnt lgkmcnt(0)
	v_lshl_add_u64 v[16:17], v[16:17], 2, s[6:7]
	s_mov_b64 s[8:9], 0
	v_mov_b32_e32 v14, v20
	s_mov_b64 s[10:11], 0
	s_waitcnt vmcnt(0)
	s_branch .LBB46_26
.LBB46_25:                              ;   in Loop: Header=BB46_26 Depth=2
	s_or_b64 exec, exec, s[14:15]
	s_cmp_gt_u32 s10, 8
	s_cselect_b64 s[2:3], -1, 0
	s_xor_b64 s[14:15], vcc, -1
	s_or_b64 s[2:3], s[14:15], s[2:3]
	s_add_u32 s10, s10, 1
	s_addc_u32 s11, s11, 0
	s_and_b64 s[2:3], exec, s[2:3]
	s_or_b64 s[8:9], s[2:3], s[8:9]
	v_add_u32_e32 v14, 32, v14
	s_andn2_b64 exec, exec, s[8:9]
	s_cbranch_execz .LBB46_23
.LBB46_26:                              ;   Parent Loop BB46_24 Depth=1
                                        ; =>  This Inner Loop Header: Depth=2
	v_cmp_ne_u32_e32 vcc, v11, v14
	v_cmp_eq_u32_e64 s[2:3], v11, v14
	s_and_saveexec_b64 s[14:15], s[2:3]
	s_cbranch_execz .LBB46_25
; %bb.27:                               ;   in Loop: Header=BB46_26 Depth=2
	s_set_gpr_idx_on s10, gpr_idx(SRC0)
	v_mov_b32_e32 v18, v0
	s_set_gpr_idx_off
	v_add_f32_e32 v15, v15, v18
	global_store_dword v[16:17], v11, off
	s_branch .LBB46_25
.LBB46_28:
	s_waitcnt lgkmcnt(0)
	s_load_dword s6, s[0:1], 0x3c
	s_waitcnt lgkmcnt(0)
	s_bitcmp1_b32 s6, 0
	s_cselect_b64 s[2:3], -1, 0
	s_bitcmp0_b32 s6, 0
	s_cbranch_scc0 .LBB46_32
; %bb.29:
	s_load_dwordx2 s[6:7], s[0:1], 0x40
	s_andn2_b64 vcc, exec, s[2:3]
	s_waitcnt lgkmcnt(0)
	v_cvt_f32_f64_e32 v21, s[6:7]
	s_cbranch_vccz .LBB46_33
.LBB46_30:
	s_andn2_b64 vcc, exec, s[4:5]
	s_cbranch_vccz .LBB46_34
.LBB46_31:
	s_endpgm
.LBB46_32:
	v_mbcnt_lo_u32_b32 v11, -1, 0
	v_mbcnt_hi_u32_b32 v11, -1, v11
	v_and_b32_e32 v14, 0x60, v11
	v_add_u32_e32 v14, 32, v14
	v_xor_b32_e32 v16, 16, v11
	v_cmp_lt_i32_e32 vcc, v16, v14
	v_xor_b32_e32 v17, 8, v11
	s_nop 0
	v_cndmask_b32_e32 v16, v11, v16, vcc
	v_lshlrev_b32_e32 v16, 2, v16
	ds_bpermute_b32 v16, v16, v15
	v_cmp_lt_i32_e32 vcc, v17, v14
	s_waitcnt lgkmcnt(0)
	v_add_f32_e32 v15, v15, v16
	v_cndmask_b32_e32 v16, v11, v17, vcc
	v_lshlrev_b32_e32 v16, 2, v16
	ds_bpermute_b32 v16, v16, v15
	v_xor_b32_e32 v17, 4, v11
	v_cmp_lt_i32_e32 vcc, v17, v14
	s_waitcnt lgkmcnt(0)
	v_add_f32_e32 v15, v15, v16
	v_cndmask_b32_e32 v16, v11, v17, vcc
	v_lshlrev_b32_e32 v16, 2, v16
	ds_bpermute_b32 v16, v16, v15
	v_xor_b32_e32 v17, 2, v11
	;; [unrolled: 7-line block ×3, first 2 shown]
	v_cmp_lt_i32_e32 vcc, v17, v14
	s_waitcnt lgkmcnt(0)
	v_add_f32_e32 v15, v15, v16
	v_cndmask_b32_e32 v11, v11, v17, vcc
	v_lshlrev_b32_e32 v11, 2, v11
	ds_bpermute_b32 v11, v11, v15
	s_waitcnt lgkmcnt(0)
	v_add_f32_e32 v15, v15, v11
	s_load_dwordx2 s[6:7], s[0:1], 0x40
	s_andn2_b64 vcc, exec, s[2:3]
	s_waitcnt lgkmcnt(0)
	v_cvt_f32_f64_e32 v21, s[6:7]
	s_cbranch_vccnz .LBB46_30
.LBB46_33:
	v_cmp_lt_f32_e32 vcc, 0, v15
	s_nop 1
	v_cndmask_b32_e32 v11, 1.0, v15, vcc
	v_div_scale_f32 v14, s[2:3], v11, v11, v21
	v_rcp_f32_e32 v15, v14
	s_nop 0
	v_fma_f32 v16, -v14, v15, 1.0
	v_fmac_f32_e32 v15, v16, v15
	v_div_scale_f32 v16, vcc, v21, v11, v21
	v_mul_f32_e32 v17, v16, v15
	v_fma_f32 v18, -v14, v17, v16
	v_fmac_f32_e32 v17, v18, v15
	v_fma_f32 v14, -v14, v17, v16
	v_div_fmas_f32 v14, v14, v15, v17
	v_div_fixup_f32 v21, v14, v11, v21
	s_andn2_b64 vcc, exec, s[4:5]
	s_cbranch_vccnz .LBB46_31
.LBB46_34:
	s_load_dwordx2 s[16:17], s[0:1], 0x10
	v_or_b32_e32 v30, 32, v20
	v_or_b32_e32 v29, 64, v20
	;; [unrolled: 1-line block ×9, first 2 shown]
	s_cmp_eq_u32 s19, 1
	s_mov_b32 s18, 0
	s_cbranch_scc1 .LBB46_77
; %bb.35:
	v_ashrrev_i32_e32 v11, 31, v10
	s_waitcnt lgkmcnt(0)
	v_lshl_add_u64 v[14:15], v[10:11], 2, s[16:17]
	s_and_b32 s18, s19, 0x7ffffffe
	v_lshl_add_u64 v[14:15], v[14:15], 0, 4
	v_lshl_add_u64 v[16:17], v[12:13], 0, 4
	s_mov_b32 s33, 0
	s_branch .LBB46_37
.LBB46_36:                              ;   in Loop: Header=BB46_37 Depth=1
	s_or_b64 exec, exec, s[0:1]
	s_add_i32 s33, s33, 2
	v_lshl_add_u64 v[14:15], v[14:15], 0, 8
	s_cmp_lg_u32 s18, s33
	v_lshl_add_u64 v[16:17], v[16:17], 0, 8
	s_cbranch_scc0 .LBB46_77
.LBB46_37:                              ; =>This Inner Loop Header: Depth=1
	global_load_dword v11, v[16:17], off offset:-4
	v_mov_b64_e32 v[18:19], 0
	s_waitcnt vmcnt(0)
	v_cmp_eq_u32_e32 vcc, v11, v20
	v_cmp_ne_u32_e64 s[0:1], v11, v20
	s_and_saveexec_b64 s[20:21], s[0:1]
	s_cbranch_execz .LBB46_55
; %bb.38:                               ;   in Loop: Header=BB46_37 Depth=1
	v_cmp_eq_u32_e64 s[0:1], v11, v30
	v_cmp_ne_u32_e64 s[2:3], v11, v30
	v_mov_b64_e32 v[18:19], 1
	s_and_saveexec_b64 s[22:23], s[2:3]
	s_cbranch_execz .LBB46_54
; %bb.39:                               ;   in Loop: Header=BB46_37 Depth=1
	v_cmp_eq_u32_e64 s[2:3], v11, v29
	v_cmp_ne_u32_e64 s[4:5], v11, v29
	v_mov_b64_e32 v[18:19], 2
	;; [unrolled: 6-line block ×8, first 2 shown]
	s_and_saveexec_b64 s[40:41], s[14:15]
	s_xor_b64 s[40:41], exec, s[40:41]
; %bb.46:                               ;   in Loop: Header=BB46_37 Depth=1
	v_cmp_eq_u32_e64 s[14:15], v11, v22
	s_andn2_b64 s[38:39], s[38:39], exec
	s_and_b64 s[14:15], s[14:15], exec
	v_mov_b64_e32 v[18:19], 9
	s_or_b64 s[38:39], s[38:39], s[14:15]
; %bb.47:                               ;   in Loop: Header=BB46_37 Depth=1
	s_or_b64 exec, exec, s[40:41]
	s_andn2_b64 s[12:13], s[12:13], exec
	s_and_b64 s[14:15], s[38:39], exec
	s_or_b64 s[12:13], s[12:13], s[14:15]
.LBB46_48:                              ;   in Loop: Header=BB46_37 Depth=1
	s_or_b64 exec, exec, s[36:37]
	s_andn2_b64 s[10:11], s[10:11], exec
	s_and_b64 s[12:13], s[12:13], exec
	s_or_b64 s[10:11], s[10:11], s[12:13]
.LBB46_49:                              ;   in Loop: Header=BB46_37 Depth=1
	s_or_b64 exec, exec, s[34:35]
	s_andn2_b64 s[8:9], s[8:9], exec
	s_and_b64 s[10:11], s[10:11], exec
	s_or_b64 s[8:9], s[8:9], s[10:11]
.LBB46_50:                              ;   in Loop: Header=BB46_37 Depth=1
	s_or_b64 exec, exec, s[30:31]
	s_andn2_b64 s[6:7], s[6:7], exec
	s_and_b64 s[8:9], s[8:9], exec
	s_or_b64 s[6:7], s[6:7], s[8:9]
.LBB46_51:                              ;   in Loop: Header=BB46_37 Depth=1
	s_or_b64 exec, exec, s[28:29]
	s_andn2_b64 s[4:5], s[4:5], exec
	s_and_b64 s[6:7], s[6:7], exec
	s_or_b64 s[4:5], s[4:5], s[6:7]
.LBB46_52:                              ;   in Loop: Header=BB46_37 Depth=1
	s_or_b64 exec, exec, s[26:27]
	s_andn2_b64 s[2:3], s[2:3], exec
	s_and_b64 s[4:5], s[4:5], exec
	s_or_b64 s[2:3], s[2:3], s[4:5]
.LBB46_53:                              ;   in Loop: Header=BB46_37 Depth=1
	s_or_b64 exec, exec, s[24:25]
	s_andn2_b64 s[0:1], s[0:1], exec
	s_and_b64 s[2:3], s[2:3], exec
	s_or_b64 s[0:1], s[0:1], s[2:3]
.LBB46_54:                              ;   in Loop: Header=BB46_37 Depth=1
	s_or_b64 exec, exec, s[22:23]
	s_andn2_b64 s[2:3], vcc, exec
	s_and_b64 s[0:1], s[0:1], exec
	s_or_b64 vcc, s[2:3], s[0:1]
.LBB46_55:                              ;   in Loop: Header=BB46_37 Depth=1
	s_or_b64 exec, exec, s[20:21]
	s_and_saveexec_b64 s[0:1], vcc
	s_cbranch_execz .LBB46_57
; %bb.56:                               ;   in Loop: Header=BB46_37 Depth=1
	v_cmp_eq_u32_e32 vcc, 1, v18
	v_add_u32_e32 v32, s33, v10
	v_ashrrev_i32_e32 v33, 31, v32
	v_cndmask_b32_e32 v11, v0, v1, vcc
	v_cmp_eq_u32_e32 vcc, 2, v18
	s_nop 1
	v_cndmask_b32_e32 v11, v11, v2, vcc
	v_cmp_eq_u32_e32 vcc, 3, v18
	s_nop 1
	;; [unrolled: 3-line block ×7, first 2 shown]
	v_cndmask_b32_e32 v11, v11, v8, vcc
	v_cmp_eq_u32_e32 vcc, 9, v18
	v_lshl_add_u64 v[18:19], v[32:33], 2, s[16:17]
	s_nop 0
	v_cndmask_b32_e32 v11, v11, v9, vcc
	v_mul_f32_e32 v11, v21, v11
	global_store_dword v[18:19], v11, off
.LBB46_57:                              ;   in Loop: Header=BB46_37 Depth=1
	s_or_b64 exec, exec, s[0:1]
	global_load_dword v11, v[16:17], off
	v_mov_b64_e32 v[18:19], 0
	s_waitcnt vmcnt(0)
	v_cmp_eq_u32_e64 s[12:13], v11, v20
	v_cmp_ne_u32_e32 vcc, v11, v20
	s_and_saveexec_b64 s[14:15], vcc
	s_cbranch_execz .LBB46_75
; %bb.58:                               ;   in Loop: Header=BB46_37 Depth=1
	v_cmp_eq_u32_e32 vcc, v11, v30
	v_cmp_ne_u32_e64 s[0:1], v11, v30
	v_mov_b64_e32 v[18:19], 1
	s_and_saveexec_b64 s[20:21], s[0:1]
	s_cbranch_execz .LBB46_74
; %bb.59:                               ;   in Loop: Header=BB46_37 Depth=1
	v_cmp_eq_u32_e64 s[0:1], v11, v29
	v_cmp_ne_u32_e64 s[2:3], v11, v29
	v_mov_b64_e32 v[18:19], 2
	s_and_saveexec_b64 s[22:23], s[2:3]
	s_cbranch_execz .LBB46_73
; %bb.60:                               ;   in Loop: Header=BB46_37 Depth=1
	v_cmp_eq_u32_e64 s[2:3], v11, v28
	v_cmp_ne_u32_e64 s[4:5], v11, v28
	v_mov_b64_e32 v[18:19], 3
	s_and_saveexec_b64 s[24:25], s[4:5]
	s_cbranch_execz .LBB46_72
; %bb.61:                               ;   in Loop: Header=BB46_37 Depth=1
	v_cmp_eq_u32_e64 s[4:5], v11, v27
	v_cmp_ne_u32_e64 s[6:7], v11, v27
	v_mov_b64_e32 v[18:19], 4
	s_and_saveexec_b64 s[26:27], s[6:7]
	s_cbranch_execz .LBB46_71
; %bb.62:                               ;   in Loop: Header=BB46_37 Depth=1
	v_cmp_eq_u32_e64 s[6:7], v11, v26
	v_cmp_ne_u32_e64 s[8:9], v11, v26
	v_mov_b64_e32 v[18:19], 5
	s_and_saveexec_b64 s[28:29], s[8:9]
	s_cbranch_execz .LBB46_70
; %bb.63:                               ;   in Loop: Header=BB46_37 Depth=1
	v_cmp_eq_u32_e64 s[8:9], v11, v25
	v_cmp_ne_u32_e64 s[10:11], v11, v25
	v_mov_b64_e32 v[18:19], 6
	s_and_saveexec_b64 s[30:31], s[10:11]
	s_cbranch_execz .LBB46_69
; %bb.64:                               ;   in Loop: Header=BB46_37 Depth=1
	v_cmp_eq_u32_e64 s[34:35], v11, v24
	v_cmp_ne_u32_e64 s[10:11], v11, v24
	v_mov_b64_e32 v[18:19], 7
	s_and_saveexec_b64 s[36:37], s[10:11]
	s_cbranch_execz .LBB46_68
; %bb.65:                               ;   in Loop: Header=BB46_37 Depth=1
	v_cmp_eq_u32_e64 s[38:39], v11, v23
	v_cmp_ne_u32_e64 s[10:11], v11, v23
	v_mov_b64_e32 v[18:19], 8
	s_and_saveexec_b64 s[40:41], s[10:11]
; %bb.66:                               ;   in Loop: Header=BB46_37 Depth=1
	v_cmp_eq_u32_e64 s[10:11], v11, v22
	s_andn2_b64 s[38:39], s[38:39], exec
	s_and_b64 s[10:11], s[10:11], exec
	v_mov_b64_e32 v[18:19], 9
	s_or_b64 s[38:39], s[38:39], s[10:11]
; %bb.67:                               ;   in Loop: Header=BB46_37 Depth=1
	s_or_b64 exec, exec, s[40:41]
	s_andn2_b64 s[10:11], s[34:35], exec
	s_and_b64 s[34:35], s[38:39], exec
	s_or_b64 s[34:35], s[10:11], s[34:35]
.LBB46_68:                              ;   in Loop: Header=BB46_37 Depth=1
	s_or_b64 exec, exec, s[36:37]
	s_andn2_b64 s[8:9], s[8:9], exec
	s_and_b64 s[10:11], s[34:35], exec
	s_or_b64 s[8:9], s[8:9], s[10:11]
.LBB46_69:                              ;   in Loop: Header=BB46_37 Depth=1
	s_or_b64 exec, exec, s[30:31]
	s_andn2_b64 s[6:7], s[6:7], exec
	s_and_b64 s[8:9], s[8:9], exec
	s_or_b64 s[6:7], s[6:7], s[8:9]
.LBB46_70:                              ;   in Loop: Header=BB46_37 Depth=1
	s_or_b64 exec, exec, s[28:29]
	s_andn2_b64 s[4:5], s[4:5], exec
	s_and_b64 s[6:7], s[6:7], exec
	s_or_b64 s[4:5], s[4:5], s[6:7]
.LBB46_71:                              ;   in Loop: Header=BB46_37 Depth=1
	s_or_b64 exec, exec, s[26:27]
	s_andn2_b64 s[2:3], s[2:3], exec
	s_and_b64 s[4:5], s[4:5], exec
	s_or_b64 s[2:3], s[2:3], s[4:5]
.LBB46_72:                              ;   in Loop: Header=BB46_37 Depth=1
	s_or_b64 exec, exec, s[24:25]
	s_andn2_b64 s[0:1], s[0:1], exec
	s_and_b64 s[2:3], s[2:3], exec
	s_or_b64 s[0:1], s[0:1], s[2:3]
.LBB46_73:                              ;   in Loop: Header=BB46_37 Depth=1
	s_or_b64 exec, exec, s[22:23]
	s_andn2_b64 s[2:3], vcc, exec
	s_and_b64 s[0:1], s[0:1], exec
	s_or_b64 vcc, s[2:3], s[0:1]
.LBB46_74:                              ;   in Loop: Header=BB46_37 Depth=1
	s_or_b64 exec, exec, s[20:21]
	s_andn2_b64 s[0:1], s[12:13], exec
	s_and_b64 s[2:3], vcc, exec
	s_or_b64 s[12:13], s[0:1], s[2:3]
.LBB46_75:                              ;   in Loop: Header=BB46_37 Depth=1
	s_or_b64 exec, exec, s[14:15]
	s_and_saveexec_b64 s[0:1], s[12:13]
	s_cbranch_execz .LBB46_36
; %bb.76:                               ;   in Loop: Header=BB46_37 Depth=1
	v_cmp_eq_u32_e32 vcc, 1, v18
	s_nop 1
	v_cndmask_b32_e32 v11, v0, v1, vcc
	v_cmp_eq_u32_e32 vcc, 2, v18
	s_nop 1
	v_cndmask_b32_e32 v11, v11, v2, vcc
	;; [unrolled: 3-line block ×9, first 2 shown]
	v_mul_f32_e32 v11, v21, v11
	global_store_dword v[14:15], v11, off
	s_branch .LBB46_36
.LBB46_77:
	s_bitcmp0_b32 s19, 0
	s_mov_b32 s19, 0
	s_cbranch_scc1 .LBB46_31
; %bb.78:
	v_lshl_add_u64 v[12:13], s[18:19], 2, v[12:13]
	global_load_dword v11, v[12:13], off
	v_mov_b64_e32 v[12:13], 0
	s_waitcnt vmcnt(0)
	v_cmp_eq_u32_e64 s[12:13], v11, v20
	v_cmp_ne_u32_e32 vcc, v11, v20
	s_and_saveexec_b64 s[14:15], vcc
	s_cbranch_execz .LBB46_96
; %bb.79:
	v_cmp_eq_u32_e32 vcc, v11, v30
	v_cmp_ne_u32_e64 s[0:1], v11, v30
	v_mov_b64_e32 v[12:13], 1
	s_and_saveexec_b64 s[20:21], s[0:1]
	s_cbranch_execz .LBB46_95
; %bb.80:
	v_cmp_eq_u32_e64 s[0:1], v11, v29
	v_cmp_ne_u32_e64 s[2:3], v11, v29
	v_mov_b64_e32 v[12:13], 2
	s_and_saveexec_b64 s[22:23], s[2:3]
	s_cbranch_execz .LBB46_94
; %bb.81:
	v_cmp_eq_u32_e64 s[2:3], v11, v28
	;; [unrolled: 6-line block ×7, first 2 shown]
	v_cmp_ne_u32_e64 s[10:11], v11, v23
	v_mov_b64_e32 v[12:13], 8
	s_and_saveexec_b64 s[40:41], s[10:11]
; %bb.87:
	v_cmp_eq_u32_e64 s[10:11], v11, v22
	s_andn2_b64 s[38:39], s[38:39], exec
	s_and_b64 s[10:11], s[10:11], exec
	v_mov_b64_e32 v[12:13], 9
	s_or_b64 s[38:39], s[38:39], s[10:11]
; %bb.88:
	s_or_b64 exec, exec, s[40:41]
	s_andn2_b64 s[10:11], s[34:35], exec
	s_and_b64 s[34:35], s[38:39], exec
	s_or_b64 s[34:35], s[10:11], s[34:35]
.LBB46_89:
	s_or_b64 exec, exec, s[36:37]
	s_andn2_b64 s[8:9], s[8:9], exec
	s_and_b64 s[10:11], s[34:35], exec
	s_or_b64 s[8:9], s[8:9], s[10:11]
.LBB46_90:
	s_or_b64 exec, exec, s[30:31]
	s_andn2_b64 s[6:7], s[6:7], exec
	s_and_b64 s[8:9], s[8:9], exec
	s_or_b64 s[6:7], s[6:7], s[8:9]
.LBB46_91:
	s_or_b64 exec, exec, s[28:29]
	s_andn2_b64 s[4:5], s[4:5], exec
	s_and_b64 s[6:7], s[6:7], exec
	s_or_b64 s[4:5], s[4:5], s[6:7]
.LBB46_92:
	s_or_b64 exec, exec, s[26:27]
	s_andn2_b64 s[2:3], s[2:3], exec
	s_and_b64 s[4:5], s[4:5], exec
	s_or_b64 s[2:3], s[2:3], s[4:5]
.LBB46_93:
	s_or_b64 exec, exec, s[24:25]
	s_andn2_b64 s[0:1], s[0:1], exec
	s_and_b64 s[2:3], s[2:3], exec
	s_or_b64 s[0:1], s[0:1], s[2:3]
.LBB46_94:
	s_or_b64 exec, exec, s[22:23]
	s_andn2_b64 s[2:3], vcc, exec
	s_and_b64 s[0:1], s[0:1], exec
	s_or_b64 vcc, s[2:3], s[0:1]
.LBB46_95:
	s_or_b64 exec, exec, s[20:21]
	s_andn2_b64 s[0:1], s[12:13], exec
	s_and_b64 s[2:3], vcc, exec
	s_or_b64 s[12:13], s[0:1], s[2:3]
.LBB46_96:
	s_or_b64 exec, exec, s[14:15]
	s_and_b64 exec, exec, s[12:13]
	s_cbranch_execz .LBB46_31
; %bb.97:
	v_cmp_eq_u32_e32 vcc, 1, v12
	v_add_u32_e32 v10, s18, v10
	v_ashrrev_i32_e32 v11, 31, v10
	v_cndmask_b32_e32 v0, v0, v1, vcc
	v_cmp_eq_u32_e32 vcc, 2, v12
	s_nop 1
	v_cndmask_b32_e32 v0, v0, v2, vcc
	v_cmp_eq_u32_e32 vcc, 3, v12
	s_nop 1
	;; [unrolled: 3-line block ×8, first 2 shown]
	v_cndmask_b32_e32 v0, v0, v9, vcc
	v_mul_f32_e32 v2, v21, v0
	s_waitcnt lgkmcnt(0)
	v_lshl_add_u64 v[0:1], v[10:11], 2, s[16:17]
	global_store_dword v[0:1], v2, off
	s_endpgm
	.section	.rodata,"a",@progbits
	.p2align	6, 0x0
	.amdhsa_kernel _ZN4vllm3moe22topkGatingSoftplusSqrtILi10ELi320ELi4ELi4ELi32ELb1EifEEvPKT6_PKbPfiPT5_PiiiibdPKfPKS8_SE_
		.amdhsa_group_segment_fixed_size 0
		.amdhsa_private_segment_fixed_size 0
		.amdhsa_kernarg_size 96
		.amdhsa_user_sgpr_count 2
		.amdhsa_user_sgpr_dispatch_ptr 0
		.amdhsa_user_sgpr_queue_ptr 0
		.amdhsa_user_sgpr_kernarg_segment_ptr 1
		.amdhsa_user_sgpr_dispatch_id 0
		.amdhsa_user_sgpr_kernarg_preload_length 0
		.amdhsa_user_sgpr_kernarg_preload_offset 0
		.amdhsa_user_sgpr_private_segment_size 0
		.amdhsa_uses_dynamic_stack 0
		.amdhsa_enable_private_segment 0
		.amdhsa_system_sgpr_workgroup_id_x 1
		.amdhsa_system_sgpr_workgroup_id_y 0
		.amdhsa_system_sgpr_workgroup_id_z 0
		.amdhsa_system_sgpr_workgroup_info 0
		.amdhsa_system_vgpr_workitem_id 1
		.amdhsa_next_free_vgpr 34
		.amdhsa_next_free_sgpr 42
		.amdhsa_accum_offset 36
		.amdhsa_reserve_vcc 1
		.amdhsa_float_round_mode_32 0
		.amdhsa_float_round_mode_16_64 0
		.amdhsa_float_denorm_mode_32 3
		.amdhsa_float_denorm_mode_16_64 3
		.amdhsa_dx10_clamp 1
		.amdhsa_ieee_mode 1
		.amdhsa_fp16_overflow 0
		.amdhsa_tg_split 0
		.amdhsa_exception_fp_ieee_invalid_op 0
		.amdhsa_exception_fp_denorm_src 0
		.amdhsa_exception_fp_ieee_div_zero 0
		.amdhsa_exception_fp_ieee_overflow 0
		.amdhsa_exception_fp_ieee_underflow 0
		.amdhsa_exception_fp_ieee_inexact 0
		.amdhsa_exception_int_div_zero 0
	.end_amdhsa_kernel
	.section	.text._ZN4vllm3moe22topkGatingSoftplusSqrtILi10ELi320ELi4ELi4ELi32ELb1EifEEvPKT6_PKbPfiPT5_PiiiibdPKfPKS8_SE_,"axG",@progbits,_ZN4vllm3moe22topkGatingSoftplusSqrtILi10ELi320ELi4ELi4ELi32ELb1EifEEvPKT6_PKbPfiPT5_PiiiibdPKfPKS8_SE_,comdat
.Lfunc_end46:
	.size	_ZN4vllm3moe22topkGatingSoftplusSqrtILi10ELi320ELi4ELi4ELi32ELb1EifEEvPKT6_PKbPfiPT5_PiiiibdPKfPKS8_SE_, .Lfunc_end46-_ZN4vllm3moe22topkGatingSoftplusSqrtILi10ELi320ELi4ELi4ELi32ELb1EifEEvPKT6_PKbPfiPT5_PiiiibdPKfPKS8_SE_
                                        ; -- End function
	.section	.AMDGPU.csdata,"",@progbits
; Kernel info:
; codeLenInByte = 5560
; NumSgprs: 48
; NumVgprs: 34
; NumAgprs: 0
; TotalNumVgprs: 34
; ScratchSize: 0
; MemoryBound: 0
; FloatMode: 240
; IeeeMode: 1
; LDSByteSize: 0 bytes/workgroup (compile time only)
; SGPRBlocks: 5
; VGPRBlocks: 4
; NumSGPRsForWavesPerEU: 48
; NumVGPRsForWavesPerEU: 34
; AccumOffset: 36
; Occupancy: 8
; WaveLimiterHint : 1
; COMPUTE_PGM_RSRC2:SCRATCH_EN: 0
; COMPUTE_PGM_RSRC2:USER_SGPR: 2
; COMPUTE_PGM_RSRC2:TRAP_HANDLER: 0
; COMPUTE_PGM_RSRC2:TGID_X_EN: 1
; COMPUTE_PGM_RSRC2:TGID_Y_EN: 0
; COMPUTE_PGM_RSRC2:TGID_Z_EN: 0
; COMPUTE_PGM_RSRC2:TIDIG_COMP_CNT: 1
; COMPUTE_PGM_RSRC3_GFX90A:ACCUM_OFFSET: 8
; COMPUTE_PGM_RSRC3_GFX90A:TG_SPLIT: 0
	.section	.text._ZN4vllm3moe22topkGatingSoftplusSqrtILi10ELi320ELi4ELi4ELi32ELb0EifEEvPKT6_PKbPfiPT5_PiiiibdPKfPKS8_SE_,"axG",@progbits,_ZN4vllm3moe22topkGatingSoftplusSqrtILi10ELi320ELi4ELi4ELi32ELb0EifEEvPKT6_PKbPfiPT5_PiiiibdPKfPKS8_SE_,comdat
	.protected	_ZN4vllm3moe22topkGatingSoftplusSqrtILi10ELi320ELi4ELi4ELi32ELb0EifEEvPKT6_PKbPfiPT5_PiiiibdPKfPKS8_SE_ ; -- Begin function _ZN4vllm3moe22topkGatingSoftplusSqrtILi10ELi320ELi4ELi4ELi32ELb0EifEEvPKT6_PKbPfiPT5_PiiiibdPKfPKS8_SE_
	.globl	_ZN4vllm3moe22topkGatingSoftplusSqrtILi10ELi320ELi4ELi4ELi32ELb0EifEEvPKT6_PKbPfiPT5_PiiiibdPKfPKS8_SE_
	.p2align	8
	.type	_ZN4vllm3moe22topkGatingSoftplusSqrtILi10ELi320ELi4ELi4ELi32ELb0EifEEvPKT6_PKbPfiPT5_PiiiibdPKfPKS8_SE_,@function
_ZN4vllm3moe22topkGatingSoftplusSqrtILi10ELi320ELi4ELi4ELi32ELb0EifEEvPKT6_PKbPfiPT5_PiiiibdPKfPKS8_SE_: ; @_ZN4vllm3moe22topkGatingSoftplusSqrtILi10ELi320ELi4ELi4ELi32ELb0EifEEvPKT6_PKbPfiPT5_PiiiibdPKfPKS8_SE_
; %bb.0:
	s_load_dword s30, s[0:1], 0x18
	v_and_b32_e32 v1, 0x3ff, v0
	s_lshl_b32 s2, s2, 2
	v_lshrrev_b32_e32 v2, 5, v1
	v_bfe_u32 v0, v0, 10, 10
	v_add3_u32 v10, s2, v0, v2
	s_waitcnt lgkmcnt(0)
	v_cmp_gt_i32_e32 vcc, s30, v10
	s_and_saveexec_b64 s[2:3], vcc
	s_cbranch_execz .LBB47_65
; %bb.1:
	s_load_dwordx4 s[4:7], s[0:1], 0x0
	s_load_dwordx2 s[20:21], s[0:1], 0x10
	s_waitcnt lgkmcnt(0)
	s_cmp_eq_u64 s[6:7], 0
	s_cbranch_scc1 .LBB47_3
; %bb.2:
	v_ashrrev_i32_e32 v11, 31, v10
	v_lshl_add_u64 v[2:3], s[6:7], 0, v[10:11]
	global_load_ubyte v0, v[2:3], off
	s_waitcnt vmcnt(0)
	v_and_b32_e32 v0, 1, v0
	v_cmp_eq_u32_e32 vcc, 1, v0
	s_xor_b64 s[2:3], vcc, -1
	s_orn2_b64 s[22:23], s[2:3], exec
	s_branch .LBB47_4
.LBB47_3:
	s_mov_b64 s[22:23], -1
.LBB47_4:
	s_movk_i32 s2, 0x140
	v_mul_lo_u32 v4, v10, s2
	v_mov_b32_e32 v2, s4
	v_mov_b32_e32 v3, s5
	v_ashrrev_i32_e32 v5, 31, v4
	v_and_b32_e32 v12, 31, v1
	v_lshl_add_u64 v[2:3], v[4:5], 2, v[2:3]
	v_mov_b32_e32 v15, 0
	v_lshlrev_b32_e32 v14, 2, v12
	v_lshl_add_u64 v[16:17], v[2:3], 0, v[14:15]
	global_load_dword v0, v[16:17], off
	global_load_dword v1, v[16:17], off offset:128
	global_load_dword v2, v[16:17], off offset:256
	;; [unrolled: 1-line block ×9, first 2 shown]
	s_mov_b32 s16, 0x800000
	v_mov_b32_e32 v15, 0x4f800000
	s_mov_b32 s13, 0x3f317217
	s_mov_b32 s14, 0x7f800000
	v_mov_b32_e32 v13, 0x41b17218
	s_mov_b32 s12, 0x41a00000
	s_mov_b32 s15, 0xf800000
	s_load_dwordx4 s[8:11], s[0:1], 0x40
	s_waitcnt lgkmcnt(0)
	s_cmp_lg_u64 s[10:11], 0
	s_cselect_b64 s[6:7], -1, 0
	s_and_b64 s[2:3], exec, s[6:7]
	s_waitcnt vmcnt(9)
	v_mul_f32_e32 v11, 0x3fb8aa3b, v0
	v_exp_f32_e32 v11, v11
	s_nop 0
	v_add_f32_e32 v11, 1.0, v11
	v_cmp_gt_f32_e32 vcc, s16, v11
	s_nop 1
	v_cndmask_b32_e32 v16, 1.0, v15, vcc
	v_mul_f32_e32 v11, v11, v16
	v_log_f32_e32 v16, v11
	v_cndmask_b32_e32 v17, 0, v13, vcc
	v_mov_b32_e32 v11, 0x260
	v_mul_f32_e32 v18, 0x3f317217, v16
	v_fma_f32 v18, v16, s13, -v18
	v_fmac_f32_e32 v18, 0x3377d1cf, v16
	v_fmac_f32_e32 v18, 0x3f317217, v16
	v_cmp_lt_f32_e64 vcc, |v16|, s14
	s_nop 1
	v_cndmask_b32_e32 v16, v16, v18, vcc
	v_sub_f32_e32 v16, v16, v17
	v_cmp_lt_f32_e32 vcc, s12, v0
	s_nop 1
	v_cndmask_b32_e32 v0, v16, v0, vcc
	v_mul_f32_e32 v16, 0x4f800000, v0
	v_cmp_gt_f32_e32 vcc, s15, v0
	s_nop 1
	v_cndmask_b32_e32 v0, v0, v16, vcc
	v_sqrt_f32_e32 v16, v0
	s_nop 0
	v_add_u32_e32 v17, -1, v16
	v_add_u32_e32 v18, 1, v16
	v_fma_f32 v19, -v17, v16, v0
	v_fma_f32 v20, -v18, v16, v0
	v_cmp_ge_f32_e64 s[4:5], 0, v19
	s_nop 1
	v_cndmask_b32_e64 v16, v16, v17, s[4:5]
	v_cmp_lt_f32_e64 s[4:5], 0, v20
	s_nop 1
	v_cndmask_b32_e64 v16, v16, v18, s[4:5]
	v_mul_f32_e32 v17, 0x37800000, v16
	v_cndmask_b32_e32 v16, v16, v17, vcc
	v_cmp_class_f32_e32 vcc, v0, v11
	s_nop 1
	v_cndmask_b32_e32 v0, v16, v0, vcc
	s_mov_b64 vcc, s[2:3]
	s_cbranch_vccz .LBB47_6
; %bb.5:
	global_load_dword v16, v14, s[10:11]
	s_waitcnt vmcnt(0)
	v_add_f32_e32 v0, v0, v16
.LBB47_6:
	s_waitcnt vmcnt(8)
	v_mul_f32_e32 v16, 0x3fb8aa3b, v1
	v_exp_f32_e32 v16, v16
	s_nop 0
	v_add_f32_e32 v16, 1.0, v16
	v_cmp_gt_f32_e32 vcc, s16, v16
	s_nop 1
	v_cndmask_b32_e32 v15, 1.0, v15, vcc
	v_mul_f32_e32 v15, v16, v15
	v_log_f32_e32 v15, v15
	v_cndmask_b32_e32 v13, 0, v13, vcc
	v_mul_f32_e32 v16, 0x3f317217, v15
	v_fma_f32 v16, v15, s13, -v16
	v_fmac_f32_e32 v16, 0x3377d1cf, v15
	v_fmac_f32_e32 v16, 0x3f317217, v15
	v_cmp_lt_f32_e64 vcc, |v15|, s14
	s_nop 1
	v_cndmask_b32_e32 v15, v15, v16, vcc
	v_sub_f32_e32 v13, v15, v13
	v_cmp_lt_f32_e32 vcc, s12, v1
	s_nop 1
	v_cndmask_b32_e32 v1, v13, v1, vcc
	v_mul_f32_e32 v13, 0x4f800000, v1
	v_cmp_gt_f32_e32 vcc, s15, v1
	s_nop 1
	v_cndmask_b32_e32 v1, v1, v13, vcc
	v_sqrt_f32_e32 v13, v1
	v_cmp_class_f32_e64 s[4:5], v1, v11
	v_add_u32_e32 v15, -1, v13
	v_add_u32_e32 v16, 1, v13
	v_fma_f32 v17, -v15, v13, v1
	v_fma_f32 v18, -v16, v13, v1
	v_cmp_ge_f32_e64 s[2:3], 0, v17
	s_nop 1
	v_cndmask_b32_e64 v13, v13, v15, s[2:3]
	v_cmp_lt_f32_e64 s[2:3], 0, v18
	s_nop 1
	v_cndmask_b32_e64 v13, v13, v16, s[2:3]
	v_mul_f32_e32 v15, 0x37800000, v13
	v_cndmask_b32_e32 v13, v13, v15, vcc
	v_cndmask_b32_e64 v15, 0, 1, s[6:7]
	v_cmp_ne_u32_e64 s[2:3], 1, v15
	s_andn2_b64 vcc, exec, s[6:7]
	v_cndmask_b32_e64 v1, v13, v1, s[4:5]
	s_cbranch_vccnz .LBB47_8
; %bb.7:
	global_load_dword v11, v14, s[10:11] offset:128
	s_waitcnt vmcnt(0)
	v_add_f32_e32 v1, v1, v11
.LBB47_8:
	s_waitcnt vmcnt(7)
	v_mul_f32_e32 v11, 0x3fb8aa3b, v2
	v_exp_f32_e32 v11, v11
	s_mov_b32 s14, 0x800000
	v_mov_b32_e32 v13, 0x4f800000
	s_mov_b32 s7, 0x3f317217
	v_add_f32_e32 v11, 1.0, v11
	v_cmp_gt_f32_e32 vcc, s14, v11
	s_mov_b32 s12, 0x7f800000
	s_mov_b32 s6, 0x41a00000
	v_cndmask_b32_e32 v15, 1.0, v13, vcc
	v_mul_f32_e32 v11, v11, v15
	v_log_f32_e32 v11, v11
	s_mov_b32 s13, 0xf800000
	v_mul_f32_e32 v15, 0x3f317217, v11
	v_fma_f32 v15, v11, s7, -v15
	v_fmac_f32_e32 v15, 0x3377d1cf, v11
	v_fmac_f32_e32 v15, 0x3f317217, v11
	v_cmp_lt_f32_e64 s[4:5], |v11|, s12
	s_nop 1
	v_cndmask_b32_e64 v11, v11, v15, s[4:5]
	v_mov_b32_e32 v15, 0x41b17218
	v_cndmask_b32_e32 v16, 0, v15, vcc
	v_sub_f32_e32 v11, v11, v16
	v_cmp_lt_f32_e32 vcc, s6, v2
	s_nop 1
	v_cndmask_b32_e32 v2, v11, v2, vcc
	v_mul_f32_e32 v11, 0x4f800000, v2
	v_cmp_gt_f32_e32 vcc, s13, v2
	s_nop 1
	v_cndmask_b32_e32 v2, v2, v11, vcc
	v_sqrt_f32_e32 v11, v2
	s_nop 0
	v_add_u32_e32 v16, -1, v11
	v_fma_f32 v17, -v16, v11, v2
	v_cmp_ge_f32_e64 s[4:5], 0, v17
	v_add_u32_e32 v17, 1, v11
	s_nop 0
	v_cndmask_b32_e64 v16, v11, v16, s[4:5]
	v_fma_f32 v11, -v17, v11, v2
	v_cmp_lt_f32_e64 s[4:5], 0, v11
	s_nop 1
	v_cndmask_b32_e64 v11, v16, v17, s[4:5]
	v_mul_f32_e32 v16, 0x37800000, v11
	v_cndmask_b32_e32 v16, v11, v16, vcc
	v_mov_b32_e32 v11, 0x260
	v_cmp_class_f32_e64 s[4:5], v2, v11
	s_and_b64 vcc, exec, s[2:3]
	s_nop 0
	v_cndmask_b32_e64 v2, v16, v2, s[4:5]
	s_cbranch_vccnz .LBB47_10
; %bb.9:
	global_load_dword v16, v14, s[10:11] offset:256
	s_waitcnt vmcnt(0)
	v_add_f32_e32 v2, v2, v16
.LBB47_10:
	s_waitcnt vmcnt(6)
	v_mul_f32_e32 v16, 0x3fb8aa3b, v3
	v_exp_f32_e32 v16, v16
	s_nop 0
	v_add_f32_e32 v16, 1.0, v16
	v_cmp_gt_f32_e32 vcc, s14, v16
	s_nop 1
	v_cndmask_b32_e32 v13, 1.0, v13, vcc
	v_mul_f32_e32 v13, v16, v13
	v_log_f32_e32 v13, v13
	v_cndmask_b32_e32 v15, 0, v15, vcc
	v_mul_f32_e32 v16, 0x3f317217, v13
	v_fma_f32 v16, v13, s7, -v16
	v_fmac_f32_e32 v16, 0x3377d1cf, v13
	v_fmac_f32_e32 v16, 0x3f317217, v13
	v_cmp_lt_f32_e64 vcc, |v13|, s12
	s_nop 1
	v_cndmask_b32_e32 v13, v13, v16, vcc
	v_sub_f32_e32 v13, v13, v15
	v_cmp_lt_f32_e32 vcc, s6, v3
	s_nop 1
	v_cndmask_b32_e32 v3, v13, v3, vcc
	v_mul_f32_e32 v13, 0x4f800000, v3
	v_cmp_gt_f32_e32 vcc, s13, v3
	s_nop 1
	v_cndmask_b32_e32 v3, v3, v13, vcc
	v_sqrt_f32_e32 v13, v3
	s_nop 0
	v_add_u32_e32 v15, -1, v13
	v_add_u32_e32 v16, 1, v13
	v_fma_f32 v17, -v15, v13, v3
	v_fma_f32 v18, -v16, v13, v3
	v_cmp_ge_f32_e64 s[4:5], 0, v17
	s_nop 1
	v_cndmask_b32_e64 v13, v13, v15, s[4:5]
	v_cmp_lt_f32_e64 s[4:5], 0, v18
	s_nop 1
	v_cndmask_b32_e64 v13, v13, v16, s[4:5]
	v_mul_f32_e32 v15, 0x37800000, v13
	v_cndmask_b32_e32 v13, v13, v15, vcc
	v_cmp_class_f32_e64 s[4:5], v3, v11
	s_and_b64 vcc, exec, s[2:3]
	s_nop 0
	v_cndmask_b32_e64 v3, v13, v3, s[4:5]
	s_cbranch_vccnz .LBB47_12
; %bb.11:
	global_load_dword v11, v14, s[10:11] offset:384
	s_waitcnt vmcnt(0)
	v_add_f32_e32 v3, v3, v11
.LBB47_12:
	s_waitcnt vmcnt(5)
	v_mul_f32_e32 v11, 0x3fb8aa3b, v4
	v_exp_f32_e32 v11, v11
	v_mov_b32_e32 v13, 0x4f800000
	v_add_f32_e32 v11, 1.0, v11
	v_cmp_gt_f32_e32 vcc, s14, v11
	s_nop 1
	v_cndmask_b32_e32 v15, 1.0, v13, vcc
	v_mul_f32_e32 v11, v11, v15
	v_log_f32_e32 v11, v11
	s_nop 0
	v_mul_f32_e32 v15, 0x3f317217, v11
	v_fma_f32 v15, v11, s7, -v15
	v_fmac_f32_e32 v15, 0x3377d1cf, v11
	v_fmac_f32_e32 v15, 0x3f317217, v11
	v_cmp_lt_f32_e64 s[4:5], |v11|, s12
	s_nop 1
	v_cndmask_b32_e64 v11, v11, v15, s[4:5]
	v_mov_b32_e32 v15, 0x41b17218
	v_cndmask_b32_e32 v16, 0, v15, vcc
	v_sub_f32_e32 v11, v11, v16
	v_cmp_lt_f32_e32 vcc, s6, v4
	s_nop 1
	v_cndmask_b32_e32 v4, v11, v4, vcc
	v_mul_f32_e32 v11, 0x4f800000, v4
	v_cmp_gt_f32_e32 vcc, s13, v4
	s_nop 1
	v_cndmask_b32_e32 v4, v4, v11, vcc
	v_sqrt_f32_e32 v11, v4
	s_nop 0
	v_add_u32_e32 v16, -1, v11
	v_fma_f32 v17, -v16, v11, v4
	v_cmp_ge_f32_e64 s[4:5], 0, v17
	v_add_u32_e32 v17, 1, v11
	s_nop 0
	v_cndmask_b32_e64 v16, v11, v16, s[4:5]
	v_fma_f32 v11, -v17, v11, v4
	v_cmp_lt_f32_e64 s[4:5], 0, v11
	s_nop 1
	v_cndmask_b32_e64 v11, v16, v17, s[4:5]
	v_mul_f32_e32 v16, 0x37800000, v11
	v_cndmask_b32_e32 v16, v11, v16, vcc
	v_mov_b32_e32 v11, 0x260
	v_cmp_class_f32_e64 s[4:5], v4, v11
	s_and_b64 vcc, exec, s[2:3]
	s_nop 0
	v_cndmask_b32_e64 v4, v16, v4, s[4:5]
	s_cbranch_vccnz .LBB47_14
; %bb.13:
	global_load_dword v16, v14, s[10:11] offset:512
	s_waitcnt vmcnt(0)
	v_add_f32_e32 v4, v4, v16
.LBB47_14:
	s_waitcnt vmcnt(4)
	v_mul_f32_e32 v16, 0x3fb8aa3b, v5
	v_exp_f32_e32 v16, v16
	s_nop 0
	v_add_f32_e32 v16, 1.0, v16
	v_cmp_gt_f32_e32 vcc, s14, v16
	s_nop 1
	v_cndmask_b32_e32 v13, 1.0, v13, vcc
	v_mul_f32_e32 v13, v16, v13
	v_log_f32_e32 v13, v13
	v_cndmask_b32_e32 v15, 0, v15, vcc
	v_mul_f32_e32 v16, 0x3f317217, v13
	v_fma_f32 v16, v13, s7, -v16
	v_fmac_f32_e32 v16, 0x3377d1cf, v13
	v_fmac_f32_e32 v16, 0x3f317217, v13
	v_cmp_lt_f32_e64 vcc, |v13|, s12
	s_nop 1
	v_cndmask_b32_e32 v13, v13, v16, vcc
	v_sub_f32_e32 v13, v13, v15
	v_cmp_lt_f32_e32 vcc, s6, v5
	s_nop 1
	v_cndmask_b32_e32 v5, v13, v5, vcc
	v_mul_f32_e32 v13, 0x4f800000, v5
	v_cmp_gt_f32_e32 vcc, s13, v5
	s_nop 1
	v_cndmask_b32_e32 v5, v5, v13, vcc
	v_sqrt_f32_e32 v13, v5
	s_nop 0
	v_add_u32_e32 v15, -1, v13
	v_add_u32_e32 v16, 1, v13
	v_fma_f32 v17, -v15, v13, v5
	v_fma_f32 v18, -v16, v13, v5
	v_cmp_ge_f32_e64 s[4:5], 0, v17
	s_nop 1
	v_cndmask_b32_e64 v13, v13, v15, s[4:5]
	v_cmp_lt_f32_e64 s[4:5], 0, v18
	s_nop 1
	v_cndmask_b32_e64 v13, v13, v16, s[4:5]
	v_mul_f32_e32 v15, 0x37800000, v13
	v_cndmask_b32_e32 v13, v13, v15, vcc
	v_cmp_class_f32_e64 s[4:5], v5, v11
	s_and_b64 vcc, exec, s[2:3]
	s_nop 0
	v_cndmask_b32_e64 v5, v13, v5, s[4:5]
	s_cbranch_vccnz .LBB47_16
; %bb.15:
	global_load_dword v11, v14, s[10:11] offset:640
	s_waitcnt vmcnt(0)
	v_add_f32_e32 v5, v5, v11
.LBB47_16:
	s_waitcnt vmcnt(3)
	v_mul_f32_e32 v11, 0x3fb8aa3b, v6
	v_exp_f32_e32 v11, v11
	v_mov_b32_e32 v13, 0x4f800000
	v_add_f32_e32 v11, 1.0, v11
	v_cmp_gt_f32_e32 vcc, s14, v11
	s_nop 1
	v_cndmask_b32_e32 v15, 1.0, v13, vcc
	v_mul_f32_e32 v11, v11, v15
	v_log_f32_e32 v11, v11
	s_nop 0
	v_mul_f32_e32 v15, 0x3f317217, v11
	v_fma_f32 v15, v11, s7, -v15
	v_fmac_f32_e32 v15, 0x3377d1cf, v11
	v_fmac_f32_e32 v15, 0x3f317217, v11
	v_cmp_lt_f32_e64 s[4:5], |v11|, s12
	s_nop 1
	v_cndmask_b32_e64 v11, v11, v15, s[4:5]
	v_mov_b32_e32 v15, 0x41b17218
	v_cndmask_b32_e32 v16, 0, v15, vcc
	v_sub_f32_e32 v11, v11, v16
	v_cmp_lt_f32_e32 vcc, s6, v6
	s_nop 1
	v_cndmask_b32_e32 v6, v11, v6, vcc
	v_mul_f32_e32 v11, 0x4f800000, v6
	v_cmp_gt_f32_e32 vcc, s13, v6
	s_nop 1
	v_cndmask_b32_e32 v6, v6, v11, vcc
	v_sqrt_f32_e32 v11, v6
	s_nop 0
	v_add_u32_e32 v16, -1, v11
	v_fma_f32 v17, -v16, v11, v6
	v_cmp_ge_f32_e64 s[4:5], 0, v17
	v_add_u32_e32 v17, 1, v11
	s_nop 0
	v_cndmask_b32_e64 v16, v11, v16, s[4:5]
	v_fma_f32 v11, -v17, v11, v6
	v_cmp_lt_f32_e64 s[4:5], 0, v11
	s_nop 1
	v_cndmask_b32_e64 v11, v16, v17, s[4:5]
	v_mul_f32_e32 v16, 0x37800000, v11
	v_cndmask_b32_e32 v16, v11, v16, vcc
	v_mov_b32_e32 v11, 0x260
	v_cmp_class_f32_e64 s[4:5], v6, v11
	s_and_b64 vcc, exec, s[2:3]
	s_nop 0
	v_cndmask_b32_e64 v6, v16, v6, s[4:5]
	s_cbranch_vccnz .LBB47_18
; %bb.17:
	global_load_dword v16, v14, s[10:11] offset:768
	s_waitcnt vmcnt(0)
	v_add_f32_e32 v6, v6, v16
.LBB47_18:
	s_waitcnt vmcnt(2)
	v_mul_f32_e32 v16, 0x3fb8aa3b, v7
	v_exp_f32_e32 v16, v16
	s_nop 0
	v_add_f32_e32 v16, 1.0, v16
	v_cmp_gt_f32_e32 vcc, s14, v16
	s_nop 1
	v_cndmask_b32_e32 v13, 1.0, v13, vcc
	v_mul_f32_e32 v13, v16, v13
	v_log_f32_e32 v13, v13
	v_cndmask_b32_e32 v15, 0, v15, vcc
	v_mul_f32_e32 v16, 0x3f317217, v13
	v_fma_f32 v16, v13, s7, -v16
	v_fmac_f32_e32 v16, 0x3377d1cf, v13
	v_fmac_f32_e32 v16, 0x3f317217, v13
	v_cmp_lt_f32_e64 vcc, |v13|, s12
	s_nop 1
	v_cndmask_b32_e32 v13, v13, v16, vcc
	v_sub_f32_e32 v13, v13, v15
	v_cmp_lt_f32_e32 vcc, s6, v7
	s_nop 1
	v_cndmask_b32_e32 v7, v13, v7, vcc
	v_mul_f32_e32 v13, 0x4f800000, v7
	v_cmp_gt_f32_e32 vcc, s13, v7
	s_nop 1
	v_cndmask_b32_e32 v7, v7, v13, vcc
	v_sqrt_f32_e32 v13, v7
	s_nop 0
	v_add_u32_e32 v15, -1, v13
	v_add_u32_e32 v16, 1, v13
	v_fma_f32 v17, -v15, v13, v7
	v_fma_f32 v18, -v16, v13, v7
	v_cmp_ge_f32_e64 s[4:5], 0, v17
	s_nop 1
	v_cndmask_b32_e64 v13, v13, v15, s[4:5]
	v_cmp_lt_f32_e64 s[4:5], 0, v18
	s_nop 1
	v_cndmask_b32_e64 v13, v13, v16, s[4:5]
	v_mul_f32_e32 v15, 0x37800000, v13
	v_cndmask_b32_e32 v13, v13, v15, vcc
	v_cmp_class_f32_e64 s[4:5], v7, v11
	s_and_b64 vcc, exec, s[2:3]
	s_nop 0
	v_cndmask_b32_e64 v7, v13, v7, s[4:5]
	s_cbranch_vccnz .LBB47_20
; %bb.19:
	global_load_dword v11, v14, s[10:11] offset:896
	s_waitcnt vmcnt(0)
	v_add_f32_e32 v7, v7, v11
.LBB47_20:
	s_waitcnt vmcnt(1)
	v_mul_f32_e32 v11, 0x3fb8aa3b, v8
	v_exp_f32_e32 v11, v11
	v_mov_b32_e32 v13, 0x4f800000
	v_add_f32_e32 v11, 1.0, v11
	v_cmp_gt_f32_e32 vcc, s14, v11
	s_nop 1
	v_cndmask_b32_e32 v15, 1.0, v13, vcc
	v_mul_f32_e32 v11, v11, v15
	v_log_f32_e32 v11, v11
	s_nop 0
	v_mul_f32_e32 v15, 0x3f317217, v11
	v_fma_f32 v15, v11, s7, -v15
	v_fmac_f32_e32 v15, 0x3377d1cf, v11
	v_fmac_f32_e32 v15, 0x3f317217, v11
	v_cmp_lt_f32_e64 s[4:5], |v11|, s12
	s_nop 1
	v_cndmask_b32_e64 v11, v11, v15, s[4:5]
	v_mov_b32_e32 v15, 0x41b17218
	v_cndmask_b32_e32 v16, 0, v15, vcc
	v_sub_f32_e32 v11, v11, v16
	v_cmp_lt_f32_e32 vcc, s6, v8
	s_nop 1
	v_cndmask_b32_e32 v8, v11, v8, vcc
	v_mul_f32_e32 v11, 0x4f800000, v8
	v_cmp_gt_f32_e32 vcc, s13, v8
	s_nop 1
	v_cndmask_b32_e32 v8, v8, v11, vcc
	v_sqrt_f32_e32 v11, v8
	s_nop 0
	v_add_u32_e32 v16, -1, v11
	v_fma_f32 v17, -v16, v11, v8
	v_cmp_ge_f32_e64 s[4:5], 0, v17
	v_add_u32_e32 v17, 1, v11
	s_nop 0
	v_cndmask_b32_e64 v16, v11, v16, s[4:5]
	v_fma_f32 v11, -v17, v11, v8
	v_cmp_lt_f32_e64 s[4:5], 0, v11
	s_nop 1
	v_cndmask_b32_e64 v11, v16, v17, s[4:5]
	v_mul_f32_e32 v16, 0x37800000, v11
	v_cndmask_b32_e32 v16, v11, v16, vcc
	v_mov_b32_e32 v11, 0x260
	v_cmp_class_f32_e64 s[4:5], v8, v11
	s_and_b64 vcc, exec, s[2:3]
	s_nop 0
	v_cndmask_b32_e64 v8, v16, v8, s[4:5]
	s_cbranch_vccnz .LBB47_22
; %bb.21:
	global_load_dword v16, v14, s[10:11] offset:1024
	s_waitcnt vmcnt(0)
	v_add_f32_e32 v8, v8, v16
.LBB47_22:
	s_waitcnt vmcnt(0)
	v_mul_f32_e32 v16, 0x3fb8aa3b, v9
	v_exp_f32_e32 v16, v16
	s_nop 0
	v_add_f32_e32 v16, 1.0, v16
	v_cmp_gt_f32_e32 vcc, s14, v16
	s_nop 1
	v_cndmask_b32_e32 v13, 1.0, v13, vcc
	v_mul_f32_e32 v13, v16, v13
	v_log_f32_e32 v13, v13
	v_cndmask_b32_e32 v15, 0, v15, vcc
	v_mul_f32_e32 v16, 0x3f317217, v13
	v_fma_f32 v16, v13, s7, -v16
	v_fmac_f32_e32 v16, 0x3377d1cf, v13
	v_fmac_f32_e32 v16, 0x3f317217, v13
	v_cmp_lt_f32_e64 vcc, |v13|, s12
	s_nop 1
	v_cndmask_b32_e32 v13, v13, v16, vcc
	v_sub_f32_e32 v13, v13, v15
	v_cmp_lt_f32_e32 vcc, s6, v9
	s_nop 1
	v_cndmask_b32_e32 v9, v13, v9, vcc
	v_mul_f32_e32 v13, 0x4f800000, v9
	v_cmp_gt_f32_e32 vcc, s13, v9
	s_nop 1
	v_cndmask_b32_e32 v9, v9, v13, vcc
	v_sqrt_f32_e32 v13, v9
	s_nop 0
	v_add_u32_e32 v15, -1, v13
	v_add_u32_e32 v16, 1, v13
	v_fma_f32 v17, -v15, v13, v9
	v_fma_f32 v18, -v16, v13, v9
	v_cmp_ge_f32_e64 s[4:5], 0, v17
	s_nop 1
	v_cndmask_b32_e64 v13, v13, v15, s[4:5]
	v_cmp_lt_f32_e64 s[4:5], 0, v18
	s_nop 1
	v_cndmask_b32_e64 v13, v13, v16, s[4:5]
	v_mul_f32_e32 v15, 0x37800000, v13
	v_cndmask_b32_e32 v13, v13, v15, vcc
	v_cmp_class_f32_e64 s[4:5], v9, v11
	s_and_b64 vcc, exec, s[2:3]
	s_nop 0
	v_cndmask_b32_e64 v9, v13, v9, s[4:5]
	s_cbranch_vccnz .LBB47_24
; %bb.23:
	global_load_dword v11, v14, s[10:11] offset:1152
	s_waitcnt vmcnt(0)
	v_add_f32_e32 v9, v9, v11
.LBB47_24:
	s_load_dwordx4 s[12:15], s[0:1], 0x30
	s_mov_b32 s31, 0
	v_cmp_eq_u32_e64 s[6:7], 0, v12
	s_waitcnt lgkmcnt(0)
	s_bitcmp1_b32 s15, 0
	s_cselect_b64 s[4:5], -1, 0
	s_cmp_gt_i32 s12, 0
	s_cselect_b64 s[24:25], -1, 0
	s_and_b64 vcc, exec, s[24:25]
	s_cbranch_vccz .LBB47_51
; %bb.25:
	v_mbcnt_lo_u32_b32 v11, -1, 0
	v_mbcnt_hi_u32_b32 v14, -1, v11
	v_and_b32_e32 v11, 0x60, v14
	v_add_u32_e32 v15, 32, v11
	v_xor_b32_e32 v16, 16, v14
	v_cmp_lt_i32_e32 vcc, v16, v15
	s_load_dwordx4 s[16:19], s[0:1], 0x20
	v_mul_lo_u32 v11, v10, s12
	v_cndmask_b32_e32 v16, v14, v16, vcc
	v_lshlrev_b32_e32 v25, 2, v16
	v_xor_b32_e32 v16, 8, v14
	v_cmp_lt_i32_e32 vcc, v16, v15
	v_or_b32_e32 v13, 32, v12
	v_or_b32_e32 v17, 64, v12
	v_cndmask_b32_e32 v16, v14, v16, vcc
	v_lshlrev_b32_e32 v26, 2, v16
	v_xor_b32_e32 v16, 4, v14
	v_cmp_lt_i32_e32 vcc, v16, v15
	v_or_b32_e32 v18, 0x60, v12
	v_or_b32_e32 v19, 0x80, v12
	;; [unrolled: 6-line block ×4, first 2 shown]
	v_cndmask_b32_e32 v14, v14, v16, vcc
	v_or_b32_e32 v24, 0x120, v12
	v_lshlrev_b32_e32 v29, 2, v14
	v_mov_b32_e32 v16, 0
	v_mov_b32_e32 v30, 0x140
	;; [unrolled: 1-line block ×4, first 2 shown]
	s_branch .LBB47_28
.LBB47_26:                              ;   in Loop: Header=BB47_28 Depth=1
	s_waitcnt lgkmcnt(0)
	v_add_u32_e32 v34, s31, v11
	v_cmp_le_i32_e32 vcc, s13, v14
	v_cmp_gt_i32_e64 s[0:1], s14, v14
	v_ashrrev_i32_e32 v35, 31, v34
	s_and_b64 s[0:1], vcc, s[0:1]
	v_lshlrev_b64 v[34:35], 2, v[34:35]
	v_lshl_add_u64 v[36:37], s[20:21], 0, v[34:35]
	v_subrev_u32_e32 v15, s13, v14
	s_and_b64 vcc, s[22:23], s[0:1]
	global_store_dword v[36:37], v33, off
	v_cndmask_b32_e32 v15, v30, v15, vcc
	v_lshl_add_u64 v[36:37], s[16:17], 0, v[34:35]
	global_store_dword v[36:37], v15, off
	v_add_f32_e32 v15, v16, v33
	v_lshl_add_u64 v[34:35], s[18:19], 0, v[34:35]
	v_cndmask_b32_e64 v16, v16, v15, s[4:5]
	global_store_dword v[34:35], v32, off
.LBB47_27:                              ;   in Loop: Header=BB47_28 Depth=1
	s_or_b64 exec, exec, s[26:27]
	v_ashrrev_i32_e32 v15, 31, v14
	v_lshrrev_b32_e32 v15, 27, v15
	v_add_u32_e32 v15, v14, v15
	v_and_b32_e32 v33, 0xffffffe0, v15
	v_sub_u32_e32 v14, v14, v33
	s_add_i32 s31, s31, 1
	v_cmp_eq_u32_e32 vcc, v12, v14
	s_cmp_lt_i32 s31, s12
	v_ashrrev_i32_e32 v14, 5, v15
	s_cselect_b64 s[26:27], -1, 0
	v_cmp_ne_u32_e64 s[0:1], 9, v14
	s_and_b64 vcc, s[26:27], vcc
	s_cmp_eq_u32 s12, s31
	v_cndmask_b32_e64 v15, v31, v9, s[0:1]
	v_cmp_ne_u32_e64 s[0:1], 8, v14
	v_cndmask_b32_e32 v9, v9, v15, vcc
	v_add_u32_e32 v32, s30, v32
	v_cndmask_b32_e64 v15, v31, v8, s[0:1]
	v_cmp_ne_u32_e64 s[0:1], 7, v14
	v_cndmask_b32_e32 v8, v8, v15, vcc
	s_nop 0
	v_cndmask_b32_e64 v15, v31, v7, s[0:1]
	v_cmp_ne_u32_e64 s[0:1], 6, v14
	v_cndmask_b32_e32 v7, v7, v15, vcc
	s_nop 0
	;; [unrolled: 4-line block ×8, first 2 shown]
	v_cndmask_b32_e64 v14, v31, v0, s[0:1]
	v_cndmask_b32_e32 v0, v0, v14, vcc
	s_cbranch_scc1 .LBB47_52
.LBB47_28:                              ; =>This Inner Loop Header: Depth=1
	v_cmp_gt_f32_e32 vcc, v1, v0
	s_nop 1
	v_cndmask_b32_e32 v15, v0, v1, vcc
	v_cndmask_b32_e32 v14, v12, v13, vcc
	v_cmp_gt_f32_e32 vcc, v2, v15
	s_nop 1
	v_cndmask_b32_e32 v15, v15, v2, vcc
	v_cndmask_b32_e32 v14, v14, v17, vcc
	;; [unrolled: 4-line block ×9, first 2 shown]
	ds_bpermute_b32 v15, v25, v33
	s_waitcnt lgkmcnt(0)
	ds_bpermute_b32 v34, v25, v14
	s_waitcnt lgkmcnt(0)
	v_cmp_lt_f32_e64 s[26:27], v33, v15
	v_cmp_nlt_f32_e32 vcc, v33, v15
	s_and_saveexec_b64 s[28:29], vcc
; %bb.29:                               ;   in Loop: Header=BB47_28 Depth=1
	v_cmp_eq_f32_e32 vcc, v33, v15
	v_cmp_lt_i32_e64 s[0:1], v34, v14
	s_and_b64 s[0:1], vcc, s[0:1]
	s_andn2_b64 s[26:27], s[26:27], exec
	s_and_b64 s[0:1], s[0:1], exec
	s_or_b64 s[26:27], s[26:27], s[0:1]
; %bb.30:                               ;   in Loop: Header=BB47_28 Depth=1
	s_or_b64 exec, exec, s[28:29]
	s_and_saveexec_b64 s[0:1], s[26:27]
; %bb.31:                               ;   in Loop: Header=BB47_28 Depth=1
	v_mov_b32_e32 v33, v15
	v_mov_b32_e32 v14, v34
; %bb.32:                               ;   in Loop: Header=BB47_28 Depth=1
	s_or_b64 exec, exec, s[0:1]
	ds_bpermute_b32 v15, v26, v33
	ds_bpermute_b32 v34, v26, v14
	s_waitcnt lgkmcnt(1)
	v_cmp_lt_f32_e64 s[26:27], v33, v15
	v_cmp_nlt_f32_e32 vcc, v33, v15
	s_and_saveexec_b64 s[28:29], vcc
	s_cbranch_execz .LBB47_34
; %bb.33:                               ;   in Loop: Header=BB47_28 Depth=1
	v_cmp_eq_f32_e32 vcc, v33, v15
	s_waitcnt lgkmcnt(0)
	v_cmp_lt_i32_e64 s[0:1], v34, v14
	s_and_b64 s[0:1], vcc, s[0:1]
	s_andn2_b64 s[26:27], s[26:27], exec
	s_and_b64 s[0:1], s[0:1], exec
	s_or_b64 s[26:27], s[26:27], s[0:1]
.LBB47_34:                              ;   in Loop: Header=BB47_28 Depth=1
	s_or_b64 exec, exec, s[28:29]
	s_and_saveexec_b64 s[0:1], s[26:27]
	s_cbranch_execz .LBB47_36
; %bb.35:                               ;   in Loop: Header=BB47_28 Depth=1
	v_mov_b32_e32 v33, v15
	s_waitcnt lgkmcnt(0)
	v_mov_b32_e32 v14, v34
.LBB47_36:                              ;   in Loop: Header=BB47_28 Depth=1
	s_or_b64 exec, exec, s[0:1]
	ds_bpermute_b32 v15, v27, v33
	s_waitcnt lgkmcnt(1)
	ds_bpermute_b32 v34, v27, v14
	s_waitcnt lgkmcnt(1)
	v_cmp_lt_f32_e64 s[26:27], v33, v15
	v_cmp_nlt_f32_e32 vcc, v33, v15
	s_and_saveexec_b64 s[28:29], vcc
	s_cbranch_execz .LBB47_38
; %bb.37:                               ;   in Loop: Header=BB47_28 Depth=1
	v_cmp_eq_f32_e32 vcc, v33, v15
	s_waitcnt lgkmcnt(0)
	v_cmp_lt_i32_e64 s[0:1], v34, v14
	s_and_b64 s[0:1], vcc, s[0:1]
	s_andn2_b64 s[26:27], s[26:27], exec
	s_and_b64 s[0:1], s[0:1], exec
	s_or_b64 s[26:27], s[26:27], s[0:1]
.LBB47_38:                              ;   in Loop: Header=BB47_28 Depth=1
	s_or_b64 exec, exec, s[28:29]
	s_and_saveexec_b64 s[0:1], s[26:27]
	s_cbranch_execz .LBB47_40
; %bb.39:                               ;   in Loop: Header=BB47_28 Depth=1
	v_mov_b32_e32 v33, v15
	s_waitcnt lgkmcnt(0)
	v_mov_b32_e32 v14, v34
.LBB47_40:                              ;   in Loop: Header=BB47_28 Depth=1
	s_or_b64 exec, exec, s[0:1]
	ds_bpermute_b32 v15, v28, v33
	s_waitcnt lgkmcnt(1)
	;; [unrolled: 26-line block ×3, first 2 shown]
	ds_bpermute_b32 v34, v29, v14
	s_waitcnt lgkmcnt(1)
	v_cmp_lt_f32_e64 s[26:27], v33, v15
	v_cmp_nlt_f32_e32 vcc, v33, v15
	s_and_saveexec_b64 s[28:29], vcc
	s_cbranch_execnz .LBB47_47
; %bb.45:                               ;   in Loop: Header=BB47_28 Depth=1
	s_or_b64 exec, exec, s[28:29]
	s_and_saveexec_b64 s[0:1], s[26:27]
	s_cbranch_execnz .LBB47_48
.LBB47_46:                              ;   in Loop: Header=BB47_28 Depth=1
	s_or_b64 exec, exec, s[0:1]
	s_and_saveexec_b64 s[26:27], s[6:7]
	s_cbranch_execz .LBB47_27
	s_branch .LBB47_49
.LBB47_47:                              ;   in Loop: Header=BB47_28 Depth=1
	v_cmp_eq_f32_e32 vcc, v33, v15
	s_waitcnt lgkmcnt(0)
	v_cmp_lt_i32_e64 s[0:1], v34, v14
	s_and_b64 s[0:1], vcc, s[0:1]
	s_andn2_b64 s[26:27], s[26:27], exec
	s_and_b64 s[0:1], s[0:1], exec
	s_or_b64 s[26:27], s[26:27], s[0:1]
	s_or_b64 exec, exec, s[28:29]
	s_and_saveexec_b64 s[0:1], s[26:27]
	s_cbranch_execz .LBB47_46
.LBB47_48:                              ;   in Loop: Header=BB47_28 Depth=1
	s_waitcnt lgkmcnt(0)
	v_mov_b32_e32 v14, v34
	v_mov_b32_e32 v33, v15
	s_or_b64 exec, exec, s[0:1]
	s_and_saveexec_b64 s[26:27], s[6:7]
	s_cbranch_execz .LBB47_27
.LBB47_49:                              ;   in Loop: Header=BB47_28 Depth=1
	s_and_b64 vcc, exec, s[2:3]
	s_cbranch_vccnz .LBB47_26
; %bb.50:                               ;   in Loop: Header=BB47_28 Depth=1
	v_ashrrev_i32_e32 v15, 31, v14
	s_waitcnt lgkmcnt(0)
	v_lshl_add_u64 v[34:35], v[14:15], 2, s[10:11]
	global_load_dword v15, v[34:35], off
	s_waitcnt vmcnt(0)
	v_sub_f32_e32 v33, v33, v15
	s_branch .LBB47_26
.LBB47_51:
	v_mov_b32_e32 v16, 0
.LBB47_52:
	v_cmp_eq_u32_e32 vcc, 0, v12
	s_and_b64 exec, exec, vcc
	s_cbranch_execz .LBB47_65
; %bb.53:
	s_andn2_b64 vcc, exec, s[4:5]
	v_cvt_f32_f64_e32 v0, s[8:9]
	s_cbranch_vccnz .LBB47_55
; %bb.54:
	v_cmp_lt_f32_e32 vcc, 0, v16
	s_nop 1
	v_cndmask_b32_e32 v1, 1.0, v16, vcc
	v_div_scale_f32 v2, s[0:1], v1, v1, v0
	v_rcp_f32_e32 v3, v2
	s_nop 0
	v_fma_f32 v4, -v2, v3, 1.0
	v_fmac_f32_e32 v3, v4, v3
	v_div_scale_f32 v4, vcc, v0, v1, v0
	v_mul_f32_e32 v5, v4, v3
	v_fma_f32 v6, -v2, v5, v4
	v_fmac_f32_e32 v5, v6, v3
	v_fma_f32 v2, -v2, v5, v4
	v_div_fmas_f32 v2, v2, v3, v5
	v_div_fixup_f32 v0, v2, v1, v0
.LBB47_55:
	s_andn2_b64 vcc, exec, s[24:25]
	s_cbranch_vccnz .LBB47_65
; %bb.56:
	v_mul_lo_u32 v2, v10, s12
	s_cmp_gt_u32 s12, 3
	v_ashrrev_i32_e32 v3, 31, v2
	s_cbranch_scc0 .LBB47_60
; %bb.57:
	s_and_b32 s0, s12, 0x7ffffffc
	v_lshl_add_u64 v[4:5], v[2:3], 2, s[20:21]
	v_mov_b32_e32 v1, v0
	v_lshl_add_u64 v[4:5], v[4:5], 0, 8
	s_mov_b32 s1, s0
.LBB47_58:                              ; =>This Inner Loop Header: Depth=1
	global_load_dwordx4 v[6:9], v[4:5], off offset:-8
	s_add_i32 s1, s1, -4
	s_cmp_lg_u32 s1, 0
	s_waitcnt vmcnt(0)
	v_pk_mul_f32 v[6:7], v[0:1], v[6:7]
	v_pk_mul_f32 v[8:9], v[0:1], v[8:9]
	global_store_dwordx4 v[4:5], v[6:9], off offset:-8
	v_lshl_add_u64 v[4:5], v[4:5], 0, 16
	s_cbranch_scc1 .LBB47_58
; %bb.59:
	s_cmp_lg_u32 s0, s12
	s_cselect_b64 s[2:3], -1, 0
	s_branch .LBB47_62
.LBB47_60:
	s_mov_b64 s[2:3], 0
                                        ; implicit-def: $sgpr0
	s_cbranch_execz .LBB47_62
; %bb.61:
	s_mov_b64 s[2:3], -1
	s_mov_b32 s0, 0
.LBB47_62:
	s_andn2_b64 vcc, exec, s[2:3]
	s_cbranch_vccnz .LBB47_65
; %bb.63:
	s_mov_b32 s1, 0
	v_lshl_add_u64 v[2:3], v[2:3], 0, s[0:1]
	s_sub_i32 s2, s12, s0
	v_lshl_add_u64 v[2:3], v[2:3], 2, s[20:21]
.LBB47_64:                              ; =>This Inner Loop Header: Depth=1
	global_load_dword v1, v[2:3], off
	s_add_i32 s2, s2, -1
	s_cmp_lg_u32 s2, 0
	s_waitcnt vmcnt(0)
	v_mul_f32_e32 v1, v0, v1
	global_store_dword v[2:3], v1, off
	v_lshl_add_u64 v[2:3], v[2:3], 0, 4
	s_cbranch_scc1 .LBB47_64
.LBB47_65:
	s_endpgm
	.section	.rodata,"a",@progbits
	.p2align	6, 0x0
	.amdhsa_kernel _ZN4vllm3moe22topkGatingSoftplusSqrtILi10ELi320ELi4ELi4ELi32ELb0EifEEvPKT6_PKbPfiPT5_PiiiibdPKfPKS8_SE_
		.amdhsa_group_segment_fixed_size 0
		.amdhsa_private_segment_fixed_size 0
		.amdhsa_kernarg_size 96
		.amdhsa_user_sgpr_count 2
		.amdhsa_user_sgpr_dispatch_ptr 0
		.amdhsa_user_sgpr_queue_ptr 0
		.amdhsa_user_sgpr_kernarg_segment_ptr 1
		.amdhsa_user_sgpr_dispatch_id 0
		.amdhsa_user_sgpr_kernarg_preload_length 0
		.amdhsa_user_sgpr_kernarg_preload_offset 0
		.amdhsa_user_sgpr_private_segment_size 0
		.amdhsa_uses_dynamic_stack 0
		.amdhsa_enable_private_segment 0
		.amdhsa_system_sgpr_workgroup_id_x 1
		.amdhsa_system_sgpr_workgroup_id_y 0
		.amdhsa_system_sgpr_workgroup_id_z 0
		.amdhsa_system_sgpr_workgroup_info 0
		.amdhsa_system_vgpr_workitem_id 1
		.amdhsa_next_free_vgpr 38
		.amdhsa_next_free_sgpr 32
		.amdhsa_accum_offset 40
		.amdhsa_reserve_vcc 1
		.amdhsa_float_round_mode_32 0
		.amdhsa_float_round_mode_16_64 0
		.amdhsa_float_denorm_mode_32 3
		.amdhsa_float_denorm_mode_16_64 3
		.amdhsa_dx10_clamp 1
		.amdhsa_ieee_mode 1
		.amdhsa_fp16_overflow 0
		.amdhsa_tg_split 0
		.amdhsa_exception_fp_ieee_invalid_op 0
		.amdhsa_exception_fp_denorm_src 0
		.amdhsa_exception_fp_ieee_div_zero 0
		.amdhsa_exception_fp_ieee_overflow 0
		.amdhsa_exception_fp_ieee_underflow 0
		.amdhsa_exception_fp_ieee_inexact 0
		.amdhsa_exception_int_div_zero 0
	.end_amdhsa_kernel
	.section	.text._ZN4vllm3moe22topkGatingSoftplusSqrtILi10ELi320ELi4ELi4ELi32ELb0EifEEvPKT6_PKbPfiPT5_PiiiibdPKfPKS8_SE_,"axG",@progbits,_ZN4vllm3moe22topkGatingSoftplusSqrtILi10ELi320ELi4ELi4ELi32ELb0EifEEvPKT6_PKbPfiPT5_PiiiibdPKfPKS8_SE_,comdat
.Lfunc_end47:
	.size	_ZN4vllm3moe22topkGatingSoftplusSqrtILi10ELi320ELi4ELi4ELi32ELb0EifEEvPKT6_PKbPfiPT5_PiiiibdPKfPKS8_SE_, .Lfunc_end47-_ZN4vllm3moe22topkGatingSoftplusSqrtILi10ELi320ELi4ELi4ELi32ELb0EifEEvPKT6_PKbPfiPT5_PiiiibdPKfPKS8_SE_
                                        ; -- End function
	.section	.AMDGPU.csdata,"",@progbits
; Kernel info:
; codeLenInByte = 4828
; NumSgprs: 38
; NumVgprs: 38
; NumAgprs: 0
; TotalNumVgprs: 38
; ScratchSize: 0
; MemoryBound: 0
; FloatMode: 240
; IeeeMode: 1
; LDSByteSize: 0 bytes/workgroup (compile time only)
; SGPRBlocks: 4
; VGPRBlocks: 4
; NumSGPRsForWavesPerEU: 38
; NumVGPRsForWavesPerEU: 38
; AccumOffset: 40
; Occupancy: 8
; WaveLimiterHint : 1
; COMPUTE_PGM_RSRC2:SCRATCH_EN: 0
; COMPUTE_PGM_RSRC2:USER_SGPR: 2
; COMPUTE_PGM_RSRC2:TRAP_HANDLER: 0
; COMPUTE_PGM_RSRC2:TGID_X_EN: 1
; COMPUTE_PGM_RSRC2:TGID_Y_EN: 0
; COMPUTE_PGM_RSRC2:TGID_Z_EN: 0
; COMPUTE_PGM_RSRC2:TIDIG_COMP_CNT: 1
; COMPUTE_PGM_RSRC3_GFX90A:ACCUM_OFFSET: 9
; COMPUTE_PGM_RSRC3_GFX90A:TG_SPLIT: 0
	.section	.text._ZN4vllm3moe22topkGatingSoftplusSqrtILi6ELi384ELi4ELi8ELi64ELb1EifEEvPKT6_PKbPfiPT5_PiiiibdPKfPKS8_SE_,"axG",@progbits,_ZN4vllm3moe22topkGatingSoftplusSqrtILi6ELi384ELi4ELi8ELi64ELb1EifEEvPKT6_PKbPfiPT5_PiiiibdPKfPKS8_SE_,comdat
	.protected	_ZN4vllm3moe22topkGatingSoftplusSqrtILi6ELi384ELi4ELi8ELi64ELb1EifEEvPKT6_PKbPfiPT5_PiiiibdPKfPKS8_SE_ ; -- Begin function _ZN4vllm3moe22topkGatingSoftplusSqrtILi6ELi384ELi4ELi8ELi64ELb1EifEEvPKT6_PKbPfiPT5_PiiiibdPKfPKS8_SE_
	.globl	_ZN4vllm3moe22topkGatingSoftplusSqrtILi6ELi384ELi4ELi8ELi64ELb1EifEEvPKT6_PKbPfiPT5_PiiiibdPKfPKS8_SE_
	.p2align	8
	.type	_ZN4vllm3moe22topkGatingSoftplusSqrtILi6ELi384ELi4ELi8ELi64ELb1EifEEvPKT6_PKbPfiPT5_PiiiibdPKfPKS8_SE_,@function
_ZN4vllm3moe22topkGatingSoftplusSqrtILi6ELi384ELi4ELi8ELi64ELb1EifEEvPKT6_PKbPfiPT5_PiiiibdPKfPKS8_SE_: ; @_ZN4vllm3moe22topkGatingSoftplusSqrtILi6ELi384ELi4ELi8ELi64ELb1EifEEvPKT6_PKbPfiPT5_PiiiibdPKfPKS8_SE_
; %bb.0:
	s_load_dword s3, s[0:1], 0x18
	v_and_b32_e32 v1, 0x3ff, v0
	s_lshl_b32 s2, s2, 2
	v_lshrrev_b32_e32 v2, 6, v1
	v_bfe_u32 v0, v0, 10, 10
	v_add3_u32 v0, s2, v0, v2
	s_waitcnt lgkmcnt(0)
	v_cmp_gt_i32_e32 vcc, s3, v0
	s_and_saveexec_b64 s[2:3], vcc
	s_cbranch_execz .LBB48_31
; %bb.1:
	s_load_dwordx2 s[2:3], s[0:1], 0x0
	s_load_dword s24, s[0:1], 0x30
	s_load_dwordx4 s[8:11], s[0:1], 0x50
	s_movk_i32 s4, 0x180
	v_mul_lo_u32 v2, v0, s4
	v_lshlrev_b32_e32 v1, 1, v1
	v_ashrrev_i32_e32 v3, 31, v2
	v_and_b32_e32 v10, 0x7e, v1
	s_waitcnt lgkmcnt(0)
	v_lshl_add_u64 v[2:3], v[2:3], 2, s[2:3]
	v_lshlrev_b32_e32 v4, 2, v10
	v_mov_b32_e32 v5, 0
	v_lshl_add_u64 v[2:3], v[2:3], 0, v[4:5]
	global_load_dwordx2 v[6:7], v[2:3], off
	global_load_dwordx2 v[8:9], v[2:3], off offset:512
	v_mov_b32_e32 v12, s8
	v_mov_b32_e32 v13, s9
	v_ashrrev_i32_e32 v1, 31, v0
	v_lshl_add_u64 v[12:13], v[0:1], 2, v[12:13]
	global_load_dword v1, v[12:13], off
	s_mov_b32 s15, 0x800000
	global_load_dwordx2 v[2:3], v[2:3], off offset:1024
	v_mov_b32_e32 v4, 0x4f800000
	s_mov_b32 s13, 0x3f317217
	s_mov_b32 s14, 0x7f800000
	v_mov_b32_e32 v11, 0x41b17218
	s_mov_b32 s9, 0x41a00000
	s_mov_b32 s12, 0xf800000
	v_mov_b32_e32 v18, 0x260
	s_cmp_gt_i32 s24, 0
	s_mov_b32 s8, 0
	v_mul_lo_u32 v0, v0, s24
	s_waitcnt vmcnt(3)
	v_mul_f32_e32 v12, 0x3fb8aa3b, v6
	v_mul_f32_e32 v13, 0x3fb8aa3b, v7
	v_exp_f32_e32 v12, v12
	v_exp_f32_e32 v13, v13
	s_waitcnt vmcnt(2)
	v_mul_f32_e32 v14, 0x3fb8aa3b, v8
	v_mul_f32_e32 v15, 0x3fb8aa3b, v9
	v_exp_f32_e32 v14, v14
	v_exp_f32_e32 v15, v15
	v_pk_add_f32 v[12:13], v[12:13], 1.0 op_sel_hi:[1,0]
	s_waitcnt vmcnt(1)
	v_mul_lo_u32 v16, v1, s24
	v_cmp_gt_f32_e32 vcc, s15, v13
	v_pk_add_f32 v[14:15], v[14:15], 1.0 op_sel_hi:[1,0]
	v_cmp_gt_f32_e64 s[2:3], s15, v12
	v_cndmask_b32_e32 v1, 1.0, v4, vcc
	v_cmp_gt_f32_e64 s[4:5], s15, v15
	v_cndmask_b32_e64 v19, 1.0, v4, s[2:3]
	v_mul_f32_e32 v1, v13, v1
	v_cndmask_b32_e64 v20, 1.0, v4, s[4:5]
	v_mul_f32_e32 v12, v12, v19
	v_log_f32_e32 v1, v1
	v_mul_f32_e32 v15, v15, v20
	v_log_f32_e32 v12, v12
	v_cmp_gt_f32_e64 s[6:7], s15, v14
	v_log_f32_e32 v15, v15
	v_cndmask_b32_e32 v13, 0, v11, vcc
	v_cndmask_b32_e64 v21, 1.0, v4, s[6:7]
	v_mul_f32_e32 v14, v14, v21
	v_mul_f32_e32 v21, 0x3f317217, v1
	;; [unrolled: 1-line block ×3, first 2 shown]
	v_fma_f32 v21, v1, s13, -v21
	v_mul_f32_e32 v23, 0x3f317217, v15
	v_fma_f32 v22, v12, s13, -v22
	v_fmac_f32_e32 v21, 0x3377d1cf, v1
	v_fma_f32 v23, v15, s13, -v23
	v_fmac_f32_e32 v22, 0x3377d1cf, v12
	v_fmac_f32_e32 v21, 0x3f317217, v1
	v_cmp_lt_f32_e64 vcc, |v1|, s14
	v_fmac_f32_e32 v23, 0x3377d1cf, v15
	v_fmac_f32_e32 v22, 0x3f317217, v12
	v_cndmask_b32_e32 v1, v1, v21, vcc
	v_cmp_lt_f32_e64 vcc, |v12|, s14
	v_cndmask_b32_e64 v19, 0, v11, s[2:3]
	v_fmac_f32_e32 v23, 0x3f317217, v15
	v_cndmask_b32_e32 v12, v12, v22, vcc
	v_cmp_lt_f32_e64 vcc, |v15|, s14
	v_sub_f32_e32 v12, v12, v19
	v_sub_f32_e32 v1, v1, v13
	v_cndmask_b32_e32 v15, v15, v23, vcc
	v_cmp_lt_f32_e32 vcc, s9, v6
	v_cndmask_b32_e64 v20, 0, v11, s[4:5]
	v_sub_f32_e32 v13, v15, v20
	v_cndmask_b32_e32 v6, v12, v6, vcc
	v_cmp_lt_f32_e32 vcc, s9, v7
	v_mul_f32_e32 v12, 0x4f800000, v6
	v_cmp_gt_f32_e64 s[2:3], s12, v6
	v_cndmask_b32_e32 v1, v1, v7, vcc
	v_mul_f32_e32 v7, 0x4f800000, v1
	v_cmp_gt_f32_e32 vcc, s12, v1
	v_cndmask_b32_e64 v6, v6, v12, s[2:3]
	v_sqrt_f32_e32 v12, v6
	v_cndmask_b32_e32 v1, v1, v7, vcc
	v_sqrt_f32_e32 v7, v1
	v_log_f32_e32 v14, v14
	v_add_u32_e32 v20, -1, v12
	v_fma_f32 v25, -v20, v12, v6
	v_add_u32_e32 v15, -1, v7
	v_fma_f32 v22, -v15, v7, v1
	v_add_u32_e32 v19, 1, v7
	v_cmp_ge_f32_e64 s[4:5], 0, v22
	v_add_u32_e32 v21, 1, v12
	v_fma_f32 v23, -v19, v7, v1
	v_cndmask_b32_e64 v7, v7, v15, s[4:5]
	v_cmp_ge_f32_e64 s[4:5], 0, v25
	v_fma_f32 v26, -v21, v12, v6
	v_mul_f32_e32 v24, 0x3f317217, v14
	v_cndmask_b32_e64 v12, v12, v20, s[4:5]
	v_cmp_lt_f32_e64 s[4:5], 0, v23
	v_fma_f32 v24, v14, s13, -v24
	v_fmac_f32_e32 v24, 0x3377d1cf, v14
	v_cndmask_b32_e64 v7, v7, v19, s[4:5]
	v_cmp_lt_f32_e64 s[4:5], 0, v26
	v_mul_f32_e32 v15, 0x37800000, v7
	v_cndmask_b32_e32 v7, v7, v15, vcc
	v_cndmask_b32_e64 v12, v12, v21, s[4:5]
	v_mul_f32_e32 v19, 0x37800000, v12
	v_cmp_class_f32_e32 vcc, v1, v18
	v_cndmask_b32_e64 v12, v12, v19, s[2:3]
	v_fmac_f32_e32 v24, 0x3f317217, v14
	v_cndmask_b32_e32 v7, v7, v1, vcc
	v_cmp_class_f32_e32 vcc, v6, v18
	v_cmp_lt_f32_e64 s[2:3], s9, v8
	v_ashrrev_i32_e32 v17, 31, v16
	v_cndmask_b32_e32 v6, v12, v6, vcc
	v_cmp_lt_f32_e64 vcc, |v14|, s14
	v_cndmask_b32_e64 v12, 0, v11, s[6:7]
	s_nop 0
	v_cndmask_b32_e32 v1, v14, v24, vcc
	v_cmp_lt_f32_e32 vcc, s9, v9
	v_sub_f32_e32 v1, v1, v12
	v_cndmask_b32_e64 v1, v1, v8, s[2:3]
	v_cndmask_b32_e32 v9, v13, v9, vcc
	v_mul_f32_e32 v13, 0x4f800000, v9
	v_cmp_gt_f32_e32 vcc, s12, v9
	s_nop 1
	v_cndmask_b32_e32 v9, v9, v13, vcc
	v_sqrt_f32_e32 v13, v9
	s_nop 0
	v_add_u32_e32 v8, -1, v13
	v_fma_f32 v12, -v8, v13, v9
	v_cmp_ge_f32_e64 s[2:3], 0, v12
	v_add_u32_e32 v12, 1, v13
	s_nop 0
	v_cndmask_b32_e64 v8, v13, v8, s[2:3]
	v_fma_f32 v13, -v12, v13, v9
	v_cmp_lt_f32_e64 s[2:3], 0, v13
	v_mul_f32_e32 v13, 0x4f800000, v1
	s_nop 0
	v_cndmask_b32_e64 v8, v8, v12, s[2:3]
	v_cmp_gt_f32_e64 s[2:3], s12, v1
	v_mul_f32_e32 v12, 0x37800000, v8
	v_cndmask_b32_e32 v8, v8, v12, vcc
	v_cndmask_b32_e64 v1, v1, v13, s[2:3]
	v_sqrt_f32_e32 v13, v1
	v_cmp_class_f32_e32 vcc, v9, v18
	v_add_u32_e32 v14, 1, v13
	s_nop 0
	v_cndmask_b32_e32 v9, v8, v9, vcc
	v_add_u32_e32 v8, -1, v13
	v_fma_f32 v12, -v8, v13, v1
	v_cmp_ge_f32_e32 vcc, 0, v12
	v_fma_f32 v15, -v14, v13, v1
	s_waitcnt vmcnt(0)
	v_mul_f32_e32 v12, 0x3fb8aa3b, v2
	v_cndmask_b32_e32 v8, v13, v8, vcc
	v_mul_f32_e32 v13, 0x3fb8aa3b, v3
	v_exp_f32_e32 v12, v12
	v_exp_f32_e32 v13, v13
	v_cmp_lt_f32_e32 vcc, 0, v15
	v_pk_add_f32 v[12:13], v[12:13], 1.0 op_sel_hi:[1,0]
	s_nop 0
	v_cndmask_b32_e32 v8, v8, v14, vcc
	v_mul_f32_e32 v14, 0x37800000, v8
	v_cmp_gt_f32_e32 vcc, s15, v13
	v_cndmask_b32_e64 v8, v8, v14, s[2:3]
	v_cmp_class_f32_e64 s[2:3], v1, v18
	v_cndmask_b32_e32 v14, 1.0, v4, vcc
	v_mul_f32_e32 v13, v13, v14
	v_log_f32_e32 v13, v13
	v_cndmask_b32_e64 v8, v8, v1, s[2:3]
	v_cmp_gt_f32_e64 s[2:3], s15, v12
	scratch_store_dwordx4 off, v[6:9], off
	v_mul_f32_e32 v1, 0x3f317217, v13
	v_cndmask_b32_e64 v4, 1.0, v4, s[2:3]
	v_mul_f32_e32 v4, v12, v4
	v_fma_f32 v1, v13, s13, -v1
	v_log_f32_e32 v4, v4
	v_fmac_f32_e32 v1, 0x3377d1cf, v13
	v_fmac_f32_e32 v1, 0x3f317217, v13
	v_cmp_lt_f32_e64 s[4:5], |v13|, s14
	v_cndmask_b32_e32 v6, 0, v11, vcc
	v_cmp_lt_f32_e64 vcc, |v4|, s14
	v_cndmask_b32_e64 v1, v13, v1, s[4:5]
	v_sub_f32_e32 v1, v1, v6
	v_mul_f32_e32 v6, 0x3f317217, v4
	v_fma_f32 v6, v4, s13, -v6
	v_fmac_f32_e32 v6, 0x3377d1cf, v4
	v_fmac_f32_e32 v6, 0x3f317217, v4
	v_cndmask_b32_e32 v4, v4, v6, vcc
	v_cmp_lt_f32_e32 vcc, s9, v3
	v_cndmask_b32_e64 v6, 0, v11, s[2:3]
	v_sub_f32_e32 v4, v4, v6
	v_cndmask_b32_e32 v1, v1, v3, vcc
	v_mul_f32_e32 v3, 0x4f800000, v1
	v_cmp_gt_f32_e32 vcc, s12, v1
	v_cmp_lt_f32_e64 s[2:3], s9, v2
	s_cselect_b64 s[4:5], -1, 0
	v_cndmask_b32_e32 v1, v1, v3, vcc
	v_sqrt_f32_e32 v3, v1
	v_cndmask_b32_e64 v2, v4, v2, s[2:3]
	s_cmp_lt_i32 s24, 1
	v_add_u32_e32 v4, -1, v3
	v_fma_f32 v6, -v4, v3, v1
	v_cmp_ge_f32_e64 s[2:3], 0, v6
	v_add_u32_e32 v6, 1, v3
	s_nop 0
	v_cndmask_b32_e64 v4, v3, v4, s[2:3]
	v_fma_f32 v3, -v6, v3, v1
	v_cmp_lt_f32_e64 s[2:3], 0, v3
	s_nop 1
	v_cndmask_b32_e64 v3, v4, v6, s[2:3]
	v_mul_f32_e32 v6, 0x4f800000, v2
	v_cmp_gt_f32_e64 s[2:3], s12, v2
	v_mul_f32_e32 v4, 0x37800000, v3
	v_cndmask_b32_e32 v3, v3, v4, vcc
	v_cndmask_b32_e64 v2, v2, v6, s[2:3]
	v_sqrt_f32_e32 v6, v2
	v_cmp_class_f32_e32 vcc, v1, v18
	s_nop 1
	v_cndmask_b32_e32 v3, v3, v1, vcc
	v_add_u32_e32 v1, -1, v6
	v_fma_f32 v4, -v1, v6, v2
	v_cmp_ge_f32_e32 vcc, 0, v4
	v_add_u32_e32 v4, 1, v6
	s_nop 0
	v_cndmask_b32_e32 v1, v6, v1, vcc
	v_fma_f32 v6, -v4, v6, v2
	v_cmp_lt_f32_e32 vcc, 0, v6
	s_nop 1
	v_cndmask_b32_e32 v1, v1, v4, vcc
	v_mul_f32_e32 v4, 0x37800000, v1
	v_cndmask_b32_e64 v1, v1, v4, s[2:3]
	v_cmp_class_f32_e32 vcc, v2, v18
	s_nop 1
	v_cndmask_b32_e32 v2, v1, v2, vcc
	scratch_store_dwordx2 off, v[2:3], off offset:16
	v_lshl_add_u64 v[2:3], v[16:17], 2, s[10:11]
	s_cbranch_scc1 .LBB48_28
; %bb.2:
	s_load_dwordx2 s[6:7], s[0:1], 0x20
	s_cmp_lt_u32 s24, 4
	s_cbranch_scc1 .LBB48_21
; %bb.3:
	s_mov_b32 s11, 0
	s_and_b32 s8, s24, 0x7ffffffc
	v_ashrrev_i32_e32 v1, 31, v0
	v_mov_b32_e32 v5, 0
	s_mov_b32 s10, s11
	s_branch .LBB48_5
.LBB48_4:                               ;   in Loop: Header=BB48_5 Depth=1
	s_or_b64 exec, exec, s[12:13]
	s_add_i32 s10, s10, 4
	s_cmp_eq_u32 s10, s8
	s_cbranch_scc1 .LBB48_21
.LBB48_5:                               ; =>This Loop Header: Depth=1
                                        ;     Child Loop BB48_7 Depth 2
                                        ;     Child Loop BB48_11 Depth 2
	;; [unrolled: 1-line block ×4, first 2 shown]
	v_lshl_add_u64 v[6:7], s[10:11], 2, v[2:3]
	global_load_dword v4, v[6:7], off
	v_add_u32_e32 v8, s10, v0
	v_ashrrev_i32_e32 v9, 31, v8
	s_waitcnt lgkmcnt(0)
	v_lshl_add_u64 v[8:9], v[8:9], 2, s[6:7]
	v_mov_b32_e32 v11, 0
	s_mov_b64 s[12:13], 0
	s_mov_b32 s9, 0
	s_mov_b32 s16, 0
	s_branch .LBB48_7
.LBB48_6:                               ;   in Loop: Header=BB48_7 Depth=2
	s_or_b64 exec, exec, s[14:15]
	s_add_i32 s17, s16, 1
	s_cmp_gt_u32 s16, 4
	s_cselect_b64 s[2:3], -1, 0
	s_xor_b64 s[14:15], vcc, -1
	s_or_b64 s[2:3], s[14:15], s[2:3]
	s_add_i32 s9, s9, 64
	s_and_b64 s[2:3], exec, s[2:3]
	v_add_u32_e32 v11, 4, v11
	s_or_b64 s[12:13], s[2:3], s[12:13]
	s_mov_b32 s16, s17
	s_andn2_b64 exec, exec, s[12:13]
	s_cbranch_execz .LBB48_9
.LBB48_7:                               ;   Parent Loop BB48_5 Depth=1
                                        ; =>  This Inner Loop Header: Depth=2
	s_and_b32 s2, s16, 1
	s_and_b32 s3, s9, 0x180
	s_or_b32 s2, s2, s3
	v_or_b32_e32 v12, s2, v10
	s_waitcnt vmcnt(0)
	v_cmp_ne_u32_e32 vcc, v4, v12
	v_cmp_eq_u32_e64 s[2:3], v4, v12
	s_and_saveexec_b64 s[14:15], s[2:3]
	s_cbranch_execz .LBB48_6
; %bb.8:                                ;   in Loop: Header=BB48_7 Depth=2
	scratch_load_dword v12, v11, off
	s_waitcnt vmcnt(0)
	v_add_f32_e32 v5, v5, v12
	global_store_dword v[8:9], v4, off
	s_branch .LBB48_6
.LBB48_9:                               ;   in Loop: Header=BB48_5 Depth=1
	s_or_b64 exec, exec, s[12:13]
	global_load_dword v4, v[6:7], off offset:4
	s_ashr_i32 s3, s10, 31
	s_mov_b32 s2, s10
	v_lshl_add_u64 v[8:9], s[2:3], 0, v[0:1]
	v_lshl_add_u64 v[8:9], v[8:9], 2, s[6:7]
	v_mov_b32_e32 v11, 0
	s_mov_b32 s9, 0
	s_mov_b64 s[12:13], 0
	s_mov_b32 s16, 0
	s_branch .LBB48_11
.LBB48_10:                              ;   in Loop: Header=BB48_11 Depth=2
	s_or_b64 exec, exec, s[14:15]
	s_add_i32 s17, s16, 1
	s_cmp_gt_u32 s16, 4
	s_cselect_b64 s[2:3], -1, 0
	s_xor_b64 s[14:15], vcc, -1
	s_or_b64 s[2:3], s[14:15], s[2:3]
	s_add_i32 s9, s9, 64
	s_and_b64 s[2:3], exec, s[2:3]
	v_add_u32_e32 v11, 4, v11
	s_or_b64 s[12:13], s[2:3], s[12:13]
	s_mov_b32 s16, s17
	s_andn2_b64 exec, exec, s[12:13]
	s_cbranch_execz .LBB48_13
.LBB48_11:                              ;   Parent Loop BB48_5 Depth=1
                                        ; =>  This Inner Loop Header: Depth=2
	s_and_b32 s2, s16, 1
	s_and_b32 s3, s9, 0x180
	s_or_b32 s2, s2, s3
	v_or_b32_e32 v12, s2, v10
	s_waitcnt vmcnt(0)
	v_cmp_ne_u32_e32 vcc, v4, v12
	v_cmp_eq_u32_e64 s[2:3], v4, v12
	s_and_saveexec_b64 s[14:15], s[2:3]
	s_cbranch_execz .LBB48_10
; %bb.12:                               ;   in Loop: Header=BB48_11 Depth=2
	scratch_load_dword v12, v11, off
	s_waitcnt vmcnt(0)
	v_add_f32_e32 v5, v5, v12
	global_store_dword v[8:9], v4, off offset:4
	s_branch .LBB48_10
.LBB48_13:                              ;   in Loop: Header=BB48_5 Depth=1
	s_or_b64 exec, exec, s[12:13]
	global_load_dword v4, v[6:7], off offset:8
	v_mov_b32_e32 v11, 0
	s_mov_b32 s9, 0
	s_mov_b64 s[12:13], 0
	s_mov_b32 s16, 0
	s_branch .LBB48_15
.LBB48_14:                              ;   in Loop: Header=BB48_15 Depth=2
	s_or_b64 exec, exec, s[14:15]
	s_add_i32 s17, s16, 1
	s_cmp_gt_u32 s16, 4
	s_cselect_b64 s[2:3], -1, 0
	s_xor_b64 s[14:15], vcc, -1
	s_or_b64 s[2:3], s[14:15], s[2:3]
	s_add_i32 s9, s9, 64
	s_and_b64 s[2:3], exec, s[2:3]
	v_add_u32_e32 v11, 4, v11
	s_or_b64 s[12:13], s[2:3], s[12:13]
	s_mov_b32 s16, s17
	s_andn2_b64 exec, exec, s[12:13]
	s_cbranch_execz .LBB48_17
.LBB48_15:                              ;   Parent Loop BB48_5 Depth=1
                                        ; =>  This Inner Loop Header: Depth=2
	s_and_b32 s2, s16, 1
	s_and_b32 s3, s9, 0x180
	s_or_b32 s2, s2, s3
	v_or_b32_e32 v12, s2, v10
	s_waitcnt vmcnt(0)
	v_cmp_ne_u32_e32 vcc, v4, v12
	v_cmp_eq_u32_e64 s[2:3], v4, v12
	s_and_saveexec_b64 s[14:15], s[2:3]
	s_cbranch_execz .LBB48_14
; %bb.16:                               ;   in Loop: Header=BB48_15 Depth=2
	scratch_load_dword v12, v11, off
	s_waitcnt vmcnt(0)
	v_add_f32_e32 v5, v5, v12
	global_store_dword v[8:9], v4, off offset:8
	s_branch .LBB48_14
.LBB48_17:                              ;   in Loop: Header=BB48_5 Depth=1
	s_or_b64 exec, exec, s[12:13]
	global_load_dword v4, v[6:7], off offset:12
	v_mov_b32_e32 v6, 0
	s_mov_b32 s9, 0
	s_mov_b64 s[12:13], 0
	s_mov_b32 s16, 0
	s_branch .LBB48_19
.LBB48_18:                              ;   in Loop: Header=BB48_19 Depth=2
	s_or_b64 exec, exec, s[14:15]
	s_add_i32 s17, s16, 1
	s_cmp_gt_u32 s16, 4
	s_cselect_b64 s[2:3], -1, 0
	s_xor_b64 s[14:15], vcc, -1
	s_or_b64 s[2:3], s[14:15], s[2:3]
	s_add_i32 s9, s9, 64
	s_and_b64 s[2:3], exec, s[2:3]
	v_add_u32_e32 v6, 4, v6
	s_or_b64 s[12:13], s[2:3], s[12:13]
	s_mov_b32 s16, s17
	s_andn2_b64 exec, exec, s[12:13]
	s_cbranch_execz .LBB48_4
.LBB48_19:                              ;   Parent Loop BB48_5 Depth=1
                                        ; =>  This Inner Loop Header: Depth=2
	s_and_b32 s2, s16, 1
	s_and_b32 s3, s9, 0x180
	s_or_b32 s2, s2, s3
	v_or_b32_e32 v7, s2, v10
	s_waitcnt vmcnt(0)
	v_cmp_ne_u32_e32 vcc, v4, v7
	v_cmp_eq_u32_e64 s[2:3], v4, v7
	s_and_saveexec_b64 s[14:15], s[2:3]
	s_cbranch_execz .LBB48_18
; %bb.20:                               ;   in Loop: Header=BB48_19 Depth=2
	scratch_load_dword v7, v6, off
	s_waitcnt vmcnt(0)
	v_add_f32_e32 v5, v5, v7
	global_store_dword v[8:9], v4, off offset:12
	s_branch .LBB48_18
.LBB48_21:
	s_and_b32 s14, s24, 3
	s_cmp_eq_u32 s14, 0
	s_mov_b32 s9, 0
	s_cbranch_scc1 .LBB48_28
; %bb.22:
	s_mov_b32 s15, s9
	s_branch .LBB48_24
.LBB48_23:                              ;   in Loop: Header=BB48_24 Depth=1
	s_or_b64 exec, exec, s[10:11]
	s_add_i32 s8, s8, 1
	s_add_i32 s15, s15, 1
	s_cmp_lg_u32 s15, s14
	s_cbranch_scc0 .LBB48_28
.LBB48_24:                              ; =>This Loop Header: Depth=1
                                        ;     Child Loop BB48_26 Depth 2
	v_lshl_add_u64 v[6:7], s[8:9], 2, v[2:3]
	global_load_dword v1, v[6:7], off
	v_add_u32_e32 v6, s8, v0
	v_ashrrev_i32_e32 v7, 31, v6
	s_waitcnt lgkmcnt(0)
	v_lshl_add_u64 v[6:7], v[6:7], 2, s[6:7]
	v_mov_b32_e32 v4, 0
	s_mov_b32 s16, 0
	s_mov_b64 s[10:11], 0
	s_mov_b32 s17, 0
	s_branch .LBB48_26
.LBB48_25:                              ;   in Loop: Header=BB48_26 Depth=2
	s_or_b64 exec, exec, s[12:13]
	s_add_i32 s18, s17, 1
	s_cmp_gt_u32 s17, 4
	s_cselect_b64 s[2:3], -1, 0
	s_xor_b64 s[12:13], vcc, -1
	s_or_b64 s[2:3], s[12:13], s[2:3]
	s_add_i32 s16, s16, 64
	s_and_b64 s[2:3], exec, s[2:3]
	v_add_u32_e32 v4, 4, v4
	s_or_b64 s[10:11], s[2:3], s[10:11]
	s_mov_b32 s17, s18
	s_andn2_b64 exec, exec, s[10:11]
	s_cbranch_execz .LBB48_23
.LBB48_26:                              ;   Parent Loop BB48_24 Depth=1
                                        ; =>  This Inner Loop Header: Depth=2
	s_and_b32 s2, s17, 1
	s_and_b32 s3, s16, 0x180
	s_or_b32 s2, s2, s3
	v_or_b32_e32 v8, s2, v10
	s_waitcnt vmcnt(0)
	v_cmp_ne_u32_e32 vcc, v1, v8
	v_cmp_eq_u32_e64 s[2:3], v1, v8
	s_and_saveexec_b64 s[12:13], s[2:3]
	s_cbranch_execz .LBB48_25
; %bb.27:                               ;   in Loop: Header=BB48_26 Depth=2
	scratch_load_dword v8, v4, off
	s_waitcnt vmcnt(0)
	v_add_f32_e32 v5, v5, v8
	global_store_dword v[6:7], v1, off
	s_branch .LBB48_25
.LBB48_28:
	s_waitcnt lgkmcnt(0)
	s_load_dword s6, s[0:1], 0x3c
	s_waitcnt lgkmcnt(0)
	s_bitcmp1_b32 s6, 0
	s_cselect_b64 s[2:3], -1, 0
	s_bitcmp0_b32 s6, 0
	s_cbranch_scc0 .LBB48_32
; %bb.29:
	s_load_dwordx2 s[6:7], s[0:1], 0x40
	s_andn2_b64 vcc, exec, s[2:3]
	s_waitcnt lgkmcnt(0)
	v_cvt_f32_f64_e32 v8, s[6:7]
	s_cbranch_vccz .LBB48_33
.LBB48_30:
	s_andn2_b64 vcc, exec, s[4:5]
	s_cbranch_vccz .LBB48_34
.LBB48_31:
	s_endpgm
.LBB48_32:
	v_mbcnt_lo_u32_b32 v1, -1, 0
	v_mbcnt_hi_u32_b32 v1, -1, v1
	v_and_b32_e32 v4, 64, v1
	v_add_u32_e32 v4, 64, v4
	v_xor_b32_e32 v6, 32, v1
	v_cmp_lt_i32_e32 vcc, v6, v4
	v_xor_b32_e32 v7, 16, v1
	s_nop 0
	v_cndmask_b32_e32 v6, v1, v6, vcc
	v_lshlrev_b32_e32 v6, 2, v6
	ds_bpermute_b32 v6, v6, v5
	v_cmp_lt_i32_e32 vcc, v7, v4
	s_waitcnt lgkmcnt(0)
	v_add_f32_e32 v5, v5, v6
	v_cndmask_b32_e32 v6, v1, v7, vcc
	v_lshlrev_b32_e32 v6, 2, v6
	ds_bpermute_b32 v6, v6, v5
	v_xor_b32_e32 v7, 8, v1
	v_cmp_lt_i32_e32 vcc, v7, v4
	s_waitcnt lgkmcnt(0)
	v_add_f32_e32 v5, v5, v6
	v_cndmask_b32_e32 v6, v1, v7, vcc
	v_lshlrev_b32_e32 v6, 2, v6
	ds_bpermute_b32 v6, v6, v5
	v_xor_b32_e32 v7, 4, v1
	;; [unrolled: 7-line block ×4, first 2 shown]
	v_cmp_lt_i32_e32 vcc, v7, v4
	s_waitcnt lgkmcnt(0)
	v_add_f32_e32 v5, v5, v6
	v_cndmask_b32_e32 v1, v1, v7, vcc
	v_lshlrev_b32_e32 v1, 2, v1
	ds_bpermute_b32 v1, v1, v5
	s_waitcnt lgkmcnt(0)
	v_add_f32_e32 v5, v5, v1
	s_load_dwordx2 s[6:7], s[0:1], 0x40
	s_andn2_b64 vcc, exec, s[2:3]
	s_waitcnt lgkmcnt(0)
	v_cvt_f32_f64_e32 v8, s[6:7]
	s_cbranch_vccnz .LBB48_30
.LBB48_33:
	v_cmp_lt_f32_e32 vcc, 0, v5
	s_nop 1
	v_cndmask_b32_e32 v1, 1.0, v5, vcc
	v_div_scale_f32 v4, s[2:3], v1, v1, v8
	v_rcp_f32_e32 v5, v4
	s_nop 0
	v_fma_f32 v6, -v4, v5, 1.0
	v_fmac_f32_e32 v5, v6, v5
	v_div_scale_f32 v6, vcc, v8, v1, v8
	v_mul_f32_e32 v7, v6, v5
	v_fma_f32 v9, -v4, v7, v6
	v_fmac_f32_e32 v7, v9, v5
	v_fma_f32 v4, -v4, v7, v6
	v_div_fmas_f32 v4, v4, v5, v7
	v_div_fixup_f32 v8, v4, v1, v8
	s_andn2_b64 vcc, exec, s[4:5]
	s_cbranch_vccnz .LBB48_31
.LBB48_34:
	s_load_dwordx2 s[8:9], s[0:1], 0x10
	v_mov_b32_e32 v1, 0
	v_or_b32_e32 v16, 4, v1
	v_or_b32_e32 v14, 8, v1
	;; [unrolled: 1-line block ×3, first 2 shown]
	v_add_u32_e32 v9, 16, v1
	v_add_u32_e32 v11, 20, v1
	v_or_b32_e32 v19, 1, v10
	v_or_b32_e32 v18, 0x80, v10
	;; [unrolled: 1-line block ×5, first 2 shown]
	s_cmp_eq_u32 s24, 1
	s_mov_b32 s10, 0
	s_cbranch_scc1 .LBB48_61
; %bb.35:
	v_ashrrev_i32_e32 v1, 31, v0
	s_waitcnt lgkmcnt(0)
	v_lshl_add_u64 v[4:5], v[0:1], 2, s[8:9]
	s_and_b32 s10, s24, 0x7ffffffe
	v_lshl_add_u64 v[4:5], v[4:5], 0, 4
	v_lshl_add_u64 v[6:7], v[2:3], 0, 4
	s_mov_b32 s11, 0
	s_branch .LBB48_37
.LBB48_36:                              ;   in Loop: Header=BB48_37 Depth=1
	s_or_b64 exec, exec, s[0:1]
	s_add_i32 s11, s11, 2
	v_lshl_add_u64 v[4:5], v[4:5], 0, 8
	s_cmp_eq_u32 s10, s11
	v_lshl_add_u64 v[6:7], v[6:7], 0, 8
	s_cbranch_scc1 .LBB48_61
.LBB48_37:                              ; =>This Inner Loop Header: Depth=1
	global_load_dword v20, v[6:7], off offset:-4
	v_mov_b32_e32 v1, 0
	s_waitcnt vmcnt(0)
	v_cmp_eq_u32_e32 vcc, v20, v10
	v_cmp_ne_u32_e64 s[0:1], v20, v10
	s_and_saveexec_b64 s[12:13], s[0:1]
	s_cbranch_execz .LBB48_47
; %bb.38:                               ;   in Loop: Header=BB48_37 Depth=1
	v_cmp_eq_u32_e64 s[0:1], v20, v19
	v_cmp_ne_u32_e64 s[2:3], v20, v19
	v_mov_b32_e32 v1, v16
	s_and_saveexec_b64 s[14:15], s[2:3]
	s_cbranch_execz .LBB48_46
; %bb.39:                               ;   in Loop: Header=BB48_37 Depth=1
	v_cmp_eq_u32_e64 s[2:3], v20, v18
	v_cmp_ne_u32_e64 s[4:5], v20, v18
	v_mov_b32_e32 v1, v14
	;; [unrolled: 6-line block ×4, first 2 shown]
	s_and_saveexec_b64 s[22:23], s[6:7]
	s_xor_b64 s[22:23], exec, s[22:23]
; %bb.42:                               ;   in Loop: Header=BB48_37 Depth=1
	v_cmp_eq_u32_e64 s[6:7], v20, v13
	s_andn2_b64 s[20:21], s[20:21], exec
	s_and_b64 s[6:7], s[6:7], exec
	s_or_b64 s[20:21], s[20:21], s[6:7]
	v_mov_b32_e32 v1, v11
; %bb.43:                               ;   in Loop: Header=BB48_37 Depth=1
	s_or_b64 exec, exec, s[22:23]
	s_andn2_b64 s[4:5], s[4:5], exec
	s_and_b64 s[6:7], s[20:21], exec
	s_or_b64 s[4:5], s[4:5], s[6:7]
.LBB48_44:                              ;   in Loop: Header=BB48_37 Depth=1
	s_or_b64 exec, exec, s[18:19]
	s_andn2_b64 s[2:3], s[2:3], exec
	s_and_b64 s[4:5], s[4:5], exec
	s_or_b64 s[2:3], s[2:3], s[4:5]
.LBB48_45:                              ;   in Loop: Header=BB48_37 Depth=1
	s_or_b64 exec, exec, s[16:17]
	s_andn2_b64 s[0:1], s[0:1], exec
	s_and_b64 s[2:3], s[2:3], exec
	s_or_b64 s[0:1], s[0:1], s[2:3]
.LBB48_46:                              ;   in Loop: Header=BB48_37 Depth=1
	s_or_b64 exec, exec, s[14:15]
	s_andn2_b64 s[2:3], vcc, exec
	s_and_b64 s[0:1], s[0:1], exec
	s_or_b64 vcc, s[2:3], s[0:1]
.LBB48_47:                              ;   in Loop: Header=BB48_37 Depth=1
	s_or_b64 exec, exec, s[12:13]
	s_and_saveexec_b64 s[0:1], vcc
	s_cbranch_execz .LBB48_49
; %bb.48:                               ;   in Loop: Header=BB48_37 Depth=1
	scratch_load_dword v1, v1, off
	v_add_u32_e32 v20, s11, v0
	v_ashrrev_i32_e32 v21, 31, v20
	v_lshl_add_u64 v[20:21], v[20:21], 2, s[8:9]
	s_waitcnt vmcnt(0)
	v_mul_f32_e32 v1, v8, v1
	global_store_dword v[20:21], v1, off
.LBB48_49:                              ;   in Loop: Header=BB48_37 Depth=1
	s_or_b64 exec, exec, s[0:1]
	global_load_dword v20, v[6:7], off
	v_mov_b32_e32 v1, 0
	s_waitcnt vmcnt(0)
	v_cmp_eq_u32_e64 s[4:5], v20, v10
	v_cmp_ne_u32_e32 vcc, v20, v10
	s_and_saveexec_b64 s[6:7], vcc
	s_cbranch_execz .LBB48_59
; %bb.50:                               ;   in Loop: Header=BB48_37 Depth=1
	v_cmp_eq_u32_e32 vcc, v20, v19
	v_cmp_ne_u32_e64 s[0:1], v20, v19
	v_mov_b32_e32 v1, v16
	s_and_saveexec_b64 s[12:13], s[0:1]
	s_cbranch_execz .LBB48_58
; %bb.51:                               ;   in Loop: Header=BB48_37 Depth=1
	v_cmp_eq_u32_e64 s[0:1], v20, v18
	v_cmp_ne_u32_e64 s[2:3], v20, v18
	v_mov_b32_e32 v1, v14
	s_and_saveexec_b64 s[14:15], s[2:3]
	s_cbranch_execz .LBB48_57
; %bb.52:                               ;   in Loop: Header=BB48_37 Depth=1
	v_cmp_eq_u32_e64 s[16:17], v20, v17
	;; [unrolled: 6-line block ×3, first 2 shown]
	v_cmp_ne_u32_e64 s[2:3], v20, v15
	v_mov_b32_e32 v1, v9
	s_and_saveexec_b64 s[22:23], s[2:3]
; %bb.54:                               ;   in Loop: Header=BB48_37 Depth=1
	v_cmp_eq_u32_e64 s[2:3], v20, v13
	s_andn2_b64 s[20:21], s[20:21], exec
	s_and_b64 s[2:3], s[2:3], exec
	s_or_b64 s[20:21], s[20:21], s[2:3]
	v_mov_b32_e32 v1, v11
; %bb.55:                               ;   in Loop: Header=BB48_37 Depth=1
	s_or_b64 exec, exec, s[22:23]
	s_andn2_b64 s[2:3], s[16:17], exec
	s_and_b64 s[16:17], s[20:21], exec
	s_or_b64 s[16:17], s[2:3], s[16:17]
.LBB48_56:                              ;   in Loop: Header=BB48_37 Depth=1
	s_or_b64 exec, exec, s[18:19]
	s_andn2_b64 s[0:1], s[0:1], exec
	s_and_b64 s[2:3], s[16:17], exec
	s_or_b64 s[0:1], s[0:1], s[2:3]
.LBB48_57:                              ;   in Loop: Header=BB48_37 Depth=1
	s_or_b64 exec, exec, s[14:15]
	s_andn2_b64 s[2:3], vcc, exec
	s_and_b64 s[0:1], s[0:1], exec
	s_or_b64 vcc, s[2:3], s[0:1]
.LBB48_58:                              ;   in Loop: Header=BB48_37 Depth=1
	s_or_b64 exec, exec, s[12:13]
	s_andn2_b64 s[0:1], s[4:5], exec
	s_and_b64 s[2:3], vcc, exec
	s_or_b64 s[4:5], s[0:1], s[2:3]
.LBB48_59:                              ;   in Loop: Header=BB48_37 Depth=1
	s_or_b64 exec, exec, s[6:7]
	s_and_saveexec_b64 s[0:1], s[4:5]
	s_cbranch_execz .LBB48_36
; %bb.60:                               ;   in Loop: Header=BB48_37 Depth=1
	scratch_load_dword v1, v1, off
	s_waitcnt vmcnt(0)
	v_mul_f32_e32 v1, v8, v1
	global_store_dword v[4:5], v1, off
	s_branch .LBB48_36
.LBB48_61:
	s_bitcmp0_b32 s24, 0
	s_mov_b32 s11, 0
	s_cbranch_scc1 .LBB48_31
; %bb.62:
	v_lshl_add_u64 v[2:3], s[10:11], 2, v[2:3]
	global_load_dword v1, v[2:3], off
	v_mov_b32_e32 v2, 0
	s_waitcnt vmcnt(0)
	v_cmp_eq_u32_e64 s[4:5], v1, v10
	v_cmp_ne_u32_e32 vcc, v1, v10
	s_and_saveexec_b64 s[6:7], vcc
	s_cbranch_execz .LBB48_72
; %bb.63:
	v_cmp_eq_u32_e32 vcc, v1, v19
	v_cmp_ne_u32_e64 s[0:1], v1, v19
	s_and_saveexec_b64 s[12:13], s[0:1]
	s_cbranch_execz .LBB48_71
; %bb.64:
	v_cmp_eq_u32_e64 s[0:1], v1, v18
	v_cmp_ne_u32_e64 s[2:3], v1, v18
	s_and_saveexec_b64 s[14:15], s[2:3]
	s_cbranch_execz .LBB48_70
; %bb.65:
	v_cmp_eq_u32_e64 s[16:17], v1, v17
	;; [unrolled: 5-line block ×3, first 2 shown]
	v_cmp_ne_u32_e64 s[2:3], v1, v15
	s_and_saveexec_b64 s[22:23], s[2:3]
; %bb.67:
	v_cmp_eq_u32_e64 s[2:3], v1, v13
	s_andn2_b64 s[20:21], s[20:21], exec
	s_and_b64 s[2:3], s[2:3], exec
	s_or_b64 s[20:21], s[20:21], s[2:3]
	v_mov_b32_e32 v9, v11
; %bb.68:
	s_or_b64 exec, exec, s[22:23]
	s_andn2_b64 s[2:3], s[16:17], exec
	s_and_b64 s[16:17], s[20:21], exec
	s_or_b64 s[16:17], s[2:3], s[16:17]
	v_mov_b32_e32 v12, v9
.LBB48_69:
	s_or_b64 exec, exec, s[18:19]
	s_andn2_b64 s[0:1], s[0:1], exec
	s_and_b64 s[2:3], s[16:17], exec
	s_or_b64 s[0:1], s[0:1], s[2:3]
	v_mov_b32_e32 v14, v12
.LBB48_70:
	s_or_b64 exec, exec, s[14:15]
	s_andn2_b64 s[2:3], vcc, exec
	s_and_b64 s[0:1], s[0:1], exec
	s_or_b64 vcc, s[2:3], s[0:1]
	v_mov_b32_e32 v16, v14
.LBB48_71:
	s_or_b64 exec, exec, s[12:13]
	s_andn2_b64 s[0:1], s[4:5], exec
	s_and_b64 s[2:3], vcc, exec
	s_or_b64 s[4:5], s[0:1], s[2:3]
	v_mov_b32_e32 v2, v16
.LBB48_72:
	s_or_b64 exec, exec, s[6:7]
	s_and_b64 exec, exec, s[4:5]
	s_cbranch_execz .LBB48_31
; %bb.73:
	scratch_load_dword v2, v2, off
	v_add_u32_e32 v0, s10, v0
	v_ashrrev_i32_e32 v1, 31, v0
	s_waitcnt lgkmcnt(0)
	v_lshl_add_u64 v[0:1], v[0:1], 2, s[8:9]
	s_waitcnt vmcnt(0)
	v_mul_f32_e32 v2, v8, v2
	global_store_dword v[0:1], v2, off
	s_endpgm
	.section	.rodata,"a",@progbits
	.p2align	6, 0x0
	.amdhsa_kernel _ZN4vllm3moe22topkGatingSoftplusSqrtILi6ELi384ELi4ELi8ELi64ELb1EifEEvPKT6_PKbPfiPT5_PiiiibdPKfPKS8_SE_
		.amdhsa_group_segment_fixed_size 0
		.amdhsa_private_segment_fixed_size 32
		.amdhsa_kernarg_size 96
		.amdhsa_user_sgpr_count 2
		.amdhsa_user_sgpr_dispatch_ptr 0
		.amdhsa_user_sgpr_queue_ptr 0
		.amdhsa_user_sgpr_kernarg_segment_ptr 1
		.amdhsa_user_sgpr_dispatch_id 0
		.amdhsa_user_sgpr_kernarg_preload_length 0
		.amdhsa_user_sgpr_kernarg_preload_offset 0
		.amdhsa_user_sgpr_private_segment_size 0
		.amdhsa_uses_dynamic_stack 0
		.amdhsa_enable_private_segment 1
		.amdhsa_system_sgpr_workgroup_id_x 1
		.amdhsa_system_sgpr_workgroup_id_y 0
		.amdhsa_system_sgpr_workgroup_id_z 0
		.amdhsa_system_sgpr_workgroup_info 0
		.amdhsa_system_vgpr_workitem_id 1
		.amdhsa_next_free_vgpr 27
		.amdhsa_next_free_sgpr 25
		.amdhsa_accum_offset 28
		.amdhsa_reserve_vcc 1
		.amdhsa_float_round_mode_32 0
		.amdhsa_float_round_mode_16_64 0
		.amdhsa_float_denorm_mode_32 3
		.amdhsa_float_denorm_mode_16_64 3
		.amdhsa_dx10_clamp 1
		.amdhsa_ieee_mode 1
		.amdhsa_fp16_overflow 0
		.amdhsa_tg_split 0
		.amdhsa_exception_fp_ieee_invalid_op 0
		.amdhsa_exception_fp_denorm_src 0
		.amdhsa_exception_fp_ieee_div_zero 0
		.amdhsa_exception_fp_ieee_overflow 0
		.amdhsa_exception_fp_ieee_underflow 0
		.amdhsa_exception_fp_ieee_inexact 0
		.amdhsa_exception_int_div_zero 0
	.end_amdhsa_kernel
	.section	.text._ZN4vllm3moe22topkGatingSoftplusSqrtILi6ELi384ELi4ELi8ELi64ELb1EifEEvPKT6_PKbPfiPT5_PiiiibdPKfPKS8_SE_,"axG",@progbits,_ZN4vllm3moe22topkGatingSoftplusSqrtILi6ELi384ELi4ELi8ELi64ELb1EifEEvPKT6_PKbPfiPT5_PiiiibdPKfPKS8_SE_,comdat
.Lfunc_end48:
	.size	_ZN4vllm3moe22topkGatingSoftplusSqrtILi6ELi384ELi4ELi8ELi64ELb1EifEEvPKT6_PKbPfiPT5_PiiiibdPKfPKS8_SE_, .Lfunc_end48-_ZN4vllm3moe22topkGatingSoftplusSqrtILi6ELi384ELi4ELi8ELi64ELb1EifEEvPKT6_PKbPfiPT5_PiiiibdPKfPKS8_SE_
                                        ; -- End function
	.section	.AMDGPU.csdata,"",@progbits
; Kernel info:
; codeLenInByte = 3984
; NumSgprs: 31
; NumVgprs: 27
; NumAgprs: 0
; TotalNumVgprs: 27
; ScratchSize: 32
; MemoryBound: 0
; FloatMode: 240
; IeeeMode: 1
; LDSByteSize: 0 bytes/workgroup (compile time only)
; SGPRBlocks: 3
; VGPRBlocks: 3
; NumSGPRsForWavesPerEU: 31
; NumVGPRsForWavesPerEU: 27
; AccumOffset: 28
; Occupancy: 8
; WaveLimiterHint : 1
; COMPUTE_PGM_RSRC2:SCRATCH_EN: 1
; COMPUTE_PGM_RSRC2:USER_SGPR: 2
; COMPUTE_PGM_RSRC2:TRAP_HANDLER: 0
; COMPUTE_PGM_RSRC2:TGID_X_EN: 1
; COMPUTE_PGM_RSRC2:TGID_Y_EN: 0
; COMPUTE_PGM_RSRC2:TGID_Z_EN: 0
; COMPUTE_PGM_RSRC2:TIDIG_COMP_CNT: 1
; COMPUTE_PGM_RSRC3_GFX90A:ACCUM_OFFSET: 6
; COMPUTE_PGM_RSRC3_GFX90A:TG_SPLIT: 0
	.section	.text._ZN4vllm3moe22topkGatingSoftplusSqrtILi6ELi384ELi4ELi8ELi64ELb0EifEEvPKT6_PKbPfiPT5_PiiiibdPKfPKS8_SE_,"axG",@progbits,_ZN4vllm3moe22topkGatingSoftplusSqrtILi6ELi384ELi4ELi8ELi64ELb0EifEEvPKT6_PKbPfiPT5_PiiiibdPKfPKS8_SE_,comdat
	.protected	_ZN4vllm3moe22topkGatingSoftplusSqrtILi6ELi384ELi4ELi8ELi64ELb0EifEEvPKT6_PKbPfiPT5_PiiiibdPKfPKS8_SE_ ; -- Begin function _ZN4vllm3moe22topkGatingSoftplusSqrtILi6ELi384ELi4ELi8ELi64ELb0EifEEvPKT6_PKbPfiPT5_PiiiibdPKfPKS8_SE_
	.globl	_ZN4vllm3moe22topkGatingSoftplusSqrtILi6ELi384ELi4ELi8ELi64ELb0EifEEvPKT6_PKbPfiPT5_PiiiibdPKfPKS8_SE_
	.p2align	8
	.type	_ZN4vllm3moe22topkGatingSoftplusSqrtILi6ELi384ELi4ELi8ELi64ELb0EifEEvPKT6_PKbPfiPT5_PiiiibdPKfPKS8_SE_,@function
_ZN4vllm3moe22topkGatingSoftplusSqrtILi6ELi384ELi4ELi8ELi64ELb0EifEEvPKT6_PKbPfiPT5_PiiiibdPKfPKS8_SE_: ; @_ZN4vllm3moe22topkGatingSoftplusSqrtILi6ELi384ELi4ELi8ELi64ELb0EifEEvPKT6_PKbPfiPT5_PiiiibdPKfPKS8_SE_
; %bb.0:
	s_load_dword s30, s[0:1], 0x18
	v_and_b32_e32 v1, 0x3ff, v0
	s_lshl_b32 s2, s2, 2
	v_lshrrev_b32_e32 v2, 6, v1
	v_bfe_u32 v0, v0, 10, 10
	v_add3_u32 v6, s2, v0, v2
	s_waitcnt lgkmcnt(0)
	v_cmp_gt_i32_e32 vcc, s30, v6
	s_and_saveexec_b64 s[2:3], vcc
	s_cbranch_execz .LBB49_65
; %bb.1:
	s_load_dwordx4 s[4:7], s[0:1], 0x0
	s_load_dwordx2 s[20:21], s[0:1], 0x10
	s_waitcnt lgkmcnt(0)
	s_cmp_eq_u64 s[6:7], 0
	s_cbranch_scc1 .LBB49_3
; %bb.2:
	v_ashrrev_i32_e32 v7, 31, v6
	v_lshl_add_u64 v[2:3], s[6:7], 0, v[6:7]
	global_load_ubyte v0, v[2:3], off
	s_waitcnt vmcnt(0)
	v_and_b32_e32 v0, 1, v0
	v_cmp_eq_u32_e32 vcc, 1, v0
	s_xor_b64 s[2:3], vcc, -1
	s_orn2_b64 s[22:23], s[2:3], exec
	s_branch .LBB49_4
.LBB49_3:
	s_mov_b64 s[22:23], -1
.LBB49_4:
	s_movk_i32 s2, 0x180
	v_mul_lo_u32 v4, v6, s2
	v_mov_b32_e32 v2, s4
	v_mov_b32_e32 v3, s5
	v_ashrrev_i32_e32 v5, 31, v4
	v_and_b32_e32 v7, 63, v1
	v_lshl_add_u64 v[2:3], v[4:5], 2, v[2:3]
	v_mov_b32_e32 v1, 0
	v_lshlrev_b32_e32 v0, 3, v7
	v_lshl_add_u64 v[8:9], v[2:3], 0, v[0:1]
	global_load_dwordx2 v[0:1], v[8:9], off
	global_load_dwordx2 v[2:3], v[8:9], off offset:512
	global_load_dwordx2 v[4:5], v[8:9], off offset:1024
	s_mov_b32 s16, 0x800000
	v_mov_b32_e32 v12, 0x4f800000
	s_mov_b32 s13, 0x3f317217
	s_mov_b32 s14, 0x7f800000
	v_mov_b32_e32 v11, 0x41b17218
	s_mov_b32 s12, 0x41a00000
	s_mov_b32 s15, 0xf800000
	s_load_dwordx4 s[8:11], s[0:1], 0x40
	v_mov_b32_e32 v9, 0x260
	s_waitcnt lgkmcnt(0)
	s_cmp_lg_u64 s[10:11], 0
	s_cselect_b64 s[6:7], -1, 0
	s_and_b64 s[2:3], exec, s[6:7]
	s_waitcnt vmcnt(2)
	v_mul_f32_e32 v8, 0x3fb8aa3b, v0
	v_exp_f32_e32 v8, v8
	s_nop 0
	v_add_f32_e32 v8, 1.0, v8
	v_cmp_gt_f32_e32 vcc, s16, v8
	s_nop 1
	v_cndmask_b32_e32 v10, 1.0, v12, vcc
	v_mul_f32_e32 v8, v8, v10
	v_log_f32_e32 v13, v8
	v_cndmask_b32_e32 v14, 0, v11, vcc
	v_lshlrev_b32_e32 v10, 1, v7
	v_lshlrev_b32_e32 v8, 2, v10
	v_mul_f32_e32 v15, 0x3f317217, v13
	v_fma_f32 v15, v13, s13, -v15
	v_fmac_f32_e32 v15, 0x3377d1cf, v13
	v_fmac_f32_e32 v15, 0x3f317217, v13
	v_cmp_lt_f32_e64 vcc, |v13|, s14
	s_nop 1
	v_cndmask_b32_e32 v13, v13, v15, vcc
	v_sub_f32_e32 v13, v13, v14
	v_cmp_lt_f32_e32 vcc, s12, v0
	s_nop 1
	v_cndmask_b32_e32 v0, v13, v0, vcc
	v_mul_f32_e32 v13, 0x4f800000, v0
	v_cmp_gt_f32_e32 vcc, s15, v0
	s_nop 1
	v_cndmask_b32_e32 v0, v0, v13, vcc
	v_sqrt_f32_e32 v13, v0
	s_nop 0
	v_add_u32_e32 v14, -1, v13
	v_add_u32_e32 v15, 1, v13
	v_fma_f32 v16, -v14, v13, v0
	v_fma_f32 v17, -v15, v13, v0
	v_cmp_ge_f32_e64 s[4:5], 0, v16
	s_nop 1
	v_cndmask_b32_e64 v13, v13, v14, s[4:5]
	v_cmp_lt_f32_e64 s[4:5], 0, v17
	s_nop 1
	v_cndmask_b32_e64 v13, v13, v15, s[4:5]
	v_mul_f32_e32 v14, 0x37800000, v13
	v_cndmask_b32_e32 v13, v13, v14, vcc
	v_cmp_class_f32_e32 vcc, v0, v9
	s_nop 1
	v_cndmask_b32_e32 v0, v13, v0, vcc
	s_mov_b64 vcc, s[2:3]
	s_cbranch_vccz .LBB49_6
; %bb.5:
	global_load_dword v13, v8, s[10:11]
	s_waitcnt vmcnt(0)
	v_add_f32_e32 v0, v0, v13
.LBB49_6:
	v_mul_f32_e32 v13, 0x3fb8aa3b, v1
	v_exp_f32_e32 v13, v13
	s_nop 0
	v_add_f32_e32 v13, 1.0, v13
	v_cmp_gt_f32_e32 vcc, s16, v13
	s_nop 1
	v_cndmask_b32_e32 v12, 1.0, v12, vcc
	v_mul_f32_e32 v12, v13, v12
	v_log_f32_e32 v12, v12
	v_cndmask_b32_e32 v11, 0, v11, vcc
	v_mul_f32_e32 v13, 0x3f317217, v12
	v_fma_f32 v13, v12, s13, -v13
	v_fmac_f32_e32 v13, 0x3377d1cf, v12
	v_fmac_f32_e32 v13, 0x3f317217, v12
	v_cmp_lt_f32_e64 vcc, |v12|, s14
	s_nop 1
	v_cndmask_b32_e32 v12, v12, v13, vcc
	v_sub_f32_e32 v11, v12, v11
	v_cmp_lt_f32_e32 vcc, s12, v1
	s_nop 1
	v_cndmask_b32_e32 v1, v11, v1, vcc
	v_mul_f32_e32 v11, 0x4f800000, v1
	v_cmp_gt_f32_e32 vcc, s15, v1
	s_nop 1
	v_cndmask_b32_e32 v1, v1, v11, vcc
	v_sqrt_f32_e32 v11, v1
	s_nop 0
	v_add_u32_e32 v12, -1, v11
	v_add_u32_e32 v13, 1, v11
	v_fma_f32 v14, -v12, v11, v1
	v_fma_f32 v15, -v13, v11, v1
	v_cmp_ge_f32_e64 s[2:3], 0, v14
	s_nop 1
	v_cndmask_b32_e64 v11, v11, v12, s[2:3]
	v_cmp_lt_f32_e64 s[2:3], 0, v15
	s_nop 1
	v_cndmask_b32_e64 v11, v11, v13, s[2:3]
	v_mul_f32_e32 v12, 0x37800000, v11
	v_cndmask_b32_e32 v11, v11, v12, vcc
	v_cndmask_b32_e64 v12, 0, 1, s[6:7]
	v_cmp_class_f32_e64 s[2:3], v1, v9
	v_cmp_ne_u32_e64 s[4:5], 1, v12
	s_andn2_b64 vcc, exec, s[6:7]
	v_cndmask_b32_e64 v1, v11, v1, s[2:3]
	s_cbranch_vccnz .LBB49_8
; %bb.7:
	global_load_dword v9, v8, s[10:11] offset:4
	s_waitcnt vmcnt(0)
	v_add_f32_e32 v1, v1, v9
.LBB49_8:
	s_waitcnt vmcnt(1)
	v_mul_f32_e32 v9, 0x3fb8aa3b, v2
	v_exp_f32_e32 v9, v9
	s_mov_b32 s14, 0x800000
	v_mov_b32_e32 v11, 0x4f800000
	s_mov_b32 s7, 0x3f317217
	v_add_f32_e32 v9, 1.0, v9
	v_cmp_gt_f32_e32 vcc, s14, v9
	s_mov_b32 s12, 0x7f800000
	s_mov_b32 s6, 0x41a00000
	v_cndmask_b32_e32 v12, 1.0, v11, vcc
	v_mul_f32_e32 v9, v9, v12
	v_log_f32_e32 v9, v9
	s_mov_b32 s13, 0xf800000
	v_mul_f32_e32 v12, 0x3f317217, v9
	v_fma_f32 v12, v9, s7, -v12
	v_fmac_f32_e32 v12, 0x3377d1cf, v9
	v_fmac_f32_e32 v12, 0x3f317217, v9
	v_cmp_lt_f32_e64 s[2:3], |v9|, s12
	s_nop 1
	v_cndmask_b32_e64 v9, v9, v12, s[2:3]
	v_mov_b32_e32 v12, 0x41b17218
	v_cndmask_b32_e32 v13, 0, v12, vcc
	v_sub_f32_e32 v9, v9, v13
	v_cmp_lt_f32_e32 vcc, s6, v2
	s_nop 1
	v_cndmask_b32_e32 v2, v9, v2, vcc
	v_mul_f32_e32 v9, 0x4f800000, v2
	v_cmp_gt_f32_e32 vcc, s13, v2
	s_nop 1
	v_cndmask_b32_e32 v2, v2, v9, vcc
	v_sqrt_f32_e32 v9, v2
	s_nop 0
	v_add_u32_e32 v13, -1, v9
	v_fma_f32 v14, -v13, v9, v2
	v_cmp_ge_f32_e64 s[2:3], 0, v14
	v_add_u32_e32 v14, 1, v9
	s_nop 0
	v_cndmask_b32_e64 v13, v9, v13, s[2:3]
	v_fma_f32 v9, -v14, v9, v2
	v_cmp_lt_f32_e64 s[2:3], 0, v9
	s_nop 1
	v_cndmask_b32_e64 v9, v13, v14, s[2:3]
	v_mul_f32_e32 v13, 0x37800000, v9
	v_cndmask_b32_e32 v13, v9, v13, vcc
	v_mov_b32_e32 v9, 0x260
	v_cmp_class_f32_e64 s[2:3], v2, v9
	s_and_b64 vcc, exec, s[4:5]
	s_nop 0
	v_cndmask_b32_e64 v2, v13, v2, s[2:3]
	s_cbranch_vccnz .LBB49_10
; %bb.9:
	global_load_dword v13, v8, s[10:11] offset:512
	s_waitcnt vmcnt(0)
	v_add_f32_e32 v2, v2, v13
.LBB49_10:
	v_mul_f32_e32 v13, 0x3fb8aa3b, v3
	v_exp_f32_e32 v13, v13
	s_nop 0
	v_add_f32_e32 v13, 1.0, v13
	v_cmp_gt_f32_e32 vcc, s14, v13
	s_nop 1
	v_cndmask_b32_e32 v11, 1.0, v11, vcc
	v_mul_f32_e32 v11, v13, v11
	v_log_f32_e32 v11, v11
	v_cndmask_b32_e32 v12, 0, v12, vcc
	v_mul_f32_e32 v13, 0x3f317217, v11
	v_fma_f32 v13, v11, s7, -v13
	v_fmac_f32_e32 v13, 0x3377d1cf, v11
	v_fmac_f32_e32 v13, 0x3f317217, v11
	v_cmp_lt_f32_e64 vcc, |v11|, s12
	s_nop 1
	v_cndmask_b32_e32 v11, v11, v13, vcc
	v_sub_f32_e32 v11, v11, v12
	v_cmp_lt_f32_e32 vcc, s6, v3
	s_nop 1
	v_cndmask_b32_e32 v3, v11, v3, vcc
	v_mul_f32_e32 v11, 0x4f800000, v3
	v_cmp_gt_f32_e32 vcc, s13, v3
	s_nop 1
	v_cndmask_b32_e32 v3, v3, v11, vcc
	v_sqrt_f32_e32 v11, v3
	s_nop 0
	v_add_u32_e32 v12, -1, v11
	v_add_u32_e32 v13, 1, v11
	v_fma_f32 v14, -v12, v11, v3
	v_fma_f32 v15, -v13, v11, v3
	v_cmp_ge_f32_e64 s[2:3], 0, v14
	s_nop 1
	v_cndmask_b32_e64 v11, v11, v12, s[2:3]
	v_cmp_lt_f32_e64 s[2:3], 0, v15
	s_nop 1
	v_cndmask_b32_e64 v11, v11, v13, s[2:3]
	v_mul_f32_e32 v12, 0x37800000, v11
	v_cndmask_b32_e32 v11, v11, v12, vcc
	v_cmp_class_f32_e64 s[2:3], v3, v9
	s_and_b64 vcc, exec, s[4:5]
	s_nop 0
	v_cndmask_b32_e64 v3, v11, v3, s[2:3]
	s_cbranch_vccnz .LBB49_12
; %bb.11:
	global_load_dword v9, v8, s[10:11] offset:516
	s_waitcnt vmcnt(0)
	v_add_f32_e32 v3, v3, v9
.LBB49_12:
	s_waitcnt vmcnt(0)
	v_mul_f32_e32 v9, 0x3fb8aa3b, v4
	v_exp_f32_e32 v9, v9
	v_mov_b32_e32 v11, 0x4f800000
	v_add_f32_e32 v9, 1.0, v9
	v_cmp_gt_f32_e32 vcc, s14, v9
	s_nop 1
	v_cndmask_b32_e32 v12, 1.0, v11, vcc
	v_mul_f32_e32 v9, v9, v12
	v_log_f32_e32 v9, v9
	s_nop 0
	v_mul_f32_e32 v12, 0x3f317217, v9
	v_fma_f32 v12, v9, s7, -v12
	v_fmac_f32_e32 v12, 0x3377d1cf, v9
	v_fmac_f32_e32 v12, 0x3f317217, v9
	v_cmp_lt_f32_e64 s[2:3], |v9|, s12
	s_nop 1
	v_cndmask_b32_e64 v9, v9, v12, s[2:3]
	v_mov_b32_e32 v12, 0x41b17218
	v_cndmask_b32_e32 v13, 0, v12, vcc
	v_sub_f32_e32 v9, v9, v13
	v_cmp_lt_f32_e32 vcc, s6, v4
	s_nop 1
	v_cndmask_b32_e32 v4, v9, v4, vcc
	v_mul_f32_e32 v9, 0x4f800000, v4
	v_cmp_gt_f32_e32 vcc, s13, v4
	s_nop 1
	v_cndmask_b32_e32 v4, v4, v9, vcc
	v_sqrt_f32_e32 v9, v4
	s_nop 0
	v_add_u32_e32 v13, -1, v9
	v_fma_f32 v14, -v13, v9, v4
	v_cmp_ge_f32_e64 s[2:3], 0, v14
	v_add_u32_e32 v14, 1, v9
	s_nop 0
	v_cndmask_b32_e64 v13, v9, v13, s[2:3]
	v_fma_f32 v9, -v14, v9, v4
	v_cmp_lt_f32_e64 s[2:3], 0, v9
	s_nop 1
	v_cndmask_b32_e64 v9, v13, v14, s[2:3]
	v_mul_f32_e32 v13, 0x37800000, v9
	v_cndmask_b32_e32 v13, v9, v13, vcc
	v_mov_b32_e32 v9, 0x260
	v_cmp_class_f32_e64 s[2:3], v4, v9
	s_and_b64 vcc, exec, s[4:5]
	s_nop 0
	v_cndmask_b32_e64 v4, v13, v4, s[2:3]
	s_cbranch_vccnz .LBB49_14
; %bb.13:
	global_load_dword v13, v8, s[10:11] offset:1024
	s_waitcnt vmcnt(0)
	v_add_f32_e32 v4, v4, v13
.LBB49_14:
	v_mul_f32_e32 v13, 0x3fb8aa3b, v5
	v_exp_f32_e32 v13, v13
	s_nop 0
	v_add_f32_e32 v13, 1.0, v13
	v_cmp_gt_f32_e32 vcc, s14, v13
	s_nop 1
	v_cndmask_b32_e32 v11, 1.0, v11, vcc
	v_mul_f32_e32 v11, v13, v11
	v_log_f32_e32 v11, v11
	v_cndmask_b32_e32 v12, 0, v12, vcc
	v_mul_f32_e32 v13, 0x3f317217, v11
	v_fma_f32 v13, v11, s7, -v13
	v_fmac_f32_e32 v13, 0x3377d1cf, v11
	v_fmac_f32_e32 v13, 0x3f317217, v11
	v_cmp_lt_f32_e64 vcc, |v11|, s12
	s_nop 1
	v_cndmask_b32_e32 v11, v11, v13, vcc
	v_sub_f32_e32 v11, v11, v12
	v_cmp_lt_f32_e32 vcc, s6, v5
	s_nop 1
	v_cndmask_b32_e32 v5, v11, v5, vcc
	v_mul_f32_e32 v11, 0x4f800000, v5
	v_cmp_gt_f32_e32 vcc, s13, v5
	s_nop 1
	v_cndmask_b32_e32 v5, v5, v11, vcc
	v_sqrt_f32_e32 v11, v5
	s_nop 0
	v_add_u32_e32 v12, -1, v11
	v_add_u32_e32 v13, 1, v11
	v_fma_f32 v14, -v12, v11, v5
	v_fma_f32 v15, -v13, v11, v5
	v_cmp_ge_f32_e64 s[2:3], 0, v14
	s_nop 1
	v_cndmask_b32_e64 v11, v11, v12, s[2:3]
	v_cmp_lt_f32_e64 s[2:3], 0, v15
	s_nop 1
	v_cndmask_b32_e64 v11, v11, v13, s[2:3]
	v_mul_f32_e32 v12, 0x37800000, v11
	v_cndmask_b32_e32 v11, v11, v12, vcc
	v_cmp_class_f32_e64 s[2:3], v5, v9
	s_and_b64 vcc, exec, s[4:5]
	s_nop 0
	v_cndmask_b32_e64 v5, v11, v5, s[2:3]
	s_cbranch_vccnz .LBB49_16
; %bb.15:
	global_load_dword v8, v8, s[10:11] offset:1028
	s_waitcnt vmcnt(0)
	v_add_f32_e32 v5, v5, v8
.LBB49_16:
	s_load_dwordx4 s[12:15], s[0:1], 0x30
	s_mov_b32 s31, 0
	v_cmp_eq_u32_e64 s[6:7], 0, v7
	s_waitcnt lgkmcnt(0)
	s_bitcmp1_b32 s15, 0
	s_cselect_b64 s[2:3], -1, 0
	s_cmp_gt_i32 s12, 0
	s_cselect_b64 s[24:25], -1, 0
	s_and_b64 vcc, exec, s[24:25]
	s_cbranch_vccz .LBB49_51
; %bb.17:
	v_mbcnt_lo_u32_b32 v8, -1, 0
	v_mbcnt_hi_u32_b32 v8, -1, v8
	v_and_b32_e32 v9, 64, v8
	v_add_u32_e32 v9, 64, v9
	v_xor_b32_e32 v11, 32, v8
	v_cmp_lt_i32_e32 vcc, v11, v9
	s_load_dwordx4 s[16:19], s[0:1], 0x20
	v_mul_lo_u32 v12, v6, s12
	v_cndmask_b32_e32 v11, v8, v11, vcc
	v_lshlrev_b32_e32 v13, 2, v11
	v_xor_b32_e32 v11, 16, v8
	v_cmp_lt_i32_e32 vcc, v11, v9
	v_mov_b32_e32 v19, 0x80
	v_mov_b32_e32 v20, 0x81
	v_cndmask_b32_e32 v11, v8, v11, vcc
	v_lshlrev_b32_e32 v14, 2, v11
	v_xor_b32_e32 v11, 8, v8
	v_cmp_lt_i32_e32 vcc, v11, v9
	v_mov_b32_e32 v21, 0x100
	v_mov_b32_e32 v22, 0x101
	;; [unrolled: 6-line block ×3, first 2 shown]
	v_cndmask_b32_e32 v11, v8, v11, vcc
	v_lshlrev_b32_e32 v16, 2, v11
	v_xor_b32_e32 v11, 2, v8
	v_cmp_lt_i32_e32 vcc, v11, v9
	v_mov_b32_e32 v25, v6
	s_nop 0
	v_cndmask_b32_e32 v11, v8, v11, vcc
	v_lshlrev_b32_e32 v17, 2, v11
	v_xor_b32_e32 v11, 1, v8
	v_cmp_lt_i32_e32 vcc, v11, v9
	s_nop 1
	v_cndmask_b32_e32 v8, v8, v11, vcc
	v_lshlrev_b32_e32 v18, 2, v8
	v_mov_b32_e32 v11, 0
	s_branch .LBB49_20
.LBB49_18:                              ;   in Loop: Header=BB49_20 Depth=1
	s_or_b64 exec, exec, s[0:1]
.LBB49_19:                              ;   in Loop: Header=BB49_20 Depth=1
	s_cmp_eq_u32 s12, s31
	v_add_u32_e32 v25, s30, v25
	s_cbranch_scc1 .LBB49_52
.LBB49_20:                              ; =>This Inner Loop Header: Depth=1
	v_cmp_gt_f32_e32 vcc, v1, v0
	s_nop 1
	v_cndmask_b32_e32 v9, v0, v1, vcc
	v_cndmask_b32_e64 v8, 0, 1, vcc
	v_cmp_gt_f32_e32 vcc, v2, v9
	s_nop 1
	v_cndmask_b32_e32 v9, v9, v2, vcc
	v_cndmask_b32_e32 v8, v8, v19, vcc
	v_cmp_gt_f32_e32 vcc, v3, v9
	s_nop 1
	v_cndmask_b32_e32 v9, v9, v3, vcc
	v_cndmask_b32_e32 v8, v8, v20, vcc
	;; [unrolled: 4-line block ×4, first 2 shown]
	ds_bpermute_b32 v9, v13, v26
	v_or_b32_e32 v8, v10, v8
	s_waitcnt lgkmcnt(0)
	ds_bpermute_b32 v27, v13, v8
	s_waitcnt lgkmcnt(0)
	v_cmp_lt_f32_e64 s[26:27], v26, v9
	v_cmp_nlt_f32_e32 vcc, v26, v9
	s_and_saveexec_b64 s[28:29], vcc
; %bb.21:                               ;   in Loop: Header=BB49_20 Depth=1
	v_cmp_eq_f32_e32 vcc, v26, v9
	v_cmp_lt_i32_e64 s[0:1], v27, v8
	s_and_b64 s[0:1], vcc, s[0:1]
	s_andn2_b64 s[26:27], s[26:27], exec
	s_and_b64 s[0:1], s[0:1], exec
	s_or_b64 s[26:27], s[26:27], s[0:1]
; %bb.22:                               ;   in Loop: Header=BB49_20 Depth=1
	s_or_b64 exec, exec, s[28:29]
	s_and_saveexec_b64 s[0:1], s[26:27]
; %bb.23:                               ;   in Loop: Header=BB49_20 Depth=1
	v_mov_b32_e32 v26, v9
	v_mov_b32_e32 v8, v27
; %bb.24:                               ;   in Loop: Header=BB49_20 Depth=1
	s_or_b64 exec, exec, s[0:1]
	ds_bpermute_b32 v9, v14, v26
	ds_bpermute_b32 v27, v14, v8
	s_waitcnt lgkmcnt(1)
	v_cmp_lt_f32_e64 s[26:27], v26, v9
	v_cmp_nlt_f32_e32 vcc, v26, v9
	s_and_saveexec_b64 s[28:29], vcc
	s_cbranch_execz .LBB49_26
; %bb.25:                               ;   in Loop: Header=BB49_20 Depth=1
	v_cmp_eq_f32_e32 vcc, v26, v9
	s_waitcnt lgkmcnt(0)
	v_cmp_lt_i32_e64 s[0:1], v27, v8
	s_and_b64 s[0:1], vcc, s[0:1]
	s_andn2_b64 s[26:27], s[26:27], exec
	s_and_b64 s[0:1], s[0:1], exec
	s_or_b64 s[26:27], s[26:27], s[0:1]
.LBB49_26:                              ;   in Loop: Header=BB49_20 Depth=1
	s_or_b64 exec, exec, s[28:29]
	s_and_saveexec_b64 s[0:1], s[26:27]
	s_cbranch_execz .LBB49_28
; %bb.27:                               ;   in Loop: Header=BB49_20 Depth=1
	v_mov_b32_e32 v26, v9
	s_waitcnt lgkmcnt(0)
	v_mov_b32_e32 v8, v27
.LBB49_28:                              ;   in Loop: Header=BB49_20 Depth=1
	s_or_b64 exec, exec, s[0:1]
	ds_bpermute_b32 v9, v15, v26
	s_waitcnt lgkmcnt(1)
	ds_bpermute_b32 v27, v15, v8
	s_waitcnt lgkmcnt(1)
	v_cmp_lt_f32_e64 s[26:27], v26, v9
	v_cmp_nlt_f32_e32 vcc, v26, v9
	s_and_saveexec_b64 s[28:29], vcc
	s_cbranch_execz .LBB49_30
; %bb.29:                               ;   in Loop: Header=BB49_20 Depth=1
	v_cmp_eq_f32_e32 vcc, v26, v9
	s_waitcnt lgkmcnt(0)
	v_cmp_lt_i32_e64 s[0:1], v27, v8
	s_and_b64 s[0:1], vcc, s[0:1]
	s_andn2_b64 s[26:27], s[26:27], exec
	s_and_b64 s[0:1], s[0:1], exec
	s_or_b64 s[26:27], s[26:27], s[0:1]
.LBB49_30:                              ;   in Loop: Header=BB49_20 Depth=1
	s_or_b64 exec, exec, s[28:29]
	s_and_saveexec_b64 s[0:1], s[26:27]
	s_cbranch_execz .LBB49_32
; %bb.31:                               ;   in Loop: Header=BB49_20 Depth=1
	v_mov_b32_e32 v26, v9
	s_waitcnt lgkmcnt(0)
	v_mov_b32_e32 v8, v27
.LBB49_32:                              ;   in Loop: Header=BB49_20 Depth=1
	s_or_b64 exec, exec, s[0:1]
	ds_bpermute_b32 v9, v16, v26
	s_waitcnt lgkmcnt(1)
	;; [unrolled: 26-line block ×4, first 2 shown]
	ds_bpermute_b32 v27, v18, v8
	s_waitcnt lgkmcnt(1)
	v_cmp_lt_f32_e64 s[26:27], v26, v9
	v_cmp_nlt_f32_e32 vcc, v26, v9
	s_and_saveexec_b64 s[28:29], vcc
	s_cbranch_execnz .LBB49_44
; %bb.41:                               ;   in Loop: Header=BB49_20 Depth=1
	s_or_b64 exec, exec, s[28:29]
	s_and_saveexec_b64 s[0:1], s[26:27]
	s_cbranch_execnz .LBB49_45
.LBB49_42:                              ;   in Loop: Header=BB49_20 Depth=1
	s_or_b64 exec, exec, s[0:1]
	s_and_saveexec_b64 s[26:27], s[6:7]
	s_cbranch_execnz .LBB49_46
.LBB49_43:                              ;   in Loop: Header=BB49_20 Depth=1
	s_or_b64 exec, exec, s[26:27]
	s_add_i32 s31, s31, 1
	s_cmp_ge_i32 s31, s12
	s_cbranch_scc1 .LBB49_19
	s_branch .LBB49_49
.LBB49_44:                              ;   in Loop: Header=BB49_20 Depth=1
	v_cmp_eq_f32_e32 vcc, v26, v9
	s_waitcnt lgkmcnt(0)
	v_cmp_lt_i32_e64 s[0:1], v27, v8
	s_and_b64 s[0:1], vcc, s[0:1]
	s_andn2_b64 s[26:27], s[26:27], exec
	s_and_b64 s[0:1], s[0:1], exec
	s_or_b64 s[26:27], s[26:27], s[0:1]
	s_or_b64 exec, exec, s[28:29]
	s_and_saveexec_b64 s[0:1], s[26:27]
	s_cbranch_execz .LBB49_42
.LBB49_45:                              ;   in Loop: Header=BB49_20 Depth=1
	s_waitcnt lgkmcnt(0)
	v_mov_b32_e32 v8, v27
	v_mov_b32_e32 v26, v9
	s_or_b64 exec, exec, s[0:1]
	s_and_saveexec_b64 s[26:27], s[6:7]
	s_cbranch_execz .LBB49_43
.LBB49_46:                              ;   in Loop: Header=BB49_20 Depth=1
	s_and_b64 vcc, exec, s[4:5]
	s_cbranch_vccnz .LBB49_48
; %bb.47:                               ;   in Loop: Header=BB49_20 Depth=1
	v_ashrrev_i32_e32 v9, 31, v8
	v_lshl_add_u64 v[28:29], v[8:9], 2, s[10:11]
	global_load_dword v9, v[28:29], off
	s_waitcnt vmcnt(0)
	v_sub_f32_e32 v26, v26, v9
.LBB49_48:                              ;   in Loop: Header=BB49_20 Depth=1
	v_add_u32_e32 v28, s31, v12
	v_cmp_le_i32_e32 vcc, s13, v8
	v_cmp_gt_i32_e64 s[0:1], s14, v8
	v_ashrrev_i32_e32 v29, 31, v28
	s_and_b64 s[0:1], vcc, s[0:1]
	v_lshlrev_b64 v[28:29], 2, v[28:29]
	v_lshl_add_u64 v[30:31], s[20:21], 0, v[28:29]
	v_subrev_u32_e32 v9, s13, v8
	s_and_b64 vcc, s[22:23], s[0:1]
	global_store_dword v[30:31], v26, off
	v_cndmask_b32_e32 v9, v23, v9, vcc
	v_lshl_add_u64 v[30:31], s[16:17], 0, v[28:29]
	global_store_dword v[30:31], v9, off
	v_add_f32_e32 v9, v11, v26
	v_lshl_add_u64 v[28:29], s[18:19], 0, v[28:29]
	v_cndmask_b32_e64 v11, v11, v9, s[2:3]
	global_store_dword v[28:29], v25, off
	s_or_b64 exec, exec, s[26:27]
	s_add_i32 s31, s31, 1
	s_cmp_ge_i32 s31, s12
	s_cbranch_scc1 .LBB49_19
.LBB49_49:                              ;   in Loop: Header=BB49_20 Depth=1
	v_lshrrev_b32_e32 v9, 31, v8
	v_add_u32_e32 v26, v8, v9
	v_ashrrev_i32_e32 v9, 1, v26
	v_ashrrev_i32_e32 v26, 31, v26
	v_lshrrev_b32_e32 v26, 26, v26
	v_add_u32_e32 v26, v9, v26
	v_and_b32_e32 v26, 0xffffffc0, v26
	v_sub_u32_e32 v26, v9, v26
	v_cmp_eq_u32_e32 vcc, v7, v26
	s_and_saveexec_b64 s[0:1], vcc
	s_cbranch_execz .LBB49_18
; %bb.50:                               ;   in Loop: Header=BB49_20 Depth=1
	v_ashrrev_i32_e32 v26, 31, v8
	v_lshrrev_b32_e32 v26, 25, v26
	v_add_u32_e32 v26, v8, v26
	v_lshlrev_b32_e32 v9, 1, v9
	v_ashrrev_i32_e32 v26, 7, v26
	v_sub_u32_e32 v8, v8, v9
	v_lshl_add_u32 v8, v26, 1, v8
	v_cmp_ne_u32_e32 vcc, 5, v8
	s_nop 1
	v_cndmask_b32_e32 v5, v24, v5, vcc
	v_cmp_ne_u32_e32 vcc, 4, v8
	s_nop 1
	v_cndmask_b32_e32 v4, v24, v4, vcc
	;; [unrolled: 3-line block ×6, first 2 shown]
	s_branch .LBB49_18
.LBB49_51:
	v_mov_b32_e32 v11, 0
.LBB49_52:
	v_cmp_eq_u32_e32 vcc, 0, v7
	s_and_b64 exec, exec, vcc
	s_cbranch_execz .LBB49_65
; %bb.53:
	s_andn2_b64 vcc, exec, s[2:3]
	v_cvt_f32_f64_e32 v0, s[8:9]
	s_cbranch_vccnz .LBB49_55
; %bb.54:
	v_cmp_lt_f32_e32 vcc, 0, v11
	s_nop 1
	v_cndmask_b32_e32 v1, 1.0, v11, vcc
	v_div_scale_f32 v2, s[0:1], v1, v1, v0
	v_rcp_f32_e32 v3, v2
	s_nop 0
	v_fma_f32 v4, -v2, v3, 1.0
	v_fmac_f32_e32 v3, v4, v3
	v_div_scale_f32 v4, vcc, v0, v1, v0
	v_mul_f32_e32 v5, v4, v3
	v_fma_f32 v7, -v2, v5, v4
	v_fmac_f32_e32 v5, v7, v3
	v_fma_f32 v2, -v2, v5, v4
	v_div_fmas_f32 v2, v2, v3, v5
	v_div_fixup_f32 v0, v2, v1, v0
.LBB49_55:
	s_andn2_b64 vcc, exec, s[24:25]
	s_cbranch_vccnz .LBB49_65
; %bb.56:
	v_mul_lo_u32 v2, v6, s12
	s_cmp_gt_u32 s12, 3
	v_ashrrev_i32_e32 v3, 31, v2
	s_cbranch_scc0 .LBB49_60
; %bb.57:
	s_and_b32 s0, s12, 0x7ffffffc
	v_lshl_add_u64 v[4:5], v[2:3], 2, s[20:21]
	v_mov_b32_e32 v1, v0
	v_lshl_add_u64 v[4:5], v[4:5], 0, 8
	s_mov_b32 s1, s0
.LBB49_58:                              ; =>This Inner Loop Header: Depth=1
	global_load_dwordx4 v[6:9], v[4:5], off offset:-8
	s_add_i32 s1, s1, -4
	s_cmp_lg_u32 s1, 0
	s_waitcnt vmcnt(0)
	v_pk_mul_f32 v[6:7], v[0:1], v[6:7]
	v_pk_mul_f32 v[8:9], v[0:1], v[8:9]
	global_store_dwordx4 v[4:5], v[6:9], off offset:-8
	v_lshl_add_u64 v[4:5], v[4:5], 0, 16
	s_cbranch_scc1 .LBB49_58
; %bb.59:
	s_cmp_lg_u32 s0, s12
	s_cselect_b64 s[2:3], -1, 0
	s_branch .LBB49_62
.LBB49_60:
	s_mov_b64 s[2:3], 0
                                        ; implicit-def: $sgpr0
	s_cbranch_execz .LBB49_62
; %bb.61:
	s_mov_b64 s[2:3], -1
	s_mov_b32 s0, 0
.LBB49_62:
	s_andn2_b64 vcc, exec, s[2:3]
	s_cbranch_vccnz .LBB49_65
; %bb.63:
	s_mov_b32 s1, 0
	v_lshl_add_u64 v[2:3], v[2:3], 0, s[0:1]
	s_sub_i32 s2, s12, s0
	v_lshl_add_u64 v[2:3], v[2:3], 2, s[20:21]
.LBB49_64:                              ; =>This Inner Loop Header: Depth=1
	global_load_dword v1, v[2:3], off
	s_add_i32 s2, s2, -1
	s_cmp_lg_u32 s2, 0
	s_waitcnt vmcnt(0)
	v_mul_f32_e32 v1, v0, v1
	global_store_dword v[2:3], v1, off
	v_lshl_add_u64 v[2:3], v[2:3], 0, 4
	s_cbranch_scc1 .LBB49_64
.LBB49_65:
	s_endpgm
	.section	.rodata,"a",@progbits
	.p2align	6, 0x0
	.amdhsa_kernel _ZN4vllm3moe22topkGatingSoftplusSqrtILi6ELi384ELi4ELi8ELi64ELb0EifEEvPKT6_PKbPfiPT5_PiiiibdPKfPKS8_SE_
		.amdhsa_group_segment_fixed_size 0
		.amdhsa_private_segment_fixed_size 0
		.amdhsa_kernarg_size 96
		.amdhsa_user_sgpr_count 2
		.amdhsa_user_sgpr_dispatch_ptr 0
		.amdhsa_user_sgpr_queue_ptr 0
		.amdhsa_user_sgpr_kernarg_segment_ptr 1
		.amdhsa_user_sgpr_dispatch_id 0
		.amdhsa_user_sgpr_kernarg_preload_length 0
		.amdhsa_user_sgpr_kernarg_preload_offset 0
		.amdhsa_user_sgpr_private_segment_size 0
		.amdhsa_uses_dynamic_stack 0
		.amdhsa_enable_private_segment 0
		.amdhsa_system_sgpr_workgroup_id_x 1
		.amdhsa_system_sgpr_workgroup_id_y 0
		.amdhsa_system_sgpr_workgroup_id_z 0
		.amdhsa_system_sgpr_workgroup_info 0
		.amdhsa_system_vgpr_workitem_id 1
		.amdhsa_next_free_vgpr 32
		.amdhsa_next_free_sgpr 32
		.amdhsa_accum_offset 32
		.amdhsa_reserve_vcc 1
		.amdhsa_float_round_mode_32 0
		.amdhsa_float_round_mode_16_64 0
		.amdhsa_float_denorm_mode_32 3
		.amdhsa_float_denorm_mode_16_64 3
		.amdhsa_dx10_clamp 1
		.amdhsa_ieee_mode 1
		.amdhsa_fp16_overflow 0
		.amdhsa_tg_split 0
		.amdhsa_exception_fp_ieee_invalid_op 0
		.amdhsa_exception_fp_denorm_src 0
		.amdhsa_exception_fp_ieee_div_zero 0
		.amdhsa_exception_fp_ieee_overflow 0
		.amdhsa_exception_fp_ieee_underflow 0
		.amdhsa_exception_fp_ieee_inexact 0
		.amdhsa_exception_int_div_zero 0
	.end_amdhsa_kernel
	.section	.text._ZN4vllm3moe22topkGatingSoftplusSqrtILi6ELi384ELi4ELi8ELi64ELb0EifEEvPKT6_PKbPfiPT5_PiiiibdPKfPKS8_SE_,"axG",@progbits,_ZN4vllm3moe22topkGatingSoftplusSqrtILi6ELi384ELi4ELi8ELi64ELb0EifEEvPKT6_PKbPfiPT5_PiiiibdPKfPKS8_SE_,comdat
.Lfunc_end49:
	.size	_ZN4vllm3moe22topkGatingSoftplusSqrtILi6ELi384ELi4ELi8ELi64ELb0EifEEvPKT6_PKbPfiPT5_PiiiibdPKfPKS8_SE_, .Lfunc_end49-_ZN4vllm3moe22topkGatingSoftplusSqrtILi6ELi384ELi4ELi8ELi64ELb0EifEEvPKT6_PKbPfiPT5_PiiiibdPKfPKS8_SE_
                                        ; -- End function
	.section	.AMDGPU.csdata,"",@progbits
; Kernel info:
; codeLenInByte = 3608
; NumSgprs: 38
; NumVgprs: 32
; NumAgprs: 0
; TotalNumVgprs: 32
; ScratchSize: 0
; MemoryBound: 0
; FloatMode: 240
; IeeeMode: 1
; LDSByteSize: 0 bytes/workgroup (compile time only)
; SGPRBlocks: 4
; VGPRBlocks: 3
; NumSGPRsForWavesPerEU: 38
; NumVGPRsForWavesPerEU: 32
; AccumOffset: 32
; Occupancy: 8
; WaveLimiterHint : 1
; COMPUTE_PGM_RSRC2:SCRATCH_EN: 0
; COMPUTE_PGM_RSRC2:USER_SGPR: 2
; COMPUTE_PGM_RSRC2:TRAP_HANDLER: 0
; COMPUTE_PGM_RSRC2:TGID_X_EN: 1
; COMPUTE_PGM_RSRC2:TGID_Y_EN: 0
; COMPUTE_PGM_RSRC2:TGID_Z_EN: 0
; COMPUTE_PGM_RSRC2:TIDIG_COMP_CNT: 1
; COMPUTE_PGM_RSRC3_GFX90A:ACCUM_OFFSET: 7
; COMPUTE_PGM_RSRC3_GFX90A:TG_SPLIT: 0
	.section	.text._ZN4vllm3moe22topkGatingSoftplusSqrtILi12ELi384ELi4ELi8ELi32ELb1EifEEvPKT6_PKbPfiPT5_PiiiibdPKfPKS8_SE_,"axG",@progbits,_ZN4vllm3moe22topkGatingSoftplusSqrtILi12ELi384ELi4ELi8ELi32ELb1EifEEvPKT6_PKbPfiPT5_PiiiibdPKfPKS8_SE_,comdat
	.protected	_ZN4vllm3moe22topkGatingSoftplusSqrtILi12ELi384ELi4ELi8ELi32ELb1EifEEvPKT6_PKbPfiPT5_PiiiibdPKfPKS8_SE_ ; -- Begin function _ZN4vllm3moe22topkGatingSoftplusSqrtILi12ELi384ELi4ELi8ELi32ELb1EifEEvPKT6_PKbPfiPT5_PiiiibdPKfPKS8_SE_
	.globl	_ZN4vllm3moe22topkGatingSoftplusSqrtILi12ELi384ELi4ELi8ELi32ELb1EifEEvPKT6_PKbPfiPT5_PiiiibdPKfPKS8_SE_
	.p2align	8
	.type	_ZN4vllm3moe22topkGatingSoftplusSqrtILi12ELi384ELi4ELi8ELi32ELb1EifEEvPKT6_PKbPfiPT5_PiiiibdPKfPKS8_SE_,@function
_ZN4vllm3moe22topkGatingSoftplusSqrtILi12ELi384ELi4ELi8ELi32ELb1EifEEvPKT6_PKbPfiPT5_PiiiibdPKfPKS8_SE_: ; @_ZN4vllm3moe22topkGatingSoftplusSqrtILi12ELi384ELi4ELi8ELi32ELb1EifEEvPKT6_PKbPfiPT5_PiiiibdPKfPKS8_SE_
; %bb.0:
	s_load_dword s3, s[0:1], 0x18
	v_and_b32_e32 v1, 0x3ff, v0
	s_lshl_b32 s2, s2, 2
	v_lshrrev_b32_e32 v2, 5, v1
	v_bfe_u32 v0, v0, 10, 10
	v_add3_u32 v6, s2, v0, v2
	s_waitcnt lgkmcnt(0)
	v_cmp_gt_i32_e32 vcc, s3, v6
	s_and_saveexec_b64 s[2:3], vcc
	s_cbranch_execz .LBB50_59
; %bb.1:
	s_load_dwordx2 s[2:3], s[0:1], 0x0
	s_load_dword s33, s[0:1], 0x30
	s_load_dwordx4 s[4:7], s[0:1], 0x50
	s_movk_i32 s8, 0x180
	v_mul_lo_u32 v2, v6, s8
	v_lshlrev_b32_e32 v0, 1, v1
	v_ashrrev_i32_e32 v3, 31, v2
	v_and_b32_e32 v12, 62, v0
	s_waitcnt lgkmcnt(0)
	v_lshl_add_u64 v[2:3], v[2:3], 2, s[2:3]
	v_lshlrev_b32_e32 v4, 2, v12
	v_mov_b32_e32 v5, 0
	v_lshl_add_u64 v[14:15], v[2:3], 0, v[4:5]
	global_load_dwordx2 v[0:1], v[14:15], off offset:1024
	global_load_dwordx2 v[2:3], v[14:15], off offset:1280
	global_load_dwordx2 v[16:17], v[14:15], off
	global_load_dwordx2 v[18:19], v[14:15], off offset:256
	v_mov_b32_e32 v8, s4
	v_mov_b32_e32 v9, s5
	v_ashrrev_i32_e32 v7, 31, v6
	v_lshl_add_u64 v[8:9], v[6:7], 2, v[8:9]
	global_load_dword v24, v[8:9], off
	global_load_dwordx2 v[20:21], v[14:15], off offset:512
	global_load_dwordx2 v[10:11], v[14:15], off offset:768
	s_mov_b32 s15, 0x800000
	v_mov_b32_e32 v7, 0x4f800000
	v_mov_b32_e32 v8, s6
	;; [unrolled: 1-line block ×3, first 2 shown]
	s_mov_b32 s13, 0x3f317217
	s_mov_b32 s14, 0x7f800000
	v_mov_b32_e32 v13, 0x41b17218
	s_mov_b32 s11, 0x41a00000
	s_mov_b32 s12, 0xf800000
	v_mov_b32_e32 v4, 0x260
	s_cmp_gt_i32 s33, 0
	s_mov_b32 s10, 0
	s_waitcnt vmcnt(5)
	scratch_store_dwordx4 off, v[0:3], off offset:32
	s_waitcnt vmcnt(5)
	s_nop 0
	v_mul_f32_e32 v2, 0x3fb8aa3b, v16
	v_mul_f32_e32 v3, 0x3fb8aa3b, v17
	v_exp_f32_e32 v14, v2
	v_exp_f32_e32 v15, v3
	s_waitcnt vmcnt(4)
	v_mul_f32_e32 v22, 0x3fb8aa3b, v18
	v_mul_f32_e32 v23, 0x3fb8aa3b, v19
	v_exp_f32_e32 v22, v22
	v_pk_add_f32 v[14:15], v[14:15], 1.0 op_sel_hi:[1,0]
	v_exp_f32_e32 v23, v23
	v_cmp_gt_f32_e32 vcc, s15, v15
	s_waitcnt vmcnt(3)
	v_mul_lo_u32 v2, v24, s33
	v_cmp_gt_f32_e64 s[2:3], s15, v14
	v_cndmask_b32_e32 v24, 1.0, v7, vcc
	v_mul_f32_e32 v15, v15, v24
	v_cndmask_b32_e64 v25, 1.0, v7, s[2:3]
	v_mul_f32_e32 v14, v14, v25
	v_log_f32_e32 v15, v15
	v_pk_add_f32 v[22:23], v[22:23], 1.0 op_sel_hi:[1,0]
	v_log_f32_e32 v14, v14
	v_cmp_gt_f32_e64 s[4:5], s15, v23
	v_cmp_gt_f32_e64 s[6:7], s15, v22
	v_cndmask_b32_e32 v24, 0, v13, vcc
	v_cndmask_b32_e64 v26, 1.0, v7, s[4:5]
	v_cndmask_b32_e64 v27, 1.0, v7, s[6:7]
	v_mul_f32_e32 v23, v23, v26
	v_mul_f32_e32 v26, 0x3f317217, v15
	;; [unrolled: 1-line block ×4, first 2 shown]
	v_fma_f32 v26, v15, s13, -v26
	v_fma_f32 v27, v14, s13, -v27
	v_fmac_f32_e32 v26, 0x3377d1cf, v15
	v_fmac_f32_e32 v27, 0x3377d1cf, v14
	;; [unrolled: 1-line block ×3, first 2 shown]
	v_cmp_lt_f32_e64 vcc, |v15|, s14
	v_fmac_f32_e32 v27, 0x3f317217, v14
	v_cndmask_b32_e64 v25, 0, v13, s[2:3]
	v_cndmask_b32_e32 v15, v15, v26, vcc
	v_cmp_lt_f32_e64 vcc, |v14|, s14
	v_sub_f32_e32 v15, v15, v24
	v_log_f32_e32 v23, v23
	v_cndmask_b32_e32 v14, v14, v27, vcc
	v_sub_f32_e32 v14, v14, v25
	v_cmp_lt_f32_e32 vcc, s11, v16
	v_mul_f32_e32 v28, 0x3f317217, v23
	v_log_f32_e32 v22, v22
	v_cndmask_b32_e32 v14, v14, v16, vcc
	v_cmp_lt_f32_e32 vcc, s11, v17
	v_cmp_gt_f32_e64 s[2:3], s12, v14
	v_fma_f32 v28, v23, s13, -v28
	v_cndmask_b32_e32 v15, v15, v17, vcc
	v_mul_f32_e32 v16, 0x4f800000, v15
	v_cmp_gt_f32_e32 vcc, s12, v15
	v_mul_f32_e32 v17, 0x4f800000, v14
	v_cndmask_b32_e64 v14, v14, v17, s[2:3]
	v_cndmask_b32_e32 v15, v15, v16, vcc
	v_sqrt_f32_e32 v16, v15
	v_sqrt_f32_e32 v17, v14
	v_fmac_f32_e32 v28, 0x3377d1cf, v23
	v_fmac_f32_e32 v28, 0x3f317217, v23
	v_add_u32_e32 v24, -1, v16
	v_add_u32_e32 v26, -1, v17
	v_fma_f32 v29, -v24, v16, v15
	v_add_u32_e32 v25, 1, v16
	v_fma_f32 v31, -v26, v17, v14
	v_cmp_ge_f32_e64 s[8:9], 0, v29
	v_add_u32_e32 v27, 1, v17
	v_fma_f32 v30, -v25, v16, v15
	v_cndmask_b32_e64 v16, v16, v24, s[8:9]
	v_cmp_ge_f32_e64 s[8:9], 0, v31
	v_fma_f32 v32, -v27, v17, v14
	v_ashrrev_i32_e32 v3, 31, v2
	v_cndmask_b32_e64 v17, v17, v26, s[8:9]
	v_cmp_lt_f32_e64 s[8:9], 0, v30
	s_nop 1
	v_cndmask_b32_e64 v16, v16, v25, s[8:9]
	v_cmp_lt_f32_e64 s[8:9], 0, v32
	v_mul_f32_e32 v24, 0x37800000, v16
	v_cndmask_b32_e32 v16, v16, v24, vcc
	v_cndmask_b32_e64 v17, v17, v27, s[8:9]
	v_mul_f32_e32 v25, 0x37800000, v17
	v_cmp_class_f32_e32 vcc, v15, v4
	v_cndmask_b32_e64 v17, v17, v25, s[2:3]
	v_cmp_lt_f32_e64 s[2:3], s11, v18
	v_cndmask_b32_e32 v15, v16, v15, vcc
	v_cmp_class_f32_e32 vcc, v14, v4
	s_nop 1
	v_cndmask_b32_e32 v14, v17, v14, vcc
	v_cmp_lt_f32_e64 vcc, |v23|, s14
	v_cndmask_b32_e64 v17, 0, v13, s[4:5]
	s_nop 0
	v_cndmask_b32_e32 v16, v23, v28, vcc
	v_sub_f32_e32 v16, v16, v17
	v_mul_f32_e32 v17, 0x3f317217, v22
	v_fma_f32 v17, v22, s13, -v17
	v_fmac_f32_e32 v17, 0x3377d1cf, v22
	v_fmac_f32_e32 v17, 0x3f317217, v22
	v_cmp_lt_f32_e64 vcc, |v22|, s14
	s_nop 1
	v_cndmask_b32_e32 v17, v22, v17, vcc
	v_cmp_lt_f32_e32 vcc, s11, v19
	v_cndmask_b32_e64 v22, 0, v13, s[6:7]
	v_sub_f32_e32 v17, v17, v22
	v_cndmask_b32_e32 v16, v16, v19, vcc
	v_mul_f32_e32 v19, 0x4f800000, v16
	v_cmp_gt_f32_e32 vcc, s12, v16
	v_cndmask_b32_e64 v17, v17, v18, s[2:3]
	s_nop 0
	v_cndmask_b32_e32 v16, v16, v19, vcc
	v_sqrt_f32_e32 v19, v16
	s_nop 0
	v_add_u32_e32 v18, -1, v19
	v_fma_f32 v22, -v18, v19, v16
	v_cmp_ge_f32_e64 s[2:3], 0, v22
	v_add_u32_e32 v22, 1, v19
	s_nop 0
	v_cndmask_b32_e64 v18, v19, v18, s[2:3]
	v_fma_f32 v19, -v22, v19, v16
	v_cmp_lt_f32_e64 s[2:3], 0, v19
	s_nop 1
	v_cndmask_b32_e64 v18, v18, v22, s[2:3]
	v_mul_f32_e32 v22, 0x4f800000, v17
	v_cmp_gt_f32_e64 s[2:3], s12, v17
	v_mul_f32_e32 v19, 0x37800000, v18
	s_nop 0
	v_cndmask_b32_e64 v22, v17, v22, s[2:3]
	v_sqrt_f32_e32 v23, v22
	v_cndmask_b32_e32 v17, v18, v19, vcc
	v_cmp_class_f32_e32 vcc, v16, v4
	s_waitcnt vmcnt(2)
	v_mul_f32_e32 v19, 0x3fb8aa3b, v21
	v_exp_f32_e32 v19, v19
	v_cndmask_b32_e32 v17, v17, v16, vcc
	v_add_u32_e32 v16, -1, v23
	v_fma_f32 v18, -v16, v23, v22
	v_cmp_ge_f32_e32 vcc, 0, v18
	v_mul_f32_e32 v18, 0x3fb8aa3b, v20
	v_exp_f32_e32 v18, v18
	v_add_u32_e32 v24, 1, v23
	v_cndmask_b32_e32 v16, v23, v16, vcc
	v_fma_f32 v23, -v24, v23, v22
	v_cmp_lt_f32_e32 vcc, 0, v23
	v_pk_add_f32 v[18:19], v[18:19], 1.0 op_sel_hi:[1,0]
	s_nop 0
	v_cndmask_b32_e32 v16, v16, v24, vcc
	v_mul_f32_e32 v23, 0x37800000, v16
	v_cmp_gt_f32_e32 vcc, s15, v19
	v_cndmask_b32_e64 v16, v16, v23, s[2:3]
	v_cmp_class_f32_e64 s[2:3], v22, v4
	v_cndmask_b32_e32 v23, 1.0, v7, vcc
	v_mul_f32_e32 v19, v19, v23
	v_log_f32_e32 v19, v19
	v_cndmask_b32_e64 v16, v16, v22, s[2:3]
	v_cmp_gt_f32_e64 s[2:3], s15, v18
	scratch_store_dwordx4 off, v[14:17], off
	v_cmp_lt_f32_e64 s[4:5], |v19|, s14
	s_nop 0
	v_cndmask_b32_e64 v15, 1.0, v7, s[2:3]
	v_mul_f32_e32 v14, 0x3f317217, v19
	v_mul_f32_e32 v15, v18, v15
	v_fma_f32 v14, v19, s13, -v14
	v_log_f32_e32 v15, v15
	v_fmac_f32_e32 v14, 0x3377d1cf, v19
	v_fmac_f32_e32 v14, 0x3f317217, v19
	v_cndmask_b32_e64 v14, v19, v14, s[4:5]
	v_cndmask_b32_e32 v16, 0, v13, vcc
	v_sub_f32_e32 v14, v14, v16
	v_mul_f32_e32 v16, 0x3f317217, v15
	v_fma_f32 v16, v15, s13, -v16
	v_fmac_f32_e32 v16, 0x3377d1cf, v15
	v_fmac_f32_e32 v16, 0x3f317217, v15
	v_cmp_lt_f32_e64 vcc, |v15|, s14
	s_nop 1
	v_cndmask_b32_e32 v15, v15, v16, vcc
	v_cmp_lt_f32_e32 vcc, s11, v21
	v_cndmask_b32_e64 v16, 0, v13, s[2:3]
	v_sub_f32_e32 v15, v15, v16
	v_cndmask_b32_e32 v14, v14, v21, vcc
	v_mul_f32_e32 v17, 0x4f800000, v14
	v_cmp_gt_f32_e32 vcc, s12, v14
	v_cmp_lt_f32_e64 s[2:3], s11, v20
	s_nop 0
	v_cndmask_b32_e32 v14, v14, v17, vcc
	v_sqrt_f32_e32 v17, v14
	v_cndmask_b32_e64 v15, v15, v20, s[2:3]
	v_add_u32_e32 v16, -1, v17
	v_fma_f32 v18, -v16, v17, v14
	v_cmp_ge_f32_e64 s[2:3], 0, v18
	v_add_u32_e32 v18, 1, v17
	s_nop 0
	v_cndmask_b32_e64 v16, v17, v16, s[2:3]
	v_fma_f32 v17, -v18, v17, v14
	v_cmp_lt_f32_e64 s[2:3], 0, v17
	s_nop 1
	v_cndmask_b32_e64 v16, v16, v18, s[2:3]
	v_mul_f32_e32 v18, 0x4f800000, v15
	v_cmp_gt_f32_e64 s[2:3], s12, v15
	v_mul_f32_e32 v17, 0x37800000, v16
	s_nop 0
	v_cndmask_b32_e64 v18, v15, v18, s[2:3]
	v_sqrt_f32_e32 v19, v18
	v_cndmask_b32_e32 v15, v16, v17, vcc
	v_cmp_class_f32_e32 vcc, v14, v4
	s_waitcnt vmcnt(2)
	v_mul_f32_e32 v17, 0x3fb8aa3b, v11
	v_exp_f32_e32 v17, v17
	v_cndmask_b32_e32 v15, v15, v14, vcc
	v_add_u32_e32 v14, -1, v19
	v_fma_f32 v16, -v14, v19, v18
	v_cmp_ge_f32_e32 vcc, 0, v16
	v_mul_f32_e32 v16, 0x3fb8aa3b, v10
	v_exp_f32_e32 v16, v16
	v_add_u32_e32 v20, 1, v19
	v_cndmask_b32_e32 v14, v19, v14, vcc
	v_fma_f32 v19, -v20, v19, v18
	v_cmp_lt_f32_e32 vcc, 0, v19
	v_pk_add_f32 v[16:17], v[16:17], 1.0 op_sel_hi:[1,0]
	s_nop 0
	v_cndmask_b32_e32 v14, v14, v20, vcc
	v_cmp_gt_f32_e32 vcc, s15, v17
	v_mul_f32_e32 v19, 0x37800000, v14
	v_cndmask_b32_e64 v14, v14, v19, s[2:3]
	v_cndmask_b32_e32 v20, 1.0, v7, vcc
	v_mul_f32_e32 v17, v17, v20
	v_log_f32_e32 v17, v17
	v_cmp_class_f32_e64 s[2:3], v18, v4
	v_cmp_lt_f32_e64 s[4:5], |v17|, s14
	s_nop 0
	v_cndmask_b32_e64 v14, v14, v18, s[2:3]
	v_cmp_gt_f32_e64 s[2:3], s15, v16
	v_mul_f32_e32 v18, 0x3f317217, v17
	v_fma_f32 v18, v17, s13, -v18
	v_cndmask_b32_e64 v19, 1.0, v7, s[2:3]
	v_mul_f32_e32 v16, v16, v19
	v_log_f32_e32 v16, v16
	v_fmac_f32_e32 v18, 0x3377d1cf, v17
	v_fmac_f32_e32 v18, 0x3f317217, v17
	v_cndmask_b32_e64 v17, v17, v18, s[4:5]
	v_cndmask_b32_e32 v18, 0, v13, vcc
	v_sub_f32_e32 v17, v17, v18
	v_mul_f32_e32 v18, 0x3f317217, v16
	v_fma_f32 v18, v16, s13, -v18
	v_fmac_f32_e32 v18, 0x3377d1cf, v16
	v_fmac_f32_e32 v18, 0x3f317217, v16
	v_cmp_lt_f32_e64 vcc, |v16|, s14
	s_nop 1
	v_cndmask_b32_e32 v16, v16, v18, vcc
	v_cmp_lt_f32_e32 vcc, s11, v11
	v_cndmask_b32_e64 v18, 0, v13, s[2:3]
	v_sub_f32_e32 v16, v16, v18
	v_cndmask_b32_e32 v11, v17, v11, vcc
	v_mul_f32_e32 v17, 0x4f800000, v11
	v_cmp_gt_f32_e32 vcc, s12, v11
	v_cmp_lt_f32_e64 s[2:3], s11, v10
	s_nop 0
	v_cndmask_b32_e32 v17, v11, v17, vcc
	v_sqrt_f32_e32 v11, v17
	v_cndmask_b32_e64 v16, v16, v10, s[2:3]
	v_mul_f32_e32 v20, 0x4f800000, v16
	v_add_u32_e32 v10, -1, v11
	v_fma_f32 v18, -v10, v11, v17
	v_cmp_ge_f32_e64 s[2:3], 0, v18
	v_add_u32_e32 v18, 1, v11
	s_nop 0
	v_cndmask_b32_e64 v10, v11, v10, s[2:3]
	v_fma_f32 v11, -v18, v11, v17
	v_cmp_lt_f32_e64 s[2:3], 0, v11
	s_nop 1
	v_cndmask_b32_e64 v18, v10, v18, s[2:3]
	scratch_load_dwordx2 v[10:11], off, off offset:40
	v_cmp_gt_f32_e64 s[2:3], s12, v16
	v_mul_f32_e32 v19, 0x37800000, v18
	v_cndmask_b32_e32 v18, v18, v19, vcc
	v_cndmask_b32_e64 v16, v16, v20, s[2:3]
	v_sqrt_f32_e32 v20, v16
	v_cmp_class_f32_e32 vcc, v17, v4
	v_add_u32_e32 v22, 1, v20
	s_nop 0
	v_cndmask_b32_e32 v17, v18, v17, vcc
	v_add_u32_e32 v18, -1, v20
	v_fma_f32 v19, -v18, v20, v16
	v_cmp_ge_f32_e32 vcc, 0, v19
	v_mul_f32_e32 v19, 0x3fb8aa3b, v1
	v_exp_f32_e32 v19, v19
	v_cndmask_b32_e32 v21, v20, v18, vcc
	v_mul_f32_e32 v18, 0x3fb8aa3b, v0
	v_exp_f32_e32 v18, v18
	v_fma_f32 v20, -v22, v20, v16
	v_cmp_lt_f32_e32 vcc, 0, v20
	v_pk_add_f32 v[18:19], v[18:19], 1.0 op_sel_hi:[1,0]
	s_nop 0
	v_cndmask_b32_e32 v20, v21, v22, vcc
	v_mul_f32_e32 v21, 0x37800000, v20
	v_cmp_gt_f32_e32 vcc, s15, v19
	v_cndmask_b32_e64 v20, v20, v21, s[2:3]
	v_cmp_class_f32_e64 s[2:3], v16, v4
	v_cndmask_b32_e32 v21, 1.0, v7, vcc
	v_mul_f32_e32 v19, v19, v21
	v_log_f32_e32 v19, v19
	v_cndmask_b32_e64 v16, v20, v16, s[2:3]
	v_cmp_gt_f32_e64 s[2:3], s15, v18
	scratch_store_dwordx4 off, v[14:17], off offset:16
	v_cmp_lt_f32_e64 s[4:5], |v19|, s14
	s_nop 0
	v_cndmask_b32_e64 v15, 1.0, v7, s[2:3]
	v_mul_f32_e32 v14, 0x3f317217, v19
	v_mul_f32_e32 v15, v18, v15
	v_fma_f32 v14, v19, s13, -v14
	v_log_f32_e32 v15, v15
	v_fmac_f32_e32 v14, 0x3377d1cf, v19
	v_fmac_f32_e32 v14, 0x3f317217, v19
	v_cndmask_b32_e64 v14, v19, v14, s[4:5]
	v_cndmask_b32_e32 v16, 0, v13, vcc
	v_sub_f32_e32 v14, v14, v16
	v_mul_f32_e32 v16, 0x3f317217, v15
	v_fma_f32 v16, v15, s13, -v16
	v_fmac_f32_e32 v16, 0x3377d1cf, v15
	v_fmac_f32_e32 v16, 0x3f317217, v15
	v_cmp_lt_f32_e64 vcc, |v15|, s14
	s_nop 1
	v_cndmask_b32_e32 v15, v15, v16, vcc
	v_cmp_lt_f32_e32 vcc, s11, v1
	v_cndmask_b32_e64 v16, 0, v13, s[2:3]
	v_sub_f32_e32 v15, v15, v16
	v_cndmask_b32_e32 v1, v14, v1, vcc
	v_mul_f32_e32 v14, 0x4f800000, v1
	v_cmp_gt_f32_e32 vcc, s12, v1
	v_cmp_lt_f32_e64 s[2:3], s11, v0
	s_nop 0
	v_cndmask_b32_e32 v1, v1, v14, vcc
	v_sqrt_f32_e32 v14, v1
	v_cndmask_b32_e64 v0, v15, v0, s[2:3]
	v_add_u32_e32 v15, -1, v14
	v_fma_f32 v16, -v15, v14, v1
	v_cmp_ge_f32_e64 s[2:3], 0, v16
	v_add_u32_e32 v16, 1, v14
	s_nop 0
	v_cndmask_b32_e64 v15, v14, v15, s[2:3]
	v_fma_f32 v14, -v16, v14, v1
	v_cmp_lt_f32_e64 s[2:3], 0, v14
	s_nop 1
	v_cndmask_b32_e64 v14, v15, v16, s[2:3]
	v_mul_f32_e32 v16, 0x4f800000, v0
	v_cmp_gt_f32_e64 s[2:3], s12, v0
	v_mul_f32_e32 v15, 0x37800000, v14
	v_cndmask_b32_e32 v14, v14, v15, vcc
	v_cndmask_b32_e64 v16, v0, v16, s[2:3]
	v_sqrt_f32_e32 v0, v16
	v_cmp_class_f32_e32 vcc, v1, v4
	v_add_u32_e32 v17, 1, v0
	s_nop 0
	v_cndmask_b32_e32 v15, v14, v1, vcc
	v_add_u32_e32 v1, -1, v0
	v_fma_f32 v14, -v1, v0, v16
	v_cmp_ge_f32_e32 vcc, 0, v14
	v_fma_f32 v18, -v17, v0, v16
	s_nop 0
	v_cndmask_b32_e32 v14, v0, v1, vcc
	s_waitcnt vmcnt(1)
	v_mul_f32_e32 v0, 0x3fb8aa3b, v10
	v_mul_f32_e32 v1, 0x3fb8aa3b, v11
	v_exp_f32_e32 v0, v0
	v_exp_f32_e32 v1, v1
	v_cmp_lt_f32_e32 vcc, 0, v18
	v_pk_add_f32 v[0:1], v[0:1], 1.0 op_sel_hi:[1,0]
	s_nop 0
	v_cndmask_b32_e32 v14, v14, v17, vcc
	v_cmp_gt_f32_e32 vcc, s15, v1
	v_mul_f32_e32 v17, 0x37800000, v14
	v_cndmask_b32_e64 v14, v14, v17, s[2:3]
	v_cndmask_b32_e32 v18, 1.0, v7, vcc
	v_mul_f32_e32 v1, v1, v18
	v_log_f32_e32 v1, v1
	v_cmp_class_f32_e64 s[2:3], v16, v4
	v_cmp_lt_f32_e64 s[4:5], |v1|, s14
	s_nop 0
	v_cndmask_b32_e64 v14, v14, v16, s[2:3]
	v_cmp_gt_f32_e64 s[2:3], s15, v0
	v_mul_f32_e32 v16, 0x3f317217, v1
	v_fma_f32 v16, v1, s13, -v16
	v_cndmask_b32_e64 v7, 1.0, v7, s[2:3]
	v_mul_f32_e32 v0, v0, v7
	v_log_f32_e32 v0, v0
	v_fmac_f32_e32 v16, 0x3377d1cf, v1
	v_fmac_f32_e32 v16, 0x3f317217, v1
	v_cndmask_b32_e64 v1, v1, v16, s[4:5]
	v_cndmask_b32_e32 v7, 0, v13, vcc
	v_sub_f32_e32 v1, v1, v7
	v_mul_f32_e32 v7, 0x3f317217, v0
	v_fma_f32 v7, v0, s13, -v7
	v_fmac_f32_e32 v7, 0x3377d1cf, v0
	v_fmac_f32_e32 v7, 0x3f317217, v0
	v_cmp_lt_f32_e64 vcc, |v0|, s14
	s_cselect_b64 s[4:5], -1, 0
	s_cmp_lt_i32 s33, 1
	v_cndmask_b32_e32 v0, v0, v7, vcc
	v_cmp_lt_f32_e32 vcc, s11, v11
	v_cndmask_b32_e64 v7, 0, v13, s[2:3]
	v_sub_f32_e32 v0, v0, v7
	v_cndmask_b32_e32 v1, v1, v11, vcc
	v_mul_f32_e32 v11, 0x4f800000, v1
	v_cmp_gt_f32_e32 vcc, s12, v1
	v_cmp_lt_f32_e64 s[2:3], s11, v10
	s_nop 0
	v_cndmask_b32_e32 v1, v1, v11, vcc
	v_sqrt_f32_e32 v11, v1
	v_cndmask_b32_e64 v0, v0, v10, s[2:3]
	v_add_u32_e32 v7, -1, v11
	v_fma_f32 v10, -v7, v11, v1
	v_cmp_ge_f32_e64 s[2:3], 0, v10
	v_add_u32_e32 v10, 1, v11
	s_nop 0
	v_cndmask_b32_e64 v7, v11, v7, s[2:3]
	v_fma_f32 v11, -v10, v11, v1
	v_cmp_lt_f32_e64 s[2:3], 0, v11
	v_mul_f32_e32 v11, 0x4f800000, v0
	s_nop 0
	v_cndmask_b32_e64 v7, v7, v10, s[2:3]
	v_cmp_gt_f32_e64 s[2:3], s12, v0
	v_mul_f32_e32 v10, 0x37800000, v7
	v_cndmask_b32_e32 v7, v7, v10, vcc
	v_cndmask_b32_e64 v0, v0, v11, s[2:3]
	v_sqrt_f32_e32 v11, v0
	v_cmp_class_f32_e32 vcc, v1, v4
	s_nop 1
	v_cndmask_b32_e32 v17, v7, v1, vcc
	v_add_u32_e32 v1, -1, v11
	v_fma_f32 v7, -v1, v11, v0
	v_cmp_ge_f32_e32 vcc, 0, v7
	v_add_u32_e32 v7, 1, v11
	v_fma_f32 v10, -v7, v11, v0
	v_cndmask_b32_e32 v1, v11, v1, vcc
	v_cmp_lt_f32_e32 vcc, 0, v10
	s_nop 1
	v_cndmask_b32_e32 v1, v1, v7, vcc
	v_mul_f32_e32 v7, 0x37800000, v1
	v_cndmask_b32_e64 v1, v1, v7, s[2:3]
	v_cmp_class_f32_e32 vcc, v0, v4
	s_nop 1
	v_cndmask_b32_e32 v16, v1, v0, vcc
	v_lshl_add_u64 v[0:1], v[2:3], 2, v[8:9]
	v_mul_lo_u32 v2, v6, s33
	scratch_store_dwordx4 off, v[14:17], off offset:32
	s_cbranch_scc1 .LBB50_28
; %bb.2:
	s_load_dwordx2 s[6:7], s[0:1], 0x20
	s_cmp_lt_u32 s33, 4
	v_mul_lo_u32 v6, v6, s33
	s_cbranch_scc1 .LBB50_21
; %bb.3:
	s_mov_b32 s9, 0
	s_and_b32 s10, s33, 0x7ffffffc
	v_ashrrev_i32_e32 v7, 31, v6
	v_mov_b32_e32 v5, 0
	s_mov_b32 s8, s9
	s_branch .LBB50_5
.LBB50_4:                               ;   in Loop: Header=BB50_5 Depth=1
	s_or_b64 exec, exec, s[12:13]
	s_add_i32 s8, s8, 4
	s_cmp_eq_u32 s8, s10
	s_cbranch_scc1 .LBB50_21
.LBB50_5:                               ; =>This Loop Header: Depth=1
                                        ;     Child Loop BB50_7 Depth 2
                                        ;     Child Loop BB50_11 Depth 2
	;; [unrolled: 1-line block ×4, first 2 shown]
	v_lshl_add_u64 v[8:9], s[8:9], 2, v[0:1]
	global_load_dword v3, v[8:9], off
	v_add_u32_e32 v10, s8, v6
	v_ashrrev_i32_e32 v11, 31, v10
	s_waitcnt lgkmcnt(0)
	v_lshl_add_u64 v[10:11], v[10:11], 2, s[6:7]
	v_mov_b32_e32 v4, 0
	s_mov_b64 s[12:13], 0
	s_mov_b32 s11, 0
	s_mov_b32 s16, 0
	s_branch .LBB50_7
.LBB50_6:                               ;   in Loop: Header=BB50_7 Depth=2
	s_or_b64 exec, exec, s[14:15]
	s_add_i32 s17, s16, 1
	s_cmp_gt_u32 s16, 10
	s_cselect_b64 s[2:3], -1, 0
	s_xor_b64 s[14:15], vcc, -1
	s_or_b64 s[2:3], s[14:15], s[2:3]
	s_add_i32 s11, s11, 32
	s_and_b64 s[2:3], exec, s[2:3]
	v_add_u32_e32 v4, 4, v4
	s_or_b64 s[12:13], s[2:3], s[12:13]
	s_mov_b32 s16, s17
	s_andn2_b64 exec, exec, s[12:13]
	s_cbranch_execz .LBB50_9
.LBB50_7:                               ;   Parent Loop BB50_5 Depth=1
                                        ; =>  This Inner Loop Header: Depth=2
	s_and_b32 s2, s16, 1
	s_and_b32 s3, s11, 0x1c0
	s_or_b32 s2, s2, s3
	v_or_b32_e32 v13, s2, v12
	s_waitcnt vmcnt(0)
	v_cmp_ne_u32_e32 vcc, v3, v13
	v_cmp_eq_u32_e64 s[2:3], v3, v13
	s_and_saveexec_b64 s[14:15], s[2:3]
	s_cbranch_execz .LBB50_6
; %bb.8:                                ;   in Loop: Header=BB50_7 Depth=2
	scratch_load_dword v13, v4, off
	s_waitcnt vmcnt(0)
	v_add_f32_e32 v5, v5, v13
	global_store_dword v[10:11], v3, off
	s_branch .LBB50_6
.LBB50_9:                               ;   in Loop: Header=BB50_5 Depth=1
	s_or_b64 exec, exec, s[12:13]
	global_load_dword v3, v[8:9], off offset:4
	s_ashr_i32 s3, s8, 31
	s_mov_b32 s2, s8
	v_lshl_add_u64 v[10:11], s[2:3], 0, v[6:7]
	v_lshl_add_u64 v[10:11], v[10:11], 2, s[6:7]
	v_mov_b32_e32 v4, 0
	s_mov_b32 s11, 0
	s_mov_b64 s[12:13], 0
	s_mov_b32 s16, 0
	s_branch .LBB50_11
.LBB50_10:                              ;   in Loop: Header=BB50_11 Depth=2
	s_or_b64 exec, exec, s[14:15]
	s_add_i32 s17, s16, 1
	s_cmp_gt_u32 s16, 10
	s_cselect_b64 s[2:3], -1, 0
	s_xor_b64 s[14:15], vcc, -1
	s_or_b64 s[2:3], s[14:15], s[2:3]
	s_add_i32 s11, s11, 32
	s_and_b64 s[2:3], exec, s[2:3]
	v_add_u32_e32 v4, 4, v4
	s_or_b64 s[12:13], s[2:3], s[12:13]
	s_mov_b32 s16, s17
	s_andn2_b64 exec, exec, s[12:13]
	s_cbranch_execz .LBB50_13
.LBB50_11:                              ;   Parent Loop BB50_5 Depth=1
                                        ; =>  This Inner Loop Header: Depth=2
	s_and_b32 s2, s16, 1
	s_and_b32 s3, s11, 0x1c0
	s_or_b32 s2, s2, s3
	v_or_b32_e32 v13, s2, v12
	s_waitcnt vmcnt(0)
	v_cmp_ne_u32_e32 vcc, v3, v13
	v_cmp_eq_u32_e64 s[2:3], v3, v13
	s_and_saveexec_b64 s[14:15], s[2:3]
	s_cbranch_execz .LBB50_10
; %bb.12:                               ;   in Loop: Header=BB50_11 Depth=2
	scratch_load_dword v13, v4, off
	s_waitcnt vmcnt(0)
	v_add_f32_e32 v5, v5, v13
	global_store_dword v[10:11], v3, off offset:4
	s_branch .LBB50_10
.LBB50_13:                              ;   in Loop: Header=BB50_5 Depth=1
	s_or_b64 exec, exec, s[12:13]
	global_load_dword v3, v[8:9], off offset:8
	v_mov_b32_e32 v4, 0
	s_mov_b32 s11, 0
	s_mov_b64 s[12:13], 0
	s_mov_b32 s16, 0
	s_branch .LBB50_15
.LBB50_14:                              ;   in Loop: Header=BB50_15 Depth=2
	s_or_b64 exec, exec, s[14:15]
	s_add_i32 s17, s16, 1
	s_cmp_gt_u32 s16, 10
	s_cselect_b64 s[2:3], -1, 0
	s_xor_b64 s[14:15], vcc, -1
	s_or_b64 s[2:3], s[14:15], s[2:3]
	s_add_i32 s11, s11, 32
	s_and_b64 s[2:3], exec, s[2:3]
	v_add_u32_e32 v4, 4, v4
	s_or_b64 s[12:13], s[2:3], s[12:13]
	s_mov_b32 s16, s17
	s_andn2_b64 exec, exec, s[12:13]
	s_cbranch_execz .LBB50_17
.LBB50_15:                              ;   Parent Loop BB50_5 Depth=1
                                        ; =>  This Inner Loop Header: Depth=2
	s_and_b32 s2, s16, 1
	s_and_b32 s3, s11, 0x1c0
	s_or_b32 s2, s2, s3
	v_or_b32_e32 v13, s2, v12
	s_waitcnt vmcnt(0)
	v_cmp_ne_u32_e32 vcc, v3, v13
	v_cmp_eq_u32_e64 s[2:3], v3, v13
	s_and_saveexec_b64 s[14:15], s[2:3]
	s_cbranch_execz .LBB50_14
; %bb.16:                               ;   in Loop: Header=BB50_15 Depth=2
	scratch_load_dword v13, v4, off
	s_waitcnt vmcnt(0)
	v_add_f32_e32 v5, v5, v13
	global_store_dword v[10:11], v3, off offset:8
	s_branch .LBB50_14
.LBB50_17:                              ;   in Loop: Header=BB50_5 Depth=1
	s_or_b64 exec, exec, s[12:13]
	global_load_dword v3, v[8:9], off offset:12
	v_mov_b32_e32 v4, 0
	s_mov_b32 s11, 0
	s_mov_b64 s[12:13], 0
	s_mov_b32 s16, 0
	s_branch .LBB50_19
.LBB50_18:                              ;   in Loop: Header=BB50_19 Depth=2
	s_or_b64 exec, exec, s[14:15]
	s_add_i32 s17, s16, 1
	s_cmp_gt_u32 s16, 10
	s_cselect_b64 s[2:3], -1, 0
	s_xor_b64 s[14:15], vcc, -1
	s_or_b64 s[2:3], s[14:15], s[2:3]
	s_add_i32 s11, s11, 32
	s_and_b64 s[2:3], exec, s[2:3]
	v_add_u32_e32 v4, 4, v4
	s_or_b64 s[12:13], s[2:3], s[12:13]
	s_mov_b32 s16, s17
	s_andn2_b64 exec, exec, s[12:13]
	s_cbranch_execz .LBB50_4
.LBB50_19:                              ;   Parent Loop BB50_5 Depth=1
                                        ; =>  This Inner Loop Header: Depth=2
	s_and_b32 s2, s16, 1
	s_and_b32 s3, s11, 0x1c0
	s_or_b32 s2, s2, s3
	v_or_b32_e32 v8, s2, v12
	s_waitcnt vmcnt(0)
	v_cmp_ne_u32_e32 vcc, v3, v8
	v_cmp_eq_u32_e64 s[2:3], v3, v8
	s_and_saveexec_b64 s[14:15], s[2:3]
	s_cbranch_execz .LBB50_18
; %bb.20:                               ;   in Loop: Header=BB50_19 Depth=2
	scratch_load_dword v8, v4, off
	s_waitcnt vmcnt(0)
	v_add_f32_e32 v5, v5, v8
	global_store_dword v[10:11], v3, off offset:12
	s_branch .LBB50_18
.LBB50_21:
	s_and_b32 s14, s33, 3
	s_cmp_eq_u32 s14, 0
	s_mov_b32 s11, 0
	s_cbranch_scc1 .LBB50_28
; %bb.22:
	s_mov_b32 s15, s11
	s_branch .LBB50_24
.LBB50_23:                              ;   in Loop: Header=BB50_24 Depth=1
	s_or_b64 exec, exec, s[8:9]
	s_add_i32 s10, s10, 1
	s_add_i32 s15, s15, 1
	s_cmp_lg_u32 s15, s14
	s_cbranch_scc0 .LBB50_28
.LBB50_24:                              ; =>This Loop Header: Depth=1
                                        ;     Child Loop BB50_26 Depth 2
	v_lshl_add_u64 v[8:9], s[10:11], 2, v[0:1]
	global_load_dword v3, v[8:9], off
	v_add_u32_e32 v8, s10, v6
	v_ashrrev_i32_e32 v9, 31, v8
	s_waitcnt lgkmcnt(0)
	v_lshl_add_u64 v[8:9], v[8:9], 2, s[6:7]
	v_mov_b32_e32 v4, 0
	s_mov_b32 s16, 0
	s_mov_b64 s[8:9], 0
	s_mov_b32 s17, 0
	s_branch .LBB50_26
.LBB50_25:                              ;   in Loop: Header=BB50_26 Depth=2
	s_or_b64 exec, exec, s[12:13]
	s_add_i32 s18, s17, 1
	s_cmp_gt_u32 s17, 10
	s_cselect_b64 s[2:3], -1, 0
	s_xor_b64 s[12:13], vcc, -1
	s_or_b64 s[2:3], s[12:13], s[2:3]
	s_add_i32 s16, s16, 32
	s_and_b64 s[2:3], exec, s[2:3]
	v_add_u32_e32 v4, 4, v4
	s_or_b64 s[8:9], s[2:3], s[8:9]
	s_mov_b32 s17, s18
	s_andn2_b64 exec, exec, s[8:9]
	s_cbranch_execz .LBB50_23
.LBB50_26:                              ;   Parent Loop BB50_24 Depth=1
                                        ; =>  This Inner Loop Header: Depth=2
	s_and_b32 s2, s17, 1
	s_and_b32 s3, s16, 0x1c0
	s_or_b32 s2, s2, s3
	v_or_b32_e32 v7, s2, v12
	s_waitcnt vmcnt(0)
	v_cmp_ne_u32_e32 vcc, v3, v7
	v_cmp_eq_u32_e64 s[2:3], v3, v7
	s_and_saveexec_b64 s[12:13], s[2:3]
	s_cbranch_execz .LBB50_25
; %bb.27:                               ;   in Loop: Header=BB50_26 Depth=2
	scratch_load_dword v7, v4, off
	s_waitcnt vmcnt(0)
	v_add_f32_e32 v5, v5, v7
	global_store_dword v[8:9], v3, off
	s_branch .LBB50_25
.LBB50_28:
	s_waitcnt lgkmcnt(0)
	s_load_dword s6, s[0:1], 0x3c
	s_waitcnt lgkmcnt(0)
	s_bitcmp1_b32 s6, 0
	s_cselect_b64 s[2:3], -1, 0
	s_bitcmp0_b32 s6, 0
	s_cbranch_scc0 .LBB50_31
; %bb.29:
	s_load_dwordx2 s[6:7], s[0:1], 0x40
	s_andn2_b64 vcc, exec, s[2:3]
	s_waitcnt lgkmcnt(0)
	v_cvt_f32_f64_e32 v4, s[6:7]
	s_cbranch_vccz .LBB50_32
.LBB50_30:
	s_andn2_b64 vcc, exec, s[4:5]
	s_cbranch_vccz .LBB50_33
	s_branch .LBB50_59
.LBB50_31:
	v_mbcnt_lo_u32_b32 v3, -1, 0
	v_mbcnt_hi_u32_b32 v3, -1, v3
	v_and_b32_e32 v4, 0x60, v3
	v_add_u32_e32 v4, 32, v4
	v_xor_b32_e32 v6, 16, v3
	v_cmp_lt_i32_e32 vcc, v6, v4
	v_xor_b32_e32 v7, 8, v3
	s_nop 0
	v_cndmask_b32_e32 v6, v3, v6, vcc
	v_lshlrev_b32_e32 v6, 2, v6
	ds_bpermute_b32 v6, v6, v5
	v_cmp_lt_i32_e32 vcc, v7, v4
	s_waitcnt lgkmcnt(0)
	v_add_f32_e32 v5, v5, v6
	v_cndmask_b32_e32 v6, v3, v7, vcc
	v_lshlrev_b32_e32 v6, 2, v6
	ds_bpermute_b32 v6, v6, v5
	v_xor_b32_e32 v7, 4, v3
	v_cmp_lt_i32_e32 vcc, v7, v4
	s_waitcnt lgkmcnt(0)
	v_add_f32_e32 v5, v5, v6
	v_cndmask_b32_e32 v6, v3, v7, vcc
	v_lshlrev_b32_e32 v6, 2, v6
	ds_bpermute_b32 v6, v6, v5
	v_xor_b32_e32 v7, 2, v3
	;; [unrolled: 7-line block ×3, first 2 shown]
	v_cmp_lt_i32_e32 vcc, v7, v4
	s_waitcnt lgkmcnt(0)
	v_add_f32_e32 v5, v5, v6
	v_cndmask_b32_e32 v3, v3, v7, vcc
	v_lshlrev_b32_e32 v3, 2, v3
	ds_bpermute_b32 v3, v3, v5
	s_waitcnt lgkmcnt(0)
	v_add_f32_e32 v5, v5, v3
	s_load_dwordx2 s[6:7], s[0:1], 0x40
	s_andn2_b64 vcc, exec, s[2:3]
	s_waitcnt lgkmcnt(0)
	v_cvt_f32_f64_e32 v4, s[6:7]
	s_cbranch_vccnz .LBB50_30
.LBB50_32:
	v_cmp_lt_f32_e32 vcc, 0, v5
	s_nop 1
	v_cndmask_b32_e32 v3, 1.0, v5, vcc
	v_div_scale_f32 v5, s[2:3], v3, v3, v4
	v_rcp_f32_e32 v6, v5
	s_nop 0
	v_fma_f32 v7, -v5, v6, 1.0
	v_fmac_f32_e32 v6, v7, v6
	v_div_scale_f32 v7, vcc, v4, v3, v4
	v_mul_f32_e32 v8, v7, v6
	v_fma_f32 v9, -v5, v8, v7
	v_fmac_f32_e32 v8, v9, v6
	v_fma_f32 v5, -v5, v8, v7
	v_div_fmas_f32 v5, v5, v6, v8
	v_div_fixup_f32 v4, v5, v3, v4
	s_andn2_b64 vcc, exec, s[4:5]
	s_cbranch_vccnz .LBB50_59
.LBB50_33:
	s_load_dwordx2 s[20:21], s[0:1], 0x10
	v_mov_b32_e32 v3, 0
	v_or_b32_e32 v5, 4, v3
	v_or_b32_e32 v6, 8, v3
	;; [unrolled: 1-line block ×3, first 2 shown]
	v_add_u32_e32 v8, 16, v3
	v_add_u32_e32 v9, 20, v3
	;; [unrolled: 1-line block ×8, first 2 shown]
	v_or_b32_e32 v17, 1, v12
	v_or_b32_e32 v18, 64, v12
	;; [unrolled: 1-line block ×11, first 2 shown]
	s_branch .LBB50_35
.LBB50_34:                              ;   in Loop: Header=BB50_35 Depth=1
	s_or_b64 exec, exec, s[0:1]
	s_add_i32 s33, s33, -1
	v_add_u32_e32 v2, 1, v2
	s_cmp_eq_u32 s33, 0
	v_lshl_add_u64 v[0:1], v[0:1], 0, 4
	s_cbranch_scc1 .LBB50_59
.LBB50_35:                              ; =>This Inner Loop Header: Depth=1
	global_load_dword v28, v[0:1], off
	v_mov_b32_e32 v3, 0
	s_waitcnt vmcnt(0)
	v_cmp_eq_u32_e32 vcc, v28, v12
	v_cmp_ne_u32_e64 s[0:1], v28, v12
	s_and_saveexec_b64 s[22:23], s[0:1]
	s_cbranch_execz .LBB50_57
; %bb.36:                               ;   in Loop: Header=BB50_35 Depth=1
	v_cmp_eq_u32_e64 s[0:1], v28, v17
	v_cmp_ne_u32_e64 s[2:3], v28, v17
	v_mov_b32_e32 v3, v5
	s_and_saveexec_b64 s[24:25], s[2:3]
	s_cbranch_execz .LBB50_56
; %bb.37:                               ;   in Loop: Header=BB50_35 Depth=1
	v_cmp_eq_u32_e64 s[2:3], v28, v18
	v_cmp_ne_u32_e64 s[4:5], v28, v18
	v_mov_b32_e32 v3, v6
	;; [unrolled: 6-line block ×10, first 2 shown]
	s_and_saveexec_b64 s[46:47], s[18:19]
	s_xor_b64 s[46:47], exec, s[46:47]
; %bb.46:                               ;   in Loop: Header=BB50_35 Depth=1
	v_cmp_eq_u32_e64 s[18:19], v28, v27
	s_andn2_b64 s[44:45], s[44:45], exec
	s_and_b64 s[18:19], s[18:19], exec
	s_or_b64 s[44:45], s[44:45], s[18:19]
	v_mov_b32_e32 v3, v16
; %bb.47:                               ;   in Loop: Header=BB50_35 Depth=1
	s_or_b64 exec, exec, s[46:47]
	s_andn2_b64 s[16:17], s[16:17], exec
	s_and_b64 s[18:19], s[44:45], exec
	s_or_b64 s[16:17], s[16:17], s[18:19]
.LBB50_48:                              ;   in Loop: Header=BB50_35 Depth=1
	s_or_b64 exec, exec, s[42:43]
	s_andn2_b64 s[14:15], s[14:15], exec
	s_and_b64 s[16:17], s[16:17], exec
	s_or_b64 s[14:15], s[14:15], s[16:17]
.LBB50_49:                              ;   in Loop: Header=BB50_35 Depth=1
	s_or_b64 exec, exec, s[40:41]
	s_andn2_b64 s[12:13], s[12:13], exec
	s_and_b64 s[14:15], s[14:15], exec
	s_or_b64 s[12:13], s[12:13], s[14:15]
.LBB50_50:                              ;   in Loop: Header=BB50_35 Depth=1
	s_or_b64 exec, exec, s[38:39]
	s_andn2_b64 s[10:11], s[10:11], exec
	s_and_b64 s[12:13], s[12:13], exec
	s_or_b64 s[10:11], s[10:11], s[12:13]
.LBB50_51:                              ;   in Loop: Header=BB50_35 Depth=1
	s_or_b64 exec, exec, s[36:37]
	s_andn2_b64 s[8:9], s[8:9], exec
	s_and_b64 s[10:11], s[10:11], exec
	s_or_b64 s[8:9], s[8:9], s[10:11]
.LBB50_52:                              ;   in Loop: Header=BB50_35 Depth=1
	s_or_b64 exec, exec, s[34:35]
	s_andn2_b64 s[6:7], s[6:7], exec
	s_and_b64 s[8:9], s[8:9], exec
	s_or_b64 s[6:7], s[6:7], s[8:9]
.LBB50_53:                              ;   in Loop: Header=BB50_35 Depth=1
	s_or_b64 exec, exec, s[30:31]
	s_andn2_b64 s[4:5], s[4:5], exec
	s_and_b64 s[6:7], s[6:7], exec
	s_or_b64 s[4:5], s[4:5], s[6:7]
.LBB50_54:                              ;   in Loop: Header=BB50_35 Depth=1
	s_or_b64 exec, exec, s[28:29]
	s_andn2_b64 s[2:3], s[2:3], exec
	s_and_b64 s[4:5], s[4:5], exec
	s_or_b64 s[2:3], s[2:3], s[4:5]
.LBB50_55:                              ;   in Loop: Header=BB50_35 Depth=1
	s_or_b64 exec, exec, s[26:27]
	s_andn2_b64 s[0:1], s[0:1], exec
	s_and_b64 s[2:3], s[2:3], exec
	s_or_b64 s[0:1], s[0:1], s[2:3]
.LBB50_56:                              ;   in Loop: Header=BB50_35 Depth=1
	s_or_b64 exec, exec, s[24:25]
	s_andn2_b64 s[2:3], vcc, exec
	s_and_b64 s[0:1], s[0:1], exec
	s_or_b64 vcc, s[2:3], s[0:1]
.LBB50_57:                              ;   in Loop: Header=BB50_35 Depth=1
	s_or_b64 exec, exec, s[22:23]
	s_and_saveexec_b64 s[0:1], vcc
	s_cbranch_execz .LBB50_34
; %bb.58:                               ;   in Loop: Header=BB50_35 Depth=1
	scratch_load_dword v28, v3, off
	v_ashrrev_i32_e32 v3, 31, v2
	s_waitcnt vmcnt(0)
	v_mul_f32_e32 v30, v4, v28
	s_waitcnt lgkmcnt(0)
	v_lshl_add_u64 v[28:29], v[2:3], 2, s[20:21]
	global_store_dword v[28:29], v30, off
	s_branch .LBB50_34
.LBB50_59:
	s_endpgm
	.section	.rodata,"a",@progbits
	.p2align	6, 0x0
	.amdhsa_kernel _ZN4vllm3moe22topkGatingSoftplusSqrtILi12ELi384ELi4ELi8ELi32ELb1EifEEvPKT6_PKbPfiPT5_PiiiibdPKfPKS8_SE_
		.amdhsa_group_segment_fixed_size 0
		.amdhsa_private_segment_fixed_size 64
		.amdhsa_kernarg_size 96
		.amdhsa_user_sgpr_count 2
		.amdhsa_user_sgpr_dispatch_ptr 0
		.amdhsa_user_sgpr_queue_ptr 0
		.amdhsa_user_sgpr_kernarg_segment_ptr 1
		.amdhsa_user_sgpr_dispatch_id 0
		.amdhsa_user_sgpr_kernarg_preload_length 0
		.amdhsa_user_sgpr_kernarg_preload_offset 0
		.amdhsa_user_sgpr_private_segment_size 0
		.amdhsa_uses_dynamic_stack 0
		.amdhsa_enable_private_segment 1
		.amdhsa_system_sgpr_workgroup_id_x 1
		.amdhsa_system_sgpr_workgroup_id_y 0
		.amdhsa_system_sgpr_workgroup_id_z 0
		.amdhsa_system_sgpr_workgroup_info 0
		.amdhsa_system_vgpr_workitem_id 1
		.amdhsa_next_free_vgpr 33
		.amdhsa_next_free_sgpr 48
		.amdhsa_accum_offset 36
		.amdhsa_reserve_vcc 1
		.amdhsa_float_round_mode_32 0
		.amdhsa_float_round_mode_16_64 0
		.amdhsa_float_denorm_mode_32 3
		.amdhsa_float_denorm_mode_16_64 3
		.amdhsa_dx10_clamp 1
		.amdhsa_ieee_mode 1
		.amdhsa_fp16_overflow 0
		.amdhsa_tg_split 0
		.amdhsa_exception_fp_ieee_invalid_op 0
		.amdhsa_exception_fp_denorm_src 0
		.amdhsa_exception_fp_ieee_div_zero 0
		.amdhsa_exception_fp_ieee_overflow 0
		.amdhsa_exception_fp_ieee_underflow 0
		.amdhsa_exception_fp_ieee_inexact 0
		.amdhsa_exception_int_div_zero 0
	.end_amdhsa_kernel
	.section	.text._ZN4vllm3moe22topkGatingSoftplusSqrtILi12ELi384ELi4ELi8ELi32ELb1EifEEvPKT6_PKbPfiPT5_PiiiibdPKfPKS8_SE_,"axG",@progbits,_ZN4vllm3moe22topkGatingSoftplusSqrtILi12ELi384ELi4ELi8ELi32ELb1EifEEvPKT6_PKbPfiPT5_PiiiibdPKfPKS8_SE_,comdat
.Lfunc_end50:
	.size	_ZN4vllm3moe22topkGatingSoftplusSqrtILi12ELi384ELi4ELi8ELi32ELb1EifEEvPKT6_PKbPfiPT5_PiiiibdPKfPKS8_SE_, .Lfunc_end50-_ZN4vllm3moe22topkGatingSoftplusSqrtILi12ELi384ELi4ELi8ELi32ELb1EifEEvPKT6_PKbPfiPT5_PiiiibdPKfPKS8_SE_
                                        ; -- End function
	.section	.AMDGPU.csdata,"",@progbits
; Kernel info:
; codeLenInByte = 5048
; NumSgprs: 54
; NumVgprs: 33
; NumAgprs: 0
; TotalNumVgprs: 33
; ScratchSize: 64
; MemoryBound: 0
; FloatMode: 240
; IeeeMode: 1
; LDSByteSize: 0 bytes/workgroup (compile time only)
; SGPRBlocks: 6
; VGPRBlocks: 4
; NumSGPRsForWavesPerEU: 54
; NumVGPRsForWavesPerEU: 33
; AccumOffset: 36
; Occupancy: 8
; WaveLimiterHint : 1
; COMPUTE_PGM_RSRC2:SCRATCH_EN: 1
; COMPUTE_PGM_RSRC2:USER_SGPR: 2
; COMPUTE_PGM_RSRC2:TRAP_HANDLER: 0
; COMPUTE_PGM_RSRC2:TGID_X_EN: 1
; COMPUTE_PGM_RSRC2:TGID_Y_EN: 0
; COMPUTE_PGM_RSRC2:TGID_Z_EN: 0
; COMPUTE_PGM_RSRC2:TIDIG_COMP_CNT: 1
; COMPUTE_PGM_RSRC3_GFX90A:ACCUM_OFFSET: 8
; COMPUTE_PGM_RSRC3_GFX90A:TG_SPLIT: 0
	.section	.text._ZN4vllm3moe22topkGatingSoftplusSqrtILi12ELi384ELi4ELi8ELi32ELb0EifEEvPKT6_PKbPfiPT5_PiiiibdPKfPKS8_SE_,"axG",@progbits,_ZN4vllm3moe22topkGatingSoftplusSqrtILi12ELi384ELi4ELi8ELi32ELb0EifEEvPKT6_PKbPfiPT5_PiiiibdPKfPKS8_SE_,comdat
	.protected	_ZN4vllm3moe22topkGatingSoftplusSqrtILi12ELi384ELi4ELi8ELi32ELb0EifEEvPKT6_PKbPfiPT5_PiiiibdPKfPKS8_SE_ ; -- Begin function _ZN4vllm3moe22topkGatingSoftplusSqrtILi12ELi384ELi4ELi8ELi32ELb0EifEEvPKT6_PKbPfiPT5_PiiiibdPKfPKS8_SE_
	.globl	_ZN4vllm3moe22topkGatingSoftplusSqrtILi12ELi384ELi4ELi8ELi32ELb0EifEEvPKT6_PKbPfiPT5_PiiiibdPKfPKS8_SE_
	.p2align	8
	.type	_ZN4vllm3moe22topkGatingSoftplusSqrtILi12ELi384ELi4ELi8ELi32ELb0EifEEvPKT6_PKbPfiPT5_PiiiibdPKfPKS8_SE_,@function
_ZN4vllm3moe22topkGatingSoftplusSqrtILi12ELi384ELi4ELi8ELi32ELb0EifEEvPKT6_PKbPfiPT5_PiiiibdPKfPKS8_SE_: ; @_ZN4vllm3moe22topkGatingSoftplusSqrtILi12ELi384ELi4ELi8ELi32ELb0EifEEvPKT6_PKbPfiPT5_PiiiibdPKfPKS8_SE_
; %bb.0:
	s_load_dword s33, s[0:1], 0x18
	v_and_b32_e32 v1, 0x3ff, v0
	s_lshl_b32 s2, s2, 2
	v_lshrrev_b32_e32 v2, 5, v1
	v_bfe_u32 v0, v0, 10, 10
	v_add3_u32 v12, s2, v0, v2
	s_waitcnt lgkmcnt(0)
	v_cmp_gt_i32_e32 vcc, s33, v12
	s_and_saveexec_b64 s[2:3], vcc
	s_cbranch_execz .LBB51_73
; %bb.1:
	s_load_dwordx4 s[4:7], s[0:1], 0x0
	s_load_dwordx2 s[34:35], s[0:1], 0x10
	s_waitcnt lgkmcnt(0)
	s_cmp_eq_u64 s[6:7], 0
	s_cbranch_scc1 .LBB51_3
; %bb.2:
	v_ashrrev_i32_e32 v13, 31, v12
	v_lshl_add_u64 v[2:3], s[6:7], 0, v[12:13]
	global_load_ubyte v0, v[2:3], off
	s_waitcnt vmcnt(0)
	v_and_b32_e32 v0, 1, v0
	v_cmp_eq_u32_e32 vcc, 1, v0
	s_xor_b64 s[2:3], vcc, -1
	s_orn2_b64 s[44:45], s[2:3], exec
	s_branch .LBB51_4
.LBB51_3:
	s_mov_b64 s[44:45], -1
.LBB51_4:
	s_movk_i32 s2, 0x180
	v_mul_lo_u32 v4, v12, s2
	v_mov_b32_e32 v2, s4
	v_mov_b32_e32 v3, s5
	v_ashrrev_i32_e32 v5, 31, v4
	v_and_b32_e32 v13, 31, v1
	v_lshl_add_u64 v[2:3], v[4:5], 2, v[2:3]
	v_mov_b32_e32 v1, 0
	v_lshlrev_b32_e32 v0, 3, v13
	v_lshl_add_u64 v[14:15], v[2:3], 0, v[0:1]
	global_load_dwordx2 v[0:1], v[14:15], off
	global_load_dwordx2 v[2:3], v[14:15], off offset:256
	global_load_dwordx2 v[4:5], v[14:15], off offset:512
	;; [unrolled: 1-line block ×5, first 2 shown]
	s_mov_b32 s12, 0x800000
	v_mov_b32_e32 v18, 0x4f800000
	s_mov_b32 s9, 0x3f317217
	s_mov_b32 s10, 0x7f800000
	v_mov_b32_e32 v17, 0x41b17218
	s_mov_b32 s8, 0x41a00000
	s_mov_b32 s11, 0xf800000
	s_load_dwordx4 s[28:31], s[0:1], 0x40
	v_mov_b32_e32 v15, 0x260
	s_waitcnt lgkmcnt(0)
	s_cmp_lg_u64 s[30:31], 0
	s_cselect_b64 s[6:7], -1, 0
	s_and_b64 s[2:3], exec, s[6:7]
	s_waitcnt vmcnt(5)
	v_mul_f32_e32 v14, 0x3fb8aa3b, v0
	v_exp_f32_e32 v14, v14
	s_nop 0
	v_add_f32_e32 v14, 1.0, v14
	v_cmp_gt_f32_e32 vcc, s12, v14
	s_nop 1
	v_cndmask_b32_e32 v16, 1.0, v18, vcc
	v_mul_f32_e32 v14, v14, v16
	v_log_f32_e32 v19, v14
	v_cndmask_b32_e32 v20, 0, v17, vcc
	v_lshlrev_b32_e32 v16, 1, v13
	v_lshlrev_b32_e32 v14, 2, v16
	v_mul_f32_e32 v21, 0x3f317217, v19
	v_fma_f32 v21, v19, s9, -v21
	v_fmac_f32_e32 v21, 0x3377d1cf, v19
	v_fmac_f32_e32 v21, 0x3f317217, v19
	v_cmp_lt_f32_e64 vcc, |v19|, s10
	s_nop 1
	v_cndmask_b32_e32 v19, v19, v21, vcc
	v_sub_f32_e32 v19, v19, v20
	v_cmp_lt_f32_e32 vcc, s8, v0
	s_nop 1
	v_cndmask_b32_e32 v0, v19, v0, vcc
	v_mul_f32_e32 v19, 0x4f800000, v0
	v_cmp_gt_f32_e32 vcc, s11, v0
	s_nop 1
	v_cndmask_b32_e32 v0, v0, v19, vcc
	v_sqrt_f32_e32 v19, v0
	s_nop 0
	v_add_u32_e32 v20, -1, v19
	v_add_u32_e32 v21, 1, v19
	v_fma_f32 v22, -v20, v19, v0
	v_fma_f32 v23, -v21, v19, v0
	v_cmp_ge_f32_e64 s[4:5], 0, v22
	s_nop 1
	v_cndmask_b32_e64 v19, v19, v20, s[4:5]
	v_cmp_lt_f32_e64 s[4:5], 0, v23
	s_nop 1
	v_cndmask_b32_e64 v19, v19, v21, s[4:5]
	v_mul_f32_e32 v20, 0x37800000, v19
	v_cndmask_b32_e32 v19, v19, v20, vcc
	v_cmp_class_f32_e32 vcc, v0, v15
	s_nop 1
	v_cndmask_b32_e32 v0, v19, v0, vcc
	s_mov_b64 vcc, s[2:3]
	s_cbranch_vccz .LBB51_6
; %bb.5:
	global_load_dword v19, v14, s[30:31]
	s_waitcnt vmcnt(0)
	v_add_f32_e32 v0, v0, v19
.LBB51_6:
	v_mul_f32_e32 v19, 0x3fb8aa3b, v1
	v_exp_f32_e32 v19, v19
	s_nop 0
	v_add_f32_e32 v19, 1.0, v19
	v_cmp_gt_f32_e32 vcc, s12, v19
	s_nop 1
	v_cndmask_b32_e32 v18, 1.0, v18, vcc
	v_mul_f32_e32 v18, v19, v18
	v_log_f32_e32 v18, v18
	v_cndmask_b32_e32 v17, 0, v17, vcc
	v_mul_f32_e32 v19, 0x3f317217, v18
	v_fma_f32 v19, v18, s9, -v19
	v_fmac_f32_e32 v19, 0x3377d1cf, v18
	v_fmac_f32_e32 v19, 0x3f317217, v18
	v_cmp_lt_f32_e64 vcc, |v18|, s10
	s_nop 1
	v_cndmask_b32_e32 v18, v18, v19, vcc
	v_sub_f32_e32 v17, v18, v17
	v_cmp_lt_f32_e32 vcc, s8, v1
	s_nop 1
	v_cndmask_b32_e32 v1, v17, v1, vcc
	v_mul_f32_e32 v17, 0x4f800000, v1
	v_cmp_gt_f32_e32 vcc, s11, v1
	s_nop 1
	v_cndmask_b32_e32 v1, v1, v17, vcc
	v_sqrt_f32_e32 v17, v1
	v_cmp_class_f32_e64 s[4:5], v1, v15
	v_add_u32_e32 v18, -1, v17
	v_add_u32_e32 v19, 1, v17
	v_fma_f32 v20, -v18, v17, v1
	v_fma_f32 v21, -v19, v17, v1
	v_cmp_ge_f32_e64 s[2:3], 0, v20
	s_nop 1
	v_cndmask_b32_e64 v17, v17, v18, s[2:3]
	v_cmp_lt_f32_e64 s[2:3], 0, v21
	s_nop 1
	v_cndmask_b32_e64 v17, v17, v19, s[2:3]
	v_mul_f32_e32 v18, 0x37800000, v17
	v_cndmask_b32_e32 v17, v17, v18, vcc
	v_cndmask_b32_e64 v18, 0, 1, s[6:7]
	v_cmp_ne_u32_e64 s[2:3], 1, v18
	s_andn2_b64 vcc, exec, s[6:7]
	v_cndmask_b32_e64 v1, v17, v1, s[4:5]
	s_cbranch_vccnz .LBB51_8
; %bb.7:
	global_load_dword v15, v14, s[30:31] offset:4
	s_waitcnt vmcnt(0)
	v_add_f32_e32 v1, v1, v15
.LBB51_8:
	s_waitcnt vmcnt(4)
	v_mul_f32_e32 v15, 0x3fb8aa3b, v2
	v_exp_f32_e32 v15, v15
	s_mov_b32 s10, 0x800000
	v_mov_b32_e32 v17, 0x4f800000
	s_mov_b32 s7, 0x3f317217
	v_add_f32_e32 v15, 1.0, v15
	v_cmp_gt_f32_e32 vcc, s10, v15
	s_mov_b32 s8, 0x7f800000
	s_mov_b32 s6, 0x41a00000
	v_cndmask_b32_e32 v18, 1.0, v17, vcc
	v_mul_f32_e32 v15, v15, v18
	v_log_f32_e32 v15, v15
	s_mov_b32 s9, 0xf800000
	v_mul_f32_e32 v18, 0x3f317217, v15
	v_fma_f32 v18, v15, s7, -v18
	v_fmac_f32_e32 v18, 0x3377d1cf, v15
	v_fmac_f32_e32 v18, 0x3f317217, v15
	v_cmp_lt_f32_e64 s[4:5], |v15|, s8
	s_nop 1
	v_cndmask_b32_e64 v15, v15, v18, s[4:5]
	v_mov_b32_e32 v18, 0x41b17218
	v_cndmask_b32_e32 v19, 0, v18, vcc
	v_sub_f32_e32 v15, v15, v19
	v_cmp_lt_f32_e32 vcc, s6, v2
	s_nop 1
	v_cndmask_b32_e32 v2, v15, v2, vcc
	v_mul_f32_e32 v15, 0x4f800000, v2
	v_cmp_gt_f32_e32 vcc, s9, v2
	s_nop 1
	v_cndmask_b32_e32 v2, v2, v15, vcc
	v_sqrt_f32_e32 v15, v2
	s_nop 0
	v_add_u32_e32 v19, -1, v15
	v_fma_f32 v20, -v19, v15, v2
	v_cmp_ge_f32_e64 s[4:5], 0, v20
	v_add_u32_e32 v20, 1, v15
	s_nop 0
	v_cndmask_b32_e64 v19, v15, v19, s[4:5]
	v_fma_f32 v15, -v20, v15, v2
	v_cmp_lt_f32_e64 s[4:5], 0, v15
	s_nop 1
	v_cndmask_b32_e64 v15, v19, v20, s[4:5]
	v_mul_f32_e32 v19, 0x37800000, v15
	v_cndmask_b32_e32 v19, v15, v19, vcc
	v_mov_b32_e32 v15, 0x260
	v_cmp_class_f32_e64 s[4:5], v2, v15
	s_and_b64 vcc, exec, s[2:3]
	s_nop 0
	v_cndmask_b32_e64 v2, v19, v2, s[4:5]
	s_cbranch_vccnz .LBB51_10
; %bb.9:
	global_load_dword v19, v14, s[30:31] offset:256
	s_waitcnt vmcnt(0)
	v_add_f32_e32 v2, v2, v19
.LBB51_10:
	v_mul_f32_e32 v19, 0x3fb8aa3b, v3
	v_exp_f32_e32 v19, v19
	s_nop 0
	v_add_f32_e32 v19, 1.0, v19
	v_cmp_gt_f32_e32 vcc, s10, v19
	s_nop 1
	v_cndmask_b32_e32 v17, 1.0, v17, vcc
	v_mul_f32_e32 v17, v19, v17
	v_log_f32_e32 v17, v17
	v_cndmask_b32_e32 v18, 0, v18, vcc
	v_mul_f32_e32 v19, 0x3f317217, v17
	v_fma_f32 v19, v17, s7, -v19
	v_fmac_f32_e32 v19, 0x3377d1cf, v17
	v_fmac_f32_e32 v19, 0x3f317217, v17
	v_cmp_lt_f32_e64 vcc, |v17|, s8
	s_nop 1
	v_cndmask_b32_e32 v17, v17, v19, vcc
	v_sub_f32_e32 v17, v17, v18
	v_cmp_lt_f32_e32 vcc, s6, v3
	s_nop 1
	v_cndmask_b32_e32 v3, v17, v3, vcc
	v_mul_f32_e32 v17, 0x4f800000, v3
	v_cmp_gt_f32_e32 vcc, s9, v3
	s_nop 1
	v_cndmask_b32_e32 v3, v3, v17, vcc
	v_sqrt_f32_e32 v17, v3
	s_nop 0
	v_add_u32_e32 v18, -1, v17
	v_add_u32_e32 v19, 1, v17
	v_fma_f32 v20, -v18, v17, v3
	v_fma_f32 v21, -v19, v17, v3
	v_cmp_ge_f32_e64 s[4:5], 0, v20
	s_nop 1
	v_cndmask_b32_e64 v17, v17, v18, s[4:5]
	v_cmp_lt_f32_e64 s[4:5], 0, v21
	s_nop 1
	v_cndmask_b32_e64 v17, v17, v19, s[4:5]
	v_mul_f32_e32 v18, 0x37800000, v17
	v_cndmask_b32_e32 v17, v17, v18, vcc
	v_cmp_class_f32_e64 s[4:5], v3, v15
	s_and_b64 vcc, exec, s[2:3]
	s_nop 0
	v_cndmask_b32_e64 v3, v17, v3, s[4:5]
	s_cbranch_vccnz .LBB51_12
; %bb.11:
	global_load_dword v15, v14, s[30:31] offset:260
	s_waitcnt vmcnt(0)
	v_add_f32_e32 v3, v3, v15
.LBB51_12:
	s_waitcnt vmcnt(3)
	v_mul_f32_e32 v15, 0x3fb8aa3b, v4
	v_exp_f32_e32 v15, v15
	v_mov_b32_e32 v17, 0x4f800000
	v_add_f32_e32 v15, 1.0, v15
	v_cmp_gt_f32_e32 vcc, s10, v15
	s_nop 1
	v_cndmask_b32_e32 v18, 1.0, v17, vcc
	v_mul_f32_e32 v15, v15, v18
	v_log_f32_e32 v15, v15
	s_nop 0
	v_mul_f32_e32 v18, 0x3f317217, v15
	v_fma_f32 v18, v15, s7, -v18
	v_fmac_f32_e32 v18, 0x3377d1cf, v15
	v_fmac_f32_e32 v18, 0x3f317217, v15
	v_cmp_lt_f32_e64 s[4:5], |v15|, s8
	s_nop 1
	v_cndmask_b32_e64 v15, v15, v18, s[4:5]
	v_mov_b32_e32 v18, 0x41b17218
	v_cndmask_b32_e32 v19, 0, v18, vcc
	v_sub_f32_e32 v15, v15, v19
	v_cmp_lt_f32_e32 vcc, s6, v4
	s_nop 1
	v_cndmask_b32_e32 v4, v15, v4, vcc
	v_mul_f32_e32 v15, 0x4f800000, v4
	v_cmp_gt_f32_e32 vcc, s9, v4
	s_nop 1
	v_cndmask_b32_e32 v4, v4, v15, vcc
	v_sqrt_f32_e32 v15, v4
	s_nop 0
	v_add_u32_e32 v19, -1, v15
	v_fma_f32 v20, -v19, v15, v4
	v_cmp_ge_f32_e64 s[4:5], 0, v20
	v_add_u32_e32 v20, 1, v15
	s_nop 0
	v_cndmask_b32_e64 v19, v15, v19, s[4:5]
	v_fma_f32 v15, -v20, v15, v4
	v_cmp_lt_f32_e64 s[4:5], 0, v15
	s_nop 1
	v_cndmask_b32_e64 v15, v19, v20, s[4:5]
	v_mul_f32_e32 v19, 0x37800000, v15
	v_cndmask_b32_e32 v19, v15, v19, vcc
	v_mov_b32_e32 v15, 0x260
	v_cmp_class_f32_e64 s[4:5], v4, v15
	s_and_b64 vcc, exec, s[2:3]
	s_nop 0
	v_cndmask_b32_e64 v4, v19, v4, s[4:5]
	s_cbranch_vccnz .LBB51_14
; %bb.13:
	global_load_dword v19, v14, s[30:31] offset:512
	s_waitcnt vmcnt(0)
	v_add_f32_e32 v4, v4, v19
.LBB51_14:
	v_mul_f32_e32 v19, 0x3fb8aa3b, v5
	v_exp_f32_e32 v19, v19
	s_nop 0
	v_add_f32_e32 v19, 1.0, v19
	v_cmp_gt_f32_e32 vcc, s10, v19
	s_nop 1
	v_cndmask_b32_e32 v17, 1.0, v17, vcc
	v_mul_f32_e32 v17, v19, v17
	v_log_f32_e32 v17, v17
	v_cndmask_b32_e32 v18, 0, v18, vcc
	v_mul_f32_e32 v19, 0x3f317217, v17
	v_fma_f32 v19, v17, s7, -v19
	v_fmac_f32_e32 v19, 0x3377d1cf, v17
	v_fmac_f32_e32 v19, 0x3f317217, v17
	v_cmp_lt_f32_e64 vcc, |v17|, s8
	s_nop 1
	v_cndmask_b32_e32 v17, v17, v19, vcc
	v_sub_f32_e32 v17, v17, v18
	v_cmp_lt_f32_e32 vcc, s6, v5
	s_nop 1
	v_cndmask_b32_e32 v5, v17, v5, vcc
	v_mul_f32_e32 v17, 0x4f800000, v5
	v_cmp_gt_f32_e32 vcc, s9, v5
	s_nop 1
	v_cndmask_b32_e32 v5, v5, v17, vcc
	v_sqrt_f32_e32 v17, v5
	s_nop 0
	v_add_u32_e32 v18, -1, v17
	v_add_u32_e32 v19, 1, v17
	v_fma_f32 v20, -v18, v17, v5
	v_fma_f32 v21, -v19, v17, v5
	v_cmp_ge_f32_e64 s[4:5], 0, v20
	s_nop 1
	v_cndmask_b32_e64 v17, v17, v18, s[4:5]
	v_cmp_lt_f32_e64 s[4:5], 0, v21
	s_nop 1
	v_cndmask_b32_e64 v17, v17, v19, s[4:5]
	v_mul_f32_e32 v18, 0x37800000, v17
	v_cndmask_b32_e32 v17, v17, v18, vcc
	v_cmp_class_f32_e64 s[4:5], v5, v15
	s_and_b64 vcc, exec, s[2:3]
	s_nop 0
	v_cndmask_b32_e64 v5, v17, v5, s[4:5]
	s_cbranch_vccnz .LBB51_16
; %bb.15:
	global_load_dword v15, v14, s[30:31] offset:516
	s_waitcnt vmcnt(0)
	v_add_f32_e32 v5, v5, v15
.LBB51_16:
	s_waitcnt vmcnt(2)
	v_mul_f32_e32 v15, 0x3fb8aa3b, v6
	v_exp_f32_e32 v15, v15
	v_mov_b32_e32 v17, 0x4f800000
	v_add_f32_e32 v15, 1.0, v15
	v_cmp_gt_f32_e32 vcc, s10, v15
	s_nop 1
	v_cndmask_b32_e32 v18, 1.0, v17, vcc
	v_mul_f32_e32 v15, v15, v18
	v_log_f32_e32 v15, v15
	s_nop 0
	v_mul_f32_e32 v18, 0x3f317217, v15
	v_fma_f32 v18, v15, s7, -v18
	v_fmac_f32_e32 v18, 0x3377d1cf, v15
	v_fmac_f32_e32 v18, 0x3f317217, v15
	v_cmp_lt_f32_e64 s[4:5], |v15|, s8
	s_nop 1
	v_cndmask_b32_e64 v15, v15, v18, s[4:5]
	v_mov_b32_e32 v18, 0x41b17218
	v_cndmask_b32_e32 v19, 0, v18, vcc
	v_sub_f32_e32 v15, v15, v19
	v_cmp_lt_f32_e32 vcc, s6, v6
	s_nop 1
	v_cndmask_b32_e32 v6, v15, v6, vcc
	v_mul_f32_e32 v15, 0x4f800000, v6
	v_cmp_gt_f32_e32 vcc, s9, v6
	s_nop 1
	v_cndmask_b32_e32 v6, v6, v15, vcc
	v_sqrt_f32_e32 v15, v6
	s_nop 0
	v_add_u32_e32 v19, -1, v15
	v_fma_f32 v20, -v19, v15, v6
	v_cmp_ge_f32_e64 s[4:5], 0, v20
	v_add_u32_e32 v20, 1, v15
	s_nop 0
	v_cndmask_b32_e64 v19, v15, v19, s[4:5]
	v_fma_f32 v15, -v20, v15, v6
	v_cmp_lt_f32_e64 s[4:5], 0, v15
	s_nop 1
	v_cndmask_b32_e64 v15, v19, v20, s[4:5]
	v_mul_f32_e32 v19, 0x37800000, v15
	v_cndmask_b32_e32 v19, v15, v19, vcc
	v_mov_b32_e32 v15, 0x260
	v_cmp_class_f32_e64 s[4:5], v6, v15
	s_and_b64 vcc, exec, s[2:3]
	s_nop 0
	v_cndmask_b32_e64 v6, v19, v6, s[4:5]
	s_cbranch_vccnz .LBB51_18
; %bb.17:
	global_load_dword v19, v14, s[30:31] offset:768
	s_waitcnt vmcnt(0)
	v_add_f32_e32 v6, v6, v19
.LBB51_18:
	v_mul_f32_e32 v19, 0x3fb8aa3b, v7
	v_exp_f32_e32 v19, v19
	s_nop 0
	v_add_f32_e32 v19, 1.0, v19
	v_cmp_gt_f32_e32 vcc, s10, v19
	s_nop 1
	v_cndmask_b32_e32 v17, 1.0, v17, vcc
	v_mul_f32_e32 v17, v19, v17
	v_log_f32_e32 v17, v17
	v_cndmask_b32_e32 v18, 0, v18, vcc
	v_mul_f32_e32 v19, 0x3f317217, v17
	v_fma_f32 v19, v17, s7, -v19
	v_fmac_f32_e32 v19, 0x3377d1cf, v17
	v_fmac_f32_e32 v19, 0x3f317217, v17
	v_cmp_lt_f32_e64 vcc, |v17|, s8
	s_nop 1
	v_cndmask_b32_e32 v17, v17, v19, vcc
	v_sub_f32_e32 v17, v17, v18
	v_cmp_lt_f32_e32 vcc, s6, v7
	s_nop 1
	v_cndmask_b32_e32 v7, v17, v7, vcc
	v_mul_f32_e32 v17, 0x4f800000, v7
	v_cmp_gt_f32_e32 vcc, s9, v7
	s_nop 1
	v_cndmask_b32_e32 v7, v7, v17, vcc
	v_sqrt_f32_e32 v17, v7
	s_nop 0
	v_add_u32_e32 v18, -1, v17
	v_add_u32_e32 v19, 1, v17
	v_fma_f32 v20, -v18, v17, v7
	v_fma_f32 v21, -v19, v17, v7
	v_cmp_ge_f32_e64 s[4:5], 0, v20
	s_nop 1
	v_cndmask_b32_e64 v17, v17, v18, s[4:5]
	v_cmp_lt_f32_e64 s[4:5], 0, v21
	s_nop 1
	v_cndmask_b32_e64 v17, v17, v19, s[4:5]
	v_mul_f32_e32 v18, 0x37800000, v17
	v_cndmask_b32_e32 v17, v17, v18, vcc
	v_cmp_class_f32_e64 s[4:5], v7, v15
	s_and_b64 vcc, exec, s[2:3]
	s_nop 0
	v_cndmask_b32_e64 v7, v17, v7, s[4:5]
	s_cbranch_vccnz .LBB51_20
; %bb.19:
	global_load_dword v15, v14, s[30:31] offset:772
	s_waitcnt vmcnt(0)
	v_add_f32_e32 v7, v7, v15
.LBB51_20:
	s_waitcnt vmcnt(1)
	v_mul_f32_e32 v15, 0x3fb8aa3b, v8
	v_exp_f32_e32 v15, v15
	v_mov_b32_e32 v17, 0x4f800000
	v_add_f32_e32 v15, 1.0, v15
	v_cmp_gt_f32_e32 vcc, s10, v15
	s_nop 1
	v_cndmask_b32_e32 v18, 1.0, v17, vcc
	v_mul_f32_e32 v15, v15, v18
	v_log_f32_e32 v15, v15
	s_nop 0
	v_mul_f32_e32 v18, 0x3f317217, v15
	v_fma_f32 v18, v15, s7, -v18
	v_fmac_f32_e32 v18, 0x3377d1cf, v15
	v_fmac_f32_e32 v18, 0x3f317217, v15
	v_cmp_lt_f32_e64 s[4:5], |v15|, s8
	s_nop 1
	v_cndmask_b32_e64 v15, v15, v18, s[4:5]
	v_mov_b32_e32 v18, 0x41b17218
	v_cndmask_b32_e32 v19, 0, v18, vcc
	v_sub_f32_e32 v15, v15, v19
	v_cmp_lt_f32_e32 vcc, s6, v8
	s_nop 1
	v_cndmask_b32_e32 v8, v15, v8, vcc
	v_mul_f32_e32 v15, 0x4f800000, v8
	v_cmp_gt_f32_e32 vcc, s9, v8
	s_nop 1
	v_cndmask_b32_e32 v8, v8, v15, vcc
	v_sqrt_f32_e32 v15, v8
	s_nop 0
	v_add_u32_e32 v19, -1, v15
	v_fma_f32 v20, -v19, v15, v8
	v_cmp_ge_f32_e64 s[4:5], 0, v20
	v_add_u32_e32 v20, 1, v15
	s_nop 0
	v_cndmask_b32_e64 v19, v15, v19, s[4:5]
	v_fma_f32 v15, -v20, v15, v8
	v_cmp_lt_f32_e64 s[4:5], 0, v15
	s_nop 1
	v_cndmask_b32_e64 v15, v19, v20, s[4:5]
	v_mul_f32_e32 v19, 0x37800000, v15
	v_cndmask_b32_e32 v19, v15, v19, vcc
	v_mov_b32_e32 v15, 0x260
	v_cmp_class_f32_e64 s[4:5], v8, v15
	s_and_b64 vcc, exec, s[2:3]
	s_nop 0
	v_cndmask_b32_e64 v8, v19, v8, s[4:5]
	s_cbranch_vccnz .LBB51_22
; %bb.21:
	global_load_dword v19, v14, s[30:31] offset:1024
	s_waitcnt vmcnt(0)
	v_add_f32_e32 v8, v8, v19
.LBB51_22:
	v_mul_f32_e32 v19, 0x3fb8aa3b, v9
	v_exp_f32_e32 v19, v19
	s_nop 0
	v_add_f32_e32 v19, 1.0, v19
	v_cmp_gt_f32_e32 vcc, s10, v19
	s_nop 1
	v_cndmask_b32_e32 v17, 1.0, v17, vcc
	v_mul_f32_e32 v17, v19, v17
	v_log_f32_e32 v17, v17
	v_cndmask_b32_e32 v18, 0, v18, vcc
	v_mul_f32_e32 v19, 0x3f317217, v17
	v_fma_f32 v19, v17, s7, -v19
	v_fmac_f32_e32 v19, 0x3377d1cf, v17
	v_fmac_f32_e32 v19, 0x3f317217, v17
	v_cmp_lt_f32_e64 vcc, |v17|, s8
	s_nop 1
	v_cndmask_b32_e32 v17, v17, v19, vcc
	v_sub_f32_e32 v17, v17, v18
	v_cmp_lt_f32_e32 vcc, s6, v9
	s_nop 1
	v_cndmask_b32_e32 v9, v17, v9, vcc
	v_mul_f32_e32 v17, 0x4f800000, v9
	v_cmp_gt_f32_e32 vcc, s9, v9
	s_nop 1
	v_cndmask_b32_e32 v9, v9, v17, vcc
	v_sqrt_f32_e32 v17, v9
	s_nop 0
	v_add_u32_e32 v18, -1, v17
	v_add_u32_e32 v19, 1, v17
	v_fma_f32 v20, -v18, v17, v9
	v_fma_f32 v21, -v19, v17, v9
	v_cmp_ge_f32_e64 s[4:5], 0, v20
	s_nop 1
	v_cndmask_b32_e64 v17, v17, v18, s[4:5]
	v_cmp_lt_f32_e64 s[4:5], 0, v21
	s_nop 1
	v_cndmask_b32_e64 v17, v17, v19, s[4:5]
	v_mul_f32_e32 v18, 0x37800000, v17
	v_cndmask_b32_e32 v17, v17, v18, vcc
	v_cmp_class_f32_e64 s[4:5], v9, v15
	s_and_b64 vcc, exec, s[2:3]
	s_nop 0
	v_cndmask_b32_e64 v9, v17, v9, s[4:5]
	s_cbranch_vccnz .LBB51_24
; %bb.23:
	global_load_dword v15, v14, s[30:31] offset:1028
	s_waitcnt vmcnt(0)
	v_add_f32_e32 v9, v9, v15
.LBB51_24:
	s_waitcnt vmcnt(0)
	v_mul_f32_e32 v15, 0x3fb8aa3b, v10
	v_exp_f32_e32 v15, v15
	v_mov_b32_e32 v17, 0x4f800000
	v_add_f32_e32 v15, 1.0, v15
	v_cmp_gt_f32_e32 vcc, s10, v15
	s_nop 1
	v_cndmask_b32_e32 v18, 1.0, v17, vcc
	v_mul_f32_e32 v15, v15, v18
	v_log_f32_e32 v15, v15
	s_nop 0
	v_mul_f32_e32 v18, 0x3f317217, v15
	v_fma_f32 v18, v15, s7, -v18
	v_fmac_f32_e32 v18, 0x3377d1cf, v15
	v_fmac_f32_e32 v18, 0x3f317217, v15
	v_cmp_lt_f32_e64 s[4:5], |v15|, s8
	s_nop 1
	v_cndmask_b32_e64 v15, v15, v18, s[4:5]
	v_mov_b32_e32 v18, 0x41b17218
	v_cndmask_b32_e32 v19, 0, v18, vcc
	v_sub_f32_e32 v15, v15, v19
	v_cmp_lt_f32_e32 vcc, s6, v10
	s_nop 1
	v_cndmask_b32_e32 v10, v15, v10, vcc
	v_mul_f32_e32 v15, 0x4f800000, v10
	v_cmp_gt_f32_e32 vcc, s9, v10
	s_nop 1
	v_cndmask_b32_e32 v10, v10, v15, vcc
	v_sqrt_f32_e32 v15, v10
	s_nop 0
	v_add_u32_e32 v19, -1, v15
	v_fma_f32 v20, -v19, v15, v10
	v_cmp_ge_f32_e64 s[4:5], 0, v20
	v_add_u32_e32 v20, 1, v15
	s_nop 0
	v_cndmask_b32_e64 v19, v15, v19, s[4:5]
	v_fma_f32 v15, -v20, v15, v10
	v_cmp_lt_f32_e64 s[4:5], 0, v15
	s_nop 1
	v_cndmask_b32_e64 v15, v19, v20, s[4:5]
	v_mul_f32_e32 v19, 0x37800000, v15
	v_cndmask_b32_e32 v19, v15, v19, vcc
	v_mov_b32_e32 v15, 0x260
	v_cmp_class_f32_e64 s[4:5], v10, v15
	s_and_b64 vcc, exec, s[2:3]
	s_nop 0
	v_cndmask_b32_e64 v10, v19, v10, s[4:5]
	s_cbranch_vccnz .LBB51_26
; %bb.25:
	global_load_dword v19, v14, s[30:31] offset:1280
	s_waitcnt vmcnt(0)
	v_add_f32_e32 v10, v10, v19
.LBB51_26:
	v_mul_f32_e32 v19, 0x3fb8aa3b, v11
	v_exp_f32_e32 v19, v19
	s_nop 0
	v_add_f32_e32 v19, 1.0, v19
	v_cmp_gt_f32_e32 vcc, s10, v19
	s_nop 1
	v_cndmask_b32_e32 v17, 1.0, v17, vcc
	v_mul_f32_e32 v17, v19, v17
	v_log_f32_e32 v17, v17
	v_cndmask_b32_e32 v18, 0, v18, vcc
	v_mul_f32_e32 v19, 0x3f317217, v17
	v_fma_f32 v19, v17, s7, -v19
	v_fmac_f32_e32 v19, 0x3377d1cf, v17
	v_fmac_f32_e32 v19, 0x3f317217, v17
	v_cmp_lt_f32_e64 vcc, |v17|, s8
	s_nop 1
	v_cndmask_b32_e32 v17, v17, v19, vcc
	v_sub_f32_e32 v17, v17, v18
	v_cmp_lt_f32_e32 vcc, s6, v11
	s_nop 1
	v_cndmask_b32_e32 v11, v17, v11, vcc
	v_mul_f32_e32 v17, 0x4f800000, v11
	v_cmp_gt_f32_e32 vcc, s9, v11
	s_nop 1
	v_cndmask_b32_e32 v11, v11, v17, vcc
	v_sqrt_f32_e32 v17, v11
	s_nop 0
	v_add_u32_e32 v18, -1, v17
	v_add_u32_e32 v19, 1, v17
	v_fma_f32 v20, -v18, v17, v11
	v_fma_f32 v21, -v19, v17, v11
	v_cmp_ge_f32_e64 s[4:5], 0, v20
	s_nop 1
	v_cndmask_b32_e64 v17, v17, v18, s[4:5]
	v_cmp_lt_f32_e64 s[4:5], 0, v21
	s_nop 1
	v_cndmask_b32_e64 v17, v17, v19, s[4:5]
	v_mul_f32_e32 v18, 0x37800000, v17
	v_cndmask_b32_e32 v17, v17, v18, vcc
	v_cmp_class_f32_e64 s[4:5], v11, v15
	s_and_b64 vcc, exec, s[2:3]
	s_nop 0
	v_cndmask_b32_e64 v11, v17, v11, s[4:5]
	s_cbranch_vccnz .LBB51_28
; %bb.27:
	global_load_dword v14, v14, s[30:31] offset:1284
	s_waitcnt vmcnt(0)
	v_add_f32_e32 v11, v11, v14
.LBB51_28:
	s_load_dwordx4 s[36:39], s[0:1], 0x30
	s_mov_b32 s50, 0
	v_cmp_eq_u32_e64 s[6:7], 0, v13
	s_waitcnt lgkmcnt(0)
	s_bitcmp1_b32 s39, 0
	s_cselect_b64 s[4:5], -1, 0
	s_cmp_gt_i32 s36, 0
	s_cselect_b64 s[46:47], -1, 0
	s_and_b64 vcc, exec, s[46:47]
	s_cbranch_vccz .LBB51_59
; %bb.29:
	v_mbcnt_lo_u32_b32 v14, -1, 0
	v_mbcnt_hi_u32_b32 v14, -1, v14
	v_and_b32_e32 v15, 0x60, v14
	v_add_u32_e32 v15, 32, v15
	v_xor_b32_e32 v17, 16, v14
	v_cmp_lt_i32_e32 vcc, v17, v15
	s_load_dwordx4 s[40:43], s[0:1], 0x20
	v_mul_lo_u32 v18, v12, s36
	v_cndmask_b32_e32 v17, v14, v17, vcc
	v_lshlrev_b32_e32 v19, 2, v17
	v_xor_b32_e32 v17, 8, v14
	v_cmp_lt_i32_e32 vcc, v17, v15
	v_mov_b32_e32 v24, 0x41
	v_mov_b32_e32 v25, 0x80
	v_cndmask_b32_e32 v17, v14, v17, vcc
	v_lshlrev_b32_e32 v20, 2, v17
	v_xor_b32_e32 v17, 4, v14
	v_cmp_lt_i32_e32 vcc, v17, v15
	v_mov_b32_e32 v26, 0x81
	v_mov_b32_e32 v27, 0xc0
	;; [unrolled: 6-line block ×4, first 2 shown]
	v_cndmask_b32_e32 v14, v14, v17, vcc
	v_lshlrev_b32_e32 v23, 2, v14
	v_mov_b32_e32 v17, 0
	v_mov_b32_e32 v32, 0x141
	v_mov_b32_e32 v33, 0x180
	v_mov_b32_e32 v34, 0xc61c4000
	v_mov_b32_e32 v35, v12
	s_branch .LBB51_32
.LBB51_30:                              ;   in Loop: Header=BB51_32 Depth=1
	s_or_b64 exec, exec, s[48:49]
.LBB51_31:                              ;   in Loop: Header=BB51_32 Depth=1
	s_cmp_eq_u32 s36, s50
	v_add_u32_e32 v35, s33, v35
	s_cbranch_scc1 .LBB51_60
.LBB51_32:                              ; =>This Inner Loop Header: Depth=1
	v_cmp_gt_f32_e32 vcc, v1, v0
	s_nop 1
	v_cndmask_b32_e32 v15, v0, v1, vcc
	v_cndmask_b32_e64 v14, 0, 1, vcc
	v_cmp_gt_f32_e32 vcc, v2, v15
	s_nop 1
	v_cndmask_b32_e32 v15, v15, v2, vcc
	v_cndmask_b32_e64 v14, v14, 64, vcc
	v_cmp_gt_f32_e32 vcc, v3, v15
	s_nop 1
	v_cndmask_b32_e32 v15, v15, v3, vcc
	v_cndmask_b32_e32 v14, v14, v24, vcc
	v_cmp_gt_f32_e32 vcc, v4, v15
	s_nop 1
	v_cndmask_b32_e32 v15, v15, v4, vcc
	v_cndmask_b32_e32 v14, v14, v25, vcc
	;; [unrolled: 4-line block ×9, first 2 shown]
	ds_bpermute_b32 v15, v19, v36
	v_or_b32_e32 v14, v16, v14
	s_waitcnt lgkmcnt(0)
	ds_bpermute_b32 v37, v19, v14
	s_waitcnt lgkmcnt(0)
	v_cmp_lt_f32_e64 s[8:9], v36, v15
	v_cmp_nlt_f32_e32 vcc, v36, v15
	s_and_saveexec_b64 s[10:11], vcc
; %bb.33:                               ;   in Loop: Header=BB51_32 Depth=1
	v_cmp_eq_f32_e32 vcc, v36, v15
	v_cmp_lt_i32_e64 s[0:1], v37, v14
	s_and_b64 s[0:1], vcc, s[0:1]
	s_andn2_b64 s[8:9], s[8:9], exec
	s_and_b64 s[0:1], s[0:1], exec
	s_or_b64 s[8:9], s[8:9], s[0:1]
; %bb.34:                               ;   in Loop: Header=BB51_32 Depth=1
	s_or_b64 exec, exec, s[10:11]
	s_and_saveexec_b64 s[0:1], s[8:9]
; %bb.35:                               ;   in Loop: Header=BB51_32 Depth=1
	v_mov_b32_e32 v36, v15
	v_mov_b32_e32 v14, v37
; %bb.36:                               ;   in Loop: Header=BB51_32 Depth=1
	s_or_b64 exec, exec, s[0:1]
	ds_bpermute_b32 v15, v20, v36
	ds_bpermute_b32 v37, v20, v14
	s_waitcnt lgkmcnt(1)
	v_cmp_lt_f32_e64 s[8:9], v36, v15
	v_cmp_nlt_f32_e32 vcc, v36, v15
	s_and_saveexec_b64 s[10:11], vcc
	s_cbranch_execz .LBB51_38
; %bb.37:                               ;   in Loop: Header=BB51_32 Depth=1
	v_cmp_eq_f32_e32 vcc, v36, v15
	s_waitcnt lgkmcnt(0)
	v_cmp_lt_i32_e64 s[0:1], v37, v14
	s_and_b64 s[0:1], vcc, s[0:1]
	s_andn2_b64 s[8:9], s[8:9], exec
	s_and_b64 s[0:1], s[0:1], exec
	s_or_b64 s[8:9], s[8:9], s[0:1]
.LBB51_38:                              ;   in Loop: Header=BB51_32 Depth=1
	s_or_b64 exec, exec, s[10:11]
	s_and_saveexec_b64 s[0:1], s[8:9]
	s_cbranch_execz .LBB51_40
; %bb.39:                               ;   in Loop: Header=BB51_32 Depth=1
	v_mov_b32_e32 v36, v15
	s_waitcnt lgkmcnt(0)
	v_mov_b32_e32 v14, v37
.LBB51_40:                              ;   in Loop: Header=BB51_32 Depth=1
	s_or_b64 exec, exec, s[0:1]
	ds_bpermute_b32 v15, v21, v36
	s_waitcnt lgkmcnt(1)
	ds_bpermute_b32 v37, v21, v14
	s_waitcnt lgkmcnt(1)
	v_cmp_lt_f32_e64 s[8:9], v36, v15
	v_cmp_nlt_f32_e32 vcc, v36, v15
	s_and_saveexec_b64 s[10:11], vcc
	s_cbranch_execz .LBB51_42
; %bb.41:                               ;   in Loop: Header=BB51_32 Depth=1
	v_cmp_eq_f32_e32 vcc, v36, v15
	s_waitcnt lgkmcnt(0)
	v_cmp_lt_i32_e64 s[0:1], v37, v14
	s_and_b64 s[0:1], vcc, s[0:1]
	s_andn2_b64 s[8:9], s[8:9], exec
	s_and_b64 s[0:1], s[0:1], exec
	s_or_b64 s[8:9], s[8:9], s[0:1]
.LBB51_42:                              ;   in Loop: Header=BB51_32 Depth=1
	s_or_b64 exec, exec, s[10:11]
	s_and_saveexec_b64 s[0:1], s[8:9]
	s_cbranch_execz .LBB51_44
; %bb.43:                               ;   in Loop: Header=BB51_32 Depth=1
	v_mov_b32_e32 v36, v15
	s_waitcnt lgkmcnt(0)
	v_mov_b32_e32 v14, v37
.LBB51_44:                              ;   in Loop: Header=BB51_32 Depth=1
	s_or_b64 exec, exec, s[0:1]
	ds_bpermute_b32 v15, v22, v36
	s_waitcnt lgkmcnt(1)
	;; [unrolled: 26-line block ×3, first 2 shown]
	ds_bpermute_b32 v37, v23, v14
	s_waitcnt lgkmcnt(1)
	v_cmp_lt_f32_e64 s[8:9], v36, v15
	v_cmp_nlt_f32_e32 vcc, v36, v15
	s_and_saveexec_b64 s[10:11], vcc
	s_cbranch_execnz .LBB51_52
; %bb.49:                               ;   in Loop: Header=BB51_32 Depth=1
	s_or_b64 exec, exec, s[10:11]
	s_and_saveexec_b64 s[0:1], s[8:9]
	s_cbranch_execnz .LBB51_53
.LBB51_50:                              ;   in Loop: Header=BB51_32 Depth=1
	s_or_b64 exec, exec, s[0:1]
	s_and_saveexec_b64 s[8:9], s[6:7]
	s_cbranch_execnz .LBB51_54
.LBB51_51:                              ;   in Loop: Header=BB51_32 Depth=1
	s_or_b64 exec, exec, s[8:9]
	s_add_i32 s50, s50, 1
	s_cmp_ge_i32 s50, s36
	s_cbranch_scc1 .LBB51_31
	s_branch .LBB51_57
.LBB51_52:                              ;   in Loop: Header=BB51_32 Depth=1
	v_cmp_eq_f32_e32 vcc, v36, v15
	s_waitcnt lgkmcnt(0)
	v_cmp_lt_i32_e64 s[0:1], v37, v14
	s_and_b64 s[0:1], vcc, s[0:1]
	s_andn2_b64 s[8:9], s[8:9], exec
	s_and_b64 s[0:1], s[0:1], exec
	s_or_b64 s[8:9], s[8:9], s[0:1]
	s_or_b64 exec, exec, s[10:11]
	s_and_saveexec_b64 s[0:1], s[8:9]
	s_cbranch_execz .LBB51_50
.LBB51_53:                              ;   in Loop: Header=BB51_32 Depth=1
	s_waitcnt lgkmcnt(0)
	v_mov_b32_e32 v14, v37
	v_mov_b32_e32 v36, v15
	s_or_b64 exec, exec, s[0:1]
	s_and_saveexec_b64 s[8:9], s[6:7]
	s_cbranch_execz .LBB51_51
.LBB51_54:                              ;   in Loop: Header=BB51_32 Depth=1
	s_and_b64 vcc, exec, s[2:3]
	s_cbranch_vccnz .LBB51_56
; %bb.55:                               ;   in Loop: Header=BB51_32 Depth=1
	v_ashrrev_i32_e32 v15, 31, v14
	v_lshl_add_u64 v[38:39], v[14:15], 2, s[30:31]
	global_load_dword v15, v[38:39], off
	s_waitcnt vmcnt(0)
	v_sub_f32_e32 v36, v36, v15
.LBB51_56:                              ;   in Loop: Header=BB51_32 Depth=1
	v_add_u32_e32 v38, s50, v18
	v_cmp_le_i32_e32 vcc, s37, v14
	v_cmp_gt_i32_e64 s[0:1], s38, v14
	v_ashrrev_i32_e32 v39, 31, v38
	s_and_b64 s[0:1], vcc, s[0:1]
	v_lshlrev_b64 v[38:39], 2, v[38:39]
	v_lshl_add_u64 v[40:41], s[34:35], 0, v[38:39]
	v_subrev_u32_e32 v15, s37, v14
	s_and_b64 vcc, s[44:45], s[0:1]
	global_store_dword v[40:41], v36, off
	v_cndmask_b32_e32 v15, v33, v15, vcc
	v_lshl_add_u64 v[40:41], s[40:41], 0, v[38:39]
	global_store_dword v[40:41], v15, off
	v_add_f32_e32 v15, v17, v36
	v_lshl_add_u64 v[38:39], s[42:43], 0, v[38:39]
	v_cndmask_b32_e64 v17, v17, v15, s[4:5]
	global_store_dword v[38:39], v35, off
	s_or_b64 exec, exec, s[8:9]
	s_add_i32 s50, s50, 1
	s_cmp_ge_i32 s50, s36
	s_cbranch_scc1 .LBB51_31
.LBB51_57:                              ;   in Loop: Header=BB51_32 Depth=1
	v_lshrrev_b32_e32 v15, 31, v14
	v_add_u32_e32 v36, v14, v15
	v_ashrrev_i32_e32 v15, 1, v36
	v_ashrrev_i32_e32 v36, 31, v36
	v_lshrrev_b32_e32 v36, 27, v36
	v_add_u32_e32 v36, v15, v36
	v_and_b32_e32 v36, 0xffffffe0, v36
	v_sub_u32_e32 v36, v15, v36
	v_cmp_eq_u32_e32 vcc, v13, v36
	s_and_saveexec_b64 s[48:49], vcc
	s_cbranch_execz .LBB51_30
; %bb.58:                               ;   in Loop: Header=BB51_32 Depth=1
	v_ashrrev_i32_e32 v36, 31, v14
	v_lshrrev_b32_e32 v36, 26, v36
	v_add_u32_e32 v36, v14, v36
	v_lshlrev_b32_e32 v15, 1, v15
	v_sub_u32_e32 v14, v14, v15
	v_ashrrev_i32_e32 v15, 6, v36
	v_lshl_add_u32 v14, v15, 1, v14
	v_cmp_ne_u32_e32 vcc, 10, v14
	v_cmp_ne_u32_e64 s[0:1], 9, v14
	v_cmp_ne_u32_e64 s[8:9], 8, v14
	;; [unrolled: 1-line block ×11, first 2 shown]
	v_cndmask_b32_e32 v10, v34, v10, vcc
	v_cndmask_b32_e64 v9, v34, v9, s[0:1]
	v_cndmask_b32_e64 v11, v34, v11, s[26:27]
	;; [unrolled: 1-line block ×11, first 2 shown]
	s_branch .LBB51_30
.LBB51_59:
	v_mov_b32_e32 v17, 0
.LBB51_60:
	v_cmp_eq_u32_e32 vcc, 0, v13
	s_and_b64 exec, exec, vcc
	s_cbranch_execz .LBB51_73
; %bb.61:
	s_andn2_b64 vcc, exec, s[4:5]
	v_cvt_f32_f64_e32 v0, s[28:29]
	s_cbranch_vccnz .LBB51_63
; %bb.62:
	v_cmp_lt_f32_e32 vcc, 0, v17
	s_nop 1
	v_cndmask_b32_e32 v1, 1.0, v17, vcc
	v_div_scale_f32 v2, s[0:1], v1, v1, v0
	v_rcp_f32_e32 v3, v2
	s_nop 0
	v_fma_f32 v4, -v2, v3, 1.0
	v_fmac_f32_e32 v3, v4, v3
	v_div_scale_f32 v4, vcc, v0, v1, v0
	v_mul_f32_e32 v5, v4, v3
	v_fma_f32 v6, -v2, v5, v4
	v_fmac_f32_e32 v5, v6, v3
	v_fma_f32 v2, -v2, v5, v4
	v_div_fmas_f32 v2, v2, v3, v5
	v_div_fixup_f32 v0, v2, v1, v0
.LBB51_63:
	s_andn2_b64 vcc, exec, s[46:47]
	s_cbranch_vccnz .LBB51_73
; %bb.64:
	v_mul_lo_u32 v2, v12, s36
	s_cmp_gt_u32 s36, 3
	v_ashrrev_i32_e32 v3, 31, v2
	s_cbranch_scc0 .LBB51_68
; %bb.65:
	s_and_b32 s0, s36, 0x7ffffffc
	v_lshl_add_u64 v[4:5], v[2:3], 2, s[34:35]
	v_mov_b32_e32 v1, v0
	v_lshl_add_u64 v[4:5], v[4:5], 0, 8
	s_mov_b32 s1, s0
.LBB51_66:                              ; =>This Inner Loop Header: Depth=1
	global_load_dwordx4 v[6:9], v[4:5], off offset:-8
	s_add_i32 s1, s1, -4
	s_cmp_lg_u32 s1, 0
	s_waitcnt vmcnt(0)
	v_pk_mul_f32 v[6:7], v[0:1], v[6:7]
	v_pk_mul_f32 v[8:9], v[0:1], v[8:9]
	global_store_dwordx4 v[4:5], v[6:9], off offset:-8
	v_lshl_add_u64 v[4:5], v[4:5], 0, 16
	s_cbranch_scc1 .LBB51_66
; %bb.67:
	s_cmp_lg_u32 s0, s36
	s_cselect_b64 s[2:3], -1, 0
	s_branch .LBB51_70
.LBB51_68:
	s_mov_b64 s[2:3], 0
                                        ; implicit-def: $sgpr0
	s_cbranch_execz .LBB51_70
; %bb.69:
	s_mov_b64 s[2:3], -1
	s_mov_b32 s0, 0
.LBB51_70:
	s_andn2_b64 vcc, exec, s[2:3]
	s_cbranch_vccnz .LBB51_73
; %bb.71:
	s_mov_b32 s1, 0
	v_lshl_add_u64 v[2:3], v[2:3], 0, s[0:1]
	s_sub_i32 s2, s36, s0
	v_lshl_add_u64 v[2:3], v[2:3], 2, s[34:35]
.LBB51_72:                              ; =>This Inner Loop Header: Depth=1
	global_load_dword v1, v[2:3], off
	s_add_i32 s2, s2, -1
	s_cmp_lg_u32 s2, 0
	s_waitcnt vmcnt(0)
	v_mul_f32_e32 v1, v0, v1
	global_store_dword v[2:3], v1, off
	v_lshl_add_u64 v[2:3], v[2:3], 0, 4
	s_cbranch_scc1 .LBB51_72
.LBB51_73:
	s_endpgm
	.section	.rodata,"a",@progbits
	.p2align	6, 0x0
	.amdhsa_kernel _ZN4vllm3moe22topkGatingSoftplusSqrtILi12ELi384ELi4ELi8ELi32ELb0EifEEvPKT6_PKbPfiPT5_PiiiibdPKfPKS8_SE_
		.amdhsa_group_segment_fixed_size 0
		.amdhsa_private_segment_fixed_size 0
		.amdhsa_kernarg_size 96
		.amdhsa_user_sgpr_count 2
		.amdhsa_user_sgpr_dispatch_ptr 0
		.amdhsa_user_sgpr_queue_ptr 0
		.amdhsa_user_sgpr_kernarg_segment_ptr 1
		.amdhsa_user_sgpr_dispatch_id 0
		.amdhsa_user_sgpr_kernarg_preload_length 0
		.amdhsa_user_sgpr_kernarg_preload_offset 0
		.amdhsa_user_sgpr_private_segment_size 0
		.amdhsa_uses_dynamic_stack 0
		.amdhsa_enable_private_segment 0
		.amdhsa_system_sgpr_workgroup_id_x 1
		.amdhsa_system_sgpr_workgroup_id_y 0
		.amdhsa_system_sgpr_workgroup_id_z 0
		.amdhsa_system_sgpr_workgroup_info 0
		.amdhsa_system_vgpr_workitem_id 1
		.amdhsa_next_free_vgpr 42
		.amdhsa_next_free_sgpr 51
		.amdhsa_accum_offset 44
		.amdhsa_reserve_vcc 1
		.amdhsa_float_round_mode_32 0
		.amdhsa_float_round_mode_16_64 0
		.amdhsa_float_denorm_mode_32 3
		.amdhsa_float_denorm_mode_16_64 3
		.amdhsa_dx10_clamp 1
		.amdhsa_ieee_mode 1
		.amdhsa_fp16_overflow 0
		.amdhsa_tg_split 0
		.amdhsa_exception_fp_ieee_invalid_op 0
		.amdhsa_exception_fp_denorm_src 0
		.amdhsa_exception_fp_ieee_div_zero 0
		.amdhsa_exception_fp_ieee_overflow 0
		.amdhsa_exception_fp_ieee_underflow 0
		.amdhsa_exception_fp_ieee_inexact 0
		.amdhsa_exception_int_div_zero 0
	.end_amdhsa_kernel
	.section	.text._ZN4vllm3moe22topkGatingSoftplusSqrtILi12ELi384ELi4ELi8ELi32ELb0EifEEvPKT6_PKbPfiPT5_PiiiibdPKfPKS8_SE_,"axG",@progbits,_ZN4vllm3moe22topkGatingSoftplusSqrtILi12ELi384ELi4ELi8ELi32ELb0EifEEvPKT6_PKbPfiPT5_PiiiibdPKfPKS8_SE_,comdat
.Lfunc_end51:
	.size	_ZN4vllm3moe22topkGatingSoftplusSqrtILi12ELi384ELi4ELi8ELi32ELb0EifEEvPKT6_PKbPfiPT5_PiiiibdPKfPKS8_SE_, .Lfunc_end51-_ZN4vllm3moe22topkGatingSoftplusSqrtILi12ELi384ELi4ELi8ELi32ELb0EifEEvPKT6_PKbPfiPT5_PiiiibdPKfPKS8_SE_
                                        ; -- End function
	.section	.AMDGPU.csdata,"",@progbits
; Kernel info:
; codeLenInByte = 5388
; NumSgprs: 57
; NumVgprs: 42
; NumAgprs: 0
; TotalNumVgprs: 42
; ScratchSize: 0
; MemoryBound: 0
; FloatMode: 240
; IeeeMode: 1
; LDSByteSize: 0 bytes/workgroup (compile time only)
; SGPRBlocks: 7
; VGPRBlocks: 5
; NumSGPRsForWavesPerEU: 57
; NumVGPRsForWavesPerEU: 42
; AccumOffset: 44
; Occupancy: 8
; WaveLimiterHint : 1
; COMPUTE_PGM_RSRC2:SCRATCH_EN: 0
; COMPUTE_PGM_RSRC2:USER_SGPR: 2
; COMPUTE_PGM_RSRC2:TRAP_HANDLER: 0
; COMPUTE_PGM_RSRC2:TGID_X_EN: 1
; COMPUTE_PGM_RSRC2:TGID_Y_EN: 0
; COMPUTE_PGM_RSRC2:TGID_Z_EN: 0
; COMPUTE_PGM_RSRC2:TIDIG_COMP_CNT: 1
; COMPUTE_PGM_RSRC3_GFX90A:ACCUM_OFFSET: 10
; COMPUTE_PGM_RSRC3_GFX90A:TG_SPLIT: 0
	.section	.text._ZN4vllm3moe22topkGatingSoftplusSqrtILi7ELi448ELi4ELi4ELi64ELb1EifEEvPKT6_PKbPfiPT5_PiiiibdPKfPKS8_SE_,"axG",@progbits,_ZN4vllm3moe22topkGatingSoftplusSqrtILi7ELi448ELi4ELi4ELi64ELb1EifEEvPKT6_PKbPfiPT5_PiiiibdPKfPKS8_SE_,comdat
	.protected	_ZN4vllm3moe22topkGatingSoftplusSqrtILi7ELi448ELi4ELi4ELi64ELb1EifEEvPKT6_PKbPfiPT5_PiiiibdPKfPKS8_SE_ ; -- Begin function _ZN4vllm3moe22topkGatingSoftplusSqrtILi7ELi448ELi4ELi4ELi64ELb1EifEEvPKT6_PKbPfiPT5_PiiiibdPKfPKS8_SE_
	.globl	_ZN4vllm3moe22topkGatingSoftplusSqrtILi7ELi448ELi4ELi4ELi64ELb1EifEEvPKT6_PKbPfiPT5_PiiiibdPKfPKS8_SE_
	.p2align	8
	.type	_ZN4vllm3moe22topkGatingSoftplusSqrtILi7ELi448ELi4ELi4ELi64ELb1EifEEvPKT6_PKbPfiPT5_PiiiibdPKfPKS8_SE_,@function
_ZN4vllm3moe22topkGatingSoftplusSqrtILi7ELi448ELi4ELi4ELi64ELb1EifEEvPKT6_PKbPfiPT5_PiiiibdPKfPKS8_SE_: ; @_ZN4vllm3moe22topkGatingSoftplusSqrtILi7ELi448ELi4ELi4ELi64ELb1EifEEvPKT6_PKbPfiPT5_PiiiibdPKfPKS8_SE_
; %bb.0:
	s_load_dword s3, s[0:1], 0x18
	v_and_b32_e32 v1, 0x3ff, v0
	s_lshl_b32 s2, s2, 2
	v_lshrrev_b32_e32 v2, 6, v1
	v_bfe_u32 v0, v0, 10, 10
	v_add3_u32 v0, s2, v0, v2
	s_waitcnt lgkmcnt(0)
	v_cmp_gt_i32_e32 vcc, s3, v0
	s_and_saveexec_b64 s[2:3], vcc
	s_cbranch_execz .LBB52_31
; %bb.1:
	s_load_dwordx2 s[2:3], s[0:1], 0x0
	s_load_dword s28, s[0:1], 0x30
	s_load_dwordx4 s[8:11], s[0:1], 0x50
	s_movk_i32 s4, 0x1c0
	v_mul_lo_u32 v2, v0, s4
	v_ashrrev_i32_e32 v3, 31, v2
	v_and_b32_e32 v10, 63, v1
	s_waitcnt lgkmcnt(0)
	v_lshl_add_u64 v[2:3], v[2:3], 2, s[2:3]
	v_lshlrev_b32_e32 v4, 2, v10
	v_mov_b32_e32 v5, 0
	v_lshl_add_u64 v[2:3], v[2:3], 0, v[4:5]
	global_load_dword v4, v[2:3], off
	global_load_dword v11, v[2:3], off offset:256
	global_load_dword v13, v[2:3], off offset:512
	;; [unrolled: 1-line block ×3, first 2 shown]
	v_mov_b32_e32 v6, s8
	v_mov_b32_e32 v7, s9
	v_ashrrev_i32_e32 v1, 31, v0
	v_lshl_add_u64 v[6:7], v[0:1], 2, v[6:7]
	global_load_dword v1, v[6:7], off
	global_load_dword v15, v[2:3], off offset:1024
	global_load_dword v19, v[2:3], off offset:1280
	;; [unrolled: 1-line block ×3, first 2 shown]
	s_mov_b32 s13, 0x800000
	v_mov_b32_e32 v16, 0x4f800000
	s_mov_b32 s12, 0x3f317217
	s_mov_b32 s14, 0x7f800000
	v_mov_b32_e32 v17, 0x41b17218
	s_mov_b32 s9, 0x41a00000
	s_mov_b32 s15, 0xf800000
	v_mov_b32_e32 v18, 0x260
	s_cmp_gt_i32 s28, 0
	s_mov_b32 s8, 0
	v_mul_lo_u32 v0, v0, s28
	s_waitcnt vmcnt(7)
	v_mul_f32_e32 v2, 0x3fb8aa3b, v4
	s_waitcnt vmcnt(6)
	v_mul_f32_e32 v3, 0x3fb8aa3b, v11
	v_exp_f32_e32 v6, v2
	v_exp_f32_e32 v7, v3
	s_waitcnt vmcnt(5)
	v_mul_f32_e32 v8, 0x3fb8aa3b, v13
	s_waitcnt vmcnt(4)
	v_mul_f32_e32 v9, 0x3fb8aa3b, v14
	v_exp_f32_e32 v8, v8
	v_pk_add_f32 v[6:7], v[6:7], 1.0 op_sel_hi:[1,0]
	v_exp_f32_e32 v9, v9
	v_cmp_gt_f32_e32 vcc, s13, v7
	s_waitcnt vmcnt(3)
	v_mul_lo_u32 v2, v1, s28
	v_cmp_gt_f32_e64 s[2:3], s13, v6
	v_cndmask_b32_e32 v1, 1.0, v16, vcc
	v_mul_f32_e32 v1, v7, v1
	v_cndmask_b32_e64 v12, 1.0, v16, s[2:3]
	v_mul_f32_e32 v6, v6, v12
	v_log_f32_e32 v1, v1
	v_pk_add_f32 v[8:9], v[8:9], 1.0 op_sel_hi:[1,0]
	v_log_f32_e32 v6, v6
	v_cmp_gt_f32_e64 s[6:7], s13, v8
	v_cndmask_b32_e32 v7, 0, v17, vcc
	v_cmp_lt_f32_e64 vcc, |v1|, s14
	v_cndmask_b32_e64 v22, 1.0, v16, s[6:7]
	v_mul_f32_e32 v8, v8, v22
	v_mul_f32_e32 v22, 0x3f317217, v1
	v_mul_f32_e32 v23, 0x3f317217, v6
	v_fma_f32 v22, v1, s12, -v22
	v_fma_f32 v23, v6, s12, -v23
	v_fmac_f32_e32 v22, 0x3377d1cf, v1
	v_fmac_f32_e32 v23, 0x3377d1cf, v6
	;; [unrolled: 1-line block ×4, first 2 shown]
	v_cndmask_b32_e32 v1, v1, v22, vcc
	v_cmp_lt_f32_e64 vcc, |v6|, s14
	v_cmp_gt_f32_e64 s[4:5], s13, v9
	v_cndmask_b32_e64 v12, 0, v17, s[2:3]
	v_cndmask_b32_e32 v6, v6, v23, vcc
	v_cndmask_b32_e64 v21, 1.0, v16, s[4:5]
	v_sub_f32_e32 v6, v6, v12
	v_cmp_lt_f32_e32 vcc, s9, v4
	v_mul_f32_e32 v9, v9, v21
	v_sub_f32_e32 v1, v1, v7
	v_cndmask_b32_e32 v4, v6, v4, vcc
	v_cmp_lt_f32_e32 vcc, s9, v11
	v_log_f32_e32 v9, v9
	v_mul_f32_e32 v7, 0x4f800000, v4
	v_cndmask_b32_e32 v1, v1, v11, vcc
	v_mul_f32_e32 v6, 0x4f800000, v1
	v_cmp_gt_f32_e32 vcc, s15, v1
	v_cmp_gt_f32_e64 s[2:3], s15, v4
	v_mul_f32_e32 v24, 0x3f317217, v9
	v_cndmask_b32_e32 v1, v1, v6, vcc
	v_cndmask_b32_e64 v4, v4, v7, s[2:3]
	v_sqrt_f32_e32 v6, v1
	v_sqrt_f32_e32 v7, v4
	v_fma_f32 v24, v9, s12, -v24
	v_fmac_f32_e32 v24, 0x3377d1cf, v9
	v_cndmask_b32_e64 v21, 0, v17, s[4:5]
	v_fmac_f32_e32 v24, 0x3f317217, v9
	v_cmp_lt_f32_e64 s[4:5], |v9|, s14
	v_add_u32_e32 v11, -1, v6
	v_add_u32_e32 v22, -1, v7
	v_cndmask_b32_e64 v9, v9, v24, s[4:5]
	v_fma_f32 v24, -v11, v6, v1
	v_add_u32_e32 v12, 1, v6
	v_fma_f32 v26, -v22, v7, v4
	v_cmp_ge_f32_e64 s[4:5], 0, v24
	v_add_u32_e32 v23, 1, v7
	v_fma_f32 v25, -v12, v6, v1
	v_cndmask_b32_e64 v6, v6, v11, s[4:5]
	v_cmp_ge_f32_e64 s[4:5], 0, v26
	v_fma_f32 v27, -v23, v7, v4
	v_log_f32_e32 v8, v8
	v_cndmask_b32_e64 v7, v7, v22, s[4:5]
	v_cmp_lt_f32_e64 s[4:5], 0, v25
	v_ashrrev_i32_e32 v3, 31, v2
	v_lshl_add_u64 v[2:3], v[2:3], 2, s[10:11]
	v_cndmask_b32_e64 v6, v6, v12, s[4:5]
	v_cmp_lt_f32_e64 s[4:5], 0, v27
	v_mul_f32_e32 v11, 0x37800000, v6
	v_cndmask_b32_e32 v6, v6, v11, vcc
	v_cndmask_b32_e64 v7, v7, v23, s[4:5]
	v_mul_f32_e32 v12, 0x37800000, v7
	v_cmp_class_f32_e32 vcc, v1, v18
	v_cndmask_b32_e64 v7, v7, v12, s[2:3]
	v_cmp_lt_f32_e64 s[2:3], s9, v13
	v_cndmask_b32_e32 v11, v6, v1, vcc
	v_cmp_class_f32_e32 vcc, v4, v18
	v_sub_f32_e32 v1, v9, v21
	v_cndmask_b32_e64 v6, 0, v17, s[6:7]
	v_cndmask_b32_e32 v12, v7, v4, vcc
	v_mul_f32_e32 v4, 0x3f317217, v8
	v_fma_f32 v4, v8, s12, -v4
	v_fmac_f32_e32 v4, 0x3377d1cf, v8
	v_fmac_f32_e32 v4, 0x3f317217, v8
	v_cmp_lt_f32_e64 vcc, |v8|, s14
	s_nop 1
	v_cndmask_b32_e32 v4, v8, v4, vcc
	v_cmp_lt_f32_e32 vcc, s9, v14
	v_sub_f32_e32 v4, v4, v6
	v_cndmask_b32_e64 v4, v4, v13, s[2:3]
	v_cndmask_b32_e32 v1, v1, v14, vcc
	v_mul_f32_e32 v7, 0x4f800000, v1
	v_cmp_gt_f32_e32 vcc, s15, v1
	s_nop 1
	v_cndmask_b32_e32 v1, v1, v7, vcc
	v_sqrt_f32_e32 v7, v1
	s_nop 0
	v_add_u32_e32 v6, -1, v7
	v_fma_f32 v8, -v6, v7, v1
	v_cmp_ge_f32_e64 s[2:3], 0, v8
	v_add_u32_e32 v8, 1, v7
	s_nop 0
	v_cndmask_b32_e64 v6, v7, v6, s[2:3]
	v_fma_f32 v7, -v8, v7, v1
	v_cmp_lt_f32_e64 s[2:3], 0, v7
	s_nop 1
	v_cndmask_b32_e64 v6, v6, v8, s[2:3]
	v_mul_f32_e32 v8, 0x4f800000, v4
	v_cmp_gt_f32_e64 s[2:3], s15, v4
	v_mul_f32_e32 v7, 0x37800000, v6
	v_cndmask_b32_e32 v6, v6, v7, vcc
	v_cndmask_b32_e64 v4, v4, v8, s[2:3]
	v_sqrt_f32_e32 v8, v4
	v_cmp_class_f32_e32 vcc, v1, v18
	s_waitcnt vmcnt(1)
	v_mul_f32_e32 v7, 0x3fb8aa3b, v19
	v_exp_f32_e32 v7, v7
	v_cndmask_b32_e32 v13, v6, v1, vcc
	v_add_u32_e32 v1, -1, v8
	v_fma_f32 v6, -v1, v8, v4
	v_cmp_ge_f32_e32 vcc, 0, v6
	v_mul_f32_e32 v6, 0x3fb8aa3b, v15
	v_exp_f32_e32 v6, v6
	v_add_u32_e32 v9, 1, v8
	v_cndmask_b32_e32 v1, v8, v1, vcc
	v_fma_f32 v8, -v9, v8, v4
	v_cmp_lt_f32_e32 vcc, 0, v8
	v_pk_add_f32 v[6:7], v[6:7], 1.0 op_sel_hi:[1,0]
	s_nop 0
	v_cndmask_b32_e32 v1, v1, v9, vcc
	v_cmp_gt_f32_e32 vcc, s13, v7
	v_mul_f32_e32 v8, 0x37800000, v1
	v_cndmask_b32_e64 v1, v1, v8, s[2:3]
	v_cndmask_b32_e32 v9, 1.0, v16, vcc
	v_mul_f32_e32 v7, v7, v9
	v_log_f32_e32 v7, v7
	v_cmp_class_f32_e64 s[2:3], v4, v18
	v_cmp_lt_f32_e64 s[4:5], |v7|, s14
	s_nop 0
	v_cndmask_b32_e64 v14, v1, v4, s[2:3]
	v_cmp_gt_f32_e64 s[2:3], s13, v6
	v_mul_f32_e32 v1, 0x3f317217, v7
	v_fma_f32 v1, v7, s12, -v1
	v_cndmask_b32_e64 v4, 1.0, v16, s[2:3]
	v_mul_f32_e32 v4, v6, v4
	v_log_f32_e32 v4, v4
	v_fmac_f32_e32 v1, 0x3377d1cf, v7
	v_fmac_f32_e32 v1, 0x3f317217, v7
	v_cndmask_b32_e64 v1, v7, v1, s[4:5]
	v_cndmask_b32_e32 v6, 0, v17, vcc
	v_sub_f32_e32 v1, v1, v6
	v_mul_f32_e32 v6, 0x3f317217, v4
	v_fma_f32 v6, v4, s12, -v6
	v_fmac_f32_e32 v6, 0x3377d1cf, v4
	v_fmac_f32_e32 v6, 0x3f317217, v4
	v_cmp_lt_f32_e64 vcc, |v4|, s14
	s_nop 1
	v_cndmask_b32_e32 v4, v4, v6, vcc
	v_cmp_lt_f32_e32 vcc, s9, v19
	v_cndmask_b32_e64 v6, 0, v17, s[2:3]
	v_sub_f32_e32 v4, v4, v6
	v_cndmask_b32_e32 v1, v1, v19, vcc
	v_mul_f32_e32 v7, 0x4f800000, v1
	v_cmp_gt_f32_e32 vcc, s15, v1
	v_cmp_lt_f32_e64 s[2:3], s9, v15
	s_nop 0
	v_cndmask_b32_e32 v1, v1, v7, vcc
	v_sqrt_f32_e32 v7, v1
	v_cndmask_b32_e64 v4, v4, v15, s[2:3]
	v_add_u32_e32 v6, -1, v7
	v_fma_f32 v8, -v6, v7, v1
	v_cmp_ge_f32_e64 s[2:3], 0, v8
	v_add_u32_e32 v8, 1, v7
	s_nop 0
	v_cndmask_b32_e64 v6, v7, v6, s[2:3]
	v_fma_f32 v7, -v8, v7, v1
	v_cmp_lt_f32_e64 s[2:3], 0, v7
	s_nop 1
	v_cndmask_b32_e64 v6, v6, v8, s[2:3]
	v_mul_f32_e32 v8, 0x4f800000, v4
	v_cmp_gt_f32_e64 s[2:3], s15, v4
	v_mul_f32_e32 v7, 0x37800000, v6
	v_cndmask_b32_e32 v6, v6, v7, vcc
	v_cndmask_b32_e64 v4, v4, v8, s[2:3]
	v_sqrt_f32_e32 v8, v4
	s_waitcnt vmcnt(0)
	v_mul_f32_e32 v7, 0x3fb8aa3b, v20
	v_exp_f32_e32 v7, v7
	v_cmp_class_f32_e32 vcc, v1, v18
	v_add_f32_e32 v7, 1.0, v7
	s_nop 0
	v_cndmask_b32_e32 v15, v6, v1, vcc
	v_add_u32_e32 v1, -1, v8
	v_fma_f32 v6, -v1, v8, v4
	v_cmp_ge_f32_e32 vcc, 0, v6
	v_add_u32_e32 v6, 1, v8
	s_nop 0
	v_cndmask_b32_e32 v1, v8, v1, vcc
	v_cmp_gt_f32_e32 vcc, s13, v7
	v_fma_f32 v8, -v6, v8, v4
	v_cmp_lt_f32_e64 s[4:5], 0, v8
	v_cndmask_b32_e32 v9, 1.0, v16, vcc
	v_mul_f32_e32 v7, v7, v9
	v_log_f32_e32 v7, v7
	v_cndmask_b32_e64 v1, v1, v6, s[4:5]
	v_mul_f32_e32 v6, 0x37800000, v1
	v_cndmask_b32_e64 v1, v1, v6, s[2:3]
	v_mul_f32_e32 v8, 0x3f317217, v7
	v_fma_f32 v8, v7, s12, -v8
	v_fmac_f32_e32 v8, 0x3377d1cf, v7
	v_fmac_f32_e32 v8, 0x3f317217, v7
	v_cmp_lt_f32_e64 s[4:5], |v7|, s14
	v_cmp_class_f32_e64 s[2:3], v4, v18
	s_nop 0
	v_cndmask_b32_e64 v7, v7, v8, s[4:5]
	v_cndmask_b32_e32 v8, 0, v17, vcc
	v_sub_f32_e32 v7, v7, v8
	v_cmp_lt_f32_e32 vcc, s9, v20
	v_cndmask_b32_e64 v16, v1, v4, s[2:3]
	s_cselect_b64 s[4:5], -1, 0
	v_cndmask_b32_e32 v7, v7, v20, vcc
	v_mul_f32_e32 v8, 0x4f800000, v7
	v_cmp_gt_f32_e32 vcc, s15, v7
	s_cmp_lt_i32 s28, 1
	s_nop 0
	v_cndmask_b32_e32 v7, v7, v8, vcc
	v_sqrt_f32_e32 v8, v7
	s_nop 0
	v_add_u32_e32 v1, -1, v8
	v_fma_f32 v4, -v1, v8, v7
	v_cmp_ge_f32_e64 s[2:3], 0, v4
	v_add_u32_e32 v4, 1, v8
	v_fma_f32 v6, -v4, v8, v7
	v_cndmask_b32_e64 v1, v8, v1, s[2:3]
	v_cmp_lt_f32_e64 s[2:3], 0, v6
	s_nop 1
	v_cndmask_b32_e64 v1, v1, v4, s[2:3]
	v_mul_f32_e32 v4, 0x37800000, v1
	v_cndmask_b32_e32 v1, v1, v4, vcc
	v_cmp_class_f32_e32 vcc, v7, v18
	s_nop 1
	v_cndmask_b32_e32 v17, v1, v7, vcc
	s_cbranch_scc1 .LBB52_28
; %bb.2:
	s_load_dwordx2 s[6:7], s[0:1], 0x20
	s_cmp_lt_u32 s28, 4
	s_cbranch_scc1 .LBB52_21
; %bb.3:
	s_mov_b32 s11, 0
	s_and_b32 s8, s28, 0x7ffffffc
	v_ashrrev_i32_e32 v1, 31, v0
	v_mov_b32_e32 v5, 0
	s_mov_b32 s10, s11
	s_branch .LBB52_5
.LBB52_4:                               ;   in Loop: Header=BB52_5 Depth=1
	s_or_b64 exec, exec, s[12:13]
	s_add_i32 s10, s10, 4
	s_cmp_eq_u32 s10, s8
	s_cbranch_scc1 .LBB52_21
.LBB52_5:                               ; =>This Loop Header: Depth=1
                                        ;     Child Loop BB52_7 Depth 2
                                        ;     Child Loop BB52_11 Depth 2
	;; [unrolled: 1-line block ×4, first 2 shown]
	v_lshl_add_u64 v[6:7], s[10:11], 2, v[2:3]
	global_load_dword v4, v[6:7], off
	v_add_u32_e32 v8, s10, v0
	v_ashrrev_i32_e32 v9, 31, v8
	s_waitcnt lgkmcnt(0)
	v_lshl_add_u64 v[8:9], v[8:9], 2, s[6:7]
	s_mov_b64 s[12:13], 0
	v_mov_b32_e32 v18, v10
	s_mov_b64 s[14:15], 0
	s_waitcnt vmcnt(0)
	s_branch .LBB52_7
.LBB52_6:                               ;   in Loop: Header=BB52_7 Depth=2
	s_or_b64 exec, exec, s[16:17]
	s_cmp_gt_u32 s14, 5
	s_cselect_b64 s[2:3], -1, 0
	s_xor_b64 s[16:17], vcc, -1
	s_or_b64 s[2:3], s[16:17], s[2:3]
	s_add_u32 s14, s14, 1
	s_addc_u32 s15, s15, 0
	s_and_b64 s[2:3], exec, s[2:3]
	s_or_b64 s[12:13], s[2:3], s[12:13]
	v_add_u32_e32 v18, 64, v18
	s_andn2_b64 exec, exec, s[12:13]
	s_cbranch_execz .LBB52_9
.LBB52_7:                               ;   Parent Loop BB52_5 Depth=1
                                        ; =>  This Inner Loop Header: Depth=2
	v_cmp_ne_u32_e32 vcc, v4, v18
	v_cmp_eq_u32_e64 s[2:3], v4, v18
	s_and_saveexec_b64 s[16:17], s[2:3]
	s_cbranch_execz .LBB52_6
; %bb.8:                                ;   in Loop: Header=BB52_7 Depth=2
	s_cmp_eq_u32 s14, 1
	s_cselect_b64 s[2:3], -1, 0
	s_cmp_eq_u32 s14, 2
	v_cndmask_b32_e64 v19, v12, v11, s[2:3]
	s_cselect_b64 s[2:3], -1, 0
	s_cmp_eq_u32 s14, 3
	v_cndmask_b32_e64 v19, v19, v14, s[2:3]
	;; [unrolled: 3-line block ×5, first 2 shown]
	s_cselect_b64 s[2:3], -1, 0
	v_cndmask_b32_e64 v19, v19, v17, s[2:3]
	v_add_f32_e32 v5, v5, v19
	global_store_dword v[8:9], v4, off
	s_branch .LBB52_6
.LBB52_9:                               ;   in Loop: Header=BB52_5 Depth=1
	s_or_b64 exec, exec, s[12:13]
	global_load_dword v4, v[6:7], off offset:4
	s_ashr_i32 s3, s10, 31
	s_mov_b32 s2, s10
	v_lshl_add_u64 v[8:9], s[2:3], 0, v[0:1]
	v_lshl_add_u64 v[8:9], v[8:9], 2, s[6:7]
	s_mov_b64 s[12:13], 0
	v_mov_b32_e32 v18, v10
	s_mov_b64 s[14:15], 0
	s_waitcnt vmcnt(0)
	s_branch .LBB52_11
.LBB52_10:                              ;   in Loop: Header=BB52_11 Depth=2
	s_or_b64 exec, exec, s[16:17]
	s_cmp_gt_u32 s14, 5
	s_cselect_b64 s[2:3], -1, 0
	s_xor_b64 s[16:17], vcc, -1
	s_or_b64 s[2:3], s[16:17], s[2:3]
	s_add_u32 s14, s14, 1
	s_addc_u32 s15, s15, 0
	s_and_b64 s[2:3], exec, s[2:3]
	s_or_b64 s[12:13], s[2:3], s[12:13]
	v_add_u32_e32 v18, 64, v18
	s_andn2_b64 exec, exec, s[12:13]
	s_cbranch_execz .LBB52_13
.LBB52_11:                              ;   Parent Loop BB52_5 Depth=1
                                        ; =>  This Inner Loop Header: Depth=2
	v_cmp_ne_u32_e32 vcc, v4, v18
	v_cmp_eq_u32_e64 s[2:3], v4, v18
	s_and_saveexec_b64 s[16:17], s[2:3]
	s_cbranch_execz .LBB52_10
; %bb.12:                               ;   in Loop: Header=BB52_11 Depth=2
	s_cmp_eq_u32 s14, 1
	s_cselect_b64 s[2:3], -1, 0
	s_cmp_eq_u32 s14, 2
	v_cndmask_b32_e64 v19, v12, v11, s[2:3]
	s_cselect_b64 s[2:3], -1, 0
	s_cmp_eq_u32 s14, 3
	v_cndmask_b32_e64 v19, v19, v14, s[2:3]
	;; [unrolled: 3-line block ×5, first 2 shown]
	s_cselect_b64 s[2:3], -1, 0
	v_cndmask_b32_e64 v19, v19, v17, s[2:3]
	v_add_f32_e32 v5, v5, v19
	global_store_dword v[8:9], v4, off offset:4
	s_branch .LBB52_10
.LBB52_13:                              ;   in Loop: Header=BB52_5 Depth=1
	s_or_b64 exec, exec, s[12:13]
	global_load_dword v4, v[6:7], off offset:8
	s_mov_b64 s[12:13], 0
	v_mov_b32_e32 v18, v10
	s_mov_b64 s[14:15], 0
	s_waitcnt vmcnt(0)
	s_branch .LBB52_15
.LBB52_14:                              ;   in Loop: Header=BB52_15 Depth=2
	s_or_b64 exec, exec, s[16:17]
	s_cmp_gt_u32 s14, 5
	s_cselect_b64 s[2:3], -1, 0
	s_xor_b64 s[16:17], vcc, -1
	s_or_b64 s[2:3], s[16:17], s[2:3]
	s_add_u32 s14, s14, 1
	s_addc_u32 s15, s15, 0
	s_and_b64 s[2:3], exec, s[2:3]
	s_or_b64 s[12:13], s[2:3], s[12:13]
	v_add_u32_e32 v18, 64, v18
	s_andn2_b64 exec, exec, s[12:13]
	s_cbranch_execz .LBB52_17
.LBB52_15:                              ;   Parent Loop BB52_5 Depth=1
                                        ; =>  This Inner Loop Header: Depth=2
	v_cmp_ne_u32_e32 vcc, v4, v18
	v_cmp_eq_u32_e64 s[2:3], v4, v18
	s_and_saveexec_b64 s[16:17], s[2:3]
	s_cbranch_execz .LBB52_14
; %bb.16:                               ;   in Loop: Header=BB52_15 Depth=2
	s_cmp_eq_u32 s14, 1
	s_cselect_b64 s[2:3], -1, 0
	s_cmp_eq_u32 s14, 2
	v_cndmask_b32_e64 v19, v12, v11, s[2:3]
	s_cselect_b64 s[2:3], -1, 0
	s_cmp_eq_u32 s14, 3
	v_cndmask_b32_e64 v19, v19, v14, s[2:3]
	;; [unrolled: 3-line block ×5, first 2 shown]
	s_cselect_b64 s[2:3], -1, 0
	v_cndmask_b32_e64 v19, v19, v17, s[2:3]
	v_add_f32_e32 v5, v5, v19
	global_store_dword v[8:9], v4, off offset:8
	s_branch .LBB52_14
.LBB52_17:                              ;   in Loop: Header=BB52_5 Depth=1
	s_or_b64 exec, exec, s[12:13]
	global_load_dword v4, v[6:7], off offset:12
	s_mov_b64 s[12:13], 0
	v_mov_b32_e32 v6, v10
	s_mov_b64 s[14:15], 0
	s_waitcnt vmcnt(0)
	s_branch .LBB52_19
.LBB52_18:                              ;   in Loop: Header=BB52_19 Depth=2
	s_or_b64 exec, exec, s[16:17]
	s_cmp_gt_u32 s14, 5
	s_cselect_b64 s[2:3], -1, 0
	s_xor_b64 s[16:17], vcc, -1
	s_or_b64 s[2:3], s[16:17], s[2:3]
	s_add_u32 s14, s14, 1
	s_addc_u32 s15, s15, 0
	s_and_b64 s[2:3], exec, s[2:3]
	s_or_b64 s[12:13], s[2:3], s[12:13]
	v_add_u32_e32 v6, 64, v6
	s_andn2_b64 exec, exec, s[12:13]
	s_cbranch_execz .LBB52_4
.LBB52_19:                              ;   Parent Loop BB52_5 Depth=1
                                        ; =>  This Inner Loop Header: Depth=2
	v_cmp_ne_u32_e32 vcc, v4, v6
	v_cmp_eq_u32_e64 s[2:3], v4, v6
	s_and_saveexec_b64 s[16:17], s[2:3]
	s_cbranch_execz .LBB52_18
; %bb.20:                               ;   in Loop: Header=BB52_19 Depth=2
	s_cmp_eq_u32 s14, 1
	s_cselect_b64 s[2:3], -1, 0
	s_cmp_eq_u32 s14, 2
	v_cndmask_b32_e64 v7, v12, v11, s[2:3]
	s_cselect_b64 s[2:3], -1, 0
	s_cmp_eq_u32 s14, 3
	v_cndmask_b32_e64 v7, v7, v14, s[2:3]
	;; [unrolled: 3-line block ×5, first 2 shown]
	s_cselect_b64 s[2:3], -1, 0
	v_cndmask_b32_e64 v7, v7, v17, s[2:3]
	v_add_f32_e32 v5, v5, v7
	global_store_dword v[8:9], v4, off offset:12
	s_branch .LBB52_18
.LBB52_21:
	s_and_b32 s16, s28, 3
	s_cmp_eq_u32 s16, 0
	s_mov_b32 s9, 0
	s_cbranch_scc1 .LBB52_28
; %bb.22:
	s_mov_b32 s17, s9
	s_branch .LBB52_24
.LBB52_23:                              ;   in Loop: Header=BB52_24 Depth=1
	s_or_b64 exec, exec, s[10:11]
	s_add_i32 s8, s8, 1
	s_add_i32 s17, s17, 1
	s_cmp_lg_u32 s17, s16
	s_cbranch_scc0 .LBB52_28
.LBB52_24:                              ; =>This Loop Header: Depth=1
                                        ;     Child Loop BB52_26 Depth 2
	v_lshl_add_u64 v[6:7], s[8:9], 2, v[2:3]
	global_load_dword v1, v[6:7], off
	v_add_u32_e32 v6, s8, v0
	v_ashrrev_i32_e32 v7, 31, v6
	s_waitcnt lgkmcnt(0)
	v_lshl_add_u64 v[6:7], v[6:7], 2, s[6:7]
	s_mov_b64 s[10:11], 0
	v_mov_b32_e32 v4, v10
	s_mov_b64 s[12:13], 0
	s_waitcnt vmcnt(0)
	s_branch .LBB52_26
.LBB52_25:                              ;   in Loop: Header=BB52_26 Depth=2
	s_or_b64 exec, exec, s[14:15]
	s_cmp_gt_u32 s12, 5
	s_cselect_b64 s[2:3], -1, 0
	s_xor_b64 s[14:15], vcc, -1
	s_or_b64 s[2:3], s[14:15], s[2:3]
	s_add_u32 s12, s12, 1
	s_addc_u32 s13, s13, 0
	s_and_b64 s[2:3], exec, s[2:3]
	s_or_b64 s[10:11], s[2:3], s[10:11]
	v_add_u32_e32 v4, 64, v4
	s_andn2_b64 exec, exec, s[10:11]
	s_cbranch_execz .LBB52_23
.LBB52_26:                              ;   Parent Loop BB52_24 Depth=1
                                        ; =>  This Inner Loop Header: Depth=2
	v_cmp_ne_u32_e32 vcc, v1, v4
	v_cmp_eq_u32_e64 s[2:3], v1, v4
	s_and_saveexec_b64 s[14:15], s[2:3]
	s_cbranch_execz .LBB52_25
; %bb.27:                               ;   in Loop: Header=BB52_26 Depth=2
	s_cmp_eq_u32 s12, 1
	s_cselect_b64 s[2:3], -1, 0
	s_cmp_eq_u32 s12, 2
	v_cndmask_b32_e64 v8, v12, v11, s[2:3]
	s_cselect_b64 s[2:3], -1, 0
	s_cmp_eq_u32 s12, 3
	v_cndmask_b32_e64 v8, v8, v14, s[2:3]
	s_cselect_b64 s[2:3], -1, 0
	s_cmp_eq_u32 s12, 4
	v_cndmask_b32_e64 v8, v8, v13, s[2:3]
	s_cselect_b64 s[2:3], -1, 0
	s_cmp_eq_u32 s12, 5
	v_cndmask_b32_e64 v8, v8, v16, s[2:3]
	s_cselect_b64 s[2:3], -1, 0
	s_cmp_eq_u32 s12, 6
	v_cndmask_b32_e64 v8, v8, v15, s[2:3]
	s_cselect_b64 s[2:3], -1, 0
	v_cndmask_b32_e64 v8, v8, v17, s[2:3]
	v_add_f32_e32 v5, v5, v8
	global_store_dword v[6:7], v1, off
	s_branch .LBB52_25
.LBB52_28:
	s_waitcnt lgkmcnt(0)
	s_load_dword s6, s[0:1], 0x3c
	s_waitcnt lgkmcnt(0)
	s_bitcmp1_b32 s6, 0
	s_cselect_b64 s[2:3], -1, 0
	s_bitcmp0_b32 s6, 0
	s_cbranch_scc0 .LBB52_32
; %bb.29:
	s_load_dwordx2 s[6:7], s[0:1], 0x40
	s_andn2_b64 vcc, exec, s[2:3]
	s_waitcnt lgkmcnt(0)
	v_cvt_f32_f64_e32 v18, s[6:7]
	s_cbranch_vccz .LBB52_33
.LBB52_30:
	s_andn2_b64 vcc, exec, s[4:5]
	s_cbranch_vccz .LBB52_34
.LBB52_31:
	s_endpgm
.LBB52_32:
	v_mbcnt_lo_u32_b32 v1, -1, 0
	v_mbcnt_hi_u32_b32 v1, -1, v1
	v_and_b32_e32 v4, 64, v1
	v_add_u32_e32 v4, 64, v4
	v_xor_b32_e32 v6, 32, v1
	v_cmp_lt_i32_e32 vcc, v6, v4
	v_xor_b32_e32 v7, 16, v1
	s_nop 0
	v_cndmask_b32_e32 v6, v1, v6, vcc
	v_lshlrev_b32_e32 v6, 2, v6
	ds_bpermute_b32 v6, v6, v5
	v_cmp_lt_i32_e32 vcc, v7, v4
	s_waitcnt lgkmcnt(0)
	v_add_f32_e32 v5, v5, v6
	v_cndmask_b32_e32 v6, v1, v7, vcc
	v_lshlrev_b32_e32 v6, 2, v6
	ds_bpermute_b32 v6, v6, v5
	v_xor_b32_e32 v7, 8, v1
	v_cmp_lt_i32_e32 vcc, v7, v4
	s_waitcnt lgkmcnt(0)
	v_add_f32_e32 v5, v5, v6
	v_cndmask_b32_e32 v6, v1, v7, vcc
	v_lshlrev_b32_e32 v6, 2, v6
	ds_bpermute_b32 v6, v6, v5
	v_xor_b32_e32 v7, 4, v1
	;; [unrolled: 7-line block ×4, first 2 shown]
	v_cmp_lt_i32_e32 vcc, v7, v4
	s_waitcnt lgkmcnt(0)
	v_add_f32_e32 v5, v5, v6
	v_cndmask_b32_e32 v1, v1, v7, vcc
	v_lshlrev_b32_e32 v1, 2, v1
	ds_bpermute_b32 v1, v1, v5
	s_waitcnt lgkmcnt(0)
	v_add_f32_e32 v5, v5, v1
	s_load_dwordx2 s[6:7], s[0:1], 0x40
	s_andn2_b64 vcc, exec, s[2:3]
	s_waitcnt lgkmcnt(0)
	v_cvt_f32_f64_e32 v18, s[6:7]
	s_cbranch_vccnz .LBB52_30
.LBB52_33:
	v_cmp_lt_f32_e32 vcc, 0, v5
	s_nop 1
	v_cndmask_b32_e32 v1, 1.0, v5, vcc
	v_div_scale_f32 v4, s[2:3], v1, v1, v18
	v_rcp_f32_e32 v5, v4
	s_nop 0
	v_fma_f32 v6, -v4, v5, 1.0
	v_fmac_f32_e32 v5, v6, v5
	v_div_scale_f32 v6, vcc, v18, v1, v18
	v_mul_f32_e32 v7, v6, v5
	v_fma_f32 v8, -v4, v7, v6
	v_fmac_f32_e32 v7, v8, v5
	v_fma_f32 v4, -v4, v7, v6
	v_div_fmas_f32 v4, v4, v5, v7
	v_div_fixup_f32 v18, v4, v1, v18
	s_andn2_b64 vcc, exec, s[4:5]
	s_cbranch_vccnz .LBB52_31
.LBB52_34:
	s_load_dwordx2 s[10:11], s[0:1], 0x10
	v_or_b32_e32 v24, 64, v10
	v_or_b32_e32 v23, 0x80, v10
	;; [unrolled: 1-line block ×6, first 2 shown]
	s_cmp_eq_u32 s28, 1
	s_mov_b32 s12, 0
	s_cbranch_scc1 .LBB52_65
; %bb.35:
	v_ashrrev_i32_e32 v1, 31, v0
	s_waitcnt lgkmcnt(0)
	v_lshl_add_u64 v[4:5], v[0:1], 2, s[10:11]
	s_and_b32 s12, s28, 0x7ffffffe
	v_lshl_add_u64 v[4:5], v[4:5], 0, 4
	v_lshl_add_u64 v[6:7], v[2:3], 0, 4
	s_mov_b32 s13, 0
	s_branch .LBB52_37
.LBB52_36:                              ;   in Loop: Header=BB52_37 Depth=1
	s_or_b64 exec, exec, s[0:1]
	s_add_i32 s13, s13, 2
	v_lshl_add_u64 v[4:5], v[4:5], 0, 8
	s_cmp_lg_u32 s12, s13
	v_lshl_add_u64 v[6:7], v[6:7], 0, 8
	s_cbranch_scc0 .LBB52_65
.LBB52_37:                              ; =>This Inner Loop Header: Depth=1
	global_load_dword v1, v[6:7], off offset:-4
	v_mov_b64_e32 v[8:9], 0
	s_waitcnt vmcnt(0)
	v_cmp_eq_u32_e32 vcc, v1, v10
	v_cmp_ne_u32_e64 s[0:1], v1, v10
	s_and_saveexec_b64 s[14:15], s[0:1]
	s_cbranch_execz .LBB52_49
; %bb.38:                               ;   in Loop: Header=BB52_37 Depth=1
	v_cmp_eq_u32_e64 s[0:1], v1, v24
	v_cmp_ne_u32_e64 s[2:3], v1, v24
	v_mov_b64_e32 v[8:9], 1
	s_and_saveexec_b64 s[16:17], s[2:3]
	s_cbranch_execz .LBB52_48
; %bb.39:                               ;   in Loop: Header=BB52_37 Depth=1
	v_cmp_eq_u32_e64 s[2:3], v1, v23
	v_cmp_ne_u32_e64 s[4:5], v1, v23
	v_mov_b64_e32 v[8:9], 2
	;; [unrolled: 6-line block ×5, first 2 shown]
	s_and_saveexec_b64 s[26:27], s[8:9]
	s_xor_b64 s[26:27], exec, s[26:27]
; %bb.43:                               ;   in Loop: Header=BB52_37 Depth=1
	v_cmp_eq_u32_e64 s[8:9], v1, v19
	s_andn2_b64 s[24:25], s[24:25], exec
	s_and_b64 s[8:9], s[8:9], exec
	v_mov_b64_e32 v[8:9], 6
	s_or_b64 s[24:25], s[24:25], s[8:9]
; %bb.44:                               ;   in Loop: Header=BB52_37 Depth=1
	s_or_b64 exec, exec, s[26:27]
	s_andn2_b64 s[6:7], s[6:7], exec
	s_and_b64 s[8:9], s[24:25], exec
	s_or_b64 s[6:7], s[6:7], s[8:9]
.LBB52_45:                              ;   in Loop: Header=BB52_37 Depth=1
	s_or_b64 exec, exec, s[22:23]
	s_andn2_b64 s[4:5], s[4:5], exec
	s_and_b64 s[6:7], s[6:7], exec
	s_or_b64 s[4:5], s[4:5], s[6:7]
.LBB52_46:                              ;   in Loop: Header=BB52_37 Depth=1
	s_or_b64 exec, exec, s[20:21]
	s_andn2_b64 s[2:3], s[2:3], exec
	s_and_b64 s[4:5], s[4:5], exec
	s_or_b64 s[2:3], s[2:3], s[4:5]
.LBB52_47:                              ;   in Loop: Header=BB52_37 Depth=1
	s_or_b64 exec, exec, s[18:19]
	s_andn2_b64 s[0:1], s[0:1], exec
	s_and_b64 s[2:3], s[2:3], exec
	s_or_b64 s[0:1], s[0:1], s[2:3]
.LBB52_48:                              ;   in Loop: Header=BB52_37 Depth=1
	s_or_b64 exec, exec, s[16:17]
	s_andn2_b64 s[2:3], vcc, exec
	s_and_b64 s[0:1], s[0:1], exec
	s_or_b64 vcc, s[2:3], s[0:1]
.LBB52_49:                              ;   in Loop: Header=BB52_37 Depth=1
	s_or_b64 exec, exec, s[14:15]
	s_and_saveexec_b64 s[0:1], vcc
	s_cbranch_execz .LBB52_51
; %bb.50:                               ;   in Loop: Header=BB52_37 Depth=1
	v_cmp_eq_u32_e32 vcc, 1, v8
	v_add_u32_e32 v26, s13, v0
	v_ashrrev_i32_e32 v27, 31, v26
	v_cndmask_b32_e32 v1, v12, v11, vcc
	v_cmp_eq_u32_e32 vcc, 2, v8
	s_nop 1
	v_cndmask_b32_e32 v1, v1, v14, vcc
	v_cmp_eq_u32_e32 vcc, 3, v8
	s_nop 1
	;; [unrolled: 3-line block ×4, first 2 shown]
	v_cndmask_b32_e32 v1, v1, v15, vcc
	v_cmp_eq_u32_e32 vcc, 6, v8
	v_lshl_add_u64 v[8:9], v[26:27], 2, s[10:11]
	s_nop 0
	v_cndmask_b32_e32 v1, v1, v17, vcc
	v_mul_f32_e32 v1, v18, v1
	global_store_dword v[8:9], v1, off
.LBB52_51:                              ;   in Loop: Header=BB52_37 Depth=1
	s_or_b64 exec, exec, s[0:1]
	global_load_dword v1, v[6:7], off
	v_mov_b64_e32 v[8:9], 0
	s_waitcnt vmcnt(0)
	v_cmp_eq_u32_e64 s[6:7], v1, v10
	v_cmp_ne_u32_e32 vcc, v1, v10
	s_and_saveexec_b64 s[8:9], vcc
	s_cbranch_execz .LBB52_63
; %bb.52:                               ;   in Loop: Header=BB52_37 Depth=1
	v_cmp_eq_u32_e32 vcc, v1, v24
	v_cmp_ne_u32_e64 s[0:1], v1, v24
	v_mov_b64_e32 v[8:9], 1
	s_and_saveexec_b64 s[14:15], s[0:1]
	s_cbranch_execz .LBB52_62
; %bb.53:                               ;   in Loop: Header=BB52_37 Depth=1
	v_cmp_eq_u32_e64 s[0:1], v1, v23
	v_cmp_ne_u32_e64 s[2:3], v1, v23
	v_mov_b64_e32 v[8:9], 2
	s_and_saveexec_b64 s[16:17], s[2:3]
	s_cbranch_execz .LBB52_61
; %bb.54:                               ;   in Loop: Header=BB52_37 Depth=1
	v_cmp_eq_u32_e64 s[2:3], v1, v22
	;; [unrolled: 6-line block ×4, first 2 shown]
	v_cmp_ne_u32_e64 s[4:5], v1, v20
	v_mov_b64_e32 v[8:9], 5
	s_and_saveexec_b64 s[26:27], s[4:5]
; %bb.57:                               ;   in Loop: Header=BB52_37 Depth=1
	v_cmp_eq_u32_e64 s[4:5], v1, v19
	s_andn2_b64 s[24:25], s[24:25], exec
	s_and_b64 s[4:5], s[4:5], exec
	v_mov_b64_e32 v[8:9], 6
	s_or_b64 s[24:25], s[24:25], s[4:5]
; %bb.58:                               ;   in Loop: Header=BB52_37 Depth=1
	s_or_b64 exec, exec, s[26:27]
	s_andn2_b64 s[4:5], s[20:21], exec
	s_and_b64 s[20:21], s[24:25], exec
	s_or_b64 s[20:21], s[4:5], s[20:21]
.LBB52_59:                              ;   in Loop: Header=BB52_37 Depth=1
	s_or_b64 exec, exec, s[22:23]
	s_andn2_b64 s[2:3], s[2:3], exec
	s_and_b64 s[4:5], s[20:21], exec
	s_or_b64 s[2:3], s[2:3], s[4:5]
.LBB52_60:                              ;   in Loop: Header=BB52_37 Depth=1
	s_or_b64 exec, exec, s[18:19]
	s_andn2_b64 s[0:1], s[0:1], exec
	s_and_b64 s[2:3], s[2:3], exec
	s_or_b64 s[0:1], s[0:1], s[2:3]
.LBB52_61:                              ;   in Loop: Header=BB52_37 Depth=1
	s_or_b64 exec, exec, s[16:17]
	s_andn2_b64 s[2:3], vcc, exec
	s_and_b64 s[0:1], s[0:1], exec
	s_or_b64 vcc, s[2:3], s[0:1]
.LBB52_62:                              ;   in Loop: Header=BB52_37 Depth=1
	s_or_b64 exec, exec, s[14:15]
	s_andn2_b64 s[0:1], s[6:7], exec
	s_and_b64 s[2:3], vcc, exec
	s_or_b64 s[6:7], s[0:1], s[2:3]
.LBB52_63:                              ;   in Loop: Header=BB52_37 Depth=1
	s_or_b64 exec, exec, s[8:9]
	s_and_saveexec_b64 s[0:1], s[6:7]
	s_cbranch_execz .LBB52_36
; %bb.64:                               ;   in Loop: Header=BB52_37 Depth=1
	v_cmp_eq_u32_e32 vcc, 1, v8
	s_nop 1
	v_cndmask_b32_e32 v1, v12, v11, vcc
	v_cmp_eq_u32_e32 vcc, 2, v8
	s_nop 1
	v_cndmask_b32_e32 v1, v1, v14, vcc
	v_cmp_eq_u32_e32 vcc, 3, v8
	s_nop 1
	v_cndmask_b32_e32 v1, v1, v13, vcc
	v_cmp_eq_u32_e32 vcc, 4, v8
	s_nop 1
	v_cndmask_b32_e32 v1, v1, v16, vcc
	v_cmp_eq_u32_e32 vcc, 5, v8
	s_nop 1
	v_cndmask_b32_e32 v1, v1, v15, vcc
	v_cmp_eq_u32_e32 vcc, 6, v8
	s_nop 1
	v_cndmask_b32_e32 v1, v1, v17, vcc
	v_mul_f32_e32 v1, v18, v1
	global_store_dword v[4:5], v1, off
	s_branch .LBB52_36
.LBB52_65:
	s_bitcmp0_b32 s28, 0
	s_mov_b32 s13, 0
	s_cbranch_scc1 .LBB52_31
; %bb.66:
	v_lshl_add_u64 v[2:3], s[12:13], 2, v[2:3]
	global_load_dword v1, v[2:3], off
	v_mov_b64_e32 v[2:3], 0
	s_waitcnt vmcnt(0)
	v_cmp_eq_u32_e64 s[6:7], v1, v10
	v_cmp_ne_u32_e32 vcc, v1, v10
	s_and_saveexec_b64 s[8:9], vcc
	s_cbranch_execz .LBB52_78
; %bb.67:
	v_cmp_eq_u32_e32 vcc, v1, v24
	v_cmp_ne_u32_e64 s[0:1], v1, v24
	v_mov_b64_e32 v[2:3], 1
	s_and_saveexec_b64 s[14:15], s[0:1]
	s_cbranch_execz .LBB52_77
; %bb.68:
	v_cmp_eq_u32_e64 s[0:1], v1, v23
	v_cmp_ne_u32_e64 s[2:3], v1, v23
	v_mov_b64_e32 v[2:3], 2
	s_and_saveexec_b64 s[16:17], s[2:3]
	s_cbranch_execz .LBB52_76
; %bb.69:
	v_cmp_eq_u32_e64 s[2:3], v1, v22
	;; [unrolled: 6-line block ×4, first 2 shown]
	v_cmp_ne_u32_e64 s[4:5], v1, v20
	v_mov_b64_e32 v[2:3], 5
	s_and_saveexec_b64 s[26:27], s[4:5]
; %bb.72:
	v_cmp_eq_u32_e64 s[4:5], v1, v19
	s_andn2_b64 s[24:25], s[24:25], exec
	s_and_b64 s[4:5], s[4:5], exec
	v_mov_b64_e32 v[2:3], 6
	s_or_b64 s[24:25], s[24:25], s[4:5]
; %bb.73:
	s_or_b64 exec, exec, s[26:27]
	s_andn2_b64 s[4:5], s[20:21], exec
	s_and_b64 s[20:21], s[24:25], exec
	s_or_b64 s[20:21], s[4:5], s[20:21]
.LBB52_74:
	s_or_b64 exec, exec, s[22:23]
	s_andn2_b64 s[2:3], s[2:3], exec
	s_and_b64 s[4:5], s[20:21], exec
	s_or_b64 s[2:3], s[2:3], s[4:5]
.LBB52_75:
	s_or_b64 exec, exec, s[18:19]
	s_andn2_b64 s[0:1], s[0:1], exec
	s_and_b64 s[2:3], s[2:3], exec
	s_or_b64 s[0:1], s[0:1], s[2:3]
.LBB52_76:
	s_or_b64 exec, exec, s[16:17]
	s_andn2_b64 s[2:3], vcc, exec
	s_and_b64 s[0:1], s[0:1], exec
	s_or_b64 vcc, s[2:3], s[0:1]
.LBB52_77:
	s_or_b64 exec, exec, s[14:15]
	s_andn2_b64 s[0:1], s[6:7], exec
	s_and_b64 s[2:3], vcc, exec
	s_or_b64 s[6:7], s[0:1], s[2:3]
.LBB52_78:
	s_or_b64 exec, exec, s[8:9]
	s_and_b64 exec, exec, s[6:7]
	s_cbranch_execz .LBB52_31
; %bb.79:
	v_cmp_eq_u32_e32 vcc, 1, v2
	v_add_u32_e32 v0, s12, v0
	s_nop 0
	v_cndmask_b32_e32 v1, v12, v11, vcc
	v_cmp_eq_u32_e32 vcc, 2, v2
	s_nop 1
	v_cndmask_b32_e32 v1, v1, v14, vcc
	v_cmp_eq_u32_e32 vcc, 3, v2
	;; [unrolled: 3-line block ×5, first 2 shown]
	s_nop 1
	v_cndmask_b32_e32 v1, v1, v17, vcc
	v_mul_f32_e32 v2, v18, v1
	v_ashrrev_i32_e32 v1, 31, v0
	s_waitcnt lgkmcnt(0)
	v_lshl_add_u64 v[0:1], v[0:1], 2, s[10:11]
	global_store_dword v[0:1], v2, off
	s_endpgm
	.section	.rodata,"a",@progbits
	.p2align	6, 0x0
	.amdhsa_kernel _ZN4vllm3moe22topkGatingSoftplusSqrtILi7ELi448ELi4ELi4ELi64ELb1EifEEvPKT6_PKbPfiPT5_PiiiibdPKfPKS8_SE_
		.amdhsa_group_segment_fixed_size 0
		.amdhsa_private_segment_fixed_size 0
		.amdhsa_kernarg_size 96
		.amdhsa_user_sgpr_count 2
		.amdhsa_user_sgpr_dispatch_ptr 0
		.amdhsa_user_sgpr_queue_ptr 0
		.amdhsa_user_sgpr_kernarg_segment_ptr 1
		.amdhsa_user_sgpr_dispatch_id 0
		.amdhsa_user_sgpr_kernarg_preload_length 0
		.amdhsa_user_sgpr_kernarg_preload_offset 0
		.amdhsa_user_sgpr_private_segment_size 0
		.amdhsa_uses_dynamic_stack 0
		.amdhsa_enable_private_segment 0
		.amdhsa_system_sgpr_workgroup_id_x 1
		.amdhsa_system_sgpr_workgroup_id_y 0
		.amdhsa_system_sgpr_workgroup_id_z 0
		.amdhsa_system_sgpr_workgroup_info 0
		.amdhsa_system_vgpr_workitem_id 1
		.amdhsa_next_free_vgpr 28
		.amdhsa_next_free_sgpr 29
		.amdhsa_accum_offset 28
		.amdhsa_reserve_vcc 1
		.amdhsa_float_round_mode_32 0
		.amdhsa_float_round_mode_16_64 0
		.amdhsa_float_denorm_mode_32 3
		.amdhsa_float_denorm_mode_16_64 3
		.amdhsa_dx10_clamp 1
		.amdhsa_ieee_mode 1
		.amdhsa_fp16_overflow 0
		.amdhsa_tg_split 0
		.amdhsa_exception_fp_ieee_invalid_op 0
		.amdhsa_exception_fp_denorm_src 0
		.amdhsa_exception_fp_ieee_div_zero 0
		.amdhsa_exception_fp_ieee_overflow 0
		.amdhsa_exception_fp_ieee_underflow 0
		.amdhsa_exception_fp_ieee_inexact 0
		.amdhsa_exception_int_div_zero 0
	.end_amdhsa_kernel
	.section	.text._ZN4vllm3moe22topkGatingSoftplusSqrtILi7ELi448ELi4ELi4ELi64ELb1EifEEvPKT6_PKbPfiPT5_PiiiibdPKfPKS8_SE_,"axG",@progbits,_ZN4vllm3moe22topkGatingSoftplusSqrtILi7ELi448ELi4ELi4ELi64ELb1EifEEvPKT6_PKbPfiPT5_PiiiibdPKfPKS8_SE_,comdat
.Lfunc_end52:
	.size	_ZN4vllm3moe22topkGatingSoftplusSqrtILi7ELi448ELi4ELi4ELi64ELb1EifEEvPKT6_PKbPfiPT5_PiiiibdPKfPKS8_SE_, .Lfunc_end52-_ZN4vllm3moe22topkGatingSoftplusSqrtILi7ELi448ELi4ELi4ELi64ELb1EifEEvPKT6_PKbPfiPT5_PiiiibdPKfPKS8_SE_
                                        ; -- End function
	.section	.AMDGPU.csdata,"",@progbits
; Kernel info:
; codeLenInByte = 4808
; NumSgprs: 35
; NumVgprs: 28
; NumAgprs: 0
; TotalNumVgprs: 28
; ScratchSize: 0
; MemoryBound: 0
; FloatMode: 240
; IeeeMode: 1
; LDSByteSize: 0 bytes/workgroup (compile time only)
; SGPRBlocks: 4
; VGPRBlocks: 3
; NumSGPRsForWavesPerEU: 35
; NumVGPRsForWavesPerEU: 28
; AccumOffset: 28
; Occupancy: 8
; WaveLimiterHint : 1
; COMPUTE_PGM_RSRC2:SCRATCH_EN: 0
; COMPUTE_PGM_RSRC2:USER_SGPR: 2
; COMPUTE_PGM_RSRC2:TRAP_HANDLER: 0
; COMPUTE_PGM_RSRC2:TGID_X_EN: 1
; COMPUTE_PGM_RSRC2:TGID_Y_EN: 0
; COMPUTE_PGM_RSRC2:TGID_Z_EN: 0
; COMPUTE_PGM_RSRC2:TIDIG_COMP_CNT: 1
; COMPUTE_PGM_RSRC3_GFX90A:ACCUM_OFFSET: 6
; COMPUTE_PGM_RSRC3_GFX90A:TG_SPLIT: 0
	.section	.text._ZN4vllm3moe22topkGatingSoftplusSqrtILi7ELi448ELi4ELi4ELi64ELb0EifEEvPKT6_PKbPfiPT5_PiiiibdPKfPKS8_SE_,"axG",@progbits,_ZN4vllm3moe22topkGatingSoftplusSqrtILi7ELi448ELi4ELi4ELi64ELb0EifEEvPKT6_PKbPfiPT5_PiiiibdPKfPKS8_SE_,comdat
	.protected	_ZN4vllm3moe22topkGatingSoftplusSqrtILi7ELi448ELi4ELi4ELi64ELb0EifEEvPKT6_PKbPfiPT5_PiiiibdPKfPKS8_SE_ ; -- Begin function _ZN4vllm3moe22topkGatingSoftplusSqrtILi7ELi448ELi4ELi4ELi64ELb0EifEEvPKT6_PKbPfiPT5_PiiiibdPKfPKS8_SE_
	.globl	_ZN4vllm3moe22topkGatingSoftplusSqrtILi7ELi448ELi4ELi4ELi64ELb0EifEEvPKT6_PKbPfiPT5_PiiiibdPKfPKS8_SE_
	.p2align	8
	.type	_ZN4vllm3moe22topkGatingSoftplusSqrtILi7ELi448ELi4ELi4ELi64ELb0EifEEvPKT6_PKbPfiPT5_PiiiibdPKfPKS8_SE_,@function
_ZN4vllm3moe22topkGatingSoftplusSqrtILi7ELi448ELi4ELi4ELi64ELb0EifEEvPKT6_PKbPfiPT5_PiiiibdPKfPKS8_SE_: ; @_ZN4vllm3moe22topkGatingSoftplusSqrtILi7ELi448ELi4ELi4ELi64ELb0EifEEvPKT6_PKbPfiPT5_PiiiibdPKfPKS8_SE_
; %bb.0:
	s_load_dword s30, s[0:1], 0x18
	v_and_b32_e32 v1, 0x3ff, v0
	s_lshl_b32 s2, s2, 2
	v_lshrrev_b32_e32 v2, 6, v1
	v_bfe_u32 v0, v0, 10, 10
	v_add3_u32 v8, s2, v0, v2
	s_waitcnt lgkmcnt(0)
	v_cmp_gt_i32_e32 vcc, s30, v8
	s_and_saveexec_b64 s[2:3], vcc
	s_cbranch_execz .LBB53_63
; %bb.1:
	s_load_dwordx4 s[4:7], s[0:1], 0x0
	s_load_dwordx2 s[20:21], s[0:1], 0x10
	s_waitcnt lgkmcnt(0)
	s_cmp_eq_u64 s[6:7], 0
	s_cbranch_scc1 .LBB53_3
; %bb.2:
	v_ashrrev_i32_e32 v9, 31, v8
	v_lshl_add_u64 v[2:3], s[6:7], 0, v[8:9]
	global_load_ubyte v0, v[2:3], off
	s_waitcnt vmcnt(0)
	v_and_b32_e32 v0, 1, v0
	v_cmp_eq_u32_e32 vcc, 1, v0
	s_xor_b64 s[2:3], vcc, -1
	s_orn2_b64 s[22:23], s[2:3], exec
	s_branch .LBB53_4
.LBB53_3:
	s_mov_b64 s[22:23], -1
.LBB53_4:
	s_movk_i32 s2, 0x1c0
	v_mul_lo_u32 v4, v8, s2
	v_mov_b32_e32 v2, s4
	v_mov_b32_e32 v3, s5
	v_ashrrev_i32_e32 v5, 31, v4
	v_and_b32_e32 v10, 63, v1
	v_lshl_add_u64 v[2:3], v[4:5], 2, v[2:3]
	v_mov_b32_e32 v13, 0
	v_lshlrev_b32_e32 v12, 2, v10
	v_lshl_add_u64 v[14:15], v[2:3], 0, v[12:13]
	global_load_dword v0, v[14:15], off
	global_load_dword v1, v[14:15], off offset:256
	global_load_dword v2, v[14:15], off offset:512
	global_load_dword v3, v[14:15], off offset:768
	global_load_dword v4, v[14:15], off offset:1024
	global_load_dword v5, v[14:15], off offset:1280
	global_load_dword v6, v[14:15], off offset:1536
	s_mov_b32 s16, 0x800000
	v_mov_b32_e32 v11, 0x4f800000
	s_mov_b32 s13, 0x3f317217
	s_mov_b32 s14, 0x7f800000
	v_mov_b32_e32 v9, 0x41b17218
	s_mov_b32 s12, 0x41a00000
	s_mov_b32 s15, 0xf800000
	s_load_dwordx4 s[8:11], s[0:1], 0x40
	s_waitcnt lgkmcnt(0)
	s_cmp_lg_u64 s[10:11], 0
	s_cselect_b64 s[6:7], -1, 0
	s_and_b64 s[2:3], exec, s[6:7]
	s_waitcnt vmcnt(6)
	v_mul_f32_e32 v7, 0x3fb8aa3b, v0
	v_exp_f32_e32 v7, v7
	s_nop 0
	v_add_f32_e32 v7, 1.0, v7
	v_cmp_gt_f32_e32 vcc, s16, v7
	s_nop 1
	v_cndmask_b32_e32 v13, 1.0, v11, vcc
	v_mul_f32_e32 v7, v7, v13
	v_log_f32_e32 v13, v7
	v_cndmask_b32_e32 v14, 0, v9, vcc
	v_mov_b32_e32 v7, 0x260
	v_mul_f32_e32 v15, 0x3f317217, v13
	v_fma_f32 v15, v13, s13, -v15
	v_fmac_f32_e32 v15, 0x3377d1cf, v13
	v_fmac_f32_e32 v15, 0x3f317217, v13
	v_cmp_lt_f32_e64 vcc, |v13|, s14
	s_nop 1
	v_cndmask_b32_e32 v13, v13, v15, vcc
	v_sub_f32_e32 v13, v13, v14
	v_cmp_lt_f32_e32 vcc, s12, v0
	s_nop 1
	v_cndmask_b32_e32 v0, v13, v0, vcc
	v_mul_f32_e32 v13, 0x4f800000, v0
	v_cmp_gt_f32_e32 vcc, s15, v0
	s_nop 1
	v_cndmask_b32_e32 v0, v0, v13, vcc
	v_sqrt_f32_e32 v13, v0
	s_nop 0
	v_add_u32_e32 v14, -1, v13
	v_add_u32_e32 v15, 1, v13
	v_fma_f32 v16, -v14, v13, v0
	v_fma_f32 v17, -v15, v13, v0
	v_cmp_ge_f32_e64 s[4:5], 0, v16
	s_nop 1
	v_cndmask_b32_e64 v13, v13, v14, s[4:5]
	v_cmp_lt_f32_e64 s[4:5], 0, v17
	s_nop 1
	v_cndmask_b32_e64 v13, v13, v15, s[4:5]
	v_mul_f32_e32 v14, 0x37800000, v13
	v_cndmask_b32_e32 v13, v13, v14, vcc
	v_cmp_class_f32_e32 vcc, v0, v7
	s_nop 1
	v_cndmask_b32_e32 v0, v13, v0, vcc
	s_mov_b64 vcc, s[2:3]
	s_cbranch_vccz .LBB53_6
; %bb.5:
	global_load_dword v13, v12, s[10:11]
	s_waitcnt vmcnt(0)
	v_add_f32_e32 v0, v0, v13
.LBB53_6:
	s_waitcnt vmcnt(5)
	v_mul_f32_e32 v13, 0x3fb8aa3b, v1
	v_exp_f32_e32 v13, v13
	s_nop 0
	v_add_f32_e32 v13, 1.0, v13
	v_cmp_gt_f32_e32 vcc, s16, v13
	s_nop 1
	v_cndmask_b32_e32 v11, 1.0, v11, vcc
	v_mul_f32_e32 v11, v13, v11
	v_log_f32_e32 v11, v11
	v_cndmask_b32_e32 v9, 0, v9, vcc
	v_mul_f32_e32 v13, 0x3f317217, v11
	v_fma_f32 v13, v11, s13, -v13
	v_fmac_f32_e32 v13, 0x3377d1cf, v11
	v_fmac_f32_e32 v13, 0x3f317217, v11
	v_cmp_lt_f32_e64 vcc, |v11|, s14
	s_nop 1
	v_cndmask_b32_e32 v11, v11, v13, vcc
	v_sub_f32_e32 v9, v11, v9
	v_cmp_lt_f32_e32 vcc, s12, v1
	s_nop 1
	v_cndmask_b32_e32 v1, v9, v1, vcc
	v_mul_f32_e32 v9, 0x4f800000, v1
	v_cmp_gt_f32_e32 vcc, s15, v1
	s_nop 1
	v_cndmask_b32_e32 v1, v1, v9, vcc
	v_sqrt_f32_e32 v9, v1
	v_cmp_class_f32_e64 s[4:5], v1, v7
	v_add_u32_e32 v11, -1, v9
	v_add_u32_e32 v13, 1, v9
	v_fma_f32 v14, -v11, v9, v1
	v_fma_f32 v15, -v13, v9, v1
	v_cmp_ge_f32_e64 s[2:3], 0, v14
	s_nop 1
	v_cndmask_b32_e64 v9, v9, v11, s[2:3]
	v_cmp_lt_f32_e64 s[2:3], 0, v15
	s_nop 1
	v_cndmask_b32_e64 v9, v9, v13, s[2:3]
	v_mul_f32_e32 v11, 0x37800000, v9
	v_cndmask_b32_e32 v9, v9, v11, vcc
	v_cndmask_b32_e64 v11, 0, 1, s[6:7]
	v_cmp_ne_u32_e64 s[2:3], 1, v11
	s_andn2_b64 vcc, exec, s[6:7]
	v_cndmask_b32_e64 v1, v9, v1, s[4:5]
	s_cbranch_vccnz .LBB53_8
; %bb.7:
	global_load_dword v7, v12, s[10:11] offset:256
	s_waitcnt vmcnt(0)
	v_add_f32_e32 v1, v1, v7
.LBB53_8:
	s_waitcnt vmcnt(4)
	v_mul_f32_e32 v7, 0x3fb8aa3b, v2
	v_exp_f32_e32 v7, v7
	s_mov_b32 s14, 0x800000
	v_mov_b32_e32 v9, 0x4f800000
	s_mov_b32 s7, 0x3f317217
	v_add_f32_e32 v7, 1.0, v7
	v_cmp_gt_f32_e32 vcc, s14, v7
	s_mov_b32 s12, 0x7f800000
	s_mov_b32 s6, 0x41a00000
	v_cndmask_b32_e32 v11, 1.0, v9, vcc
	v_mul_f32_e32 v7, v7, v11
	v_log_f32_e32 v7, v7
	s_mov_b32 s13, 0xf800000
	v_mul_f32_e32 v11, 0x3f317217, v7
	v_fma_f32 v11, v7, s7, -v11
	v_fmac_f32_e32 v11, 0x3377d1cf, v7
	v_fmac_f32_e32 v11, 0x3f317217, v7
	v_cmp_lt_f32_e64 s[4:5], |v7|, s12
	s_nop 1
	v_cndmask_b32_e64 v7, v7, v11, s[4:5]
	v_mov_b32_e32 v11, 0x41b17218
	v_cndmask_b32_e32 v13, 0, v11, vcc
	v_sub_f32_e32 v7, v7, v13
	v_cmp_lt_f32_e32 vcc, s6, v2
	s_nop 1
	v_cndmask_b32_e32 v2, v7, v2, vcc
	v_mul_f32_e32 v7, 0x4f800000, v2
	v_cmp_gt_f32_e32 vcc, s13, v2
	s_nop 1
	v_cndmask_b32_e32 v2, v2, v7, vcc
	v_sqrt_f32_e32 v7, v2
	s_nop 0
	v_add_u32_e32 v13, -1, v7
	v_fma_f32 v14, -v13, v7, v2
	v_cmp_ge_f32_e64 s[4:5], 0, v14
	v_add_u32_e32 v14, 1, v7
	s_nop 0
	v_cndmask_b32_e64 v13, v7, v13, s[4:5]
	v_fma_f32 v7, -v14, v7, v2
	v_cmp_lt_f32_e64 s[4:5], 0, v7
	s_nop 1
	v_cndmask_b32_e64 v7, v13, v14, s[4:5]
	v_mul_f32_e32 v13, 0x37800000, v7
	v_cndmask_b32_e32 v13, v7, v13, vcc
	v_mov_b32_e32 v7, 0x260
	v_cmp_class_f32_e64 s[4:5], v2, v7
	s_and_b64 vcc, exec, s[2:3]
	s_nop 0
	v_cndmask_b32_e64 v2, v13, v2, s[4:5]
	s_cbranch_vccnz .LBB53_10
; %bb.9:
	global_load_dword v13, v12, s[10:11] offset:512
	s_waitcnt vmcnt(0)
	v_add_f32_e32 v2, v2, v13
.LBB53_10:
	s_waitcnt vmcnt(3)
	v_mul_f32_e32 v13, 0x3fb8aa3b, v3
	v_exp_f32_e32 v13, v13
	s_nop 0
	v_add_f32_e32 v13, 1.0, v13
	v_cmp_gt_f32_e32 vcc, s14, v13
	s_nop 1
	v_cndmask_b32_e32 v9, 1.0, v9, vcc
	v_mul_f32_e32 v9, v13, v9
	v_log_f32_e32 v9, v9
	v_cndmask_b32_e32 v11, 0, v11, vcc
	v_mul_f32_e32 v13, 0x3f317217, v9
	v_fma_f32 v13, v9, s7, -v13
	v_fmac_f32_e32 v13, 0x3377d1cf, v9
	v_fmac_f32_e32 v13, 0x3f317217, v9
	v_cmp_lt_f32_e64 vcc, |v9|, s12
	s_nop 1
	v_cndmask_b32_e32 v9, v9, v13, vcc
	v_sub_f32_e32 v9, v9, v11
	v_cmp_lt_f32_e32 vcc, s6, v3
	s_nop 1
	v_cndmask_b32_e32 v3, v9, v3, vcc
	v_mul_f32_e32 v9, 0x4f800000, v3
	v_cmp_gt_f32_e32 vcc, s13, v3
	s_nop 1
	v_cndmask_b32_e32 v3, v3, v9, vcc
	v_sqrt_f32_e32 v9, v3
	s_nop 0
	v_add_u32_e32 v11, -1, v9
	v_add_u32_e32 v13, 1, v9
	v_fma_f32 v14, -v11, v9, v3
	v_fma_f32 v15, -v13, v9, v3
	v_cmp_ge_f32_e64 s[4:5], 0, v14
	s_nop 1
	v_cndmask_b32_e64 v9, v9, v11, s[4:5]
	v_cmp_lt_f32_e64 s[4:5], 0, v15
	s_nop 1
	v_cndmask_b32_e64 v9, v9, v13, s[4:5]
	v_mul_f32_e32 v11, 0x37800000, v9
	v_cndmask_b32_e32 v9, v9, v11, vcc
	v_cmp_class_f32_e64 s[4:5], v3, v7
	s_and_b64 vcc, exec, s[2:3]
	s_nop 0
	v_cndmask_b32_e64 v3, v9, v3, s[4:5]
	s_cbranch_vccnz .LBB53_12
; %bb.11:
	global_load_dword v7, v12, s[10:11] offset:768
	s_waitcnt vmcnt(0)
	v_add_f32_e32 v3, v3, v7
.LBB53_12:
	s_waitcnt vmcnt(2)
	v_mul_f32_e32 v7, 0x3fb8aa3b, v4
	v_exp_f32_e32 v7, v7
	v_mov_b32_e32 v9, 0x4f800000
	v_add_f32_e32 v7, 1.0, v7
	v_cmp_gt_f32_e32 vcc, s14, v7
	s_nop 1
	v_cndmask_b32_e32 v11, 1.0, v9, vcc
	v_mul_f32_e32 v7, v7, v11
	v_log_f32_e32 v7, v7
	s_nop 0
	v_mul_f32_e32 v11, 0x3f317217, v7
	v_fma_f32 v11, v7, s7, -v11
	v_fmac_f32_e32 v11, 0x3377d1cf, v7
	v_fmac_f32_e32 v11, 0x3f317217, v7
	v_cmp_lt_f32_e64 s[4:5], |v7|, s12
	s_nop 1
	v_cndmask_b32_e64 v7, v7, v11, s[4:5]
	v_mov_b32_e32 v11, 0x41b17218
	v_cndmask_b32_e32 v13, 0, v11, vcc
	v_sub_f32_e32 v7, v7, v13
	v_cmp_lt_f32_e32 vcc, s6, v4
	s_nop 1
	v_cndmask_b32_e32 v4, v7, v4, vcc
	v_mul_f32_e32 v7, 0x4f800000, v4
	v_cmp_gt_f32_e32 vcc, s13, v4
	s_nop 1
	v_cndmask_b32_e32 v4, v4, v7, vcc
	v_sqrt_f32_e32 v7, v4
	s_nop 0
	v_add_u32_e32 v13, -1, v7
	v_fma_f32 v14, -v13, v7, v4
	v_cmp_ge_f32_e64 s[4:5], 0, v14
	v_add_u32_e32 v14, 1, v7
	s_nop 0
	v_cndmask_b32_e64 v13, v7, v13, s[4:5]
	v_fma_f32 v7, -v14, v7, v4
	v_cmp_lt_f32_e64 s[4:5], 0, v7
	s_nop 1
	v_cndmask_b32_e64 v7, v13, v14, s[4:5]
	v_mul_f32_e32 v13, 0x37800000, v7
	v_cndmask_b32_e32 v13, v7, v13, vcc
	v_mov_b32_e32 v7, 0x260
	v_cmp_class_f32_e64 s[4:5], v4, v7
	s_and_b64 vcc, exec, s[2:3]
	s_nop 0
	v_cndmask_b32_e64 v4, v13, v4, s[4:5]
	s_cbranch_vccnz .LBB53_14
; %bb.13:
	global_load_dword v13, v12, s[10:11] offset:1024
	s_waitcnt vmcnt(0)
	v_add_f32_e32 v4, v4, v13
.LBB53_14:
	s_waitcnt vmcnt(1)
	v_mul_f32_e32 v13, 0x3fb8aa3b, v5
	v_exp_f32_e32 v13, v13
	s_nop 0
	v_add_f32_e32 v13, 1.0, v13
	v_cmp_gt_f32_e32 vcc, s14, v13
	s_nop 1
	v_cndmask_b32_e32 v9, 1.0, v9, vcc
	v_mul_f32_e32 v9, v13, v9
	v_log_f32_e32 v9, v9
	v_cndmask_b32_e32 v11, 0, v11, vcc
	v_mul_f32_e32 v13, 0x3f317217, v9
	v_fma_f32 v13, v9, s7, -v13
	v_fmac_f32_e32 v13, 0x3377d1cf, v9
	v_fmac_f32_e32 v13, 0x3f317217, v9
	v_cmp_lt_f32_e64 vcc, |v9|, s12
	s_nop 1
	v_cndmask_b32_e32 v9, v9, v13, vcc
	v_sub_f32_e32 v9, v9, v11
	v_cmp_lt_f32_e32 vcc, s6, v5
	s_nop 1
	v_cndmask_b32_e32 v5, v9, v5, vcc
	v_mul_f32_e32 v9, 0x4f800000, v5
	v_cmp_gt_f32_e32 vcc, s13, v5
	s_nop 1
	v_cndmask_b32_e32 v5, v5, v9, vcc
	v_sqrt_f32_e32 v9, v5
	s_nop 0
	v_add_u32_e32 v11, -1, v9
	v_add_u32_e32 v13, 1, v9
	v_fma_f32 v14, -v11, v9, v5
	v_fma_f32 v15, -v13, v9, v5
	v_cmp_ge_f32_e64 s[4:5], 0, v14
	s_nop 1
	v_cndmask_b32_e64 v9, v9, v11, s[4:5]
	v_cmp_lt_f32_e64 s[4:5], 0, v15
	s_nop 1
	v_cndmask_b32_e64 v9, v9, v13, s[4:5]
	v_mul_f32_e32 v11, 0x37800000, v9
	v_cndmask_b32_e32 v9, v9, v11, vcc
	v_cmp_class_f32_e64 s[4:5], v5, v7
	s_and_b64 vcc, exec, s[2:3]
	s_nop 0
	v_cndmask_b32_e64 v5, v9, v5, s[4:5]
	s_cbranch_vccnz .LBB53_16
; %bb.15:
	global_load_dword v7, v12, s[10:11] offset:1280
	s_waitcnt vmcnt(0)
	v_add_f32_e32 v5, v5, v7
.LBB53_16:
	s_waitcnt vmcnt(0)
	v_mul_f32_e32 v7, 0x3fb8aa3b, v6
	v_exp_f32_e32 v7, v7
	s_mov_b32 s4, 0x800000
	v_mov_b32_e32 v9, 0x4f800000
	s_mov_b32 s5, 0x7f800000
	v_add_f32_e32 v7, 1.0, v7
	v_cmp_gt_f32_e32 vcc, s4, v7
	s_mov_b32 s4, 0x3f317217
	s_nop 0
	v_cndmask_b32_e32 v9, 1.0, v9, vcc
	v_mul_f32_e32 v7, v7, v9
	v_log_f32_e32 v7, v7
	s_nop 0
	v_mul_f32_e32 v9, 0x3f317217, v7
	v_fma_f32 v9, v7, s4, -v9
	v_fmamk_f32 v9, v7, 0x3377d1cf, v9
	v_fmac_f32_e32 v9, 0x3f317217, v7
	v_cmp_lt_f32_e64 s[4:5], |v7|, s5
	s_nop 1
	v_cndmask_b32_e64 v7, v7, v9, s[4:5]
	v_mov_b32_e32 v9, 0x41b17218
	v_cndmask_b32_e32 v9, 0, v9, vcc
	v_sub_f32_e32 v7, v7, v9
	v_cmp_lt_f32_e32 vcc, s6, v6
	s_mov_b32 s4, 0xf800000
	s_nop 0
	v_cndmask_b32_e32 v6, v7, v6, vcc
	v_mul_f32_e32 v7, 0x4f800000, v6
	v_cmp_gt_f32_e32 vcc, s4, v6
	s_nop 1
	v_cndmask_b32_e32 v6, v6, v7, vcc
	v_sqrt_f32_e32 v7, v6
	s_nop 0
	v_add_u32_e32 v9, -1, v7
	v_fma_f32 v11, -v9, v7, v6
	v_cmp_ge_f32_e64 s[4:5], 0, v11
	v_add_u32_e32 v11, 1, v7
	s_nop 0
	v_cndmask_b32_e64 v9, v7, v9, s[4:5]
	v_fma_f32 v7, -v11, v7, v6
	v_cmp_lt_f32_e64 s[4:5], 0, v7
	s_nop 1
	v_cndmask_b32_e64 v7, v9, v11, s[4:5]
	v_mul_f32_e32 v9, 0x37800000, v7
	v_cndmask_b32_e32 v7, v7, v9, vcc
	v_mov_b32_e32 v9, 0x260
	v_cmp_class_f32_e64 s[4:5], v6, v9
	s_and_b64 vcc, exec, s[2:3]
	s_nop 0
	v_cndmask_b32_e64 v6, v7, v6, s[4:5]
	s_cbranch_vccnz .LBB53_18
; %bb.17:
	global_load_dword v7, v12, s[10:11] offset:1536
	s_waitcnt vmcnt(0)
	v_add_f32_e32 v6, v6, v7
.LBB53_18:
	s_load_dwordx4 s[12:15], s[0:1], 0x30
	v_cmp_eq_u32_e64 s[6:7], 0, v10
	s_waitcnt lgkmcnt(0)
	s_bitcmp1_b32 s15, 0
	s_cselect_b64 s[4:5], -1, 0
	s_cmp_gt_i32 s12, 0
	s_cselect_b64 s[24:25], -1, 0
	s_and_b64 vcc, exec, s[24:25]
	s_cbranch_vccz .LBB53_49
; %bb.19:
	v_mbcnt_lo_u32_b32 v7, -1, 0
	v_mbcnt_hi_u32_b32 v12, -1, v7
	v_and_b32_e32 v7, 64, v12
	v_add_u32_e32 v13, 64, v7
	v_xor_b32_e32 v14, 32, v12
	v_cmp_lt_i32_e32 vcc, v14, v13
	s_load_dwordx4 s[16:19], s[0:1], 0x20
	s_mov_b32 s15, 0
	v_cndmask_b32_e32 v14, v12, v14, vcc
	v_lshlrev_b32_e32 v19, 2, v14
	v_xor_b32_e32 v14, 16, v12
	v_cmp_lt_i32_e32 vcc, v14, v13
	v_mul_lo_u32 v7, v8, s12
	v_or_b32_e32 v9, 64, v10
	v_cndmask_b32_e32 v14, v12, v14, vcc
	v_lshlrev_b32_e32 v20, 2, v14
	v_xor_b32_e32 v14, 8, v12
	v_cmp_lt_i32_e32 vcc, v14, v13
	v_or_b32_e32 v11, 0x80, v10
	v_or_b32_e32 v15, 0xc0, v10
	v_cndmask_b32_e32 v14, v12, v14, vcc
	v_lshlrev_b32_e32 v21, 2, v14
	v_xor_b32_e32 v14, 4, v12
	v_cmp_lt_i32_e32 vcc, v14, v13
	v_or_b32_e32 v16, 0x100, v10
	;; [unrolled: 6-line block ×3, first 2 shown]
	v_mov_b32_e32 v25, 0x1c0
	v_cndmask_b32_e32 v14, v12, v14, vcc
	v_lshlrev_b32_e32 v23, 2, v14
	v_xor_b32_e32 v14, 1, v12
	v_cmp_lt_i32_e32 vcc, v14, v13
	v_mov_b32_e32 v26, 0xc61c4000
	v_mov_b32_e32 v27, v8
	v_cndmask_b32_e32 v12, v12, v14, vcc
	v_lshlrev_b32_e32 v24, 2, v12
	v_mov_b32_e32 v14, 0
	s_branch .LBB53_22
.LBB53_20:                              ;   in Loop: Header=BB53_22 Depth=1
	v_add_u32_e32 v30, s15, v7
	v_cmp_le_i32_e32 vcc, s13, v12
	v_cmp_gt_i32_e64 s[0:1], s14, v12
	v_ashrrev_i32_e32 v31, 31, v30
	s_and_b64 s[0:1], vcc, s[0:1]
	v_lshlrev_b64 v[30:31], 2, v[30:31]
	v_lshl_add_u64 v[32:33], s[20:21], 0, v[30:31]
	v_subrev_u32_e32 v13, s13, v12
	s_and_b64 vcc, s[22:23], s[0:1]
	global_store_dword v[32:33], v28, off
	v_cndmask_b32_e32 v13, v25, v13, vcc
	v_lshl_add_u64 v[32:33], s[16:17], 0, v[30:31]
	global_store_dword v[32:33], v13, off
	v_add_f32_e32 v13, v14, v28
	v_lshl_add_u64 v[30:31], s[18:19], 0, v[30:31]
	v_cndmask_b32_e64 v14, v14, v13, s[4:5]
	global_store_dword v[30:31], v27, off
.LBB53_21:                              ;   in Loop: Header=BB53_22 Depth=1
	s_or_b64 exec, exec, s[26:27]
	v_ashrrev_i32_e32 v13, 31, v12
	v_lshrrev_b32_e32 v13, 26, v13
	v_add_u32_e32 v13, v12, v13
	v_ashrrev_i32_e32 v28, 6, v13
	v_and_b32_e32 v13, 0xffffffc0, v13
	v_sub_u32_e32 v12, v12, v13
	v_cmp_ne_u32_e64 s[0:1], 0, v28
	v_cmp_eq_u32_e32 vcc, v10, v12
	s_add_i32 s15, s15, 1
	v_cndmask_b32_e64 v12, v26, v0, s[0:1]
	v_cmp_ne_u32_e64 s[0:1], 1, v28
	s_cmp_lt_i32 s15, s12
	s_cselect_b64 s[26:27], -1, 0
	v_cndmask_b32_e64 v13, v26, v1, s[0:1]
	v_cmp_ne_u32_e64 s[0:1], 2, v28
	s_and_b64 vcc, s[26:27], vcc
	v_cndmask_b32_e32 v1, v1, v13, vcc
	s_waitcnt lgkmcnt(0)
	v_cndmask_b32_e64 v29, v26, v2, s[0:1]
	v_cmp_ne_u32_e64 s[0:1], 3, v28
	v_cndmask_b32_e32 v2, v2, v29, vcc
	v_cndmask_b32_e32 v0, v0, v12, vcc
	v_cndmask_b32_e64 v30, v26, v3, s[0:1]
	v_cmp_ne_u32_e64 s[0:1], 4, v28
	v_cndmask_b32_e32 v3, v3, v30, vcc
	s_cmp_eq_u32 s12, s15
	v_cndmask_b32_e64 v31, v26, v4, s[0:1]
	v_cmp_ne_u32_e64 s[0:1], 5, v28
	v_cndmask_b32_e32 v4, v4, v31, vcc
	v_add_u32_e32 v27, s30, v27
	v_cndmask_b32_e64 v32, v26, v5, s[0:1]
	v_cmp_ne_u32_e64 s[0:1], 6, v28
	v_cndmask_b32_e32 v5, v5, v32, vcc
	s_nop 0
	v_cndmask_b32_e64 v28, v26, v6, s[0:1]
	v_cndmask_b32_e32 v6, v6, v28, vcc
	s_cbranch_scc1 .LBB53_50
.LBB53_22:                              ; =>This Inner Loop Header: Depth=1
	v_cmp_gt_f32_e32 vcc, v1, v0
	s_nop 1
	v_cndmask_b32_e32 v13, v0, v1, vcc
	v_cndmask_b32_e32 v12, v10, v9, vcc
	v_cmp_gt_f32_e32 vcc, v2, v13
	s_nop 1
	v_cndmask_b32_e32 v13, v13, v2, vcc
	v_cndmask_b32_e32 v12, v12, v11, vcc
	;; [unrolled: 4-line block ×6, first 2 shown]
	ds_bpermute_b32 v13, v19, v28
	ds_bpermute_b32 v29, v19, v12
	s_waitcnt lgkmcnt(0)
	v_cmp_lt_f32_e64 s[26:27], v28, v13
	v_cmp_nlt_f32_e32 vcc, v28, v13
	s_and_saveexec_b64 s[28:29], vcc
; %bb.23:                               ;   in Loop: Header=BB53_22 Depth=1
	v_cmp_eq_f32_e32 vcc, v28, v13
	v_cmp_lt_i32_e64 s[0:1], v29, v12
	s_and_b64 s[0:1], vcc, s[0:1]
	s_andn2_b64 s[26:27], s[26:27], exec
	s_and_b64 s[0:1], s[0:1], exec
	s_or_b64 s[26:27], s[26:27], s[0:1]
; %bb.24:                               ;   in Loop: Header=BB53_22 Depth=1
	s_or_b64 exec, exec, s[28:29]
	s_and_saveexec_b64 s[0:1], s[26:27]
; %bb.25:                               ;   in Loop: Header=BB53_22 Depth=1
	v_mov_b32_e32 v28, v13
	v_mov_b32_e32 v12, v29
; %bb.26:                               ;   in Loop: Header=BB53_22 Depth=1
	s_or_b64 exec, exec, s[0:1]
	ds_bpermute_b32 v13, v20, v28
	ds_bpermute_b32 v29, v20, v12
	s_waitcnt lgkmcnt(1)
	v_cmp_lt_f32_e64 s[26:27], v28, v13
	v_cmp_nlt_f32_e32 vcc, v28, v13
	s_and_saveexec_b64 s[28:29], vcc
	s_cbranch_execz .LBB53_28
; %bb.27:                               ;   in Loop: Header=BB53_22 Depth=1
	v_cmp_eq_f32_e32 vcc, v28, v13
	s_waitcnt lgkmcnt(0)
	v_cmp_lt_i32_e64 s[0:1], v29, v12
	s_and_b64 s[0:1], vcc, s[0:1]
	s_andn2_b64 s[26:27], s[26:27], exec
	s_and_b64 s[0:1], s[0:1], exec
	s_or_b64 s[26:27], s[26:27], s[0:1]
.LBB53_28:                              ;   in Loop: Header=BB53_22 Depth=1
	s_or_b64 exec, exec, s[28:29]
	s_and_saveexec_b64 s[0:1], s[26:27]
	s_cbranch_execz .LBB53_30
; %bb.29:                               ;   in Loop: Header=BB53_22 Depth=1
	v_mov_b32_e32 v28, v13
	s_waitcnt lgkmcnt(0)
	v_mov_b32_e32 v12, v29
.LBB53_30:                              ;   in Loop: Header=BB53_22 Depth=1
	s_or_b64 exec, exec, s[0:1]
	ds_bpermute_b32 v13, v21, v28
	s_waitcnt lgkmcnt(1)
	ds_bpermute_b32 v29, v21, v12
	s_waitcnt lgkmcnt(1)
	v_cmp_lt_f32_e64 s[26:27], v28, v13
	v_cmp_nlt_f32_e32 vcc, v28, v13
	s_and_saveexec_b64 s[28:29], vcc
	s_cbranch_execz .LBB53_32
; %bb.31:                               ;   in Loop: Header=BB53_22 Depth=1
	v_cmp_eq_f32_e32 vcc, v28, v13
	s_waitcnt lgkmcnt(0)
	v_cmp_lt_i32_e64 s[0:1], v29, v12
	s_and_b64 s[0:1], vcc, s[0:1]
	s_andn2_b64 s[26:27], s[26:27], exec
	s_and_b64 s[0:1], s[0:1], exec
	s_or_b64 s[26:27], s[26:27], s[0:1]
.LBB53_32:                              ;   in Loop: Header=BB53_22 Depth=1
	s_or_b64 exec, exec, s[28:29]
	s_and_saveexec_b64 s[0:1], s[26:27]
	s_cbranch_execz .LBB53_34
; %bb.33:                               ;   in Loop: Header=BB53_22 Depth=1
	v_mov_b32_e32 v28, v13
	s_waitcnt lgkmcnt(0)
	v_mov_b32_e32 v12, v29
.LBB53_34:                              ;   in Loop: Header=BB53_22 Depth=1
	s_or_b64 exec, exec, s[0:1]
	ds_bpermute_b32 v13, v22, v28
	s_waitcnt lgkmcnt(1)
	;; [unrolled: 26-line block ×4, first 2 shown]
	ds_bpermute_b32 v29, v24, v12
	s_waitcnt lgkmcnt(1)
	v_cmp_lt_f32_e64 s[26:27], v28, v13
	v_cmp_nlt_f32_e32 vcc, v28, v13
	s_and_saveexec_b64 s[28:29], vcc
	s_cbranch_execnz .LBB53_45
; %bb.43:                               ;   in Loop: Header=BB53_22 Depth=1
	s_or_b64 exec, exec, s[28:29]
	s_and_saveexec_b64 s[0:1], s[26:27]
	s_cbranch_execnz .LBB53_46
.LBB53_44:                              ;   in Loop: Header=BB53_22 Depth=1
	s_or_b64 exec, exec, s[0:1]
	s_and_saveexec_b64 s[26:27], s[6:7]
	s_cbranch_execz .LBB53_21
	s_branch .LBB53_47
.LBB53_45:                              ;   in Loop: Header=BB53_22 Depth=1
	v_cmp_eq_f32_e32 vcc, v28, v13
	s_waitcnt lgkmcnt(0)
	v_cmp_lt_i32_e64 s[0:1], v29, v12
	s_and_b64 s[0:1], vcc, s[0:1]
	s_andn2_b64 s[26:27], s[26:27], exec
	s_and_b64 s[0:1], s[0:1], exec
	s_or_b64 s[26:27], s[26:27], s[0:1]
	s_or_b64 exec, exec, s[28:29]
	s_and_saveexec_b64 s[0:1], s[26:27]
	s_cbranch_execz .LBB53_44
.LBB53_46:                              ;   in Loop: Header=BB53_22 Depth=1
	s_waitcnt lgkmcnt(0)
	v_mov_b32_e32 v12, v29
	v_mov_b32_e32 v28, v13
	s_or_b64 exec, exec, s[0:1]
	s_and_saveexec_b64 s[26:27], s[6:7]
	s_cbranch_execz .LBB53_21
.LBB53_47:                              ;   in Loop: Header=BB53_22 Depth=1
	s_and_b64 vcc, exec, s[2:3]
	s_cbranch_vccnz .LBB53_20
; %bb.48:                               ;   in Loop: Header=BB53_22 Depth=1
	v_ashrrev_i32_e32 v13, 31, v12
	v_lshl_add_u64 v[30:31], v[12:13], 2, s[10:11]
	global_load_dword v13, v[30:31], off
	s_waitcnt vmcnt(0)
	v_sub_f32_e32 v28, v28, v13
	s_branch .LBB53_20
.LBB53_49:
	v_mov_b32_e32 v14, 0
.LBB53_50:
	v_cmp_eq_u32_e32 vcc, 0, v10
	s_and_b64 exec, exec, vcc
	s_cbranch_execz .LBB53_63
; %bb.51:
	s_andn2_b64 vcc, exec, s[4:5]
	v_cvt_f32_f64_e32 v0, s[8:9]
	s_cbranch_vccnz .LBB53_53
; %bb.52:
	v_cmp_lt_f32_e32 vcc, 0, v14
	s_nop 1
	v_cndmask_b32_e32 v1, 1.0, v14, vcc
	v_div_scale_f32 v2, s[0:1], v1, v1, v0
	v_rcp_f32_e32 v3, v2
	s_nop 0
	v_fma_f32 v4, -v2, v3, 1.0
	v_fmac_f32_e32 v3, v4, v3
	v_div_scale_f32 v4, vcc, v0, v1, v0
	v_mul_f32_e32 v5, v4, v3
	v_fma_f32 v6, -v2, v5, v4
	v_fmac_f32_e32 v5, v6, v3
	v_fma_f32 v2, -v2, v5, v4
	v_div_fmas_f32 v2, v2, v3, v5
	v_div_fixup_f32 v0, v2, v1, v0
.LBB53_53:
	s_andn2_b64 vcc, exec, s[24:25]
	s_cbranch_vccnz .LBB53_63
; %bb.54:
	v_mul_lo_u32 v2, v8, s12
	s_cmp_gt_u32 s12, 3
	v_ashrrev_i32_e32 v3, 31, v2
	s_cbranch_scc0 .LBB53_58
; %bb.55:
	s_and_b32 s0, s12, 0x7ffffffc
	v_lshl_add_u64 v[4:5], v[2:3], 2, s[20:21]
	v_mov_b32_e32 v1, v0
	v_lshl_add_u64 v[4:5], v[4:5], 0, 8
	s_mov_b32 s1, s0
.LBB53_56:                              ; =>This Inner Loop Header: Depth=1
	global_load_dwordx4 v[6:9], v[4:5], off offset:-8
	s_add_i32 s1, s1, -4
	s_cmp_lg_u32 s1, 0
	s_waitcnt vmcnt(0)
	v_pk_mul_f32 v[6:7], v[0:1], v[6:7]
	v_pk_mul_f32 v[8:9], v[0:1], v[8:9]
	global_store_dwordx4 v[4:5], v[6:9], off offset:-8
	v_lshl_add_u64 v[4:5], v[4:5], 0, 16
	s_cbranch_scc1 .LBB53_56
; %bb.57:
	s_cmp_lg_u32 s0, s12
	s_cselect_b64 s[2:3], -1, 0
	s_branch .LBB53_60
.LBB53_58:
	s_mov_b64 s[2:3], 0
                                        ; implicit-def: $sgpr0
	s_cbranch_execz .LBB53_60
; %bb.59:
	s_mov_b64 s[2:3], -1
	s_mov_b32 s0, 0
.LBB53_60:
	s_andn2_b64 vcc, exec, s[2:3]
	s_cbranch_vccnz .LBB53_63
; %bb.61:
	s_mov_b32 s1, 0
	v_lshl_add_u64 v[2:3], v[2:3], 0, s[0:1]
	s_sub_i32 s2, s12, s0
	v_lshl_add_u64 v[2:3], v[2:3], 2, s[20:21]
.LBB53_62:                              ; =>This Inner Loop Header: Depth=1
	global_load_dword v1, v[2:3], off
	s_add_i32 s2, s2, -1
	s_cmp_lg_u32 s2, 0
	s_waitcnt vmcnt(0)
	v_mul_f32_e32 v1, v0, v1
	global_store_dword v[2:3], v1, off
	v_lshl_add_u64 v[2:3], v[2:3], 0, 4
	s_cbranch_scc1 .LBB53_62
.LBB53_63:
	s_endpgm
	.section	.rodata,"a",@progbits
	.p2align	6, 0x0
	.amdhsa_kernel _ZN4vllm3moe22topkGatingSoftplusSqrtILi7ELi448ELi4ELi4ELi64ELb0EifEEvPKT6_PKbPfiPT5_PiiiibdPKfPKS8_SE_
		.amdhsa_group_segment_fixed_size 0
		.amdhsa_private_segment_fixed_size 0
		.amdhsa_kernarg_size 96
		.amdhsa_user_sgpr_count 2
		.amdhsa_user_sgpr_dispatch_ptr 0
		.amdhsa_user_sgpr_queue_ptr 0
		.amdhsa_user_sgpr_kernarg_segment_ptr 1
		.amdhsa_user_sgpr_dispatch_id 0
		.amdhsa_user_sgpr_kernarg_preload_length 0
		.amdhsa_user_sgpr_kernarg_preload_offset 0
		.amdhsa_user_sgpr_private_segment_size 0
		.amdhsa_uses_dynamic_stack 0
		.amdhsa_enable_private_segment 0
		.amdhsa_system_sgpr_workgroup_id_x 1
		.amdhsa_system_sgpr_workgroup_id_y 0
		.amdhsa_system_sgpr_workgroup_id_z 0
		.amdhsa_system_sgpr_workgroup_info 0
		.amdhsa_system_vgpr_workitem_id 1
		.amdhsa_next_free_vgpr 34
		.amdhsa_next_free_sgpr 31
		.amdhsa_accum_offset 36
		.amdhsa_reserve_vcc 1
		.amdhsa_float_round_mode_32 0
		.amdhsa_float_round_mode_16_64 0
		.amdhsa_float_denorm_mode_32 3
		.amdhsa_float_denorm_mode_16_64 3
		.amdhsa_dx10_clamp 1
		.amdhsa_ieee_mode 1
		.amdhsa_fp16_overflow 0
		.amdhsa_tg_split 0
		.amdhsa_exception_fp_ieee_invalid_op 0
		.amdhsa_exception_fp_denorm_src 0
		.amdhsa_exception_fp_ieee_div_zero 0
		.amdhsa_exception_fp_ieee_overflow 0
		.amdhsa_exception_fp_ieee_underflow 0
		.amdhsa_exception_fp_ieee_inexact 0
		.amdhsa_exception_int_div_zero 0
	.end_amdhsa_kernel
	.section	.text._ZN4vllm3moe22topkGatingSoftplusSqrtILi7ELi448ELi4ELi4ELi64ELb0EifEEvPKT6_PKbPfiPT5_PiiiibdPKfPKS8_SE_,"axG",@progbits,_ZN4vllm3moe22topkGatingSoftplusSqrtILi7ELi448ELi4ELi4ELi64ELb0EifEEvPKT6_PKbPfiPT5_PiiiibdPKfPKS8_SE_,comdat
.Lfunc_end53:
	.size	_ZN4vllm3moe22topkGatingSoftplusSqrtILi7ELi448ELi4ELi4ELi64ELb0EifEEvPKT6_PKbPfiPT5_PiiiibdPKfPKS8_SE_, .Lfunc_end53-_ZN4vllm3moe22topkGatingSoftplusSqrtILi7ELi448ELi4ELi4ELi64ELb0EifEEvPKT6_PKbPfiPT5_PiiiibdPKfPKS8_SE_
                                        ; -- End function
	.section	.AMDGPU.csdata,"",@progbits
; Kernel info:
; codeLenInByte = 3980
; NumSgprs: 37
; NumVgprs: 34
; NumAgprs: 0
; TotalNumVgprs: 34
; ScratchSize: 0
; MemoryBound: 0
; FloatMode: 240
; IeeeMode: 1
; LDSByteSize: 0 bytes/workgroup (compile time only)
; SGPRBlocks: 4
; VGPRBlocks: 4
; NumSGPRsForWavesPerEU: 37
; NumVGPRsForWavesPerEU: 34
; AccumOffset: 36
; Occupancy: 8
; WaveLimiterHint : 1
; COMPUTE_PGM_RSRC2:SCRATCH_EN: 0
; COMPUTE_PGM_RSRC2:USER_SGPR: 2
; COMPUTE_PGM_RSRC2:TRAP_HANDLER: 0
; COMPUTE_PGM_RSRC2:TGID_X_EN: 1
; COMPUTE_PGM_RSRC2:TGID_Y_EN: 0
; COMPUTE_PGM_RSRC2:TGID_Z_EN: 0
; COMPUTE_PGM_RSRC2:TIDIG_COMP_CNT: 1
; COMPUTE_PGM_RSRC3_GFX90A:ACCUM_OFFSET: 8
; COMPUTE_PGM_RSRC3_GFX90A:TG_SPLIT: 0
	.section	.text._ZN4vllm3moe22topkGatingSoftplusSqrtILi14ELi448ELi4ELi4ELi32ELb1EifEEvPKT6_PKbPfiPT5_PiiiibdPKfPKS8_SE_,"axG",@progbits,_ZN4vllm3moe22topkGatingSoftplusSqrtILi14ELi448ELi4ELi4ELi32ELb1EifEEvPKT6_PKbPfiPT5_PiiiibdPKfPKS8_SE_,comdat
	.protected	_ZN4vllm3moe22topkGatingSoftplusSqrtILi14ELi448ELi4ELi4ELi32ELb1EifEEvPKT6_PKbPfiPT5_PiiiibdPKfPKS8_SE_ ; -- Begin function _ZN4vllm3moe22topkGatingSoftplusSqrtILi14ELi448ELi4ELi4ELi32ELb1EifEEvPKT6_PKbPfiPT5_PiiiibdPKfPKS8_SE_
	.globl	_ZN4vllm3moe22topkGatingSoftplusSqrtILi14ELi448ELi4ELi4ELi32ELb1EifEEvPKT6_PKbPfiPT5_PiiiibdPKfPKS8_SE_
	.p2align	8
	.type	_ZN4vllm3moe22topkGatingSoftplusSqrtILi14ELi448ELi4ELi4ELi32ELb1EifEEvPKT6_PKbPfiPT5_PiiiibdPKfPKS8_SE_,@function
_ZN4vllm3moe22topkGatingSoftplusSqrtILi14ELi448ELi4ELi4ELi32ELb1EifEEvPKT6_PKbPfiPT5_PiiiibdPKfPKS8_SE_: ; @_ZN4vllm3moe22topkGatingSoftplusSqrtILi14ELi448ELi4ELi4ELi32ELb1EifEEvPKT6_PKbPfiPT5_PiiiibdPKfPKS8_SE_
; %bb.0:
	s_load_dword s3, s[0:1], 0x18
	v_and_b32_e32 v1, 0x3ff, v0
	s_lshl_b32 s2, s2, 2
	v_lshrrev_b32_e32 v2, 5, v1
	v_bfe_u32 v0, v0, 10, 10
	v_add3_u32 v18, s2, v0, v2
	s_waitcnt lgkmcnt(0)
	v_cmp_gt_i32_e32 vcc, s3, v18
	s_and_saveexec_b64 s[2:3], vcc
	s_cbranch_execz .LBB54_63
; %bb.1:
	s_load_dwordx2 s[2:3], s[0:1], 0x0
	s_load_dword s33, s[0:1], 0x30
	s_load_dwordx4 s[4:7], s[0:1], 0x50
	s_movk_i32 s8, 0x1c0
	v_mul_lo_u32 v2, v18, s8
	v_ashrrev_i32_e32 v3, 31, v2
	v_and_b32_e32 v24, 31, v1
	s_waitcnt lgkmcnt(0)
	v_lshl_add_u64 v[2:3], v[2:3], 2, s[2:3]
	v_lshlrev_b32_e32 v14, 2, v24
	v_mov_b32_e32 v15, 0
	v_lshl_add_u64 v[0:1], v[2:3], 0, v[14:15]
	global_load_dword v4, v[0:1], off
	global_load_dword v5, v[0:1], off offset:128
	global_load_dword v6, v[0:1], off offset:256
	;; [unrolled: 1-line block ×3, first 2 shown]
	v_mov_b32_e32 v2, s4
	v_mov_b32_e32 v3, s5
	v_ashrrev_i32_e32 v19, 31, v18
	v_lshl_add_u64 v[2:3], v[18:19], 2, v[2:3]
	global_load_dword v8, v[2:3], off
	global_load_dword v9, v[0:1], off offset:512
	global_load_dword v10, v[0:1], off offset:640
	;; [unrolled: 1-line block ×10, first 2 shown]
	s_mov_b32 s13, 0x800000
	v_mov_b32_e32 v13, 0x4f800000
	s_mov_b32 s11, 0x3f317217
	s_mov_b32 s12, 0x7f800000
	v_mov_b32_e32 v14, 0x41b17218
	s_mov_b32 s9, 0x41a00000
	s_mov_b32 s10, 0xf800000
	v_mov_b32_e32 v16, s6
	v_mov_b32_e32 v17, s7
	;; [unrolled: 1-line block ×3, first 2 shown]
	s_cmp_gt_i32 s33, 0
	s_mov_b32 s8, 0
	s_waitcnt vmcnt(14)
	v_mul_f32_e32 v0, 0x3fb8aa3b, v4
	s_waitcnt vmcnt(13)
	v_mul_f32_e32 v1, 0x3fb8aa3b, v5
	v_exp_f32_e32 v0, v0
	v_exp_f32_e32 v1, v1
	s_waitcnt vmcnt(12)
	v_mul_f32_e32 v2, 0x3fb8aa3b, v6
	s_waitcnt vmcnt(11)
	v_mul_f32_e32 v3, 0x3fb8aa3b, v7
	v_exp_f32_e32 v2, v2
	v_pk_add_f32 v[0:1], v[0:1], 1.0 op_sel_hi:[1,0]
	v_exp_f32_e32 v3, v3
	v_cmp_gt_f32_e32 vcc, s13, v1
	s_waitcnt vmcnt(10)
	v_mul_lo_u32 v20, v8, s33
	v_cmp_gt_f32_e64 s[2:3], s13, v0
	v_cndmask_b32_e32 v8, 1.0, v13, vcc
	v_mul_f32_e32 v1, v1, v8
	v_cndmask_b32_e64 v29, 1.0, v13, s[2:3]
	v_mul_f32_e32 v0, v0, v29
	v_log_f32_e32 v1, v1
	v_pk_add_f32 v[2:3], v[2:3], 1.0 op_sel_hi:[1,0]
	v_log_f32_e32 v0, v0
	v_cmp_gt_f32_e64 s[4:5], s13, v3
	v_cndmask_b32_e32 v8, 0, v14, vcc
	v_cmp_lt_f32_e64 vcc, |v1|, s12
	v_cndmask_b32_e64 v30, 1.0, v13, s[4:5]
	v_mul_f32_e32 v3, v3, v30
	v_mul_f32_e32 v30, 0x3f317217, v1
	;; [unrolled: 1-line block ×3, first 2 shown]
	v_fma_f32 v30, v1, s11, -v30
	v_fma_f32 v31, v0, s11, -v31
	v_fmac_f32_e32 v30, 0x3377d1cf, v1
	v_fmac_f32_e32 v31, 0x3377d1cf, v0
	;; [unrolled: 1-line block ×4, first 2 shown]
	v_cndmask_b32_e32 v1, v1, v30, vcc
	v_cmp_lt_f32_e64 vcc, |v0|, s12
	v_cndmask_b32_e64 v29, 0, v14, s[2:3]
	v_sub_f32_e32 v1, v1, v8
	v_cndmask_b32_e32 v0, v0, v31, vcc
	v_sub_f32_e32 v0, v0, v29
	v_cmp_lt_f32_e32 vcc, s9, v4
	v_log_f32_e32 v3, v3
	v_ashrrev_i32_e32 v21, 31, v20
	v_cndmask_b32_e32 v0, v0, v4, vcc
	v_cmp_lt_f32_e32 vcc, s9, v5
	v_cmp_gt_f32_e64 s[2:3], s10, v0
	v_mul_f32_e32 v32, 0x3f317217, v3
	v_cndmask_b32_e32 v1, v1, v5, vcc
	v_mul_f32_e32 v4, 0x4f800000, v1
	v_cmp_gt_f32_e32 vcc, s10, v1
	v_mul_f32_e32 v5, 0x4f800000, v0
	v_cndmask_b32_e64 v0, v0, v5, s[2:3]
	v_cndmask_b32_e32 v1, v1, v4, vcc
	v_sqrt_f32_e32 v4, v1
	v_sqrt_f32_e32 v5, v0
	v_fma_f32 v8, v3, s11, -v32
	v_fmac_f32_e32 v8, 0x3377d1cf, v3
	v_add_u32_e32 v29, -1, v4
	v_add_u32_e32 v31, -1, v5
	v_fma_f32 v33, -v29, v4, v1
	v_add_u32_e32 v30, 1, v4
	v_fma_f32 v35, -v31, v5, v0
	v_cmp_ge_f32_e64 s[6:7], 0, v33
	v_add_u32_e32 v32, 1, v5
	v_fma_f32 v34, -v30, v4, v1
	v_cndmask_b32_e64 v4, v4, v29, s[6:7]
	v_cmp_ge_f32_e64 s[6:7], 0, v35
	v_fma_f32 v36, -v32, v5, v0
	v_fmac_f32_e32 v8, 0x3f317217, v3
	v_cndmask_b32_e64 v5, v5, v31, s[6:7]
	v_cmp_lt_f32_e64 s[6:7], 0, v34
	v_lshl_add_u64 v[16:17], v[20:21], 2, v[16:17]
	s_nop 0
	v_cndmask_b32_e64 v4, v4, v30, s[6:7]
	v_cmp_lt_f32_e64 s[6:7], 0, v36
	v_mul_f32_e32 v29, 0x37800000, v4
	v_cndmask_b32_e32 v4, v4, v29, vcc
	v_cndmask_b32_e64 v5, v5, v32, s[6:7]
	v_mul_f32_e32 v30, 0x37800000, v5
	v_cmp_class_f32_e32 vcc, v1, v12
	v_cndmask_b32_e64 v5, v5, v30, s[2:3]
	v_cmp_lt_f32_e64 s[2:3], |v3|, s12
	v_cndmask_b32_e32 v1, v4, v1, vcc
	v_cmp_class_f32_e32 vcc, v0, v12
	v_cndmask_b32_e64 v3, v3, v8, s[2:3]
	s_nop 0
	v_cndmask_b32_e32 v0, v5, v0, vcc
	v_cmp_gt_f32_e32 vcc, s13, v2
	s_nop 1
	v_cndmask_b32_e32 v4, 1.0, v13, vcc
	v_mul_f32_e32 v2, v2, v4
	v_log_f32_e32 v2, v2
	v_cndmask_b32_e64 v4, 0, v14, s[4:5]
	v_sub_f32_e32 v3, v3, v4
	v_mul_f32_e32 v4, 0x3f317217, v2
	v_fma_f32 v4, v2, s11, -v4
	v_fmac_f32_e32 v4, 0x3377d1cf, v2
	v_fmac_f32_e32 v4, 0x3f317217, v2
	v_cmp_lt_f32_e64 s[2:3], |v2|, s12
	s_nop 1
	v_cndmask_b32_e64 v2, v2, v4, s[2:3]
	v_cndmask_b32_e32 v4, 0, v14, vcc
	v_cmp_lt_f32_e32 vcc, s9, v7
	v_sub_f32_e32 v2, v2, v4
	v_cmp_lt_f32_e64 s[2:3], s9, v6
	v_cndmask_b32_e32 v3, v3, v7, vcc
	v_mul_f32_e32 v5, 0x4f800000, v3
	v_cmp_gt_f32_e32 vcc, s10, v3
	v_cndmask_b32_e64 v2, v2, v6, s[2:3]
	s_nop 0
	v_cndmask_b32_e32 v3, v3, v5, vcc
	v_sqrt_f32_e32 v5, v3
	s_nop 0
	v_add_u32_e32 v4, -1, v5
	v_fma_f32 v6, -v4, v5, v3
	v_cmp_ge_f32_e64 s[2:3], 0, v6
	v_add_u32_e32 v6, 1, v5
	s_nop 0
	v_cndmask_b32_e64 v4, v5, v4, s[2:3]
	v_fma_f32 v5, -v6, v5, v3
	v_cmp_lt_f32_e64 s[2:3], 0, v5
	s_nop 1
	v_cndmask_b32_e64 v4, v4, v6, s[2:3]
	v_mul_f32_e32 v6, 0x4f800000, v2
	v_cmp_gt_f32_e64 s[2:3], s10, v2
	v_mul_f32_e32 v5, 0x37800000, v4
	v_cndmask_b32_e32 v4, v4, v5, vcc
	v_cndmask_b32_e64 v2, v2, v6, s[2:3]
	v_sqrt_f32_e32 v6, v2
	v_cmp_class_f32_e32 vcc, v3, v12
	v_add_u32_e32 v8, 1, v6
	s_nop 0
	v_cndmask_b32_e32 v3, v4, v3, vcc
	v_add_u32_e32 v4, -1, v6
	v_fma_f32 v5, -v4, v6, v2
	v_cmp_ge_f32_e32 vcc, 0, v5
	s_waitcnt vmcnt(8)
	v_mul_f32_e32 v5, 0x3fb8aa3b, v10
	v_exp_f32_e32 v5, v5
	v_cndmask_b32_e32 v7, v6, v4, vcc
	v_mul_f32_e32 v4, 0x3fb8aa3b, v9
	v_exp_f32_e32 v4, v4
	v_fma_f32 v6, -v8, v6, v2
	v_cmp_lt_f32_e32 vcc, 0, v6
	v_pk_add_f32 v[4:5], v[4:5], 1.0 op_sel_hi:[1,0]
	s_nop 0
	v_cndmask_b32_e32 v6, v7, v8, vcc
	v_cmp_gt_f32_e32 vcc, s13, v5
	v_mul_f32_e32 v7, 0x37800000, v6
	v_cndmask_b32_e64 v6, v6, v7, s[2:3]
	v_cndmask_b32_e32 v8, 1.0, v13, vcc
	v_mul_f32_e32 v5, v5, v8
	v_log_f32_e32 v5, v5
	v_cmp_class_f32_e64 s[2:3], v2, v12
	v_cmp_lt_f32_e64 s[4:5], |v5|, s12
	s_nop 0
	v_cndmask_b32_e64 v2, v6, v2, s[2:3]
	v_cmp_gt_f32_e64 s[2:3], s13, v4
	v_mul_f32_e32 v6, 0x3f317217, v5
	v_fma_f32 v6, v5, s11, -v6
	v_cndmask_b32_e64 v7, 1.0, v13, s[2:3]
	v_mul_f32_e32 v4, v4, v7
	v_log_f32_e32 v4, v4
	v_fmac_f32_e32 v6, 0x3377d1cf, v5
	v_fmac_f32_e32 v6, 0x3f317217, v5
	v_cndmask_b32_e64 v5, v5, v6, s[4:5]
	v_cndmask_b32_e32 v6, 0, v14, vcc
	v_sub_f32_e32 v5, v5, v6
	v_mul_f32_e32 v6, 0x3f317217, v4
	v_fma_f32 v6, v4, s11, -v6
	v_fmac_f32_e32 v6, 0x3377d1cf, v4
	v_fmac_f32_e32 v6, 0x3f317217, v4
	v_cmp_lt_f32_e64 vcc, |v4|, s12
	s_nop 1
	v_cndmask_b32_e32 v4, v4, v6, vcc
	v_cmp_lt_f32_e32 vcc, s9, v10
	v_cndmask_b32_e64 v6, 0, v14, s[2:3]
	v_sub_f32_e32 v4, v4, v6
	v_cndmask_b32_e32 v5, v5, v10, vcc
	v_mul_f32_e32 v7, 0x4f800000, v5
	v_cmp_gt_f32_e32 vcc, s10, v5
	v_cmp_lt_f32_e64 s[2:3], s9, v9
	s_nop 0
	v_cndmask_b32_e32 v5, v5, v7, vcc
	v_sqrt_f32_e32 v7, v5
	v_cndmask_b32_e64 v4, v4, v9, s[2:3]
	v_add_u32_e32 v6, -1, v7
	v_fma_f32 v8, -v6, v7, v5
	v_cmp_ge_f32_e64 s[2:3], 0, v8
	v_add_u32_e32 v8, 1, v7
	s_nop 0
	v_cndmask_b32_e64 v6, v7, v6, s[2:3]
	v_fma_f32 v7, -v8, v7, v5
	v_cmp_lt_f32_e64 s[2:3], 0, v7
	s_nop 1
	v_cndmask_b32_e64 v6, v6, v8, s[2:3]
	v_mul_f32_e32 v8, 0x4f800000, v4
	v_cmp_gt_f32_e64 s[2:3], s10, v4
	v_mul_f32_e32 v7, 0x37800000, v6
	v_cndmask_b32_e32 v6, v6, v7, vcc
	v_cndmask_b32_e64 v4, v4, v8, s[2:3]
	v_sqrt_f32_e32 v8, v4
	v_cmp_class_f32_e32 vcc, v5, v12
	v_add_u32_e32 v10, 1, v8
	s_nop 0
	v_cndmask_b32_e32 v5, v6, v5, vcc
	v_add_u32_e32 v6, -1, v8
	v_fma_f32 v7, -v6, v8, v4
	v_cmp_ge_f32_e32 vcc, 0, v7
	s_waitcnt vmcnt(6)
	v_mul_f32_e32 v7, 0x3fb8aa3b, v23
	v_exp_f32_e32 v7, v7
	v_cndmask_b32_e32 v9, v8, v6, vcc
	v_mul_f32_e32 v6, 0x3fb8aa3b, v11
	v_exp_f32_e32 v6, v6
	v_fma_f32 v8, -v10, v8, v4
	v_cmp_lt_f32_e32 vcc, 0, v8
	v_pk_add_f32 v[6:7], v[6:7], 1.0 op_sel_hi:[1,0]
	s_nop 0
	v_cndmask_b32_e32 v8, v9, v10, vcc
	v_cmp_gt_f32_e32 vcc, s13, v7
	v_mul_f32_e32 v9, 0x37800000, v8
	v_cndmask_b32_e64 v8, v8, v9, s[2:3]
	v_cndmask_b32_e32 v10, 1.0, v13, vcc
	v_mul_f32_e32 v7, v7, v10
	v_log_f32_e32 v7, v7
	v_cmp_class_f32_e64 s[2:3], v4, v12
	v_cmp_lt_f32_e64 s[4:5], |v7|, s12
	s_nop 0
	v_cndmask_b32_e64 v4, v8, v4, s[2:3]
	v_cmp_gt_f32_e64 s[2:3], s13, v6
	v_mul_f32_e32 v8, 0x3f317217, v7
	v_fma_f32 v8, v7, s11, -v8
	v_cndmask_b32_e64 v9, 1.0, v13, s[2:3]
	v_mul_f32_e32 v6, v6, v9
	v_log_f32_e32 v6, v6
	v_fmac_f32_e32 v8, 0x3377d1cf, v7
	v_fmac_f32_e32 v8, 0x3f317217, v7
	v_cndmask_b32_e64 v7, v7, v8, s[4:5]
	v_cndmask_b32_e32 v8, 0, v14, vcc
	v_sub_f32_e32 v7, v7, v8
	v_mul_f32_e32 v8, 0x3f317217, v6
	v_fma_f32 v8, v6, s11, -v8
	v_fmac_f32_e32 v8, 0x3377d1cf, v6
	v_fmac_f32_e32 v8, 0x3f317217, v6
	v_cmp_lt_f32_e64 vcc, |v6|, s12
	s_nop 1
	v_cndmask_b32_e32 v6, v6, v8, vcc
	v_cmp_lt_f32_e32 vcc, s9, v23
	v_cndmask_b32_e64 v8, 0, v14, s[2:3]
	v_sub_f32_e32 v6, v6, v8
	v_cndmask_b32_e32 v7, v7, v23, vcc
	v_mul_f32_e32 v9, 0x4f800000, v7
	v_cmp_gt_f32_e32 vcc, s10, v7
	v_cmp_lt_f32_e64 s[2:3], s9, v11
	s_nop 0
	v_cndmask_b32_e32 v7, v7, v9, vcc
	v_sqrt_f32_e32 v9, v7
	v_cndmask_b32_e64 v6, v6, v11, s[2:3]
	v_add_u32_e32 v8, -1, v9
	v_fma_f32 v10, -v8, v9, v7
	v_cmp_ge_f32_e64 s[2:3], 0, v10
	v_add_u32_e32 v10, 1, v9
	s_nop 0
	v_cndmask_b32_e64 v8, v9, v8, s[2:3]
	v_fma_f32 v9, -v10, v9, v7
	v_cmp_lt_f32_e64 s[2:3], 0, v9
	s_nop 1
	v_cndmask_b32_e64 v8, v8, v10, s[2:3]
	v_mul_f32_e32 v10, 0x4f800000, v6
	v_cmp_gt_f32_e64 s[2:3], s10, v6
	v_mul_f32_e32 v9, 0x37800000, v8
	v_cndmask_b32_e32 v8, v8, v9, vcc
	v_cndmask_b32_e64 v6, v6, v10, s[2:3]
	v_sqrt_f32_e32 v10, v6
	v_cmp_class_f32_e32 vcc, v7, v12
	v_add_u32_e32 v23, 1, v10
	s_nop 0
	v_cndmask_b32_e32 v7, v8, v7, vcc
	v_add_u32_e32 v8, -1, v10
	v_fma_f32 v9, -v8, v10, v6
	v_cmp_ge_f32_e32 vcc, 0, v9
	s_waitcnt vmcnt(4)
	v_mul_f32_e32 v9, 0x3fb8aa3b, v26
	v_exp_f32_e32 v9, v9
	v_cndmask_b32_e32 v11, v10, v8, vcc
	v_mul_f32_e32 v8, 0x3fb8aa3b, v25
	v_exp_f32_e32 v8, v8
	v_fma_f32 v10, -v23, v10, v6
	v_cmp_lt_f32_e32 vcc, 0, v10
	v_pk_add_f32 v[8:9], v[8:9], 1.0 op_sel_hi:[1,0]
	s_nop 0
	v_cndmask_b32_e32 v10, v11, v23, vcc
	v_cmp_gt_f32_e32 vcc, s13, v9
	v_mul_f32_e32 v11, 0x37800000, v10
	v_cndmask_b32_e64 v10, v10, v11, s[2:3]
	v_cndmask_b32_e32 v23, 1.0, v13, vcc
	v_mul_f32_e32 v9, v9, v23
	v_log_f32_e32 v9, v9
	v_cmp_class_f32_e64 s[2:3], v6, v12
	v_cmp_lt_f32_e64 s[4:5], |v9|, s12
	s_nop 0
	v_cndmask_b32_e64 v6, v10, v6, s[2:3]
	v_cmp_gt_f32_e64 s[2:3], s13, v8
	v_mul_f32_e32 v10, 0x3f317217, v9
	v_fma_f32 v10, v9, s11, -v10
	v_cndmask_b32_e64 v11, 1.0, v13, s[2:3]
	v_mul_f32_e32 v8, v8, v11
	v_log_f32_e32 v8, v8
	v_fmac_f32_e32 v10, 0x3377d1cf, v9
	v_fmac_f32_e32 v10, 0x3f317217, v9
	v_cndmask_b32_e64 v9, v9, v10, s[4:5]
	v_cndmask_b32_e32 v10, 0, v14, vcc
	v_sub_f32_e32 v9, v9, v10
	v_mul_f32_e32 v10, 0x3f317217, v8
	v_fma_f32 v10, v8, s11, -v10
	v_fmac_f32_e32 v10, 0x3377d1cf, v8
	v_fmac_f32_e32 v10, 0x3f317217, v8
	v_cmp_lt_f32_e64 vcc, |v8|, s12
	s_nop 1
	v_cndmask_b32_e32 v8, v8, v10, vcc
	v_cmp_lt_f32_e32 vcc, s9, v26
	v_cndmask_b32_e64 v10, 0, v14, s[2:3]
	v_sub_f32_e32 v8, v8, v10
	v_cndmask_b32_e32 v9, v9, v26, vcc
	v_mul_f32_e32 v11, 0x4f800000, v9
	v_cmp_gt_f32_e32 vcc, s10, v9
	v_cmp_lt_f32_e64 s[2:3], s9, v25
	s_nop 0
	v_cndmask_b32_e32 v9, v9, v11, vcc
	v_sqrt_f32_e32 v11, v9
	v_cndmask_b32_e64 v8, v8, v25, s[2:3]
	v_add_u32_e32 v10, -1, v11
	v_fma_f32 v23, -v10, v11, v9
	v_cmp_ge_f32_e64 s[2:3], 0, v23
	v_add_u32_e32 v23, 1, v11
	s_nop 0
	v_cndmask_b32_e64 v10, v11, v10, s[2:3]
	v_fma_f32 v11, -v23, v11, v9
	v_cmp_lt_f32_e64 s[2:3], 0, v11
	s_nop 1
	v_cndmask_b32_e64 v10, v10, v23, s[2:3]
	v_mul_f32_e32 v23, 0x4f800000, v8
	v_cmp_gt_f32_e64 s[2:3], s10, v8
	v_mul_f32_e32 v11, 0x37800000, v10
	v_cndmask_b32_e32 v10, v10, v11, vcc
	v_cndmask_b32_e64 v8, v8, v23, s[2:3]
	v_sqrt_f32_e32 v23, v8
	v_cmp_class_f32_e32 vcc, v9, v12
	v_add_u32_e32 v26, 1, v23
	s_nop 0
	v_cndmask_b32_e32 v9, v10, v9, vcc
	v_add_u32_e32 v10, -1, v23
	v_fma_f32 v11, -v10, v23, v8
	v_cmp_ge_f32_e32 vcc, 0, v11
	s_waitcnt vmcnt(2)
	v_mul_f32_e32 v11, 0x3fb8aa3b, v28
	v_exp_f32_e32 v11, v11
	v_cndmask_b32_e32 v25, v23, v10, vcc
	v_mul_f32_e32 v10, 0x3fb8aa3b, v27
	v_exp_f32_e32 v10, v10
	v_fma_f32 v23, -v26, v23, v8
	v_cmp_lt_f32_e32 vcc, 0, v23
	v_pk_add_f32 v[10:11], v[10:11], 1.0 op_sel_hi:[1,0]
	s_nop 0
	v_cndmask_b32_e32 v23, v25, v26, vcc
	v_cmp_gt_f32_e32 vcc, s13, v11
	v_mul_f32_e32 v25, 0x37800000, v23
	v_cndmask_b32_e64 v23, v23, v25, s[2:3]
	v_cndmask_b32_e32 v26, 1.0, v13, vcc
	v_mul_f32_e32 v11, v11, v26
	v_log_f32_e32 v11, v11
	v_cmp_class_f32_e64 s[2:3], v8, v12
	v_cmp_lt_f32_e64 s[4:5], |v11|, s12
	s_nop 0
	v_cndmask_b32_e64 v8, v23, v8, s[2:3]
	v_cmp_gt_f32_e64 s[2:3], s13, v10
	v_mul_f32_e32 v23, 0x3f317217, v11
	v_fma_f32 v23, v11, s11, -v23
	v_cndmask_b32_e64 v25, 1.0, v13, s[2:3]
	v_mul_f32_e32 v10, v10, v25
	v_log_f32_e32 v10, v10
	v_fmac_f32_e32 v23, 0x3377d1cf, v11
	v_fmac_f32_e32 v23, 0x3f317217, v11
	v_cndmask_b32_e64 v11, v11, v23, s[4:5]
	v_cndmask_b32_e32 v23, 0, v14, vcc
	v_sub_f32_e32 v11, v11, v23
	v_mul_f32_e32 v23, 0x3f317217, v10
	v_fma_f32 v23, v10, s11, -v23
	v_fmac_f32_e32 v23, 0x3377d1cf, v10
	v_fmac_f32_e32 v23, 0x3f317217, v10
	v_cmp_lt_f32_e64 vcc, |v10|, s12
	s_nop 1
	v_cndmask_b32_e32 v10, v10, v23, vcc
	v_cmp_lt_f32_e32 vcc, s9, v28
	v_cndmask_b32_e64 v23, 0, v14, s[2:3]
	v_sub_f32_e32 v10, v10, v23
	v_cndmask_b32_e32 v11, v11, v28, vcc
	v_mul_f32_e32 v25, 0x4f800000, v11
	v_cmp_gt_f32_e32 vcc, s10, v11
	v_cmp_lt_f32_e64 s[2:3], s9, v27
	s_nop 0
	v_cndmask_b32_e32 v11, v11, v25, vcc
	v_sqrt_f32_e32 v25, v11
	v_cndmask_b32_e64 v10, v10, v27, s[2:3]
	s_waitcnt vmcnt(0)
	v_mul_f32_e32 v27, 0x3fb8aa3b, v22
	v_exp_f32_e32 v27, v27
	v_add_u32_e32 v23, -1, v25
	v_fma_f32 v26, -v23, v25, v11
	v_cmp_ge_f32_e64 s[2:3], 0, v26
	v_add_u32_e32 v26, 1, v25
	s_nop 0
	v_cndmask_b32_e64 v23, v25, v23, s[2:3]
	v_fma_f32 v25, -v26, v25, v11
	v_cmp_lt_f32_e64 s[2:3], 0, v25
	s_nop 1
	v_cndmask_b32_e64 v23, v23, v26, s[2:3]
	v_mul_f32_e32 v26, 0x4f800000, v10
	v_cmp_gt_f32_e64 s[2:3], s10, v10
	v_mul_f32_e32 v25, 0x37800000, v23
	v_cndmask_b32_e32 v23, v23, v25, vcc
	v_cndmask_b32_e64 v10, v10, v26, s[2:3]
	v_sqrt_f32_e32 v26, v10
	v_cmp_class_f32_e32 vcc, v11, v12
	s_nop 1
	v_cndmask_b32_e32 v11, v23, v11, vcc
	v_add_u32_e32 v23, -1, v26
	v_fma_f32 v25, -v23, v26, v10
	v_cmp_ge_f32_e32 vcc, 0, v25
	v_add_u32_e32 v25, 1, v26
	v_fma_f32 v28, -v25, v26, v10
	v_cndmask_b32_e32 v23, v26, v23, vcc
	v_mul_f32_e32 v26, 0x3fb8aa3b, v19
	v_exp_f32_e32 v26, v26
	v_cmp_lt_f32_e32 vcc, 0, v28
	v_pk_add_f32 v[26:27], v[26:27], 1.0 op_sel_hi:[1,0]
	s_nop 0
	v_cndmask_b32_e32 v23, v23, v25, vcc
	v_cmp_gt_f32_e32 vcc, s13, v27
	v_mul_f32_e32 v25, 0x37800000, v23
	v_cndmask_b32_e64 v23, v23, v25, s[2:3]
	v_cndmask_b32_e32 v28, 1.0, v13, vcc
	v_mul_f32_e32 v27, v27, v28
	v_log_f32_e32 v27, v27
	v_cmp_class_f32_e64 s[2:3], v10, v12
	v_cndmask_b32_e32 v25, 0, v14, vcc
	v_cmp_lt_f32_e64 s[4:5], |v27|, s12
	v_cndmask_b32_e64 v10, v23, v10, s[2:3]
	v_cmp_gt_f32_e64 s[2:3], s13, v26
	v_mul_f32_e32 v23, 0x3f317217, v27
	v_fma_f32 v23, v27, s11, -v23
	v_cndmask_b32_e64 v13, 1.0, v13, s[2:3]
	v_mul_f32_e32 v13, v26, v13
	v_log_f32_e32 v13, v13
	v_fmac_f32_e32 v23, 0x3377d1cf, v27
	v_fmac_f32_e32 v23, 0x3f317217, v27
	v_cndmask_b32_e64 v23, v27, v23, s[4:5]
	v_sub_f32_e32 v23, v23, v25
	v_mul_f32_e32 v25, 0x3f317217, v13
	v_fma_f32 v25, v13, s11, -v25
	v_fmac_f32_e32 v25, 0x3377d1cf, v13
	v_fmac_f32_e32 v25, 0x3f317217, v13
	v_cmp_lt_f32_e64 vcc, |v13|, s12
	v_cndmask_b32_e64 v14, 0, v14, s[2:3]
	v_cmp_lt_f32_e64 s[2:3], s9, v19
	v_cndmask_b32_e32 v13, v13, v25, vcc
	v_cmp_lt_f32_e32 vcc, s9, v22
	v_sub_f32_e32 v13, v13, v14
	v_cndmask_b32_e64 v13, v13, v19, s[2:3]
	v_cndmask_b32_e32 v22, v23, v22, vcc
	v_mul_f32_e32 v23, 0x4f800000, v22
	v_cmp_gt_f32_e32 vcc, s10, v22
	s_cselect_b64 s[4:5], -1, 0
	s_cmp_lt_i32 s33, 1
	v_cndmask_b32_e32 v22, v22, v23, vcc
	v_sqrt_f32_e32 v23, v22
	s_nop 0
	v_add_u32_e32 v14, -1, v23
	v_fma_f32 v19, -v14, v23, v22
	v_cmp_ge_f32_e64 s[2:3], 0, v19
	v_add_u32_e32 v19, 1, v23
	s_nop 0
	v_cndmask_b32_e64 v14, v23, v14, s[2:3]
	v_fma_f32 v23, -v19, v23, v22
	v_cmp_lt_f32_e64 s[2:3], 0, v23
	v_mul_f32_e32 v23, 0x4f800000, v13
	s_nop 0
	v_cndmask_b32_e64 v14, v14, v19, s[2:3]
	v_cmp_gt_f32_e64 s[2:3], s10, v13
	v_mul_f32_e32 v19, 0x37800000, v14
	s_nop 0
	v_cndmask_b32_e64 v23, v13, v23, s[2:3]
	v_sqrt_f32_e32 v25, v23
	v_cndmask_b32_e32 v13, v14, v19, vcc
	v_cmp_class_f32_e32 vcc, v22, v12
	v_add_u32_e32 v14, -1, v25
	v_fma_f32 v19, -v14, v25, v23
	v_cndmask_b32_e32 v13, v13, v22, vcc
	v_cmp_ge_f32_e32 vcc, 0, v19
	v_add_u32_e32 v19, 1, v25
	v_fma_f32 v22, -v19, v25, v23
	v_cndmask_b32_e32 v14, v25, v14, vcc
	v_cmp_lt_f32_e32 vcc, 0, v22
	s_nop 1
	v_cndmask_b32_e32 v14, v14, v19, vcc
	v_mul_f32_e32 v19, 0x37800000, v14
	v_cndmask_b32_e64 v14, v14, v19, s[2:3]
	v_cmp_class_f32_e32 vcc, v23, v12
	s_nop 1
	v_cndmask_b32_e32 v12, v14, v23, vcc
	v_mul_lo_u32 v14, v18, s33
	s_cbranch_scc1 .LBB54_28
; %bb.2:
	s_load_dwordx2 s[6:7], s[0:1], 0x20
	s_cmp_lt_u32 s33, 4
	v_mul_lo_u32 v18, v18, s33
	s_cbranch_scc1 .LBB54_21
; %bb.3:
	s_mov_b32 s11, 0
	s_and_b32 s8, s33, 0x7ffffffc
	v_ashrrev_i32_e32 v19, 31, v18
	v_mov_b32_e32 v15, 0
	s_mov_b32 s10, s11
	s_branch .LBB54_5
.LBB54_4:                               ;   in Loop: Header=BB54_5 Depth=1
	s_or_b64 exec, exec, s[12:13]
	s_add_i32 s10, s10, 4
	s_cmp_eq_u32 s10, s8
	s_cbranch_scc1 .LBB54_21
.LBB54_5:                               ; =>This Loop Header: Depth=1
                                        ;     Child Loop BB54_7 Depth 2
                                        ;     Child Loop BB54_11 Depth 2
	;; [unrolled: 1-line block ×4, first 2 shown]
	v_lshl_add_u64 v[20:21], s[10:11], 2, v[16:17]
	global_load_dword v25, v[20:21], off
	v_add_u32_e32 v22, s10, v18
	v_ashrrev_i32_e32 v23, 31, v22
	s_waitcnt lgkmcnt(0)
	v_lshl_add_u64 v[22:23], v[22:23], 2, s[6:7]
	s_mov_b64 s[12:13], 0
	v_mov_b32_e32 v26, v24
	s_mov_b64 s[14:15], 0
	s_waitcnt vmcnt(0)
	s_branch .LBB54_7
.LBB54_6:                               ;   in Loop: Header=BB54_7 Depth=2
	s_or_b64 exec, exec, s[16:17]
	s_cmp_gt_u32 s14, 12
	s_cselect_b64 s[2:3], -1, 0
	s_xor_b64 s[16:17], vcc, -1
	s_or_b64 s[2:3], s[16:17], s[2:3]
	s_add_u32 s14, s14, 1
	s_addc_u32 s15, s15, 0
	s_and_b64 s[2:3], exec, s[2:3]
	s_or_b64 s[12:13], s[2:3], s[12:13]
	v_add_u32_e32 v26, 32, v26
	s_andn2_b64 exec, exec, s[12:13]
	s_cbranch_execz .LBB54_9
.LBB54_7:                               ;   Parent Loop BB54_5 Depth=1
                                        ; =>  This Inner Loop Header: Depth=2
	v_cmp_ne_u32_e32 vcc, v25, v26
	v_cmp_eq_u32_e64 s[2:3], v25, v26
	s_and_saveexec_b64 s[16:17], s[2:3]
	s_cbranch_execz .LBB54_6
; %bb.8:                                ;   in Loop: Header=BB54_7 Depth=2
	s_set_gpr_idx_on s14, gpr_idx(SRC0)
	v_mov_b32_e32 v27, v0
	s_set_gpr_idx_off
	v_add_f32_e32 v15, v15, v27
	global_store_dword v[22:23], v25, off
	s_branch .LBB54_6
.LBB54_9:                               ;   in Loop: Header=BB54_5 Depth=1
	s_or_b64 exec, exec, s[12:13]
	global_load_dword v25, v[20:21], off offset:4
	s_ashr_i32 s3, s10, 31
	s_mov_b32 s2, s10
	v_lshl_add_u64 v[22:23], s[2:3], 0, v[18:19]
	v_lshl_add_u64 v[22:23], v[22:23], 2, s[6:7]
	s_mov_b64 s[12:13], 0
	v_mov_b32_e32 v26, v24
	s_mov_b64 s[14:15], 0
	s_waitcnt vmcnt(0)
	s_branch .LBB54_11
.LBB54_10:                              ;   in Loop: Header=BB54_11 Depth=2
	s_or_b64 exec, exec, s[16:17]
	s_cmp_gt_u32 s14, 12
	s_cselect_b64 s[2:3], -1, 0
	s_xor_b64 s[16:17], vcc, -1
	s_or_b64 s[2:3], s[16:17], s[2:3]
	s_add_u32 s14, s14, 1
	s_addc_u32 s15, s15, 0
	s_and_b64 s[2:3], exec, s[2:3]
	s_or_b64 s[12:13], s[2:3], s[12:13]
	v_add_u32_e32 v26, 32, v26
	s_andn2_b64 exec, exec, s[12:13]
	s_cbranch_execz .LBB54_13
.LBB54_11:                              ;   Parent Loop BB54_5 Depth=1
                                        ; =>  This Inner Loop Header: Depth=2
	v_cmp_ne_u32_e32 vcc, v25, v26
	v_cmp_eq_u32_e64 s[2:3], v25, v26
	s_and_saveexec_b64 s[16:17], s[2:3]
	s_cbranch_execz .LBB54_10
; %bb.12:                               ;   in Loop: Header=BB54_11 Depth=2
	s_set_gpr_idx_on s14, gpr_idx(SRC0)
	v_mov_b32_e32 v27, v0
	s_set_gpr_idx_off
	v_add_f32_e32 v15, v15, v27
	global_store_dword v[22:23], v25, off offset:4
	s_branch .LBB54_10
.LBB54_13:                              ;   in Loop: Header=BB54_5 Depth=1
	s_or_b64 exec, exec, s[12:13]
	global_load_dword v25, v[20:21], off offset:8
	s_mov_b64 s[12:13], 0
	v_mov_b32_e32 v26, v24
	s_mov_b64 s[14:15], 0
	s_waitcnt vmcnt(0)
	s_branch .LBB54_15
.LBB54_14:                              ;   in Loop: Header=BB54_15 Depth=2
	s_or_b64 exec, exec, s[16:17]
	s_cmp_gt_u32 s14, 12
	s_cselect_b64 s[2:3], -1, 0
	s_xor_b64 s[16:17], vcc, -1
	s_or_b64 s[2:3], s[16:17], s[2:3]
	s_add_u32 s14, s14, 1
	s_addc_u32 s15, s15, 0
	s_and_b64 s[2:3], exec, s[2:3]
	s_or_b64 s[12:13], s[2:3], s[12:13]
	v_add_u32_e32 v26, 32, v26
	s_andn2_b64 exec, exec, s[12:13]
	s_cbranch_execz .LBB54_17
.LBB54_15:                              ;   Parent Loop BB54_5 Depth=1
                                        ; =>  This Inner Loop Header: Depth=2
	v_cmp_ne_u32_e32 vcc, v25, v26
	v_cmp_eq_u32_e64 s[2:3], v25, v26
	s_and_saveexec_b64 s[16:17], s[2:3]
	s_cbranch_execz .LBB54_14
; %bb.16:                               ;   in Loop: Header=BB54_15 Depth=2
	s_set_gpr_idx_on s14, gpr_idx(SRC0)
	v_mov_b32_e32 v27, v0
	s_set_gpr_idx_off
	v_add_f32_e32 v15, v15, v27
	global_store_dword v[22:23], v25, off offset:8
	s_branch .LBB54_14
.LBB54_17:                              ;   in Loop: Header=BB54_5 Depth=1
	s_or_b64 exec, exec, s[12:13]
	global_load_dword v20, v[20:21], off offset:12
	s_mov_b64 s[12:13], 0
	v_mov_b32_e32 v21, v24
	s_mov_b64 s[14:15], 0
	s_waitcnt vmcnt(0)
	s_branch .LBB54_19
.LBB54_18:                              ;   in Loop: Header=BB54_19 Depth=2
	s_or_b64 exec, exec, s[16:17]
	s_cmp_gt_u32 s14, 12
	s_cselect_b64 s[2:3], -1, 0
	s_xor_b64 s[16:17], vcc, -1
	s_or_b64 s[2:3], s[16:17], s[2:3]
	s_add_u32 s14, s14, 1
	s_addc_u32 s15, s15, 0
	s_and_b64 s[2:3], exec, s[2:3]
	s_or_b64 s[12:13], s[2:3], s[12:13]
	v_add_u32_e32 v21, 32, v21
	s_andn2_b64 exec, exec, s[12:13]
	s_cbranch_execz .LBB54_4
.LBB54_19:                              ;   Parent Loop BB54_5 Depth=1
                                        ; =>  This Inner Loop Header: Depth=2
	v_cmp_ne_u32_e32 vcc, v20, v21
	v_cmp_eq_u32_e64 s[2:3], v20, v21
	s_and_saveexec_b64 s[16:17], s[2:3]
	s_cbranch_execz .LBB54_18
; %bb.20:                               ;   in Loop: Header=BB54_19 Depth=2
	s_set_gpr_idx_on s14, gpr_idx(SRC0)
	v_mov_b32_e32 v25, v0
	s_set_gpr_idx_off
	v_add_f32_e32 v15, v15, v25
	global_store_dword v[22:23], v20, off offset:12
	s_branch .LBB54_18
.LBB54_21:
	s_and_b32 s16, s33, 3
	s_cmp_eq_u32 s16, 0
	s_mov_b32 s9, 0
	s_cbranch_scc1 .LBB54_28
; %bb.22:
	s_mov_b32 s17, s9
	s_branch .LBB54_24
.LBB54_23:                              ;   in Loop: Header=BB54_24 Depth=1
	s_or_b64 exec, exec, s[10:11]
	s_add_i32 s8, s8, 1
	s_add_i32 s17, s17, 1
	s_cmp_lg_u32 s17, s16
	s_cbranch_scc0 .LBB54_28
.LBB54_24:                              ; =>This Loop Header: Depth=1
                                        ;     Child Loop BB54_26 Depth 2
	v_lshl_add_u64 v[20:21], s[8:9], 2, v[16:17]
	global_load_dword v19, v[20:21], off
	v_add_u32_e32 v20, s8, v18
	v_ashrrev_i32_e32 v21, 31, v20
	s_waitcnt lgkmcnt(0)
	v_lshl_add_u64 v[20:21], v[20:21], 2, s[6:7]
	s_mov_b64 s[10:11], 0
	v_mov_b32_e32 v22, v24
	s_mov_b64 s[12:13], 0
	s_waitcnt vmcnt(0)
	s_branch .LBB54_26
.LBB54_25:                              ;   in Loop: Header=BB54_26 Depth=2
	s_or_b64 exec, exec, s[14:15]
	s_cmp_gt_u32 s12, 12
	s_cselect_b64 s[2:3], -1, 0
	s_xor_b64 s[14:15], vcc, -1
	s_or_b64 s[2:3], s[14:15], s[2:3]
	s_add_u32 s12, s12, 1
	s_addc_u32 s13, s13, 0
	s_and_b64 s[2:3], exec, s[2:3]
	s_or_b64 s[10:11], s[2:3], s[10:11]
	v_add_u32_e32 v22, 32, v22
	s_andn2_b64 exec, exec, s[10:11]
	s_cbranch_execz .LBB54_23
.LBB54_26:                              ;   Parent Loop BB54_24 Depth=1
                                        ; =>  This Inner Loop Header: Depth=2
	v_cmp_ne_u32_e32 vcc, v19, v22
	v_cmp_eq_u32_e64 s[2:3], v19, v22
	s_and_saveexec_b64 s[14:15], s[2:3]
	s_cbranch_execz .LBB54_25
; %bb.27:                               ;   in Loop: Header=BB54_26 Depth=2
	s_set_gpr_idx_on s12, gpr_idx(SRC0)
	v_mov_b32_e32 v23, v0
	s_set_gpr_idx_off
	v_add_f32_e32 v15, v15, v23
	global_store_dword v[20:21], v19, off
	s_branch .LBB54_25
.LBB54_28:
	s_waitcnt lgkmcnt(0)
	s_load_dword s6, s[0:1], 0x3c
	s_waitcnt lgkmcnt(0)
	s_bitcmp1_b32 s6, 0
	s_cselect_b64 s[2:3], -1, 0
	s_bitcmp0_b32 s6, 0
	s_cbranch_scc0 .LBB54_31
; %bb.29:
	s_load_dwordx2 s[6:7], s[0:1], 0x40
	s_andn2_b64 vcc, exec, s[2:3]
	s_waitcnt lgkmcnt(0)
	v_cvt_f32_f64_e32 v20, s[6:7]
	s_cbranch_vccz .LBB54_32
.LBB54_30:
	s_andn2_b64 vcc, exec, s[4:5]
	s_cbranch_vccz .LBB54_33
	s_branch .LBB54_63
.LBB54_31:
	v_mbcnt_lo_u32_b32 v18, -1, 0
	v_mbcnt_hi_u32_b32 v18, -1, v18
	v_and_b32_e32 v19, 0x60, v18
	v_add_u32_e32 v19, 32, v19
	v_xor_b32_e32 v20, 16, v18
	v_cmp_lt_i32_e32 vcc, v20, v19
	v_xor_b32_e32 v21, 8, v18
	s_nop 0
	v_cndmask_b32_e32 v20, v18, v20, vcc
	v_lshlrev_b32_e32 v20, 2, v20
	ds_bpermute_b32 v20, v20, v15
	v_cmp_lt_i32_e32 vcc, v21, v19
	s_waitcnt lgkmcnt(0)
	v_add_f32_e32 v15, v15, v20
	v_cndmask_b32_e32 v20, v18, v21, vcc
	v_lshlrev_b32_e32 v20, 2, v20
	ds_bpermute_b32 v20, v20, v15
	v_xor_b32_e32 v21, 4, v18
	v_cmp_lt_i32_e32 vcc, v21, v19
	s_waitcnt lgkmcnt(0)
	v_add_f32_e32 v15, v15, v20
	v_cndmask_b32_e32 v20, v18, v21, vcc
	v_lshlrev_b32_e32 v20, 2, v20
	ds_bpermute_b32 v20, v20, v15
	v_xor_b32_e32 v21, 2, v18
	v_cmp_lt_i32_e32 vcc, v21, v19
	s_waitcnt lgkmcnt(0)
	v_add_f32_e32 v15, v15, v20
	v_cndmask_b32_e32 v20, v18, v21, vcc
	v_lshlrev_b32_e32 v20, 2, v20
	ds_bpermute_b32 v20, v20, v15
	v_xor_b32_e32 v21, 1, v18
	v_cmp_lt_i32_e32 vcc, v21, v19
	s_waitcnt lgkmcnt(0)
	v_add_f32_e32 v15, v15, v20
	v_cndmask_b32_e32 v18, v18, v21, vcc
	v_lshlrev_b32_e32 v18, 2, v18
	ds_bpermute_b32 v18, v18, v15
	s_waitcnt lgkmcnt(0)
	v_add_f32_e32 v15, v15, v18
	s_load_dwordx2 s[6:7], s[0:1], 0x40
	s_andn2_b64 vcc, exec, s[2:3]
	s_waitcnt lgkmcnt(0)
	v_cvt_f32_f64_e32 v20, s[6:7]
	s_cbranch_vccnz .LBB54_30
.LBB54_32:
	v_cmp_lt_f32_e32 vcc, 0, v15
	s_nop 1
	v_cndmask_b32_e32 v15, 1.0, v15, vcc
	v_div_scale_f32 v18, s[2:3], v15, v15, v20
	v_rcp_f32_e32 v19, v18
	s_nop 0
	v_fma_f32 v21, -v18, v19, 1.0
	v_fmac_f32_e32 v19, v21, v19
	v_div_scale_f32 v21, vcc, v20, v15, v20
	v_mul_f32_e32 v22, v21, v19
	v_fma_f32 v23, -v18, v22, v21
	v_fmac_f32_e32 v22, v23, v19
	v_fma_f32 v18, -v18, v22, v21
	v_div_fmas_f32 v18, v18, v19, v22
	v_div_fixup_f32 v20, v18, v15, v20
	s_andn2_b64 vcc, exec, s[4:5]
	s_cbranch_vccnz .LBB54_63
.LBB54_33:
	s_load_dwordx2 s[24:25], s[0:1], 0x10
	v_or_b32_e32 v21, 32, v24
	v_or_b32_e32 v22, 64, v24
	;; [unrolled: 1-line block ×13, first 2 shown]
	s_branch .LBB54_35
.LBB54_34:                              ;   in Loop: Header=BB54_35 Depth=1
	s_or_b64 exec, exec, s[0:1]
	s_add_i32 s33, s33, -1
	v_add_u32_e32 v14, 1, v14
	s_cmp_lg_u32 s33, 0
	v_lshl_add_u64 v[16:17], v[16:17], 0, 4
	s_cbranch_scc0 .LBB54_63
.LBB54_35:                              ; =>This Inner Loop Header: Depth=1
	global_load_dword v15, v[16:17], off
	v_mov_b64_e32 v[18:19], 0
	s_waitcnt vmcnt(0)
	v_cmp_eq_u32_e32 vcc, v15, v24
	v_cmp_ne_u32_e64 s[0:1], v15, v24
	s_and_saveexec_b64 s[26:27], s[0:1]
	s_cbranch_execz .LBB54_61
; %bb.36:                               ;   in Loop: Header=BB54_35 Depth=1
	v_cmp_eq_u32_e64 s[0:1], v15, v21
	v_cmp_ne_u32_e64 s[2:3], v15, v21
	v_mov_b64_e32 v[18:19], 1
	s_and_saveexec_b64 s[28:29], s[2:3]
	s_cbranch_execz .LBB54_60
; %bb.37:                               ;   in Loop: Header=BB54_35 Depth=1
	v_cmp_eq_u32_e64 s[2:3], v15, v22
	v_cmp_ne_u32_e64 s[4:5], v15, v22
	v_mov_b64_e32 v[18:19], 2
	;; [unrolled: 6-line block ×12, first 2 shown]
	s_and_saveexec_b64 s[54:55], s[22:23]
	s_xor_b64 s[54:55], exec, s[54:55]
; %bb.48:                               ;   in Loop: Header=BB54_35 Depth=1
	v_cmp_eq_u32_e64 s[22:23], v15, v34
	s_andn2_b64 s[52:53], s[52:53], exec
	s_and_b64 s[22:23], s[22:23], exec
	v_mov_b64_e32 v[18:19], 13
	s_or_b64 s[52:53], s[52:53], s[22:23]
; %bb.49:                               ;   in Loop: Header=BB54_35 Depth=1
	s_or_b64 exec, exec, s[54:55]
	s_andn2_b64 s[20:21], s[20:21], exec
	s_and_b64 s[22:23], s[52:53], exec
	s_or_b64 s[20:21], s[20:21], s[22:23]
.LBB54_50:                              ;   in Loop: Header=BB54_35 Depth=1
	s_or_b64 exec, exec, s[50:51]
	s_andn2_b64 s[18:19], s[18:19], exec
	s_and_b64 s[20:21], s[20:21], exec
	s_or_b64 s[18:19], s[18:19], s[20:21]
.LBB54_51:                              ;   in Loop: Header=BB54_35 Depth=1
	s_or_b64 exec, exec, s[48:49]
	s_andn2_b64 s[16:17], s[16:17], exec
	s_and_b64 s[18:19], s[18:19], exec
	s_or_b64 s[16:17], s[16:17], s[18:19]
.LBB54_52:                              ;   in Loop: Header=BB54_35 Depth=1
	s_or_b64 exec, exec, s[46:47]
	s_andn2_b64 s[14:15], s[14:15], exec
	s_and_b64 s[16:17], s[16:17], exec
	s_or_b64 s[14:15], s[14:15], s[16:17]
.LBB54_53:                              ;   in Loop: Header=BB54_35 Depth=1
	s_or_b64 exec, exec, s[44:45]
	s_andn2_b64 s[12:13], s[12:13], exec
	s_and_b64 s[14:15], s[14:15], exec
	s_or_b64 s[12:13], s[12:13], s[14:15]
.LBB54_54:                              ;   in Loop: Header=BB54_35 Depth=1
	s_or_b64 exec, exec, s[42:43]
	s_andn2_b64 s[10:11], s[10:11], exec
	s_and_b64 s[12:13], s[12:13], exec
	s_or_b64 s[10:11], s[10:11], s[12:13]
.LBB54_55:                              ;   in Loop: Header=BB54_35 Depth=1
	s_or_b64 exec, exec, s[40:41]
	s_andn2_b64 s[8:9], s[8:9], exec
	s_and_b64 s[10:11], s[10:11], exec
	s_or_b64 s[8:9], s[8:9], s[10:11]
.LBB54_56:                              ;   in Loop: Header=BB54_35 Depth=1
	s_or_b64 exec, exec, s[38:39]
	s_andn2_b64 s[6:7], s[6:7], exec
	s_and_b64 s[8:9], s[8:9], exec
	s_or_b64 s[6:7], s[6:7], s[8:9]
.LBB54_57:                              ;   in Loop: Header=BB54_35 Depth=1
	s_or_b64 exec, exec, s[36:37]
	s_andn2_b64 s[4:5], s[4:5], exec
	s_and_b64 s[6:7], s[6:7], exec
	s_or_b64 s[4:5], s[4:5], s[6:7]
.LBB54_58:                              ;   in Loop: Header=BB54_35 Depth=1
	s_or_b64 exec, exec, s[34:35]
	s_andn2_b64 s[2:3], s[2:3], exec
	s_and_b64 s[4:5], s[4:5], exec
	s_or_b64 s[2:3], s[2:3], s[4:5]
.LBB54_59:                              ;   in Loop: Header=BB54_35 Depth=1
	s_or_b64 exec, exec, s[30:31]
	s_andn2_b64 s[0:1], s[0:1], exec
	s_and_b64 s[2:3], s[2:3], exec
	s_or_b64 s[0:1], s[0:1], s[2:3]
.LBB54_60:                              ;   in Loop: Header=BB54_35 Depth=1
	s_or_b64 exec, exec, s[28:29]
	s_andn2_b64 s[2:3], vcc, exec
	s_and_b64 s[0:1], s[0:1], exec
	s_or_b64 vcc, s[2:3], s[0:1]
.LBB54_61:                              ;   in Loop: Header=BB54_35 Depth=1
	s_or_b64 exec, exec, s[26:27]
	s_and_saveexec_b64 s[0:1], vcc
	s_cbranch_execz .LBB54_34
; %bb.62:                               ;   in Loop: Header=BB54_35 Depth=1
	v_cmp_eq_u32_e32 vcc, 1, v18
	s_nop 1
	v_cndmask_b32_e32 v15, v0, v1, vcc
	v_cmp_eq_u32_e32 vcc, 2, v18
	s_nop 1
	v_cndmask_b32_e32 v15, v15, v2, vcc
	v_cmp_eq_u32_e32 vcc, 3, v18
	s_nop 1
	v_cndmask_b32_e32 v15, v15, v3, vcc
	v_cmp_eq_u32_e32 vcc, 4, v18
	s_nop 1
	v_cndmask_b32_e32 v15, v15, v4, vcc
	v_cmp_eq_u32_e32 vcc, 5, v18
	s_nop 1
	v_cndmask_b32_e32 v15, v15, v5, vcc
	v_cmp_eq_u32_e32 vcc, 6, v18
	s_nop 1
	v_cndmask_b32_e32 v15, v15, v6, vcc
	v_cmp_eq_u32_e32 vcc, 7, v18
	s_nop 1
	v_cndmask_b32_e32 v15, v15, v7, vcc
	v_cmp_eq_u32_e32 vcc, 8, v18
	s_nop 1
	v_cndmask_b32_e32 v15, v15, v8, vcc
	v_cmp_eq_u32_e32 vcc, 9, v18
	s_nop 1
	v_cndmask_b32_e32 v15, v15, v9, vcc
	v_cmp_eq_u32_e32 vcc, 10, v18
	s_nop 1
	v_cndmask_b32_e32 v15, v15, v10, vcc
	v_cmp_eq_u32_e32 vcc, 11, v18
	s_nop 1
	v_cndmask_b32_e32 v15, v15, v11, vcc
	v_cmp_eq_u32_e32 vcc, 12, v18
	s_nop 1
	v_cndmask_b32_e32 v15, v15, v12, vcc
	v_cmp_eq_u32_e32 vcc, 13, v18
	s_nop 1
	v_cndmask_b32_e32 v15, v15, v13, vcc
	v_mul_f32_e32 v35, v20, v15
	v_ashrrev_i32_e32 v15, 31, v14
	s_waitcnt lgkmcnt(0)
	v_lshl_add_u64 v[18:19], v[14:15], 2, s[24:25]
	global_store_dword v[18:19], v35, off
	s_branch .LBB54_34
.LBB54_63:
	s_endpgm
	.section	.rodata,"a",@progbits
	.p2align	6, 0x0
	.amdhsa_kernel _ZN4vllm3moe22topkGatingSoftplusSqrtILi14ELi448ELi4ELi4ELi32ELb1EifEEvPKT6_PKbPfiPT5_PiiiibdPKfPKS8_SE_
		.amdhsa_group_segment_fixed_size 0
		.amdhsa_private_segment_fixed_size 0
		.amdhsa_kernarg_size 96
		.amdhsa_user_sgpr_count 2
		.amdhsa_user_sgpr_dispatch_ptr 0
		.amdhsa_user_sgpr_queue_ptr 0
		.amdhsa_user_sgpr_kernarg_segment_ptr 1
		.amdhsa_user_sgpr_dispatch_id 0
		.amdhsa_user_sgpr_kernarg_preload_length 0
		.amdhsa_user_sgpr_kernarg_preload_offset 0
		.amdhsa_user_sgpr_private_segment_size 0
		.amdhsa_uses_dynamic_stack 0
		.amdhsa_enable_private_segment 0
		.amdhsa_system_sgpr_workgroup_id_x 1
		.amdhsa_system_sgpr_workgroup_id_y 0
		.amdhsa_system_sgpr_workgroup_id_z 0
		.amdhsa_system_sgpr_workgroup_info 0
		.amdhsa_system_vgpr_workitem_id 1
		.amdhsa_next_free_vgpr 37
		.amdhsa_next_free_sgpr 56
		.amdhsa_accum_offset 40
		.amdhsa_reserve_vcc 1
		.amdhsa_float_round_mode_32 0
		.amdhsa_float_round_mode_16_64 0
		.amdhsa_float_denorm_mode_32 3
		.amdhsa_float_denorm_mode_16_64 3
		.amdhsa_dx10_clamp 1
		.amdhsa_ieee_mode 1
		.amdhsa_fp16_overflow 0
		.amdhsa_tg_split 0
		.amdhsa_exception_fp_ieee_invalid_op 0
		.amdhsa_exception_fp_denorm_src 0
		.amdhsa_exception_fp_ieee_div_zero 0
		.amdhsa_exception_fp_ieee_overflow 0
		.amdhsa_exception_fp_ieee_underflow 0
		.amdhsa_exception_fp_ieee_inexact 0
		.amdhsa_exception_int_div_zero 0
	.end_amdhsa_kernel
	.section	.text._ZN4vllm3moe22topkGatingSoftplusSqrtILi14ELi448ELi4ELi4ELi32ELb1EifEEvPKT6_PKbPfiPT5_PiiiibdPKfPKS8_SE_,"axG",@progbits,_ZN4vllm3moe22topkGatingSoftplusSqrtILi14ELi448ELi4ELi4ELi32ELb1EifEEvPKT6_PKbPfiPT5_PiiiibdPKfPKS8_SE_,comdat
.Lfunc_end54:
	.size	_ZN4vllm3moe22topkGatingSoftplusSqrtILi14ELi448ELi4ELi4ELi32ELb1EifEEvPKT6_PKbPfiPT5_PiiiibdPKfPKS8_SE_, .Lfunc_end54-_ZN4vllm3moe22topkGatingSoftplusSqrtILi14ELi448ELi4ELi4ELi32ELb1EifEEvPKT6_PKbPfiPT5_PiiiibdPKfPKS8_SE_
                                        ; -- End function
	.section	.AMDGPU.csdata,"",@progbits
; Kernel info:
; codeLenInByte = 5556
; NumSgprs: 62
; NumVgprs: 37
; NumAgprs: 0
; TotalNumVgprs: 37
; ScratchSize: 0
; MemoryBound: 0
; FloatMode: 240
; IeeeMode: 1
; LDSByteSize: 0 bytes/workgroup (compile time only)
; SGPRBlocks: 7
; VGPRBlocks: 4
; NumSGPRsForWavesPerEU: 62
; NumVGPRsForWavesPerEU: 37
; AccumOffset: 40
; Occupancy: 8
; WaveLimiterHint : 1
; COMPUTE_PGM_RSRC2:SCRATCH_EN: 0
; COMPUTE_PGM_RSRC2:USER_SGPR: 2
; COMPUTE_PGM_RSRC2:TRAP_HANDLER: 0
; COMPUTE_PGM_RSRC2:TGID_X_EN: 1
; COMPUTE_PGM_RSRC2:TGID_Y_EN: 0
; COMPUTE_PGM_RSRC2:TGID_Z_EN: 0
; COMPUTE_PGM_RSRC2:TIDIG_COMP_CNT: 1
; COMPUTE_PGM_RSRC3_GFX90A:ACCUM_OFFSET: 9
; COMPUTE_PGM_RSRC3_GFX90A:TG_SPLIT: 0
	.section	.text._ZN4vllm3moe22topkGatingSoftplusSqrtILi14ELi448ELi4ELi4ELi32ELb0EifEEvPKT6_PKbPfiPT5_PiiiibdPKfPKS8_SE_,"axG",@progbits,_ZN4vllm3moe22topkGatingSoftplusSqrtILi14ELi448ELi4ELi4ELi32ELb0EifEEvPKT6_PKbPfiPT5_PiiiibdPKfPKS8_SE_,comdat
	.protected	_ZN4vllm3moe22topkGatingSoftplusSqrtILi14ELi448ELi4ELi4ELi32ELb0EifEEvPKT6_PKbPfiPT5_PiiiibdPKfPKS8_SE_ ; -- Begin function _ZN4vllm3moe22topkGatingSoftplusSqrtILi14ELi448ELi4ELi4ELi32ELb0EifEEvPKT6_PKbPfiPT5_PiiiibdPKfPKS8_SE_
	.globl	_ZN4vllm3moe22topkGatingSoftplusSqrtILi14ELi448ELi4ELi4ELi32ELb0EifEEvPKT6_PKbPfiPT5_PiiiibdPKfPKS8_SE_
	.p2align	8
	.type	_ZN4vllm3moe22topkGatingSoftplusSqrtILi14ELi448ELi4ELi4ELi32ELb0EifEEvPKT6_PKbPfiPT5_PiiiibdPKfPKS8_SE_,@function
_ZN4vllm3moe22topkGatingSoftplusSqrtILi14ELi448ELi4ELi4ELi32ELb0EifEEvPKT6_PKbPfiPT5_PiiiibdPKfPKS8_SE_: ; @_ZN4vllm3moe22topkGatingSoftplusSqrtILi14ELi448ELi4ELi4ELi32ELb0EifEEvPKT6_PKbPfiPT5_PiiiibdPKfPKS8_SE_
; %bb.0:
	s_load_dword s30, s[0:1], 0x18
	v_and_b32_e32 v1, 0x3ff, v0
	s_lshl_b32 s2, s2, 2
	v_lshrrev_b32_e32 v2, 5, v1
	v_bfe_u32 v0, v0, 10, 10
	v_add3_u32 v14, s2, v0, v2
	s_waitcnt lgkmcnt(0)
	v_cmp_gt_i32_e32 vcc, s30, v14
	s_and_saveexec_b64 s[2:3], vcc
	s_cbranch_execz .LBB55_73
; %bb.1:
	s_load_dwordx4 s[4:7], s[0:1], 0x0
	s_load_dwordx2 s[20:21], s[0:1], 0x10
	s_waitcnt lgkmcnt(0)
	s_cmp_eq_u64 s[6:7], 0
	s_cbranch_scc1 .LBB55_3
; %bb.2:
	v_ashrrev_i32_e32 v15, 31, v14
	v_lshl_add_u64 v[2:3], s[6:7], 0, v[14:15]
	global_load_ubyte v0, v[2:3], off
	s_waitcnt vmcnt(0)
	v_and_b32_e32 v0, 1, v0
	v_cmp_eq_u32_e32 vcc, 1, v0
	s_xor_b64 s[2:3], vcc, -1
	s_orn2_b64 s[22:23], s[2:3], exec
	s_branch .LBB55_4
.LBB55_3:
	s_mov_b64 s[22:23], -1
.LBB55_4:
	s_movk_i32 s2, 0x1c0
	v_mul_lo_u32 v4, v14, s2
	v_mov_b32_e32 v2, s4
	v_mov_b32_e32 v3, s5
	v_ashrrev_i32_e32 v5, 31, v4
	v_and_b32_e32 v16, 31, v1
	v_lshl_add_u64 v[2:3], v[4:5], 2, v[2:3]
	v_mov_b32_e32 v19, 0
	v_lshlrev_b32_e32 v18, 2, v16
	v_lshl_add_u64 v[20:21], v[2:3], 0, v[18:19]
	global_load_dword v0, v[20:21], off
	global_load_dword v1, v[20:21], off offset:128
	global_load_dword v2, v[20:21], off offset:256
	;; [unrolled: 1-line block ×13, first 2 shown]
	s_mov_b32 s16, 0x800000
	v_mov_b32_e32 v19, 0x4f800000
	s_mov_b32 s13, 0x3f317217
	s_mov_b32 s14, 0x7f800000
	v_mov_b32_e32 v17, 0x41b17218
	s_mov_b32 s12, 0x41a00000
	s_mov_b32 s15, 0xf800000
	s_load_dwordx4 s[8:11], s[0:1], 0x40
	s_waitcnt lgkmcnt(0)
	s_cmp_lg_u64 s[10:11], 0
	s_cselect_b64 s[6:7], -1, 0
	s_and_b64 s[2:3], exec, s[6:7]
	s_waitcnt vmcnt(13)
	v_mul_f32_e32 v15, 0x3fb8aa3b, v0
	v_exp_f32_e32 v15, v15
	s_nop 0
	v_add_f32_e32 v15, 1.0, v15
	v_cmp_gt_f32_e32 vcc, s16, v15
	s_nop 1
	v_cndmask_b32_e32 v20, 1.0, v19, vcc
	v_mul_f32_e32 v15, v15, v20
	v_log_f32_e32 v20, v15
	v_cndmask_b32_e32 v21, 0, v17, vcc
	v_mov_b32_e32 v15, 0x260
	v_mul_f32_e32 v22, 0x3f317217, v20
	v_fma_f32 v22, v20, s13, -v22
	v_fmac_f32_e32 v22, 0x3377d1cf, v20
	v_fmac_f32_e32 v22, 0x3f317217, v20
	v_cmp_lt_f32_e64 vcc, |v20|, s14
	s_nop 1
	v_cndmask_b32_e32 v20, v20, v22, vcc
	v_sub_f32_e32 v20, v20, v21
	v_cmp_lt_f32_e32 vcc, s12, v0
	s_nop 1
	v_cndmask_b32_e32 v0, v20, v0, vcc
	v_mul_f32_e32 v20, 0x4f800000, v0
	v_cmp_gt_f32_e32 vcc, s15, v0
	s_nop 1
	v_cndmask_b32_e32 v0, v0, v20, vcc
	v_sqrt_f32_e32 v20, v0
	s_nop 0
	v_add_u32_e32 v21, -1, v20
	v_add_u32_e32 v22, 1, v20
	v_fma_f32 v23, -v21, v20, v0
	v_fma_f32 v24, -v22, v20, v0
	v_cmp_ge_f32_e64 s[4:5], 0, v23
	s_nop 1
	v_cndmask_b32_e64 v20, v20, v21, s[4:5]
	v_cmp_lt_f32_e64 s[4:5], 0, v24
	s_nop 1
	v_cndmask_b32_e64 v20, v20, v22, s[4:5]
	v_mul_f32_e32 v21, 0x37800000, v20
	v_cndmask_b32_e32 v20, v20, v21, vcc
	v_cmp_class_f32_e32 vcc, v0, v15
	s_nop 1
	v_cndmask_b32_e32 v0, v20, v0, vcc
	s_mov_b64 vcc, s[2:3]
	s_cbranch_vccz .LBB55_6
; %bb.5:
	global_load_dword v20, v18, s[10:11]
	s_waitcnt vmcnt(0)
	v_add_f32_e32 v0, v0, v20
.LBB55_6:
	s_waitcnt vmcnt(12)
	v_mul_f32_e32 v20, 0x3fb8aa3b, v1
	v_exp_f32_e32 v20, v20
	s_nop 0
	v_add_f32_e32 v20, 1.0, v20
	v_cmp_gt_f32_e32 vcc, s16, v20
	s_nop 1
	v_cndmask_b32_e32 v19, 1.0, v19, vcc
	v_mul_f32_e32 v19, v20, v19
	v_log_f32_e32 v19, v19
	v_cndmask_b32_e32 v17, 0, v17, vcc
	v_mul_f32_e32 v20, 0x3f317217, v19
	v_fma_f32 v20, v19, s13, -v20
	v_fmac_f32_e32 v20, 0x3377d1cf, v19
	v_fmac_f32_e32 v20, 0x3f317217, v19
	v_cmp_lt_f32_e64 vcc, |v19|, s14
	s_nop 1
	v_cndmask_b32_e32 v19, v19, v20, vcc
	v_sub_f32_e32 v17, v19, v17
	v_cmp_lt_f32_e32 vcc, s12, v1
	s_nop 1
	v_cndmask_b32_e32 v1, v17, v1, vcc
	v_mul_f32_e32 v17, 0x4f800000, v1
	v_cmp_gt_f32_e32 vcc, s15, v1
	s_nop 1
	v_cndmask_b32_e32 v1, v1, v17, vcc
	v_sqrt_f32_e32 v17, v1
	v_cmp_class_f32_e64 s[4:5], v1, v15
	v_add_u32_e32 v19, -1, v17
	v_add_u32_e32 v20, 1, v17
	v_fma_f32 v21, -v19, v17, v1
	v_fma_f32 v22, -v20, v17, v1
	v_cmp_ge_f32_e64 s[2:3], 0, v21
	s_nop 1
	v_cndmask_b32_e64 v17, v17, v19, s[2:3]
	v_cmp_lt_f32_e64 s[2:3], 0, v22
	s_nop 1
	v_cndmask_b32_e64 v17, v17, v20, s[2:3]
	v_mul_f32_e32 v19, 0x37800000, v17
	v_cndmask_b32_e32 v17, v17, v19, vcc
	v_cndmask_b32_e64 v19, 0, 1, s[6:7]
	v_cmp_ne_u32_e64 s[2:3], 1, v19
	s_andn2_b64 vcc, exec, s[6:7]
	v_cndmask_b32_e64 v1, v17, v1, s[4:5]
	s_cbranch_vccnz .LBB55_8
; %bb.7:
	global_load_dword v15, v18, s[10:11] offset:128
	s_waitcnt vmcnt(0)
	v_add_f32_e32 v1, v1, v15
.LBB55_8:
	s_waitcnt vmcnt(11)
	v_mul_f32_e32 v15, 0x3fb8aa3b, v2
	v_exp_f32_e32 v15, v15
	s_mov_b32 s14, 0x800000
	v_mov_b32_e32 v17, 0x4f800000
	s_mov_b32 s7, 0x3f317217
	v_add_f32_e32 v15, 1.0, v15
	v_cmp_gt_f32_e32 vcc, s14, v15
	s_mov_b32 s12, 0x7f800000
	s_mov_b32 s6, 0x41a00000
	v_cndmask_b32_e32 v19, 1.0, v17, vcc
	v_mul_f32_e32 v15, v15, v19
	v_log_f32_e32 v15, v15
	s_mov_b32 s13, 0xf800000
	v_mul_f32_e32 v19, 0x3f317217, v15
	v_fma_f32 v19, v15, s7, -v19
	v_fmac_f32_e32 v19, 0x3377d1cf, v15
	v_fmac_f32_e32 v19, 0x3f317217, v15
	v_cmp_lt_f32_e64 s[4:5], |v15|, s12
	s_nop 1
	v_cndmask_b32_e64 v15, v15, v19, s[4:5]
	v_mov_b32_e32 v19, 0x41b17218
	v_cndmask_b32_e32 v20, 0, v19, vcc
	v_sub_f32_e32 v15, v15, v20
	v_cmp_lt_f32_e32 vcc, s6, v2
	s_nop 1
	v_cndmask_b32_e32 v2, v15, v2, vcc
	v_mul_f32_e32 v15, 0x4f800000, v2
	v_cmp_gt_f32_e32 vcc, s13, v2
	s_nop 1
	v_cndmask_b32_e32 v2, v2, v15, vcc
	v_sqrt_f32_e32 v15, v2
	s_nop 0
	v_add_u32_e32 v20, -1, v15
	v_fma_f32 v21, -v20, v15, v2
	v_cmp_ge_f32_e64 s[4:5], 0, v21
	v_add_u32_e32 v21, 1, v15
	s_nop 0
	v_cndmask_b32_e64 v20, v15, v20, s[4:5]
	v_fma_f32 v15, -v21, v15, v2
	v_cmp_lt_f32_e64 s[4:5], 0, v15
	s_nop 1
	v_cndmask_b32_e64 v15, v20, v21, s[4:5]
	v_mul_f32_e32 v20, 0x37800000, v15
	v_cndmask_b32_e32 v20, v15, v20, vcc
	v_mov_b32_e32 v15, 0x260
	v_cmp_class_f32_e64 s[4:5], v2, v15
	s_and_b64 vcc, exec, s[2:3]
	s_nop 0
	v_cndmask_b32_e64 v2, v20, v2, s[4:5]
	s_cbranch_vccnz .LBB55_10
; %bb.9:
	global_load_dword v20, v18, s[10:11] offset:256
	s_waitcnt vmcnt(0)
	v_add_f32_e32 v2, v2, v20
.LBB55_10:
	s_waitcnt vmcnt(10)
	v_mul_f32_e32 v20, 0x3fb8aa3b, v3
	v_exp_f32_e32 v20, v20
	s_nop 0
	v_add_f32_e32 v20, 1.0, v20
	v_cmp_gt_f32_e32 vcc, s14, v20
	s_nop 1
	v_cndmask_b32_e32 v17, 1.0, v17, vcc
	v_mul_f32_e32 v17, v20, v17
	v_log_f32_e32 v17, v17
	v_cndmask_b32_e32 v19, 0, v19, vcc
	v_mul_f32_e32 v20, 0x3f317217, v17
	v_fma_f32 v20, v17, s7, -v20
	v_fmac_f32_e32 v20, 0x3377d1cf, v17
	v_fmac_f32_e32 v20, 0x3f317217, v17
	v_cmp_lt_f32_e64 vcc, |v17|, s12
	s_nop 1
	v_cndmask_b32_e32 v17, v17, v20, vcc
	v_sub_f32_e32 v17, v17, v19
	v_cmp_lt_f32_e32 vcc, s6, v3
	s_nop 1
	v_cndmask_b32_e32 v3, v17, v3, vcc
	v_mul_f32_e32 v17, 0x4f800000, v3
	v_cmp_gt_f32_e32 vcc, s13, v3
	s_nop 1
	v_cndmask_b32_e32 v3, v3, v17, vcc
	v_sqrt_f32_e32 v17, v3
	s_nop 0
	v_add_u32_e32 v19, -1, v17
	v_add_u32_e32 v20, 1, v17
	v_fma_f32 v21, -v19, v17, v3
	v_fma_f32 v22, -v20, v17, v3
	v_cmp_ge_f32_e64 s[4:5], 0, v21
	s_nop 1
	v_cndmask_b32_e64 v17, v17, v19, s[4:5]
	v_cmp_lt_f32_e64 s[4:5], 0, v22
	s_nop 1
	v_cndmask_b32_e64 v17, v17, v20, s[4:5]
	v_mul_f32_e32 v19, 0x37800000, v17
	v_cndmask_b32_e32 v17, v17, v19, vcc
	v_cmp_class_f32_e64 s[4:5], v3, v15
	s_and_b64 vcc, exec, s[2:3]
	s_nop 0
	v_cndmask_b32_e64 v3, v17, v3, s[4:5]
	s_cbranch_vccnz .LBB55_12
; %bb.11:
	global_load_dword v15, v18, s[10:11] offset:384
	s_waitcnt vmcnt(0)
	v_add_f32_e32 v3, v3, v15
.LBB55_12:
	s_waitcnt vmcnt(9)
	v_mul_f32_e32 v15, 0x3fb8aa3b, v4
	v_exp_f32_e32 v15, v15
	v_mov_b32_e32 v17, 0x4f800000
	v_add_f32_e32 v15, 1.0, v15
	v_cmp_gt_f32_e32 vcc, s14, v15
	s_nop 1
	v_cndmask_b32_e32 v19, 1.0, v17, vcc
	v_mul_f32_e32 v15, v15, v19
	v_log_f32_e32 v15, v15
	s_nop 0
	v_mul_f32_e32 v19, 0x3f317217, v15
	v_fma_f32 v19, v15, s7, -v19
	v_fmac_f32_e32 v19, 0x3377d1cf, v15
	v_fmac_f32_e32 v19, 0x3f317217, v15
	v_cmp_lt_f32_e64 s[4:5], |v15|, s12
	s_nop 1
	v_cndmask_b32_e64 v15, v15, v19, s[4:5]
	v_mov_b32_e32 v19, 0x41b17218
	v_cndmask_b32_e32 v20, 0, v19, vcc
	v_sub_f32_e32 v15, v15, v20
	v_cmp_lt_f32_e32 vcc, s6, v4
	s_nop 1
	v_cndmask_b32_e32 v4, v15, v4, vcc
	v_mul_f32_e32 v15, 0x4f800000, v4
	v_cmp_gt_f32_e32 vcc, s13, v4
	s_nop 1
	v_cndmask_b32_e32 v4, v4, v15, vcc
	v_sqrt_f32_e32 v15, v4
	s_nop 0
	v_add_u32_e32 v20, -1, v15
	v_fma_f32 v21, -v20, v15, v4
	v_cmp_ge_f32_e64 s[4:5], 0, v21
	v_add_u32_e32 v21, 1, v15
	s_nop 0
	v_cndmask_b32_e64 v20, v15, v20, s[4:5]
	v_fma_f32 v15, -v21, v15, v4
	v_cmp_lt_f32_e64 s[4:5], 0, v15
	s_nop 1
	v_cndmask_b32_e64 v15, v20, v21, s[4:5]
	v_mul_f32_e32 v20, 0x37800000, v15
	v_cndmask_b32_e32 v20, v15, v20, vcc
	v_mov_b32_e32 v15, 0x260
	v_cmp_class_f32_e64 s[4:5], v4, v15
	s_and_b64 vcc, exec, s[2:3]
	s_nop 0
	v_cndmask_b32_e64 v4, v20, v4, s[4:5]
	s_cbranch_vccnz .LBB55_14
; %bb.13:
	global_load_dword v20, v18, s[10:11] offset:512
	s_waitcnt vmcnt(0)
	v_add_f32_e32 v4, v4, v20
.LBB55_14:
	s_waitcnt vmcnt(8)
	v_mul_f32_e32 v20, 0x3fb8aa3b, v5
	v_exp_f32_e32 v20, v20
	s_nop 0
	v_add_f32_e32 v20, 1.0, v20
	v_cmp_gt_f32_e32 vcc, s14, v20
	s_nop 1
	v_cndmask_b32_e32 v17, 1.0, v17, vcc
	v_mul_f32_e32 v17, v20, v17
	v_log_f32_e32 v17, v17
	v_cndmask_b32_e32 v19, 0, v19, vcc
	v_mul_f32_e32 v20, 0x3f317217, v17
	v_fma_f32 v20, v17, s7, -v20
	v_fmac_f32_e32 v20, 0x3377d1cf, v17
	v_fmac_f32_e32 v20, 0x3f317217, v17
	v_cmp_lt_f32_e64 vcc, |v17|, s12
	s_nop 1
	v_cndmask_b32_e32 v17, v17, v20, vcc
	v_sub_f32_e32 v17, v17, v19
	v_cmp_lt_f32_e32 vcc, s6, v5
	s_nop 1
	v_cndmask_b32_e32 v5, v17, v5, vcc
	v_mul_f32_e32 v17, 0x4f800000, v5
	v_cmp_gt_f32_e32 vcc, s13, v5
	s_nop 1
	v_cndmask_b32_e32 v5, v5, v17, vcc
	v_sqrt_f32_e32 v17, v5
	s_nop 0
	v_add_u32_e32 v19, -1, v17
	v_add_u32_e32 v20, 1, v17
	v_fma_f32 v21, -v19, v17, v5
	v_fma_f32 v22, -v20, v17, v5
	v_cmp_ge_f32_e64 s[4:5], 0, v21
	s_nop 1
	v_cndmask_b32_e64 v17, v17, v19, s[4:5]
	v_cmp_lt_f32_e64 s[4:5], 0, v22
	s_nop 1
	v_cndmask_b32_e64 v17, v17, v20, s[4:5]
	v_mul_f32_e32 v19, 0x37800000, v17
	v_cndmask_b32_e32 v17, v17, v19, vcc
	v_cmp_class_f32_e64 s[4:5], v5, v15
	s_and_b64 vcc, exec, s[2:3]
	s_nop 0
	v_cndmask_b32_e64 v5, v17, v5, s[4:5]
	s_cbranch_vccnz .LBB55_16
; %bb.15:
	global_load_dword v15, v18, s[10:11] offset:640
	s_waitcnt vmcnt(0)
	v_add_f32_e32 v5, v5, v15
.LBB55_16:
	s_waitcnt vmcnt(7)
	v_mul_f32_e32 v15, 0x3fb8aa3b, v6
	v_exp_f32_e32 v15, v15
	v_mov_b32_e32 v17, 0x4f800000
	v_add_f32_e32 v15, 1.0, v15
	v_cmp_gt_f32_e32 vcc, s14, v15
	s_nop 1
	v_cndmask_b32_e32 v19, 1.0, v17, vcc
	v_mul_f32_e32 v15, v15, v19
	v_log_f32_e32 v15, v15
	s_nop 0
	v_mul_f32_e32 v19, 0x3f317217, v15
	v_fma_f32 v19, v15, s7, -v19
	v_fmac_f32_e32 v19, 0x3377d1cf, v15
	v_fmac_f32_e32 v19, 0x3f317217, v15
	v_cmp_lt_f32_e64 s[4:5], |v15|, s12
	s_nop 1
	v_cndmask_b32_e64 v15, v15, v19, s[4:5]
	v_mov_b32_e32 v19, 0x41b17218
	v_cndmask_b32_e32 v20, 0, v19, vcc
	v_sub_f32_e32 v15, v15, v20
	v_cmp_lt_f32_e32 vcc, s6, v6
	s_nop 1
	v_cndmask_b32_e32 v6, v15, v6, vcc
	v_mul_f32_e32 v15, 0x4f800000, v6
	v_cmp_gt_f32_e32 vcc, s13, v6
	s_nop 1
	v_cndmask_b32_e32 v6, v6, v15, vcc
	v_sqrt_f32_e32 v15, v6
	s_nop 0
	v_add_u32_e32 v20, -1, v15
	v_fma_f32 v21, -v20, v15, v6
	v_cmp_ge_f32_e64 s[4:5], 0, v21
	v_add_u32_e32 v21, 1, v15
	s_nop 0
	v_cndmask_b32_e64 v20, v15, v20, s[4:5]
	v_fma_f32 v15, -v21, v15, v6
	v_cmp_lt_f32_e64 s[4:5], 0, v15
	s_nop 1
	v_cndmask_b32_e64 v15, v20, v21, s[4:5]
	v_mul_f32_e32 v20, 0x37800000, v15
	v_cndmask_b32_e32 v20, v15, v20, vcc
	v_mov_b32_e32 v15, 0x260
	v_cmp_class_f32_e64 s[4:5], v6, v15
	s_and_b64 vcc, exec, s[2:3]
	s_nop 0
	v_cndmask_b32_e64 v6, v20, v6, s[4:5]
	s_cbranch_vccnz .LBB55_18
; %bb.17:
	global_load_dword v20, v18, s[10:11] offset:768
	s_waitcnt vmcnt(0)
	v_add_f32_e32 v6, v6, v20
.LBB55_18:
	s_waitcnt vmcnt(6)
	v_mul_f32_e32 v20, 0x3fb8aa3b, v7
	v_exp_f32_e32 v20, v20
	s_nop 0
	v_add_f32_e32 v20, 1.0, v20
	v_cmp_gt_f32_e32 vcc, s14, v20
	s_nop 1
	v_cndmask_b32_e32 v17, 1.0, v17, vcc
	v_mul_f32_e32 v17, v20, v17
	v_log_f32_e32 v17, v17
	v_cndmask_b32_e32 v19, 0, v19, vcc
	v_mul_f32_e32 v20, 0x3f317217, v17
	v_fma_f32 v20, v17, s7, -v20
	v_fmac_f32_e32 v20, 0x3377d1cf, v17
	v_fmac_f32_e32 v20, 0x3f317217, v17
	v_cmp_lt_f32_e64 vcc, |v17|, s12
	s_nop 1
	v_cndmask_b32_e32 v17, v17, v20, vcc
	v_sub_f32_e32 v17, v17, v19
	v_cmp_lt_f32_e32 vcc, s6, v7
	s_nop 1
	v_cndmask_b32_e32 v7, v17, v7, vcc
	v_mul_f32_e32 v17, 0x4f800000, v7
	v_cmp_gt_f32_e32 vcc, s13, v7
	s_nop 1
	v_cndmask_b32_e32 v7, v7, v17, vcc
	v_sqrt_f32_e32 v17, v7
	s_nop 0
	v_add_u32_e32 v19, -1, v17
	v_add_u32_e32 v20, 1, v17
	v_fma_f32 v21, -v19, v17, v7
	v_fma_f32 v22, -v20, v17, v7
	v_cmp_ge_f32_e64 s[4:5], 0, v21
	s_nop 1
	v_cndmask_b32_e64 v17, v17, v19, s[4:5]
	v_cmp_lt_f32_e64 s[4:5], 0, v22
	s_nop 1
	v_cndmask_b32_e64 v17, v17, v20, s[4:5]
	v_mul_f32_e32 v19, 0x37800000, v17
	v_cndmask_b32_e32 v17, v17, v19, vcc
	v_cmp_class_f32_e64 s[4:5], v7, v15
	s_and_b64 vcc, exec, s[2:3]
	s_nop 0
	v_cndmask_b32_e64 v7, v17, v7, s[4:5]
	s_cbranch_vccnz .LBB55_20
; %bb.19:
	global_load_dword v15, v18, s[10:11] offset:896
	s_waitcnt vmcnt(0)
	v_add_f32_e32 v7, v7, v15
.LBB55_20:
	s_waitcnt vmcnt(5)
	v_mul_f32_e32 v15, 0x3fb8aa3b, v8
	v_exp_f32_e32 v15, v15
	v_mov_b32_e32 v17, 0x4f800000
	v_add_f32_e32 v15, 1.0, v15
	v_cmp_gt_f32_e32 vcc, s14, v15
	s_nop 1
	v_cndmask_b32_e32 v19, 1.0, v17, vcc
	v_mul_f32_e32 v15, v15, v19
	v_log_f32_e32 v15, v15
	s_nop 0
	v_mul_f32_e32 v19, 0x3f317217, v15
	v_fma_f32 v19, v15, s7, -v19
	v_fmac_f32_e32 v19, 0x3377d1cf, v15
	v_fmac_f32_e32 v19, 0x3f317217, v15
	v_cmp_lt_f32_e64 s[4:5], |v15|, s12
	s_nop 1
	v_cndmask_b32_e64 v15, v15, v19, s[4:5]
	v_mov_b32_e32 v19, 0x41b17218
	v_cndmask_b32_e32 v20, 0, v19, vcc
	v_sub_f32_e32 v15, v15, v20
	v_cmp_lt_f32_e32 vcc, s6, v8
	s_nop 1
	v_cndmask_b32_e32 v8, v15, v8, vcc
	v_mul_f32_e32 v15, 0x4f800000, v8
	v_cmp_gt_f32_e32 vcc, s13, v8
	s_nop 1
	v_cndmask_b32_e32 v8, v8, v15, vcc
	v_sqrt_f32_e32 v15, v8
	s_nop 0
	v_add_u32_e32 v20, -1, v15
	v_fma_f32 v21, -v20, v15, v8
	v_cmp_ge_f32_e64 s[4:5], 0, v21
	v_add_u32_e32 v21, 1, v15
	s_nop 0
	v_cndmask_b32_e64 v20, v15, v20, s[4:5]
	v_fma_f32 v15, -v21, v15, v8
	v_cmp_lt_f32_e64 s[4:5], 0, v15
	s_nop 1
	v_cndmask_b32_e64 v15, v20, v21, s[4:5]
	v_mul_f32_e32 v20, 0x37800000, v15
	v_cndmask_b32_e32 v20, v15, v20, vcc
	v_mov_b32_e32 v15, 0x260
	v_cmp_class_f32_e64 s[4:5], v8, v15
	s_and_b64 vcc, exec, s[2:3]
	s_nop 0
	v_cndmask_b32_e64 v8, v20, v8, s[4:5]
	s_cbranch_vccnz .LBB55_22
; %bb.21:
	global_load_dword v20, v18, s[10:11] offset:1024
	s_waitcnt vmcnt(0)
	v_add_f32_e32 v8, v8, v20
.LBB55_22:
	s_waitcnt vmcnt(4)
	v_mul_f32_e32 v20, 0x3fb8aa3b, v9
	v_exp_f32_e32 v20, v20
	s_nop 0
	v_add_f32_e32 v20, 1.0, v20
	v_cmp_gt_f32_e32 vcc, s14, v20
	s_nop 1
	v_cndmask_b32_e32 v17, 1.0, v17, vcc
	v_mul_f32_e32 v17, v20, v17
	v_log_f32_e32 v17, v17
	v_cndmask_b32_e32 v19, 0, v19, vcc
	v_mul_f32_e32 v20, 0x3f317217, v17
	v_fma_f32 v20, v17, s7, -v20
	v_fmac_f32_e32 v20, 0x3377d1cf, v17
	v_fmac_f32_e32 v20, 0x3f317217, v17
	v_cmp_lt_f32_e64 vcc, |v17|, s12
	s_nop 1
	v_cndmask_b32_e32 v17, v17, v20, vcc
	v_sub_f32_e32 v17, v17, v19
	v_cmp_lt_f32_e32 vcc, s6, v9
	s_nop 1
	v_cndmask_b32_e32 v9, v17, v9, vcc
	v_mul_f32_e32 v17, 0x4f800000, v9
	v_cmp_gt_f32_e32 vcc, s13, v9
	s_nop 1
	v_cndmask_b32_e32 v9, v9, v17, vcc
	v_sqrt_f32_e32 v17, v9
	s_nop 0
	v_add_u32_e32 v19, -1, v17
	v_add_u32_e32 v20, 1, v17
	v_fma_f32 v21, -v19, v17, v9
	v_fma_f32 v22, -v20, v17, v9
	v_cmp_ge_f32_e64 s[4:5], 0, v21
	s_nop 1
	v_cndmask_b32_e64 v17, v17, v19, s[4:5]
	v_cmp_lt_f32_e64 s[4:5], 0, v22
	s_nop 1
	v_cndmask_b32_e64 v17, v17, v20, s[4:5]
	v_mul_f32_e32 v19, 0x37800000, v17
	v_cndmask_b32_e32 v17, v17, v19, vcc
	v_cmp_class_f32_e64 s[4:5], v9, v15
	s_and_b64 vcc, exec, s[2:3]
	s_nop 0
	v_cndmask_b32_e64 v9, v17, v9, s[4:5]
	s_cbranch_vccnz .LBB55_24
; %bb.23:
	global_load_dword v15, v18, s[10:11] offset:1152
	s_waitcnt vmcnt(0)
	v_add_f32_e32 v9, v9, v15
.LBB55_24:
	s_waitcnt vmcnt(3)
	v_mul_f32_e32 v15, 0x3fb8aa3b, v10
	v_exp_f32_e32 v15, v15
	v_mov_b32_e32 v17, 0x4f800000
	v_add_f32_e32 v15, 1.0, v15
	v_cmp_gt_f32_e32 vcc, s14, v15
	s_nop 1
	v_cndmask_b32_e32 v19, 1.0, v17, vcc
	v_mul_f32_e32 v15, v15, v19
	v_log_f32_e32 v15, v15
	s_nop 0
	v_mul_f32_e32 v19, 0x3f317217, v15
	v_fma_f32 v19, v15, s7, -v19
	v_fmac_f32_e32 v19, 0x3377d1cf, v15
	v_fmac_f32_e32 v19, 0x3f317217, v15
	v_cmp_lt_f32_e64 s[4:5], |v15|, s12
	s_nop 1
	v_cndmask_b32_e64 v15, v15, v19, s[4:5]
	v_mov_b32_e32 v19, 0x41b17218
	v_cndmask_b32_e32 v20, 0, v19, vcc
	v_sub_f32_e32 v15, v15, v20
	v_cmp_lt_f32_e32 vcc, s6, v10
	s_nop 1
	v_cndmask_b32_e32 v10, v15, v10, vcc
	v_mul_f32_e32 v15, 0x4f800000, v10
	v_cmp_gt_f32_e32 vcc, s13, v10
	s_nop 1
	v_cndmask_b32_e32 v10, v10, v15, vcc
	v_sqrt_f32_e32 v15, v10
	s_nop 0
	v_add_u32_e32 v20, -1, v15
	v_fma_f32 v21, -v20, v15, v10
	v_cmp_ge_f32_e64 s[4:5], 0, v21
	v_add_u32_e32 v21, 1, v15
	s_nop 0
	v_cndmask_b32_e64 v20, v15, v20, s[4:5]
	v_fma_f32 v15, -v21, v15, v10
	v_cmp_lt_f32_e64 s[4:5], 0, v15
	s_nop 1
	v_cndmask_b32_e64 v15, v20, v21, s[4:5]
	v_mul_f32_e32 v20, 0x37800000, v15
	v_cndmask_b32_e32 v20, v15, v20, vcc
	v_mov_b32_e32 v15, 0x260
	v_cmp_class_f32_e64 s[4:5], v10, v15
	s_and_b64 vcc, exec, s[2:3]
	s_nop 0
	v_cndmask_b32_e64 v10, v20, v10, s[4:5]
	s_cbranch_vccnz .LBB55_26
; %bb.25:
	global_load_dword v20, v18, s[10:11] offset:1280
	s_waitcnt vmcnt(0)
	v_add_f32_e32 v10, v10, v20
.LBB55_26:
	s_waitcnt vmcnt(2)
	v_mul_f32_e32 v20, 0x3fb8aa3b, v11
	v_exp_f32_e32 v20, v20
	s_nop 0
	v_add_f32_e32 v20, 1.0, v20
	v_cmp_gt_f32_e32 vcc, s14, v20
	s_nop 1
	v_cndmask_b32_e32 v17, 1.0, v17, vcc
	v_mul_f32_e32 v17, v20, v17
	v_log_f32_e32 v17, v17
	v_cndmask_b32_e32 v19, 0, v19, vcc
	v_mul_f32_e32 v20, 0x3f317217, v17
	v_fma_f32 v20, v17, s7, -v20
	v_fmac_f32_e32 v20, 0x3377d1cf, v17
	v_fmac_f32_e32 v20, 0x3f317217, v17
	v_cmp_lt_f32_e64 vcc, |v17|, s12
	s_nop 1
	v_cndmask_b32_e32 v17, v17, v20, vcc
	v_sub_f32_e32 v17, v17, v19
	v_cmp_lt_f32_e32 vcc, s6, v11
	s_nop 1
	v_cndmask_b32_e32 v11, v17, v11, vcc
	v_mul_f32_e32 v17, 0x4f800000, v11
	v_cmp_gt_f32_e32 vcc, s13, v11
	s_nop 1
	v_cndmask_b32_e32 v11, v11, v17, vcc
	v_sqrt_f32_e32 v17, v11
	s_nop 0
	v_add_u32_e32 v19, -1, v17
	v_add_u32_e32 v20, 1, v17
	v_fma_f32 v21, -v19, v17, v11
	v_fma_f32 v22, -v20, v17, v11
	v_cmp_ge_f32_e64 s[4:5], 0, v21
	s_nop 1
	v_cndmask_b32_e64 v17, v17, v19, s[4:5]
	v_cmp_lt_f32_e64 s[4:5], 0, v22
	s_nop 1
	v_cndmask_b32_e64 v17, v17, v20, s[4:5]
	v_mul_f32_e32 v19, 0x37800000, v17
	v_cndmask_b32_e32 v17, v17, v19, vcc
	v_cmp_class_f32_e64 s[4:5], v11, v15
	s_and_b64 vcc, exec, s[2:3]
	s_nop 0
	v_cndmask_b32_e64 v11, v17, v11, s[4:5]
	s_cbranch_vccnz .LBB55_28
; %bb.27:
	global_load_dword v15, v18, s[10:11] offset:1408
	s_waitcnt vmcnt(0)
	v_add_f32_e32 v11, v11, v15
.LBB55_28:
	s_waitcnt vmcnt(1)
	v_mul_f32_e32 v15, 0x3fb8aa3b, v12
	v_exp_f32_e32 v15, v15
	v_mov_b32_e32 v17, 0x4f800000
	v_add_f32_e32 v15, 1.0, v15
	v_cmp_gt_f32_e32 vcc, s14, v15
	s_nop 1
	v_cndmask_b32_e32 v19, 1.0, v17, vcc
	v_mul_f32_e32 v15, v15, v19
	v_log_f32_e32 v15, v15
	s_nop 0
	v_mul_f32_e32 v19, 0x3f317217, v15
	v_fma_f32 v19, v15, s7, -v19
	v_fmac_f32_e32 v19, 0x3377d1cf, v15
	v_fmac_f32_e32 v19, 0x3f317217, v15
	v_cmp_lt_f32_e64 s[4:5], |v15|, s12
	s_nop 1
	v_cndmask_b32_e64 v15, v15, v19, s[4:5]
	v_mov_b32_e32 v19, 0x41b17218
	v_cndmask_b32_e32 v20, 0, v19, vcc
	v_sub_f32_e32 v15, v15, v20
	v_cmp_lt_f32_e32 vcc, s6, v12
	s_nop 1
	v_cndmask_b32_e32 v12, v15, v12, vcc
	v_mul_f32_e32 v15, 0x4f800000, v12
	v_cmp_gt_f32_e32 vcc, s13, v12
	s_nop 1
	v_cndmask_b32_e32 v12, v12, v15, vcc
	v_sqrt_f32_e32 v15, v12
	s_nop 0
	v_add_u32_e32 v20, -1, v15
	v_fma_f32 v21, -v20, v15, v12
	v_cmp_ge_f32_e64 s[4:5], 0, v21
	v_add_u32_e32 v21, 1, v15
	s_nop 0
	v_cndmask_b32_e64 v20, v15, v20, s[4:5]
	v_fma_f32 v15, -v21, v15, v12
	v_cmp_lt_f32_e64 s[4:5], 0, v15
	s_nop 1
	v_cndmask_b32_e64 v15, v20, v21, s[4:5]
	v_mul_f32_e32 v20, 0x37800000, v15
	v_cndmask_b32_e32 v20, v15, v20, vcc
	v_mov_b32_e32 v15, 0x260
	v_cmp_class_f32_e64 s[4:5], v12, v15
	s_and_b64 vcc, exec, s[2:3]
	s_nop 0
	v_cndmask_b32_e64 v12, v20, v12, s[4:5]
	s_cbranch_vccnz .LBB55_30
; %bb.29:
	global_load_dword v20, v18, s[10:11] offset:1536
	s_waitcnt vmcnt(0)
	v_add_f32_e32 v12, v12, v20
.LBB55_30:
	s_waitcnt vmcnt(0)
	v_mul_f32_e32 v20, 0x3fb8aa3b, v13
	v_exp_f32_e32 v20, v20
	s_nop 0
	v_add_f32_e32 v20, 1.0, v20
	v_cmp_gt_f32_e32 vcc, s14, v20
	s_nop 1
	v_cndmask_b32_e32 v17, 1.0, v17, vcc
	v_mul_f32_e32 v17, v20, v17
	v_log_f32_e32 v17, v17
	v_cndmask_b32_e32 v19, 0, v19, vcc
	v_mul_f32_e32 v20, 0x3f317217, v17
	v_fma_f32 v20, v17, s7, -v20
	v_fmac_f32_e32 v20, 0x3377d1cf, v17
	v_fmac_f32_e32 v20, 0x3f317217, v17
	v_cmp_lt_f32_e64 vcc, |v17|, s12
	s_nop 1
	v_cndmask_b32_e32 v17, v17, v20, vcc
	v_sub_f32_e32 v17, v17, v19
	v_cmp_lt_f32_e32 vcc, s6, v13
	s_nop 1
	v_cndmask_b32_e32 v13, v17, v13, vcc
	v_mul_f32_e32 v17, 0x4f800000, v13
	v_cmp_gt_f32_e32 vcc, s13, v13
	s_nop 1
	v_cndmask_b32_e32 v13, v13, v17, vcc
	v_sqrt_f32_e32 v17, v13
	s_nop 0
	v_add_u32_e32 v19, -1, v17
	v_add_u32_e32 v20, 1, v17
	v_fma_f32 v21, -v19, v17, v13
	v_fma_f32 v22, -v20, v17, v13
	v_cmp_ge_f32_e64 s[4:5], 0, v21
	s_nop 1
	v_cndmask_b32_e64 v17, v17, v19, s[4:5]
	v_cmp_lt_f32_e64 s[4:5], 0, v22
	s_nop 1
	v_cndmask_b32_e64 v17, v17, v20, s[4:5]
	v_mul_f32_e32 v19, 0x37800000, v17
	v_cndmask_b32_e32 v17, v17, v19, vcc
	v_cmp_class_f32_e64 s[4:5], v13, v15
	s_and_b64 vcc, exec, s[2:3]
	s_nop 0
	v_cndmask_b32_e64 v13, v17, v13, s[4:5]
	s_cbranch_vccnz .LBB55_32
; %bb.31:
	global_load_dword v15, v18, s[10:11] offset:1664
	s_waitcnt vmcnt(0)
	v_add_f32_e32 v13, v13, v15
.LBB55_32:
	s_load_dwordx4 s[12:15], s[0:1], 0x30
	s_mov_b32 s31, 0
	v_cmp_eq_u32_e64 s[6:7], 0, v16
	s_waitcnt lgkmcnt(0)
	s_bitcmp1_b32 s15, 0
	s_cselect_b64 s[4:5], -1, 0
	s_cmp_gt_i32 s12, 0
	s_cselect_b64 s[24:25], -1, 0
	s_and_b64 vcc, exec, s[24:25]
	s_cbranch_vccz .LBB55_59
; %bb.33:
	v_mbcnt_lo_u32_b32 v15, -1, 0
	v_mbcnt_hi_u32_b32 v18, -1, v15
	v_and_b32_e32 v15, 0x60, v18
	v_add_u32_e32 v19, 32, v15
	v_xor_b32_e32 v24, 16, v18
	v_cmp_lt_i32_e32 vcc, v24, v19
	s_load_dwordx4 s[16:19], s[0:1], 0x20
	v_mul_lo_u32 v15, v14, s12
	v_cndmask_b32_e32 v24, v18, v24, vcc
	v_lshlrev_b32_e32 v33, 2, v24
	v_xor_b32_e32 v24, 8, v18
	v_cmp_lt_i32_e32 vcc, v24, v19
	v_or_b32_e32 v17, 32, v16
	v_or_b32_e32 v20, 64, v16
	v_cndmask_b32_e32 v24, v18, v24, vcc
	v_lshlrev_b32_e32 v34, 2, v24
	v_xor_b32_e32 v24, 4, v18
	v_cmp_lt_i32_e32 vcc, v24, v19
	v_or_b32_e32 v21, 0x60, v16
	v_or_b32_e32 v22, 0x80, v16
	;; [unrolled: 6-line block ×4, first 2 shown]
	v_cndmask_b32_e32 v18, v18, v24, vcc
	v_or_b32_e32 v28, 0x120, v16
	v_or_b32_e32 v29, 0x140, v16
	;; [unrolled: 1-line block ×5, first 2 shown]
	v_lshlrev_b32_e32 v37, 2, v18
	v_mov_b32_e32 v24, 0
	v_mov_b32_e32 v38, 0x1c0
	;; [unrolled: 1-line block ×4, first 2 shown]
	s_branch .LBB55_36
.LBB55_34:                              ;   in Loop: Header=BB55_36 Depth=1
	s_waitcnt lgkmcnt(0)
	v_add_u32_e32 v42, s31, v15
	v_cmp_le_i32_e32 vcc, s13, v18
	v_cmp_gt_i32_e64 s[0:1], s14, v18
	v_ashrrev_i32_e32 v43, 31, v42
	s_and_b64 s[0:1], vcc, s[0:1]
	v_lshlrev_b64 v[42:43], 2, v[42:43]
	v_lshl_add_u64 v[44:45], s[20:21], 0, v[42:43]
	v_subrev_u32_e32 v19, s13, v18
	s_and_b64 vcc, s[22:23], s[0:1]
	global_store_dword v[44:45], v41, off
	v_cndmask_b32_e32 v19, v38, v19, vcc
	v_lshl_add_u64 v[44:45], s[16:17], 0, v[42:43]
	global_store_dword v[44:45], v19, off
	v_add_f32_e32 v19, v24, v41
	v_lshl_add_u64 v[42:43], s[18:19], 0, v[42:43]
	v_cndmask_b32_e64 v24, v24, v19, s[4:5]
	global_store_dword v[42:43], v40, off
.LBB55_35:                              ;   in Loop: Header=BB55_36 Depth=1
	s_or_b64 exec, exec, s[26:27]
	v_ashrrev_i32_e32 v19, 31, v18
	v_lshrrev_b32_e32 v19, 27, v19
	v_add_u32_e32 v19, v18, v19
	v_and_b32_e32 v41, 0xffffffe0, v19
	v_sub_u32_e32 v18, v18, v41
	s_add_i32 s31, s31, 1
	v_cmp_eq_u32_e32 vcc, v16, v18
	s_cmp_lt_i32 s31, s12
	v_ashrrev_i32_e32 v18, 5, v19
	s_cselect_b64 s[26:27], -1, 0
	v_cmp_ne_u32_e64 s[0:1], 13, v18
	s_and_b64 vcc, s[26:27], vcc
	s_cmp_eq_u32 s12, s31
	v_cndmask_b32_e64 v19, v39, v13, s[0:1]
	v_cmp_ne_u32_e64 s[0:1], 12, v18
	v_cndmask_b32_e32 v13, v13, v19, vcc
	v_add_u32_e32 v40, s30, v40
	v_cndmask_b32_e64 v19, v39, v12, s[0:1]
	v_cmp_ne_u32_e64 s[0:1], 11, v18
	v_cndmask_b32_e32 v12, v12, v19, vcc
	s_nop 0
	v_cndmask_b32_e64 v19, v39, v11, s[0:1]
	v_cmp_ne_u32_e64 s[0:1], 10, v18
	v_cndmask_b32_e32 v11, v11, v19, vcc
	s_nop 0
	;; [unrolled: 4-line block ×12, first 2 shown]
	v_cndmask_b32_e64 v18, v39, v0, s[0:1]
	v_cndmask_b32_e32 v0, v0, v18, vcc
	s_cbranch_scc1 .LBB55_60
.LBB55_36:                              ; =>This Inner Loop Header: Depth=1
	v_cmp_gt_f32_e32 vcc, v1, v0
	s_nop 1
	v_cndmask_b32_e32 v19, v0, v1, vcc
	v_cndmask_b32_e32 v18, v16, v17, vcc
	v_cmp_gt_f32_e32 vcc, v2, v19
	s_nop 1
	v_cndmask_b32_e32 v19, v19, v2, vcc
	v_cndmask_b32_e32 v18, v18, v20, vcc
	;; [unrolled: 4-line block ×13, first 2 shown]
	ds_bpermute_b32 v19, v33, v41
	s_waitcnt lgkmcnt(0)
	ds_bpermute_b32 v42, v33, v18
	s_waitcnt lgkmcnt(0)
	v_cmp_lt_f32_e64 s[26:27], v41, v19
	v_cmp_nlt_f32_e32 vcc, v41, v19
	s_and_saveexec_b64 s[28:29], vcc
; %bb.37:                               ;   in Loop: Header=BB55_36 Depth=1
	v_cmp_eq_f32_e32 vcc, v41, v19
	v_cmp_lt_i32_e64 s[0:1], v42, v18
	s_and_b64 s[0:1], vcc, s[0:1]
	s_andn2_b64 s[26:27], s[26:27], exec
	s_and_b64 s[0:1], s[0:1], exec
	s_or_b64 s[26:27], s[26:27], s[0:1]
; %bb.38:                               ;   in Loop: Header=BB55_36 Depth=1
	s_or_b64 exec, exec, s[28:29]
	s_and_saveexec_b64 s[0:1], s[26:27]
; %bb.39:                               ;   in Loop: Header=BB55_36 Depth=1
	v_mov_b32_e32 v41, v19
	v_mov_b32_e32 v18, v42
; %bb.40:                               ;   in Loop: Header=BB55_36 Depth=1
	s_or_b64 exec, exec, s[0:1]
	ds_bpermute_b32 v19, v34, v41
	ds_bpermute_b32 v42, v34, v18
	s_waitcnt lgkmcnt(1)
	v_cmp_lt_f32_e64 s[26:27], v41, v19
	v_cmp_nlt_f32_e32 vcc, v41, v19
	s_and_saveexec_b64 s[28:29], vcc
	s_cbranch_execz .LBB55_42
; %bb.41:                               ;   in Loop: Header=BB55_36 Depth=1
	v_cmp_eq_f32_e32 vcc, v41, v19
	s_waitcnt lgkmcnt(0)
	v_cmp_lt_i32_e64 s[0:1], v42, v18
	s_and_b64 s[0:1], vcc, s[0:1]
	s_andn2_b64 s[26:27], s[26:27], exec
	s_and_b64 s[0:1], s[0:1], exec
	s_or_b64 s[26:27], s[26:27], s[0:1]
.LBB55_42:                              ;   in Loop: Header=BB55_36 Depth=1
	s_or_b64 exec, exec, s[28:29]
	s_and_saveexec_b64 s[0:1], s[26:27]
	s_cbranch_execz .LBB55_44
; %bb.43:                               ;   in Loop: Header=BB55_36 Depth=1
	v_mov_b32_e32 v41, v19
	s_waitcnt lgkmcnt(0)
	v_mov_b32_e32 v18, v42
.LBB55_44:                              ;   in Loop: Header=BB55_36 Depth=1
	s_or_b64 exec, exec, s[0:1]
	ds_bpermute_b32 v19, v35, v41
	s_waitcnt lgkmcnt(1)
	ds_bpermute_b32 v42, v35, v18
	s_waitcnt lgkmcnt(1)
	v_cmp_lt_f32_e64 s[26:27], v41, v19
	v_cmp_nlt_f32_e32 vcc, v41, v19
	s_and_saveexec_b64 s[28:29], vcc
	s_cbranch_execz .LBB55_46
; %bb.45:                               ;   in Loop: Header=BB55_36 Depth=1
	v_cmp_eq_f32_e32 vcc, v41, v19
	s_waitcnt lgkmcnt(0)
	v_cmp_lt_i32_e64 s[0:1], v42, v18
	s_and_b64 s[0:1], vcc, s[0:1]
	s_andn2_b64 s[26:27], s[26:27], exec
	s_and_b64 s[0:1], s[0:1], exec
	s_or_b64 s[26:27], s[26:27], s[0:1]
.LBB55_46:                              ;   in Loop: Header=BB55_36 Depth=1
	s_or_b64 exec, exec, s[28:29]
	s_and_saveexec_b64 s[0:1], s[26:27]
	s_cbranch_execz .LBB55_48
; %bb.47:                               ;   in Loop: Header=BB55_36 Depth=1
	v_mov_b32_e32 v41, v19
	s_waitcnt lgkmcnt(0)
	v_mov_b32_e32 v18, v42
.LBB55_48:                              ;   in Loop: Header=BB55_36 Depth=1
	s_or_b64 exec, exec, s[0:1]
	ds_bpermute_b32 v19, v36, v41
	s_waitcnt lgkmcnt(1)
	;; [unrolled: 26-line block ×3, first 2 shown]
	ds_bpermute_b32 v42, v37, v18
	s_waitcnt lgkmcnt(1)
	v_cmp_lt_f32_e64 s[26:27], v41, v19
	v_cmp_nlt_f32_e32 vcc, v41, v19
	s_and_saveexec_b64 s[28:29], vcc
	s_cbranch_execnz .LBB55_55
; %bb.53:                               ;   in Loop: Header=BB55_36 Depth=1
	s_or_b64 exec, exec, s[28:29]
	s_and_saveexec_b64 s[0:1], s[26:27]
	s_cbranch_execnz .LBB55_56
.LBB55_54:                              ;   in Loop: Header=BB55_36 Depth=1
	s_or_b64 exec, exec, s[0:1]
	s_and_saveexec_b64 s[26:27], s[6:7]
	s_cbranch_execz .LBB55_35
	s_branch .LBB55_57
.LBB55_55:                              ;   in Loop: Header=BB55_36 Depth=1
	v_cmp_eq_f32_e32 vcc, v41, v19
	s_waitcnt lgkmcnt(0)
	v_cmp_lt_i32_e64 s[0:1], v42, v18
	s_and_b64 s[0:1], vcc, s[0:1]
	s_andn2_b64 s[26:27], s[26:27], exec
	s_and_b64 s[0:1], s[0:1], exec
	s_or_b64 s[26:27], s[26:27], s[0:1]
	s_or_b64 exec, exec, s[28:29]
	s_and_saveexec_b64 s[0:1], s[26:27]
	s_cbranch_execz .LBB55_54
.LBB55_56:                              ;   in Loop: Header=BB55_36 Depth=1
	s_waitcnt lgkmcnt(0)
	v_mov_b32_e32 v18, v42
	v_mov_b32_e32 v41, v19
	s_or_b64 exec, exec, s[0:1]
	s_and_saveexec_b64 s[26:27], s[6:7]
	s_cbranch_execz .LBB55_35
.LBB55_57:                              ;   in Loop: Header=BB55_36 Depth=1
	s_and_b64 vcc, exec, s[2:3]
	s_cbranch_vccnz .LBB55_34
; %bb.58:                               ;   in Loop: Header=BB55_36 Depth=1
	v_ashrrev_i32_e32 v19, 31, v18
	s_waitcnt lgkmcnt(0)
	v_lshl_add_u64 v[42:43], v[18:19], 2, s[10:11]
	global_load_dword v19, v[42:43], off
	s_waitcnt vmcnt(0)
	v_sub_f32_e32 v41, v41, v19
	s_branch .LBB55_34
.LBB55_59:
	v_mov_b32_e32 v24, 0
.LBB55_60:
	v_cmp_eq_u32_e32 vcc, 0, v16
	s_and_b64 exec, exec, vcc
	s_cbranch_execz .LBB55_73
; %bb.61:
	s_andn2_b64 vcc, exec, s[4:5]
	v_cvt_f32_f64_e32 v0, s[8:9]
	s_cbranch_vccnz .LBB55_63
; %bb.62:
	v_cmp_lt_f32_e32 vcc, 0, v24
	s_nop 1
	v_cndmask_b32_e32 v1, 1.0, v24, vcc
	v_div_scale_f32 v2, s[0:1], v1, v1, v0
	v_rcp_f32_e32 v3, v2
	s_nop 0
	v_fma_f32 v4, -v2, v3, 1.0
	v_fmac_f32_e32 v3, v4, v3
	v_div_scale_f32 v4, vcc, v0, v1, v0
	v_mul_f32_e32 v5, v4, v3
	v_fma_f32 v6, -v2, v5, v4
	v_fmac_f32_e32 v5, v6, v3
	v_fma_f32 v2, -v2, v5, v4
	v_div_fmas_f32 v2, v2, v3, v5
	v_div_fixup_f32 v0, v2, v1, v0
.LBB55_63:
	s_andn2_b64 vcc, exec, s[24:25]
	s_cbranch_vccnz .LBB55_73
; %bb.64:
	v_mul_lo_u32 v2, v14, s12
	s_cmp_gt_u32 s12, 3
	v_ashrrev_i32_e32 v3, 31, v2
	s_cbranch_scc0 .LBB55_68
; %bb.65:
	s_and_b32 s0, s12, 0x7ffffffc
	v_lshl_add_u64 v[4:5], v[2:3], 2, s[20:21]
	v_mov_b32_e32 v1, v0
	v_lshl_add_u64 v[4:5], v[4:5], 0, 8
	s_mov_b32 s1, s0
.LBB55_66:                              ; =>This Inner Loop Header: Depth=1
	global_load_dwordx4 v[6:9], v[4:5], off offset:-8
	s_add_i32 s1, s1, -4
	s_cmp_lg_u32 s1, 0
	s_waitcnt vmcnt(0)
	v_pk_mul_f32 v[6:7], v[0:1], v[6:7]
	v_pk_mul_f32 v[8:9], v[0:1], v[8:9]
	global_store_dwordx4 v[4:5], v[6:9], off offset:-8
	v_lshl_add_u64 v[4:5], v[4:5], 0, 16
	s_cbranch_scc1 .LBB55_66
; %bb.67:
	s_cmp_lg_u32 s0, s12
	s_cselect_b64 s[2:3], -1, 0
	s_branch .LBB55_70
.LBB55_68:
	s_mov_b64 s[2:3], 0
                                        ; implicit-def: $sgpr0
	s_cbranch_execz .LBB55_70
; %bb.69:
	s_mov_b64 s[2:3], -1
	s_mov_b32 s0, 0
.LBB55_70:
	s_andn2_b64 vcc, exec, s[2:3]
	s_cbranch_vccnz .LBB55_73
; %bb.71:
	s_mov_b32 s1, 0
	v_lshl_add_u64 v[2:3], v[2:3], 0, s[0:1]
	s_sub_i32 s2, s12, s0
	v_lshl_add_u64 v[2:3], v[2:3], 2, s[20:21]
.LBB55_72:                              ; =>This Inner Loop Header: Depth=1
	global_load_dword v1, v[2:3], off
	s_add_i32 s2, s2, -1
	s_cmp_lg_u32 s2, 0
	s_waitcnt vmcnt(0)
	v_mul_f32_e32 v1, v0, v1
	global_store_dword v[2:3], v1, off
	v_lshl_add_u64 v[2:3], v[2:3], 0, 4
	s_cbranch_scc1 .LBB55_72
.LBB55_73:
	s_endpgm
	.section	.rodata,"a",@progbits
	.p2align	6, 0x0
	.amdhsa_kernel _ZN4vllm3moe22topkGatingSoftplusSqrtILi14ELi448ELi4ELi4ELi32ELb0EifEEvPKT6_PKbPfiPT5_PiiiibdPKfPKS8_SE_
		.amdhsa_group_segment_fixed_size 0
		.amdhsa_private_segment_fixed_size 0
		.amdhsa_kernarg_size 96
		.amdhsa_user_sgpr_count 2
		.amdhsa_user_sgpr_dispatch_ptr 0
		.amdhsa_user_sgpr_queue_ptr 0
		.amdhsa_user_sgpr_kernarg_segment_ptr 1
		.amdhsa_user_sgpr_dispatch_id 0
		.amdhsa_user_sgpr_kernarg_preload_length 0
		.amdhsa_user_sgpr_kernarg_preload_offset 0
		.amdhsa_user_sgpr_private_segment_size 0
		.amdhsa_uses_dynamic_stack 0
		.amdhsa_enable_private_segment 0
		.amdhsa_system_sgpr_workgroup_id_x 1
		.amdhsa_system_sgpr_workgroup_id_y 0
		.amdhsa_system_sgpr_workgroup_id_z 0
		.amdhsa_system_sgpr_workgroup_info 0
		.amdhsa_system_vgpr_workitem_id 1
		.amdhsa_next_free_vgpr 46
		.amdhsa_next_free_sgpr 32
		.amdhsa_accum_offset 48
		.amdhsa_reserve_vcc 1
		.amdhsa_float_round_mode_32 0
		.amdhsa_float_round_mode_16_64 0
		.amdhsa_float_denorm_mode_32 3
		.amdhsa_float_denorm_mode_16_64 3
		.amdhsa_dx10_clamp 1
		.amdhsa_ieee_mode 1
		.amdhsa_fp16_overflow 0
		.amdhsa_tg_split 0
		.amdhsa_exception_fp_ieee_invalid_op 0
		.amdhsa_exception_fp_denorm_src 0
		.amdhsa_exception_fp_ieee_div_zero 0
		.amdhsa_exception_fp_ieee_overflow 0
		.amdhsa_exception_fp_ieee_underflow 0
		.amdhsa_exception_fp_ieee_inexact 0
		.amdhsa_exception_int_div_zero 0
	.end_amdhsa_kernel
	.section	.text._ZN4vllm3moe22topkGatingSoftplusSqrtILi14ELi448ELi4ELi4ELi32ELb0EifEEvPKT6_PKbPfiPT5_PiiiibdPKfPKS8_SE_,"axG",@progbits,_ZN4vllm3moe22topkGatingSoftplusSqrtILi14ELi448ELi4ELi4ELi32ELb0EifEEvPKT6_PKbPfiPT5_PiiiibdPKfPKS8_SE_,comdat
.Lfunc_end55:
	.size	_ZN4vllm3moe22topkGatingSoftplusSqrtILi14ELi448ELi4ELi4ELi32ELb0EifEEvPKT6_PKbPfiPT5_PiiiibdPKfPKS8_SE_, .Lfunc_end55-_ZN4vllm3moe22topkGatingSoftplusSqrtILi14ELi448ELi4ELi4ELi32ELb0EifEEvPKT6_PKbPfiPT5_PiiiibdPKfPKS8_SE_
                                        ; -- End function
	.section	.AMDGPU.csdata,"",@progbits
; Kernel info:
; codeLenInByte = 6148
; NumSgprs: 38
; NumVgprs: 46
; NumAgprs: 0
; TotalNumVgprs: 46
; ScratchSize: 0
; MemoryBound: 0
; FloatMode: 240
; IeeeMode: 1
; LDSByteSize: 0 bytes/workgroup (compile time only)
; SGPRBlocks: 4
; VGPRBlocks: 5
; NumSGPRsForWavesPerEU: 38
; NumVGPRsForWavesPerEU: 46
; AccumOffset: 48
; Occupancy: 8
; WaveLimiterHint : 1
; COMPUTE_PGM_RSRC2:SCRATCH_EN: 0
; COMPUTE_PGM_RSRC2:USER_SGPR: 2
; COMPUTE_PGM_RSRC2:TRAP_HANDLER: 0
; COMPUTE_PGM_RSRC2:TGID_X_EN: 1
; COMPUTE_PGM_RSRC2:TGID_Y_EN: 0
; COMPUTE_PGM_RSRC2:TGID_Z_EN: 0
; COMPUTE_PGM_RSRC2:TIDIG_COMP_CNT: 1
; COMPUTE_PGM_RSRC3_GFX90A:ACCUM_OFFSET: 11
; COMPUTE_PGM_RSRC3_GFX90A:TG_SPLIT: 0
	.section	.text._ZN4vllm3moe22topkGatingSoftplusSqrtILi9ELi576ELi4ELi4ELi64ELb1EifEEvPKT6_PKbPfiPT5_PiiiibdPKfPKS8_SE_,"axG",@progbits,_ZN4vllm3moe22topkGatingSoftplusSqrtILi9ELi576ELi4ELi4ELi64ELb1EifEEvPKT6_PKbPfiPT5_PiiiibdPKfPKS8_SE_,comdat
	.protected	_ZN4vllm3moe22topkGatingSoftplusSqrtILi9ELi576ELi4ELi4ELi64ELb1EifEEvPKT6_PKbPfiPT5_PiiiibdPKfPKS8_SE_ ; -- Begin function _ZN4vllm3moe22topkGatingSoftplusSqrtILi9ELi576ELi4ELi4ELi64ELb1EifEEvPKT6_PKbPfiPT5_PiiiibdPKfPKS8_SE_
	.globl	_ZN4vllm3moe22topkGatingSoftplusSqrtILi9ELi576ELi4ELi4ELi64ELb1EifEEvPKT6_PKbPfiPT5_PiiiibdPKfPKS8_SE_
	.p2align	8
	.type	_ZN4vllm3moe22topkGatingSoftplusSqrtILi9ELi576ELi4ELi4ELi64ELb1EifEEvPKT6_PKbPfiPT5_PiiiibdPKfPKS8_SE_,@function
_ZN4vllm3moe22topkGatingSoftplusSqrtILi9ELi576ELi4ELi4ELi64ELb1EifEEvPKT6_PKbPfiPT5_PiiiibdPKfPKS8_SE_: ; @_ZN4vllm3moe22topkGatingSoftplusSqrtILi9ELi576ELi4ELi4ELi64ELb1EifEEvPKT6_PKbPfiPT5_PiiiibdPKfPKS8_SE_
; %bb.0:
	s_load_dword s3, s[0:1], 0x18
	v_and_b32_e32 v1, 0x3ff, v0
	s_lshl_b32 s2, s2, 2
	v_lshrrev_b32_e32 v2, 6, v1
	v_bfe_u32 v0, v0, 10, 10
	v_add3_u32 v10, s2, v0, v2
	s_waitcnt lgkmcnt(0)
	v_cmp_gt_i32_e32 vcc, s3, v10
	s_and_saveexec_b64 s[2:3], vcc
	s_cbranch_execz .LBB56_31
; %bb.1:
	s_load_dwordx2 s[2:3], s[0:1], 0x0
	s_load_dword s33, s[0:1], 0x30
	s_load_dwordx4 s[8:11], s[0:1], 0x50
	s_movk_i32 s4, 0x240
	v_mul_lo_u32 v2, v10, s4
	v_ashrrev_i32_e32 v3, 31, v2
	v_and_b32_e32 v20, 63, v1
	s_waitcnt lgkmcnt(0)
	v_lshl_add_u64 v[2:3], v[2:3], 2, s[2:3]
	v_lshlrev_b32_e32 v8, 2, v20
	v_mov_b32_e32 v9, 0
	v_lshl_add_u64 v[0:1], v[2:3], 0, v[8:9]
	global_load_dword v4, v[0:1], off
	global_load_dword v5, v[0:1], off offset:256
	global_load_dword v6, v[0:1], off offset:512
	;; [unrolled: 1-line block ×3, first 2 shown]
	v_mov_b32_e32 v2, s8
	v_mov_b32_e32 v3, s9
	v_ashrrev_i32_e32 v11, 31, v10
	v_lshl_add_u64 v[2:3], v[10:11], 2, v[2:3]
	global_load_dword v8, v[2:3], off
	global_load_dword v16, v[0:1], off offset:1024
	global_load_dword v17, v[0:1], off offset:1280
	;; [unrolled: 1-line block ×5, first 2 shown]
	s_mov_b32 s15, 0x800000
	v_mov_b32_e32 v11, 0x4f800000
	s_mov_b32 s14, 0x3f317217
	s_mov_b32 s16, 0x7f800000
	v_mov_b32_e32 v14, 0x41b17218
	s_mov_b32 s13, 0x41a00000
	s_mov_b32 s17, 0xf800000
	v_mov_b32_e32 v15, 0x260
	s_cmp_gt_i32 s33, 0
	s_mov_b32 s12, 0
	v_mul_lo_u32 v10, v10, s33
	s_waitcnt vmcnt(9)
	v_mul_f32_e32 v0, 0x3fb8aa3b, v4
	s_waitcnt vmcnt(8)
	v_mul_f32_e32 v1, 0x3fb8aa3b, v5
	v_exp_f32_e32 v0, v0
	v_exp_f32_e32 v1, v1
	s_waitcnt vmcnt(7)
	v_mul_f32_e32 v2, 0x3fb8aa3b, v6
	s_waitcnt vmcnt(6)
	v_mul_f32_e32 v3, 0x3fb8aa3b, v7
	v_exp_f32_e32 v2, v2
	v_pk_add_f32 v[0:1], v[0:1], 1.0 op_sel_hi:[1,0]
	v_exp_f32_e32 v3, v3
	v_cmp_gt_f32_e32 vcc, s15, v1
	s_waitcnt vmcnt(5)
	v_mul_lo_u32 v12, v8, s33
	v_cmp_gt_f32_e64 s[2:3], s15, v0
	v_cndmask_b32_e32 v8, 1.0, v11, vcc
	v_mul_f32_e32 v1, v1, v8
	v_cndmask_b32_e64 v22, 1.0, v11, s[2:3]
	v_mul_f32_e32 v0, v0, v22
	v_log_f32_e32 v1, v1
	v_pk_add_f32 v[2:3], v[2:3], 1.0 op_sel_hi:[1,0]
	v_log_f32_e32 v0, v0
	v_cmp_gt_f32_e64 s[4:5], s15, v3
	v_cmp_gt_f32_e64 s[6:7], s15, v2
	v_cndmask_b32_e32 v8, 0, v14, vcc
	v_cndmask_b32_e64 v23, 1.0, v11, s[4:5]
	v_cndmask_b32_e64 v24, 1.0, v11, s[6:7]
	v_mul_f32_e32 v3, v3, v23
	v_mul_f32_e32 v23, 0x3f317217, v1
	;; [unrolled: 1-line block ×4, first 2 shown]
	v_fma_f32 v23, v1, s14, -v23
	v_fma_f32 v24, v0, s14, -v24
	v_fmac_f32_e32 v23, 0x3377d1cf, v1
	v_fmac_f32_e32 v24, 0x3377d1cf, v0
	;; [unrolled: 1-line block ×3, first 2 shown]
	v_cmp_lt_f32_e64 vcc, |v1|, s16
	v_fmac_f32_e32 v24, 0x3f317217, v0
	v_cndmask_b32_e64 v22, 0, v14, s[2:3]
	v_cndmask_b32_e32 v1, v1, v23, vcc
	v_cmp_lt_f32_e64 vcc, |v0|, s16
	v_sub_f32_e32 v1, v1, v8
	v_log_f32_e32 v3, v3
	v_cndmask_b32_e32 v0, v0, v24, vcc
	v_sub_f32_e32 v0, v0, v22
	v_cmp_lt_f32_e32 vcc, s13, v4
	v_mul_f32_e32 v25, 0x3f317217, v3
	v_log_f32_e32 v2, v2
	v_cndmask_b32_e32 v0, v0, v4, vcc
	v_cmp_lt_f32_e32 vcc, s13, v5
	v_cmp_gt_f32_e64 s[2:3], s17, v0
	v_fma_f32 v25, v3, s14, -v25
	v_cndmask_b32_e32 v1, v1, v5, vcc
	v_mul_f32_e32 v4, 0x4f800000, v1
	v_cmp_gt_f32_e32 vcc, s17, v1
	v_mul_f32_e32 v5, 0x4f800000, v0
	v_cndmask_b32_e64 v0, v0, v5, s[2:3]
	v_cndmask_b32_e32 v1, v1, v4, vcc
	v_sqrt_f32_e32 v4, v1
	v_sqrt_f32_e32 v5, v0
	v_fmac_f32_e32 v25, 0x3377d1cf, v3
	v_fmac_f32_e32 v25, 0x3f317217, v3
	v_add_u32_e32 v8, -1, v4
	v_add_u32_e32 v23, -1, v5
	v_fma_f32 v26, -v8, v4, v1
	v_add_u32_e32 v22, 1, v4
	v_fma_f32 v28, -v23, v5, v0
	v_cmp_ge_f32_e64 s[8:9], 0, v26
	v_add_u32_e32 v24, 1, v5
	v_fma_f32 v27, -v22, v4, v1
	v_cndmask_b32_e64 v4, v4, v8, s[8:9]
	v_cmp_ge_f32_e64 s[8:9], 0, v28
	v_fma_f32 v29, -v24, v5, v0
	v_ashrrev_i32_e32 v13, 31, v12
	v_cndmask_b32_e64 v5, v5, v23, s[8:9]
	v_cmp_lt_f32_e64 s[8:9], 0, v27
	v_lshl_add_u64 v[12:13], v[12:13], 2, s[10:11]
	s_nop 0
	v_cndmask_b32_e64 v4, v4, v22, s[8:9]
	v_cmp_lt_f32_e64 s[8:9], 0, v29
	v_mul_f32_e32 v8, 0x37800000, v4
	v_cndmask_b32_e32 v4, v4, v8, vcc
	v_cndmask_b32_e64 v5, v5, v24, s[8:9]
	v_mul_f32_e32 v22, 0x37800000, v5
	v_cmp_class_f32_e32 vcc, v1, v15
	v_cndmask_b32_e64 v5, v5, v22, s[2:3]
	v_cmp_lt_f32_e64 s[2:3], s13, v6
	v_cndmask_b32_e32 v1, v4, v1, vcc
	v_cmp_class_f32_e32 vcc, v0, v15
	v_cndmask_b32_e64 v4, 0, v14, s[4:5]
	s_nop 0
	v_cndmask_b32_e32 v0, v5, v0, vcc
	v_cmp_lt_f32_e64 vcc, |v3|, s16
	s_nop 1
	v_cndmask_b32_e32 v3, v3, v25, vcc
	v_sub_f32_e32 v3, v3, v4
	v_mul_f32_e32 v4, 0x3f317217, v2
	v_fma_f32 v4, v2, s14, -v4
	v_fmac_f32_e32 v4, 0x3377d1cf, v2
	v_fmac_f32_e32 v4, 0x3f317217, v2
	v_cmp_lt_f32_e64 vcc, |v2|, s16
	s_nop 1
	v_cndmask_b32_e32 v2, v2, v4, vcc
	v_cmp_lt_f32_e32 vcc, s13, v7
	v_cndmask_b32_e64 v4, 0, v14, s[6:7]
	v_sub_f32_e32 v2, v2, v4
	v_cndmask_b32_e32 v3, v3, v7, vcc
	v_mul_f32_e32 v5, 0x4f800000, v3
	v_cmp_gt_f32_e32 vcc, s17, v3
	v_cndmask_b32_e64 v2, v2, v6, s[2:3]
	s_nop 0
	v_cndmask_b32_e32 v3, v3, v5, vcc
	v_sqrt_f32_e32 v5, v3
	s_nop 0
	v_add_u32_e32 v4, -1, v5
	v_fma_f32 v6, -v4, v5, v3
	v_cmp_ge_f32_e64 s[2:3], 0, v6
	v_add_u32_e32 v6, 1, v5
	s_nop 0
	v_cndmask_b32_e64 v4, v5, v4, s[2:3]
	v_fma_f32 v5, -v6, v5, v3
	v_cmp_lt_f32_e64 s[2:3], 0, v5
	s_nop 1
	v_cndmask_b32_e64 v4, v4, v6, s[2:3]
	v_mul_f32_e32 v6, 0x4f800000, v2
	v_cmp_gt_f32_e64 s[2:3], s17, v2
	v_mul_f32_e32 v5, 0x37800000, v4
	v_cndmask_b32_e32 v4, v4, v5, vcc
	v_cndmask_b32_e64 v2, v2, v6, s[2:3]
	v_sqrt_f32_e32 v6, v2
	v_cmp_class_f32_e32 vcc, v3, v15
	v_add_u32_e32 v8, 1, v6
	s_nop 0
	v_cndmask_b32_e32 v3, v4, v3, vcc
	v_add_u32_e32 v4, -1, v6
	v_fma_f32 v5, -v4, v6, v2
	v_cmp_ge_f32_e32 vcc, 0, v5
	s_waitcnt vmcnt(3)
	v_mul_f32_e32 v5, 0x3fb8aa3b, v17
	v_exp_f32_e32 v5, v5
	v_cndmask_b32_e32 v7, v6, v4, vcc
	v_mul_f32_e32 v4, 0x3fb8aa3b, v16
	v_exp_f32_e32 v4, v4
	v_fma_f32 v6, -v8, v6, v2
	v_cmp_lt_f32_e32 vcc, 0, v6
	v_pk_add_f32 v[4:5], v[4:5], 1.0 op_sel_hi:[1,0]
	s_nop 0
	v_cndmask_b32_e32 v6, v7, v8, vcc
	v_cmp_gt_f32_e32 vcc, s15, v5
	v_mul_f32_e32 v7, 0x37800000, v6
	v_cndmask_b32_e64 v6, v6, v7, s[2:3]
	v_cndmask_b32_e32 v8, 1.0, v11, vcc
	v_mul_f32_e32 v5, v5, v8
	v_log_f32_e32 v5, v5
	v_cmp_class_f32_e64 s[2:3], v2, v15
	v_cmp_lt_f32_e64 s[4:5], |v5|, s16
	s_nop 0
	v_cndmask_b32_e64 v2, v6, v2, s[2:3]
	v_cmp_gt_f32_e64 s[2:3], s15, v4
	v_mul_f32_e32 v6, 0x3f317217, v5
	v_fma_f32 v6, v5, s14, -v6
	v_cndmask_b32_e64 v7, 1.0, v11, s[2:3]
	v_mul_f32_e32 v4, v4, v7
	v_log_f32_e32 v4, v4
	v_fmac_f32_e32 v6, 0x3377d1cf, v5
	v_fmac_f32_e32 v6, 0x3f317217, v5
	v_cndmask_b32_e64 v5, v5, v6, s[4:5]
	v_cndmask_b32_e32 v6, 0, v14, vcc
	v_sub_f32_e32 v5, v5, v6
	v_mul_f32_e32 v6, 0x3f317217, v4
	v_fma_f32 v6, v4, s14, -v6
	v_fmac_f32_e32 v6, 0x3377d1cf, v4
	v_fmac_f32_e32 v6, 0x3f317217, v4
	v_cmp_lt_f32_e64 vcc, |v4|, s16
	s_nop 1
	v_cndmask_b32_e32 v4, v4, v6, vcc
	v_cmp_lt_f32_e32 vcc, s13, v17
	v_cndmask_b32_e64 v6, 0, v14, s[2:3]
	v_sub_f32_e32 v4, v4, v6
	v_cndmask_b32_e32 v5, v5, v17, vcc
	v_mul_f32_e32 v7, 0x4f800000, v5
	v_cmp_gt_f32_e32 vcc, s17, v5
	v_cmp_lt_f32_e64 s[2:3], s13, v16
	s_nop 0
	v_cndmask_b32_e32 v5, v5, v7, vcc
	v_sqrt_f32_e32 v7, v5
	v_cndmask_b32_e64 v4, v4, v16, s[2:3]
	v_add_u32_e32 v6, -1, v7
	v_fma_f32 v8, -v6, v7, v5
	v_cmp_ge_f32_e64 s[2:3], 0, v8
	v_add_u32_e32 v8, 1, v7
	s_nop 0
	v_cndmask_b32_e64 v6, v7, v6, s[2:3]
	v_fma_f32 v7, -v8, v7, v5
	v_cmp_lt_f32_e64 s[2:3], 0, v7
	s_nop 1
	v_cndmask_b32_e64 v6, v6, v8, s[2:3]
	v_mul_f32_e32 v8, 0x4f800000, v4
	v_cmp_gt_f32_e64 s[2:3], s17, v4
	v_mul_f32_e32 v7, 0x37800000, v6
	v_cndmask_b32_e32 v6, v6, v7, vcc
	v_cndmask_b32_e64 v4, v4, v8, s[2:3]
	v_sqrt_f32_e32 v8, v4
	v_cmp_class_f32_e32 vcc, v5, v15
	v_add_u32_e32 v17, 1, v8
	s_nop 0
	v_cndmask_b32_e32 v5, v6, v5, vcc
	v_add_u32_e32 v6, -1, v8
	v_fma_f32 v7, -v6, v8, v4
	v_cmp_ge_f32_e32 vcc, 0, v7
	s_waitcnt vmcnt(1)
	v_mul_f32_e32 v7, 0x3fb8aa3b, v19
	v_exp_f32_e32 v7, v7
	v_cndmask_b32_e32 v16, v8, v6, vcc
	v_mul_f32_e32 v6, 0x3fb8aa3b, v18
	v_exp_f32_e32 v6, v6
	v_fma_f32 v8, -v17, v8, v4
	v_cmp_lt_f32_e32 vcc, 0, v8
	v_pk_add_f32 v[6:7], v[6:7], 1.0 op_sel_hi:[1,0]
	s_nop 0
	v_cndmask_b32_e32 v8, v16, v17, vcc
	v_cmp_gt_f32_e32 vcc, s15, v7
	v_mul_f32_e32 v16, 0x37800000, v8
	v_cndmask_b32_e64 v8, v8, v16, s[2:3]
	v_cndmask_b32_e32 v17, 1.0, v11, vcc
	v_mul_f32_e32 v7, v7, v17
	v_log_f32_e32 v7, v7
	v_cmp_class_f32_e64 s[2:3], v4, v15
	v_cmp_lt_f32_e64 s[4:5], |v7|, s16
	s_nop 0
	v_cndmask_b32_e64 v4, v8, v4, s[2:3]
	v_cmp_gt_f32_e64 s[2:3], s15, v6
	v_mul_f32_e32 v8, 0x3f317217, v7
	v_fma_f32 v8, v7, s14, -v8
	v_cndmask_b32_e64 v16, 1.0, v11, s[2:3]
	v_mul_f32_e32 v6, v6, v16
	v_log_f32_e32 v6, v6
	v_fmac_f32_e32 v8, 0x3377d1cf, v7
	v_fmac_f32_e32 v8, 0x3f317217, v7
	v_cndmask_b32_e64 v7, v7, v8, s[4:5]
	v_cndmask_b32_e32 v8, 0, v14, vcc
	v_sub_f32_e32 v7, v7, v8
	v_mul_f32_e32 v8, 0x3f317217, v6
	v_fma_f32 v8, v6, s14, -v8
	v_fmac_f32_e32 v8, 0x3377d1cf, v6
	v_fmac_f32_e32 v8, 0x3f317217, v6
	v_cmp_lt_f32_e64 vcc, |v6|, s16
	s_nop 1
	v_cndmask_b32_e32 v6, v6, v8, vcc
	v_cmp_lt_f32_e32 vcc, s13, v19
	v_cndmask_b32_e64 v8, 0, v14, s[2:3]
	v_sub_f32_e32 v6, v6, v8
	v_cndmask_b32_e32 v7, v7, v19, vcc
	v_mul_f32_e32 v16, 0x4f800000, v7
	v_cmp_gt_f32_e32 vcc, s17, v7
	v_cmp_lt_f32_e64 s[2:3], s13, v18
	s_nop 0
	v_cndmask_b32_e32 v7, v7, v16, vcc
	v_sqrt_f32_e32 v16, v7
	v_cndmask_b32_e64 v6, v6, v18, s[2:3]
	s_waitcnt vmcnt(0)
	v_mul_f32_e32 v18, 0x3fb8aa3b, v21
	v_exp_f32_e32 v18, v18
	v_add_u32_e32 v8, -1, v16
	v_fma_f32 v17, -v8, v16, v7
	v_cmp_ge_f32_e64 s[2:3], 0, v17
	v_add_u32_e32 v17, 1, v16
	v_add_f32_e32 v18, 1.0, v18
	v_cndmask_b32_e64 v8, v16, v8, s[2:3]
	v_fma_f32 v16, -v17, v16, v7
	v_cmp_lt_f32_e64 s[2:3], 0, v16
	s_nop 1
	v_cndmask_b32_e64 v8, v8, v17, s[2:3]
	v_mul_f32_e32 v17, 0x4f800000, v6
	v_cmp_gt_f32_e64 s[2:3], s17, v6
	v_mul_f32_e32 v16, 0x37800000, v8
	v_cndmask_b32_e32 v8, v8, v16, vcc
	v_cndmask_b32_e64 v6, v6, v17, s[2:3]
	v_sqrt_f32_e32 v17, v6
	v_cmp_class_f32_e32 vcc, v7, v15
	s_nop 1
	v_cndmask_b32_e32 v7, v8, v7, vcc
	v_add_u32_e32 v8, -1, v17
	v_fma_f32 v16, -v8, v17, v6
	v_cmp_ge_f32_e32 vcc, 0, v16
	v_add_u32_e32 v16, 1, v17
	s_nop 0
	v_cndmask_b32_e32 v8, v17, v8, vcc
	v_cmp_gt_f32_e32 vcc, s15, v18
	v_fma_f32 v17, -v16, v17, v6
	v_cmp_lt_f32_e64 s[4:5], 0, v17
	v_cndmask_b32_e32 v11, 1.0, v11, vcc
	v_mul_f32_e32 v11, v18, v11
	v_log_f32_e32 v11, v11
	v_cndmask_b32_e64 v8, v8, v16, s[4:5]
	v_cndmask_b32_e32 v14, 0, v14, vcc
	v_cmp_lt_f32_e32 vcc, s13, v21
	v_mul_f32_e32 v17, 0x3f317217, v11
	v_fma_f32 v17, v11, s14, -v17
	v_fmac_f32_e32 v17, 0x3377d1cf, v11
	v_fmac_f32_e32 v17, 0x3f317217, v11
	v_cmp_lt_f32_e64 s[4:5], |v11|, s16
	v_mul_f32_e32 v16, 0x37800000, v8
	v_cndmask_b32_e64 v8, v8, v16, s[2:3]
	v_cndmask_b32_e64 v11, v11, v17, s[4:5]
	v_sub_f32_e32 v11, v11, v14
	v_cndmask_b32_e32 v11, v11, v21, vcc
	v_mul_f32_e32 v14, 0x4f800000, v11
	v_cmp_gt_f32_e32 vcc, s17, v11
	v_cmp_class_f32_e64 s[2:3], v6, v15
	s_cselect_b64 s[4:5], -1, 0
	v_cndmask_b32_e32 v11, v11, v14, vcc
	v_sqrt_f32_e32 v14, v11
	v_cndmask_b32_e64 v6, v8, v6, s[2:3]
	s_cmp_lt_i32 s33, 1
	v_add_u32_e32 v8, -1, v14
	v_fma_f32 v16, -v8, v14, v11
	v_cmp_ge_f32_e64 s[2:3], 0, v16
	v_add_u32_e32 v16, 1, v14
	s_nop 0
	v_cndmask_b32_e64 v8, v14, v8, s[2:3]
	v_fma_f32 v14, -v16, v14, v11
	v_cmp_lt_f32_e64 s[2:3], 0, v14
	s_nop 1
	v_cndmask_b32_e64 v8, v8, v16, s[2:3]
	v_mul_f32_e32 v14, 0x37800000, v8
	v_cndmask_b32_e32 v8, v8, v14, vcc
	v_cmp_class_f32_e32 vcc, v11, v15
	s_nop 1
	v_cndmask_b32_e32 v8, v8, v11, vcc
	s_cbranch_scc1 .LBB56_28
; %bb.2:
	s_load_dwordx2 s[6:7], s[0:1], 0x20
	s_cmp_lt_u32 s33, 4
	s_cbranch_scc1 .LBB56_21
; %bb.3:
	s_mov_b32 s9, 0
	s_and_b32 s12, s33, 0x7ffffffc
	v_ashrrev_i32_e32 v11, 31, v10
	v_mov_b32_e32 v9, 0
	s_mov_b32 s8, s9
	s_branch .LBB56_5
.LBB56_4:                               ;   in Loop: Header=BB56_5 Depth=1
	s_or_b64 exec, exec, s[10:11]
	s_add_i32 s8, s8, 4
	s_cmp_eq_u32 s8, s12
	s_cbranch_scc1 .LBB56_21
.LBB56_5:                               ; =>This Loop Header: Depth=1
                                        ;     Child Loop BB56_7 Depth 2
                                        ;     Child Loop BB56_11 Depth 2
	;; [unrolled: 1-line block ×4, first 2 shown]
	v_lshl_add_u64 v[14:15], s[8:9], 2, v[12:13]
	global_load_dword v18, v[14:15], off
	v_add_u32_e32 v16, s8, v10
	v_ashrrev_i32_e32 v17, 31, v16
	s_waitcnt lgkmcnt(0)
	v_lshl_add_u64 v[16:17], v[16:17], 2, s[6:7]
	s_mov_b64 s[10:11], 0
	v_mov_b32_e32 v19, v20
	s_mov_b64 s[14:15], 0
	s_waitcnt vmcnt(0)
	s_branch .LBB56_7
.LBB56_6:                               ;   in Loop: Header=BB56_7 Depth=2
	s_or_b64 exec, exec, s[16:17]
	s_cmp_gt_u32 s14, 7
	s_cselect_b64 s[2:3], -1, 0
	s_xor_b64 s[16:17], vcc, -1
	s_or_b64 s[2:3], s[16:17], s[2:3]
	s_add_u32 s14, s14, 1
	s_addc_u32 s15, s15, 0
	s_and_b64 s[2:3], exec, s[2:3]
	s_or_b64 s[10:11], s[2:3], s[10:11]
	v_add_u32_e32 v19, 64, v19
	s_andn2_b64 exec, exec, s[10:11]
	s_cbranch_execz .LBB56_9
.LBB56_7:                               ;   Parent Loop BB56_5 Depth=1
                                        ; =>  This Inner Loop Header: Depth=2
	v_cmp_ne_u32_e32 vcc, v18, v19
	v_cmp_eq_u32_e64 s[2:3], v18, v19
	s_and_saveexec_b64 s[16:17], s[2:3]
	s_cbranch_execz .LBB56_6
; %bb.8:                                ;   in Loop: Header=BB56_7 Depth=2
	s_set_gpr_idx_on s14, gpr_idx(SRC0)
	v_mov_b32_e32 v21, v0
	s_set_gpr_idx_off
	v_add_f32_e32 v9, v9, v21
	global_store_dword v[16:17], v18, off
	s_branch .LBB56_6
.LBB56_9:                               ;   in Loop: Header=BB56_5 Depth=1
	s_or_b64 exec, exec, s[10:11]
	global_load_dword v18, v[14:15], off offset:4
	s_ashr_i32 s3, s8, 31
	s_mov_b32 s2, s8
	v_lshl_add_u64 v[16:17], s[2:3], 0, v[10:11]
	v_lshl_add_u64 v[16:17], v[16:17], 2, s[6:7]
	s_mov_b64 s[10:11], 0
	v_mov_b32_e32 v19, v20
	s_mov_b64 s[14:15], 0
	s_waitcnt vmcnt(0)
	s_branch .LBB56_11
.LBB56_10:                              ;   in Loop: Header=BB56_11 Depth=2
	s_or_b64 exec, exec, s[16:17]
	s_cmp_gt_u32 s14, 7
	s_cselect_b64 s[2:3], -1, 0
	s_xor_b64 s[16:17], vcc, -1
	s_or_b64 s[2:3], s[16:17], s[2:3]
	s_add_u32 s14, s14, 1
	s_addc_u32 s15, s15, 0
	s_and_b64 s[2:3], exec, s[2:3]
	s_or_b64 s[10:11], s[2:3], s[10:11]
	v_add_u32_e32 v19, 64, v19
	s_andn2_b64 exec, exec, s[10:11]
	s_cbranch_execz .LBB56_13
.LBB56_11:                              ;   Parent Loop BB56_5 Depth=1
                                        ; =>  This Inner Loop Header: Depth=2
	v_cmp_ne_u32_e32 vcc, v18, v19
	v_cmp_eq_u32_e64 s[2:3], v18, v19
	s_and_saveexec_b64 s[16:17], s[2:3]
	s_cbranch_execz .LBB56_10
; %bb.12:                               ;   in Loop: Header=BB56_11 Depth=2
	s_set_gpr_idx_on s14, gpr_idx(SRC0)
	v_mov_b32_e32 v21, v0
	s_set_gpr_idx_off
	v_add_f32_e32 v9, v9, v21
	global_store_dword v[16:17], v18, off offset:4
	s_branch .LBB56_10
.LBB56_13:                              ;   in Loop: Header=BB56_5 Depth=1
	s_or_b64 exec, exec, s[10:11]
	global_load_dword v18, v[14:15], off offset:8
	s_mov_b64 s[10:11], 0
	v_mov_b32_e32 v19, v20
	s_mov_b64 s[14:15], 0
	s_waitcnt vmcnt(0)
	s_branch .LBB56_15
.LBB56_14:                              ;   in Loop: Header=BB56_15 Depth=2
	s_or_b64 exec, exec, s[16:17]
	s_cmp_gt_u32 s14, 7
	s_cselect_b64 s[2:3], -1, 0
	s_xor_b64 s[16:17], vcc, -1
	s_or_b64 s[2:3], s[16:17], s[2:3]
	s_add_u32 s14, s14, 1
	s_addc_u32 s15, s15, 0
	s_and_b64 s[2:3], exec, s[2:3]
	s_or_b64 s[10:11], s[2:3], s[10:11]
	v_add_u32_e32 v19, 64, v19
	s_andn2_b64 exec, exec, s[10:11]
	s_cbranch_execz .LBB56_17
.LBB56_15:                              ;   Parent Loop BB56_5 Depth=1
                                        ; =>  This Inner Loop Header: Depth=2
	v_cmp_ne_u32_e32 vcc, v18, v19
	v_cmp_eq_u32_e64 s[2:3], v18, v19
	s_and_saveexec_b64 s[16:17], s[2:3]
	s_cbranch_execz .LBB56_14
; %bb.16:                               ;   in Loop: Header=BB56_15 Depth=2
	s_set_gpr_idx_on s14, gpr_idx(SRC0)
	v_mov_b32_e32 v21, v0
	s_set_gpr_idx_off
	v_add_f32_e32 v9, v9, v21
	global_store_dword v[16:17], v18, off offset:8
	s_branch .LBB56_14
.LBB56_17:                              ;   in Loop: Header=BB56_5 Depth=1
	s_or_b64 exec, exec, s[10:11]
	global_load_dword v14, v[14:15], off offset:12
	s_mov_b64 s[10:11], 0
	v_mov_b32_e32 v15, v20
	s_mov_b64 s[14:15], 0
	s_waitcnt vmcnt(0)
	s_branch .LBB56_19
.LBB56_18:                              ;   in Loop: Header=BB56_19 Depth=2
	s_or_b64 exec, exec, s[16:17]
	s_cmp_gt_u32 s14, 7
	s_cselect_b64 s[2:3], -1, 0
	s_xor_b64 s[16:17], vcc, -1
	s_or_b64 s[2:3], s[16:17], s[2:3]
	s_add_u32 s14, s14, 1
	s_addc_u32 s15, s15, 0
	s_and_b64 s[2:3], exec, s[2:3]
	s_or_b64 s[10:11], s[2:3], s[10:11]
	v_add_u32_e32 v15, 64, v15
	s_andn2_b64 exec, exec, s[10:11]
	s_cbranch_execz .LBB56_4
.LBB56_19:                              ;   Parent Loop BB56_5 Depth=1
                                        ; =>  This Inner Loop Header: Depth=2
	v_cmp_ne_u32_e32 vcc, v14, v15
	v_cmp_eq_u32_e64 s[2:3], v14, v15
	s_and_saveexec_b64 s[16:17], s[2:3]
	s_cbranch_execz .LBB56_18
; %bb.20:                               ;   in Loop: Header=BB56_19 Depth=2
	s_set_gpr_idx_on s14, gpr_idx(SRC0)
	v_mov_b32_e32 v18, v0
	s_set_gpr_idx_off
	v_add_f32_e32 v9, v9, v18
	global_store_dword v[16:17], v14, off offset:12
	s_branch .LBB56_18
.LBB56_21:
	s_and_b32 s16, s33, 3
	s_cmp_eq_u32 s16, 0
	s_mov_b32 s13, 0
	s_cbranch_scc1 .LBB56_28
; %bb.22:
	s_mov_b32 s17, s13
	s_branch .LBB56_24
.LBB56_23:                              ;   in Loop: Header=BB56_24 Depth=1
	s_or_b64 exec, exec, s[8:9]
	s_add_i32 s12, s12, 1
	s_add_i32 s17, s17, 1
	s_cmp_lg_u32 s17, s16
	s_cbranch_scc0 .LBB56_28
.LBB56_24:                              ; =>This Loop Header: Depth=1
                                        ;     Child Loop BB56_26 Depth 2
	v_lshl_add_u64 v[14:15], s[12:13], 2, v[12:13]
	global_load_dword v11, v[14:15], off
	v_add_u32_e32 v14, s12, v10
	v_ashrrev_i32_e32 v15, 31, v14
	s_waitcnt lgkmcnt(0)
	v_lshl_add_u64 v[14:15], v[14:15], 2, s[6:7]
	s_mov_b64 s[8:9], 0
	v_mov_b32_e32 v16, v20
	s_mov_b64 s[10:11], 0
	s_waitcnt vmcnt(0)
	s_branch .LBB56_26
.LBB56_25:                              ;   in Loop: Header=BB56_26 Depth=2
	s_or_b64 exec, exec, s[14:15]
	s_cmp_gt_u32 s10, 7
	s_cselect_b64 s[2:3], -1, 0
	s_xor_b64 s[14:15], vcc, -1
	s_or_b64 s[2:3], s[14:15], s[2:3]
	s_add_u32 s10, s10, 1
	s_addc_u32 s11, s11, 0
	s_and_b64 s[2:3], exec, s[2:3]
	s_or_b64 s[8:9], s[2:3], s[8:9]
	v_add_u32_e32 v16, 64, v16
	s_andn2_b64 exec, exec, s[8:9]
	s_cbranch_execz .LBB56_23
.LBB56_26:                              ;   Parent Loop BB56_24 Depth=1
                                        ; =>  This Inner Loop Header: Depth=2
	v_cmp_ne_u32_e32 vcc, v11, v16
	v_cmp_eq_u32_e64 s[2:3], v11, v16
	s_and_saveexec_b64 s[14:15], s[2:3]
	s_cbranch_execz .LBB56_25
; %bb.27:                               ;   in Loop: Header=BB56_26 Depth=2
	s_set_gpr_idx_on s10, gpr_idx(SRC0)
	v_mov_b32_e32 v17, v0
	s_set_gpr_idx_off
	v_add_f32_e32 v9, v9, v17
	global_store_dword v[14:15], v11, off
	s_branch .LBB56_25
.LBB56_28:
	s_waitcnt lgkmcnt(0)
	s_load_dword s6, s[0:1], 0x3c
	s_waitcnt lgkmcnt(0)
	s_bitcmp1_b32 s6, 0
	s_cselect_b64 s[2:3], -1, 0
	s_bitcmp0_b32 s6, 0
	s_cbranch_scc0 .LBB56_32
; %bb.29:
	s_load_dwordx2 s[6:7], s[0:1], 0x40
	s_andn2_b64 vcc, exec, s[2:3]
	s_waitcnt lgkmcnt(0)
	v_cvt_f32_f64_e32 v21, s[6:7]
	s_cbranch_vccz .LBB56_33
.LBB56_30:
	s_andn2_b64 vcc, exec, s[4:5]
	s_cbranch_vccz .LBB56_34
.LBB56_31:
	s_endpgm
.LBB56_32:
	v_mbcnt_lo_u32_b32 v11, -1, 0
	v_mbcnt_hi_u32_b32 v11, -1, v11
	v_and_b32_e32 v14, 64, v11
	v_add_u32_e32 v14, 64, v14
	v_xor_b32_e32 v15, 32, v11
	v_cmp_lt_i32_e32 vcc, v15, v14
	v_xor_b32_e32 v16, 16, v11
	s_nop 0
	v_cndmask_b32_e32 v15, v11, v15, vcc
	v_lshlrev_b32_e32 v15, 2, v15
	ds_bpermute_b32 v15, v15, v9
	v_cmp_lt_i32_e32 vcc, v16, v14
	s_waitcnt lgkmcnt(0)
	v_add_f32_e32 v9, v9, v15
	v_cndmask_b32_e32 v15, v11, v16, vcc
	v_lshlrev_b32_e32 v15, 2, v15
	ds_bpermute_b32 v15, v15, v9
	v_xor_b32_e32 v16, 8, v11
	v_cmp_lt_i32_e32 vcc, v16, v14
	s_waitcnt lgkmcnt(0)
	v_add_f32_e32 v9, v9, v15
	v_cndmask_b32_e32 v15, v11, v16, vcc
	v_lshlrev_b32_e32 v15, 2, v15
	ds_bpermute_b32 v15, v15, v9
	v_xor_b32_e32 v16, 4, v11
	;; [unrolled: 7-line block ×4, first 2 shown]
	v_cmp_lt_i32_e32 vcc, v16, v14
	s_waitcnt lgkmcnt(0)
	v_add_f32_e32 v9, v9, v15
	v_cndmask_b32_e32 v11, v11, v16, vcc
	v_lshlrev_b32_e32 v11, 2, v11
	ds_bpermute_b32 v11, v11, v9
	s_waitcnt lgkmcnt(0)
	v_add_f32_e32 v9, v9, v11
	s_load_dwordx2 s[6:7], s[0:1], 0x40
	s_andn2_b64 vcc, exec, s[2:3]
	s_waitcnt lgkmcnt(0)
	v_cvt_f32_f64_e32 v21, s[6:7]
	s_cbranch_vccnz .LBB56_30
.LBB56_33:
	v_cmp_lt_f32_e32 vcc, 0, v9
	s_nop 1
	v_cndmask_b32_e32 v9, 1.0, v9, vcc
	v_div_scale_f32 v11, s[2:3], v9, v9, v21
	v_rcp_f32_e32 v14, v11
	s_nop 0
	v_fma_f32 v15, -v11, v14, 1.0
	v_fmac_f32_e32 v14, v15, v14
	v_div_scale_f32 v15, vcc, v21, v9, v21
	v_mul_f32_e32 v16, v15, v14
	v_fma_f32 v17, -v11, v16, v15
	v_fmac_f32_e32 v16, v17, v14
	v_fma_f32 v11, -v11, v16, v15
	v_div_fmas_f32 v11, v11, v14, v16
	v_div_fixup_f32 v21, v11, v9, v21
	s_andn2_b64 vcc, exec, s[4:5]
	s_cbranch_vccnz .LBB56_31
.LBB56_34:
	s_load_dwordx2 s[14:15], s[0:1], 0x10
	v_or_b32_e32 v28, 64, v20
	v_or_b32_e32 v27, 0x80, v20
	;; [unrolled: 1-line block ×8, first 2 shown]
	s_cmp_eq_u32 s33, 1
	s_mov_b32 s16, 0
	s_cbranch_scc1 .LBB56_73
; %bb.35:
	v_ashrrev_i32_e32 v11, 31, v10
	s_waitcnt lgkmcnt(0)
	v_lshl_add_u64 v[14:15], v[10:11], 2, s[14:15]
	s_and_b32 s16, s33, 0x7ffffffe
	v_lshl_add_u64 v[14:15], v[14:15], 0, 4
	v_lshl_add_u64 v[16:17], v[12:13], 0, 4
	s_mov_b32 s17, 0
	s_branch .LBB56_37
.LBB56_36:                              ;   in Loop: Header=BB56_37 Depth=1
	s_or_b64 exec, exec, s[0:1]
	s_add_i32 s17, s17, 2
	v_lshl_add_u64 v[14:15], v[14:15], 0, 8
	s_cmp_lg_u32 s16, s17
	v_lshl_add_u64 v[16:17], v[16:17], 0, 8
	s_cbranch_scc0 .LBB56_73
.LBB56_37:                              ; =>This Inner Loop Header: Depth=1
	global_load_dword v11, v[16:17], off offset:-4
	v_mov_b64_e32 v[18:19], 0
	s_waitcnt vmcnt(0)
	v_cmp_eq_u32_e32 vcc, v11, v20
	v_cmp_ne_u32_e64 s[0:1], v11, v20
	s_and_saveexec_b64 s[18:19], s[0:1]
	s_cbranch_execz .LBB56_53
; %bb.38:                               ;   in Loop: Header=BB56_37 Depth=1
	v_cmp_eq_u32_e64 s[0:1], v11, v28
	v_cmp_ne_u32_e64 s[2:3], v11, v28
	v_mov_b64_e32 v[18:19], 1
	s_and_saveexec_b64 s[20:21], s[2:3]
	s_cbranch_execz .LBB56_52
; %bb.39:                               ;   in Loop: Header=BB56_37 Depth=1
	v_cmp_eq_u32_e64 s[2:3], v11, v27
	v_cmp_ne_u32_e64 s[4:5], v11, v27
	v_mov_b64_e32 v[18:19], 2
	;; [unrolled: 6-line block ×7, first 2 shown]
	s_and_saveexec_b64 s[36:37], s[12:13]
	s_xor_b64 s[36:37], exec, s[36:37]
; %bb.45:                               ;   in Loop: Header=BB56_37 Depth=1
	v_cmp_eq_u32_e64 s[12:13], v11, v9
	s_andn2_b64 s[34:35], s[34:35], exec
	s_and_b64 s[12:13], s[12:13], exec
	v_mov_b64_e32 v[18:19], 8
	s_or_b64 s[34:35], s[34:35], s[12:13]
; %bb.46:                               ;   in Loop: Header=BB56_37 Depth=1
	s_or_b64 exec, exec, s[36:37]
	s_andn2_b64 s[10:11], s[10:11], exec
	s_and_b64 s[12:13], s[34:35], exec
	s_or_b64 s[10:11], s[10:11], s[12:13]
.LBB56_47:                              ;   in Loop: Header=BB56_37 Depth=1
	s_or_b64 exec, exec, s[30:31]
	s_andn2_b64 s[8:9], s[8:9], exec
	s_and_b64 s[10:11], s[10:11], exec
	s_or_b64 s[8:9], s[8:9], s[10:11]
.LBB56_48:                              ;   in Loop: Header=BB56_37 Depth=1
	s_or_b64 exec, exec, s[28:29]
	s_andn2_b64 s[6:7], s[6:7], exec
	s_and_b64 s[8:9], s[8:9], exec
	s_or_b64 s[6:7], s[6:7], s[8:9]
.LBB56_49:                              ;   in Loop: Header=BB56_37 Depth=1
	s_or_b64 exec, exec, s[26:27]
	s_andn2_b64 s[4:5], s[4:5], exec
	s_and_b64 s[6:7], s[6:7], exec
	s_or_b64 s[4:5], s[4:5], s[6:7]
.LBB56_50:                              ;   in Loop: Header=BB56_37 Depth=1
	s_or_b64 exec, exec, s[24:25]
	s_andn2_b64 s[2:3], s[2:3], exec
	s_and_b64 s[4:5], s[4:5], exec
	s_or_b64 s[2:3], s[2:3], s[4:5]
.LBB56_51:                              ;   in Loop: Header=BB56_37 Depth=1
	s_or_b64 exec, exec, s[22:23]
	s_andn2_b64 s[0:1], s[0:1], exec
	s_and_b64 s[2:3], s[2:3], exec
	s_or_b64 s[0:1], s[0:1], s[2:3]
.LBB56_52:                              ;   in Loop: Header=BB56_37 Depth=1
	s_or_b64 exec, exec, s[20:21]
	s_andn2_b64 s[2:3], vcc, exec
	s_and_b64 s[0:1], s[0:1], exec
	s_or_b64 vcc, s[2:3], s[0:1]
.LBB56_53:                              ;   in Loop: Header=BB56_37 Depth=1
	s_or_b64 exec, exec, s[18:19]
	s_and_saveexec_b64 s[0:1], vcc
	s_cbranch_execz .LBB56_55
; %bb.54:                               ;   in Loop: Header=BB56_37 Depth=1
	v_cmp_eq_u32_e32 vcc, 1, v18
	v_add_u32_e32 v30, s17, v10
	v_ashrrev_i32_e32 v31, 31, v30
	v_cndmask_b32_e32 v11, v0, v1, vcc
	v_cmp_eq_u32_e32 vcc, 2, v18
	s_nop 1
	v_cndmask_b32_e32 v11, v11, v2, vcc
	v_cmp_eq_u32_e32 vcc, 3, v18
	s_nop 1
	;; [unrolled: 3-line block ×6, first 2 shown]
	v_cndmask_b32_e32 v11, v11, v7, vcc
	v_cmp_eq_u32_e32 vcc, 8, v18
	v_lshl_add_u64 v[18:19], v[30:31], 2, s[14:15]
	s_nop 0
	v_cndmask_b32_e32 v11, v11, v8, vcc
	v_mul_f32_e32 v11, v21, v11
	global_store_dword v[18:19], v11, off
.LBB56_55:                              ;   in Loop: Header=BB56_37 Depth=1
	s_or_b64 exec, exec, s[0:1]
	global_load_dword v11, v[16:17], off
	v_mov_b64_e32 v[18:19], 0
	s_waitcnt vmcnt(0)
	v_cmp_eq_u32_e64 s[10:11], v11, v20
	v_cmp_ne_u32_e32 vcc, v11, v20
	s_and_saveexec_b64 s[12:13], vcc
	s_cbranch_execz .LBB56_71
; %bb.56:                               ;   in Loop: Header=BB56_37 Depth=1
	v_cmp_eq_u32_e32 vcc, v11, v28
	v_cmp_ne_u32_e64 s[0:1], v11, v28
	v_mov_b64_e32 v[18:19], 1
	s_and_saveexec_b64 s[18:19], s[0:1]
	s_cbranch_execz .LBB56_70
; %bb.57:                               ;   in Loop: Header=BB56_37 Depth=1
	v_cmp_eq_u32_e64 s[0:1], v11, v27
	v_cmp_ne_u32_e64 s[2:3], v11, v27
	v_mov_b64_e32 v[18:19], 2
	s_and_saveexec_b64 s[20:21], s[2:3]
	s_cbranch_execz .LBB56_69
; %bb.58:                               ;   in Loop: Header=BB56_37 Depth=1
	v_cmp_eq_u32_e64 s[2:3], v11, v26
	;; [unrolled: 6-line block ×6, first 2 shown]
	v_cmp_ne_u32_e64 s[8:9], v11, v22
	v_mov_b64_e32 v[18:19], 7
	s_and_saveexec_b64 s[36:37], s[8:9]
; %bb.63:                               ;   in Loop: Header=BB56_37 Depth=1
	v_cmp_eq_u32_e64 s[8:9], v11, v9
	s_andn2_b64 s[34:35], s[34:35], exec
	s_and_b64 s[8:9], s[8:9], exec
	v_mov_b64_e32 v[18:19], 8
	s_or_b64 s[34:35], s[34:35], s[8:9]
; %bb.64:                               ;   in Loop: Header=BB56_37 Depth=1
	s_or_b64 exec, exec, s[36:37]
	s_andn2_b64 s[8:9], s[28:29], exec
	s_and_b64 s[28:29], s[34:35], exec
	s_or_b64 s[28:29], s[8:9], s[28:29]
.LBB56_65:                              ;   in Loop: Header=BB56_37 Depth=1
	s_or_b64 exec, exec, s[30:31]
	s_andn2_b64 s[6:7], s[6:7], exec
	s_and_b64 s[8:9], s[28:29], exec
	s_or_b64 s[6:7], s[6:7], s[8:9]
.LBB56_66:                              ;   in Loop: Header=BB56_37 Depth=1
	s_or_b64 exec, exec, s[26:27]
	s_andn2_b64 s[4:5], s[4:5], exec
	s_and_b64 s[6:7], s[6:7], exec
	s_or_b64 s[4:5], s[4:5], s[6:7]
.LBB56_67:                              ;   in Loop: Header=BB56_37 Depth=1
	s_or_b64 exec, exec, s[24:25]
	s_andn2_b64 s[2:3], s[2:3], exec
	s_and_b64 s[4:5], s[4:5], exec
	s_or_b64 s[2:3], s[2:3], s[4:5]
.LBB56_68:                              ;   in Loop: Header=BB56_37 Depth=1
	s_or_b64 exec, exec, s[22:23]
	s_andn2_b64 s[0:1], s[0:1], exec
	s_and_b64 s[2:3], s[2:3], exec
	s_or_b64 s[0:1], s[0:1], s[2:3]
.LBB56_69:                              ;   in Loop: Header=BB56_37 Depth=1
	s_or_b64 exec, exec, s[20:21]
	s_andn2_b64 s[2:3], vcc, exec
	s_and_b64 s[0:1], s[0:1], exec
	s_or_b64 vcc, s[2:3], s[0:1]
.LBB56_70:                              ;   in Loop: Header=BB56_37 Depth=1
	s_or_b64 exec, exec, s[18:19]
	s_andn2_b64 s[0:1], s[10:11], exec
	s_and_b64 s[2:3], vcc, exec
	s_or_b64 s[10:11], s[0:1], s[2:3]
.LBB56_71:                              ;   in Loop: Header=BB56_37 Depth=1
	s_or_b64 exec, exec, s[12:13]
	s_and_saveexec_b64 s[0:1], s[10:11]
	s_cbranch_execz .LBB56_36
; %bb.72:                               ;   in Loop: Header=BB56_37 Depth=1
	v_cmp_eq_u32_e32 vcc, 1, v18
	s_nop 1
	v_cndmask_b32_e32 v11, v0, v1, vcc
	v_cmp_eq_u32_e32 vcc, 2, v18
	s_nop 1
	v_cndmask_b32_e32 v11, v11, v2, vcc
	;; [unrolled: 3-line block ×8, first 2 shown]
	v_mul_f32_e32 v11, v21, v11
	global_store_dword v[14:15], v11, off
	s_branch .LBB56_36
.LBB56_73:
	s_bitcmp0_b32 s33, 0
	s_mov_b32 s17, 0
	s_cbranch_scc1 .LBB56_31
; %bb.74:
	v_lshl_add_u64 v[12:13], s[16:17], 2, v[12:13]
	global_load_dword v11, v[12:13], off
	v_mov_b64_e32 v[12:13], 0
	s_waitcnt vmcnt(0)
	v_cmp_eq_u32_e64 s[10:11], v11, v20
	v_cmp_ne_u32_e32 vcc, v11, v20
	s_and_saveexec_b64 s[12:13], vcc
	s_cbranch_execz .LBB56_90
; %bb.75:
	v_cmp_eq_u32_e32 vcc, v11, v28
	v_cmp_ne_u32_e64 s[0:1], v11, v28
	v_mov_b64_e32 v[12:13], 1
	s_and_saveexec_b64 s[18:19], s[0:1]
	s_cbranch_execz .LBB56_89
; %bb.76:
	v_cmp_eq_u32_e64 s[0:1], v11, v27
	v_cmp_ne_u32_e64 s[2:3], v11, v27
	v_mov_b64_e32 v[12:13], 2
	s_and_saveexec_b64 s[20:21], s[2:3]
	s_cbranch_execz .LBB56_88
; %bb.77:
	v_cmp_eq_u32_e64 s[2:3], v11, v26
	v_cmp_ne_u32_e64 s[4:5], v11, v26
	v_mov_b64_e32 v[12:13], 3
	s_and_saveexec_b64 s[22:23], s[4:5]
	s_cbranch_execz .LBB56_87
; %bb.78:
	v_cmp_eq_u32_e64 s[4:5], v11, v25
	v_cmp_ne_u32_e64 s[6:7], v11, v25
	v_mov_b64_e32 v[12:13], 4
	s_and_saveexec_b64 s[24:25], s[6:7]
	s_cbranch_execz .LBB56_86
; %bb.79:
	v_cmp_eq_u32_e64 s[6:7], v11, v24
	v_cmp_ne_u32_e64 s[8:9], v11, v24
	v_mov_b64_e32 v[12:13], 5
	s_and_saveexec_b64 s[26:27], s[8:9]
	s_cbranch_execz .LBB56_85
; %bb.80:
	v_cmp_eq_u32_e64 s[28:29], v11, v23
	v_cmp_ne_u32_e64 s[8:9], v11, v23
	v_mov_b64_e32 v[12:13], 6
	s_and_saveexec_b64 s[30:31], s[8:9]
	s_cbranch_execz .LBB56_84
; %bb.81:
	v_cmp_eq_u32_e64 s[34:35], v11, v22
	v_cmp_ne_u32_e64 s[8:9], v11, v22
	v_mov_b64_e32 v[12:13], 7
	s_and_saveexec_b64 s[36:37], s[8:9]
; %bb.82:
	v_cmp_eq_u32_e64 s[8:9], v11, v9
	s_andn2_b64 s[34:35], s[34:35], exec
	s_and_b64 s[8:9], s[8:9], exec
	v_mov_b64_e32 v[12:13], 8
	s_or_b64 s[34:35], s[34:35], s[8:9]
; %bb.83:
	s_or_b64 exec, exec, s[36:37]
	s_andn2_b64 s[8:9], s[28:29], exec
	s_and_b64 s[28:29], s[34:35], exec
	s_or_b64 s[28:29], s[8:9], s[28:29]
.LBB56_84:
	s_or_b64 exec, exec, s[30:31]
	s_andn2_b64 s[6:7], s[6:7], exec
	s_and_b64 s[8:9], s[28:29], exec
	s_or_b64 s[6:7], s[6:7], s[8:9]
.LBB56_85:
	s_or_b64 exec, exec, s[26:27]
	s_andn2_b64 s[4:5], s[4:5], exec
	s_and_b64 s[6:7], s[6:7], exec
	s_or_b64 s[4:5], s[4:5], s[6:7]
.LBB56_86:
	s_or_b64 exec, exec, s[24:25]
	s_andn2_b64 s[2:3], s[2:3], exec
	s_and_b64 s[4:5], s[4:5], exec
	s_or_b64 s[2:3], s[2:3], s[4:5]
.LBB56_87:
	s_or_b64 exec, exec, s[22:23]
	s_andn2_b64 s[0:1], s[0:1], exec
	s_and_b64 s[2:3], s[2:3], exec
	s_or_b64 s[0:1], s[0:1], s[2:3]
.LBB56_88:
	s_or_b64 exec, exec, s[20:21]
	s_andn2_b64 s[2:3], vcc, exec
	s_and_b64 s[0:1], s[0:1], exec
	s_or_b64 vcc, s[2:3], s[0:1]
.LBB56_89:
	s_or_b64 exec, exec, s[18:19]
	s_andn2_b64 s[0:1], s[10:11], exec
	s_and_b64 s[2:3], vcc, exec
	s_or_b64 s[10:11], s[0:1], s[2:3]
.LBB56_90:
	s_or_b64 exec, exec, s[12:13]
	s_and_b64 exec, exec, s[10:11]
	s_cbranch_execz .LBB56_31
; %bb.91:
	v_cmp_eq_u32_e32 vcc, 1, v12
	v_add_u32_e32 v10, s16, v10
	v_ashrrev_i32_e32 v11, 31, v10
	v_cndmask_b32_e32 v0, v0, v1, vcc
	v_cmp_eq_u32_e32 vcc, 2, v12
	s_nop 1
	v_cndmask_b32_e32 v0, v0, v2, vcc
	v_cmp_eq_u32_e32 vcc, 3, v12
	s_nop 1
	;; [unrolled: 3-line block ×7, first 2 shown]
	v_cndmask_b32_e32 v0, v0, v8, vcc
	v_mul_f32_e32 v2, v21, v0
	s_waitcnt lgkmcnt(0)
	v_lshl_add_u64 v[0:1], v[10:11], 2, s[14:15]
	global_store_dword v[0:1], v2, off
	s_endpgm
	.section	.rodata,"a",@progbits
	.p2align	6, 0x0
	.amdhsa_kernel _ZN4vllm3moe22topkGatingSoftplusSqrtILi9ELi576ELi4ELi4ELi64ELb1EifEEvPKT6_PKbPfiPT5_PiiiibdPKfPKS8_SE_
		.amdhsa_group_segment_fixed_size 0
		.amdhsa_private_segment_fixed_size 0
		.amdhsa_kernarg_size 96
		.amdhsa_user_sgpr_count 2
		.amdhsa_user_sgpr_dispatch_ptr 0
		.amdhsa_user_sgpr_queue_ptr 0
		.amdhsa_user_sgpr_kernarg_segment_ptr 1
		.amdhsa_user_sgpr_dispatch_id 0
		.amdhsa_user_sgpr_kernarg_preload_length 0
		.amdhsa_user_sgpr_kernarg_preload_offset 0
		.amdhsa_user_sgpr_private_segment_size 0
		.amdhsa_uses_dynamic_stack 0
		.amdhsa_enable_private_segment 0
		.amdhsa_system_sgpr_workgroup_id_x 1
		.amdhsa_system_sgpr_workgroup_id_y 0
		.amdhsa_system_sgpr_workgroup_id_z 0
		.amdhsa_system_sgpr_workgroup_info 0
		.amdhsa_system_vgpr_workitem_id 1
		.amdhsa_next_free_vgpr 32
		.amdhsa_next_free_sgpr 38
		.amdhsa_accum_offset 32
		.amdhsa_reserve_vcc 1
		.amdhsa_float_round_mode_32 0
		.amdhsa_float_round_mode_16_64 0
		.amdhsa_float_denorm_mode_32 3
		.amdhsa_float_denorm_mode_16_64 3
		.amdhsa_dx10_clamp 1
		.amdhsa_ieee_mode 1
		.amdhsa_fp16_overflow 0
		.amdhsa_tg_split 0
		.amdhsa_exception_fp_ieee_invalid_op 0
		.amdhsa_exception_fp_denorm_src 0
		.amdhsa_exception_fp_ieee_div_zero 0
		.amdhsa_exception_fp_ieee_overflow 0
		.amdhsa_exception_fp_ieee_underflow 0
		.amdhsa_exception_fp_ieee_inexact 0
		.amdhsa_exception_int_div_zero 0
	.end_amdhsa_kernel
	.section	.text._ZN4vllm3moe22topkGatingSoftplusSqrtILi9ELi576ELi4ELi4ELi64ELb1EifEEvPKT6_PKbPfiPT5_PiiiibdPKfPKS8_SE_,"axG",@progbits,_ZN4vllm3moe22topkGatingSoftplusSqrtILi9ELi576ELi4ELi4ELi64ELb1EifEEvPKT6_PKbPfiPT5_PiiiibdPKfPKS8_SE_,comdat
.Lfunc_end56:
	.size	_ZN4vllm3moe22topkGatingSoftplusSqrtILi9ELi576ELi4ELi4ELi64ELb1EifEEvPKT6_PKbPfiPT5_PiiiibdPKfPKS8_SE_, .Lfunc_end56-_ZN4vllm3moe22topkGatingSoftplusSqrtILi9ELi576ELi4ELi4ELi64ELb1EifEEvPKT6_PKbPfiPT5_PiiiibdPKfPKS8_SE_
                                        ; -- End function
	.section	.AMDGPU.csdata,"",@progbits
; Kernel info:
; codeLenInByte = 5188
; NumSgprs: 44
; NumVgprs: 32
; NumAgprs: 0
; TotalNumVgprs: 32
; ScratchSize: 0
; MemoryBound: 0
; FloatMode: 240
; IeeeMode: 1
; LDSByteSize: 0 bytes/workgroup (compile time only)
; SGPRBlocks: 5
; VGPRBlocks: 3
; NumSGPRsForWavesPerEU: 44
; NumVGPRsForWavesPerEU: 32
; AccumOffset: 32
; Occupancy: 8
; WaveLimiterHint : 1
; COMPUTE_PGM_RSRC2:SCRATCH_EN: 0
; COMPUTE_PGM_RSRC2:USER_SGPR: 2
; COMPUTE_PGM_RSRC2:TRAP_HANDLER: 0
; COMPUTE_PGM_RSRC2:TGID_X_EN: 1
; COMPUTE_PGM_RSRC2:TGID_Y_EN: 0
; COMPUTE_PGM_RSRC2:TGID_Z_EN: 0
; COMPUTE_PGM_RSRC2:TIDIG_COMP_CNT: 1
; COMPUTE_PGM_RSRC3_GFX90A:ACCUM_OFFSET: 7
; COMPUTE_PGM_RSRC3_GFX90A:TG_SPLIT: 0
	.section	.text._ZN4vllm3moe22topkGatingSoftplusSqrtILi9ELi576ELi4ELi4ELi64ELb0EifEEvPKT6_PKbPfiPT5_PiiiibdPKfPKS8_SE_,"axG",@progbits,_ZN4vllm3moe22topkGatingSoftplusSqrtILi9ELi576ELi4ELi4ELi64ELb0EifEEvPKT6_PKbPfiPT5_PiiiibdPKfPKS8_SE_,comdat
	.protected	_ZN4vllm3moe22topkGatingSoftplusSqrtILi9ELi576ELi4ELi4ELi64ELb0EifEEvPKT6_PKbPfiPT5_PiiiibdPKfPKS8_SE_ ; -- Begin function _ZN4vllm3moe22topkGatingSoftplusSqrtILi9ELi576ELi4ELi4ELi64ELb0EifEEvPKT6_PKbPfiPT5_PiiiibdPKfPKS8_SE_
	.globl	_ZN4vllm3moe22topkGatingSoftplusSqrtILi9ELi576ELi4ELi4ELi64ELb0EifEEvPKT6_PKbPfiPT5_PiiiibdPKfPKS8_SE_
	.p2align	8
	.type	_ZN4vllm3moe22topkGatingSoftplusSqrtILi9ELi576ELi4ELi4ELi64ELb0EifEEvPKT6_PKbPfiPT5_PiiiibdPKfPKS8_SE_,@function
_ZN4vllm3moe22topkGatingSoftplusSqrtILi9ELi576ELi4ELi4ELi64ELb0EifEEvPKT6_PKbPfiPT5_PiiiibdPKfPKS8_SE_: ; @_ZN4vllm3moe22topkGatingSoftplusSqrtILi9ELi576ELi4ELi4ELi64ELb0EifEEvPKT6_PKbPfiPT5_PiiiibdPKfPKS8_SE_
; %bb.0:
	s_load_dword s30, s[0:1], 0x18
	v_and_b32_e32 v1, 0x3ff, v0
	s_lshl_b32 s2, s2, 2
	v_lshrrev_b32_e32 v2, 6, v1
	v_bfe_u32 v0, v0, 10, 10
	v_add3_u32 v10, s2, v0, v2
	s_waitcnt lgkmcnt(0)
	v_cmp_gt_i32_e32 vcc, s30, v10
	s_and_saveexec_b64 s[2:3], vcc
	s_cbranch_execz .LBB57_67
; %bb.1:
	s_load_dwordx4 s[4:7], s[0:1], 0x0
	s_load_dwordx2 s[20:21], s[0:1], 0x10
	s_waitcnt lgkmcnt(0)
	s_cmp_eq_u64 s[6:7], 0
	s_cbranch_scc1 .LBB57_3
; %bb.2:
	v_ashrrev_i32_e32 v11, 31, v10
	v_lshl_add_u64 v[2:3], s[6:7], 0, v[10:11]
	global_load_ubyte v0, v[2:3], off
	s_waitcnt vmcnt(0)
	v_and_b32_e32 v0, 1, v0
	v_cmp_eq_u32_e32 vcc, 1, v0
	s_xor_b64 s[2:3], vcc, -1
	s_orn2_b64 s[22:23], s[2:3], exec
	s_branch .LBB57_4
.LBB57_3:
	s_mov_b64 s[22:23], -1
.LBB57_4:
	s_movk_i32 s2, 0x240
	v_mul_lo_u32 v4, v10, s2
	v_mov_b32_e32 v2, s4
	v_mov_b32_e32 v3, s5
	v_ashrrev_i32_e32 v5, 31, v4
	v_and_b32_e32 v12, 63, v1
	v_lshl_add_u64 v[2:3], v[4:5], 2, v[2:3]
	v_mov_b32_e32 v15, 0
	v_lshlrev_b32_e32 v14, 2, v12
	v_lshl_add_u64 v[16:17], v[2:3], 0, v[14:15]
	global_load_dword v0, v[16:17], off
	global_load_dword v1, v[16:17], off offset:256
	global_load_dword v2, v[16:17], off offset:512
	;; [unrolled: 1-line block ×8, first 2 shown]
	s_mov_b32 s16, 0x800000
	v_mov_b32_e32 v13, 0x4f800000
	s_mov_b32 s13, 0x3f317217
	s_mov_b32 s14, 0x7f800000
	v_mov_b32_e32 v11, 0x41b17218
	s_mov_b32 s12, 0x41a00000
	s_mov_b32 s15, 0xf800000
	s_load_dwordx4 s[8:11], s[0:1], 0x40
	s_waitcnt lgkmcnt(0)
	s_cmp_lg_u64 s[10:11], 0
	s_cselect_b64 s[6:7], -1, 0
	s_and_b64 s[2:3], exec, s[6:7]
	s_waitcnt vmcnt(8)
	v_mul_f32_e32 v9, 0x3fb8aa3b, v0
	v_exp_f32_e32 v9, v9
	s_nop 0
	v_add_f32_e32 v9, 1.0, v9
	v_cmp_gt_f32_e32 vcc, s16, v9
	s_nop 1
	v_cndmask_b32_e32 v15, 1.0, v13, vcc
	v_mul_f32_e32 v9, v9, v15
	v_log_f32_e32 v15, v9
	v_cndmask_b32_e32 v16, 0, v11, vcc
	v_mov_b32_e32 v9, 0x260
	v_mul_f32_e32 v17, 0x3f317217, v15
	v_fma_f32 v17, v15, s13, -v17
	v_fmac_f32_e32 v17, 0x3377d1cf, v15
	v_fmac_f32_e32 v17, 0x3f317217, v15
	v_cmp_lt_f32_e64 vcc, |v15|, s14
	s_nop 1
	v_cndmask_b32_e32 v15, v15, v17, vcc
	v_sub_f32_e32 v15, v15, v16
	v_cmp_lt_f32_e32 vcc, s12, v0
	s_nop 1
	v_cndmask_b32_e32 v0, v15, v0, vcc
	v_mul_f32_e32 v15, 0x4f800000, v0
	v_cmp_gt_f32_e32 vcc, s15, v0
	s_nop 1
	v_cndmask_b32_e32 v0, v0, v15, vcc
	v_sqrt_f32_e32 v15, v0
	s_nop 0
	v_add_u32_e32 v16, -1, v15
	v_add_u32_e32 v17, 1, v15
	v_fma_f32 v18, -v16, v15, v0
	v_fma_f32 v19, -v17, v15, v0
	v_cmp_ge_f32_e64 s[4:5], 0, v18
	s_nop 1
	v_cndmask_b32_e64 v15, v15, v16, s[4:5]
	v_cmp_lt_f32_e64 s[4:5], 0, v19
	s_nop 1
	v_cndmask_b32_e64 v15, v15, v17, s[4:5]
	v_mul_f32_e32 v16, 0x37800000, v15
	v_cndmask_b32_e32 v15, v15, v16, vcc
	v_cmp_class_f32_e32 vcc, v0, v9
	s_nop 1
	v_cndmask_b32_e32 v0, v15, v0, vcc
	s_mov_b64 vcc, s[2:3]
	s_cbranch_vccz .LBB57_6
; %bb.5:
	global_load_dword v15, v14, s[10:11]
	s_waitcnt vmcnt(0)
	v_add_f32_e32 v0, v0, v15
.LBB57_6:
	s_waitcnt vmcnt(7)
	v_mul_f32_e32 v15, 0x3fb8aa3b, v1
	v_exp_f32_e32 v15, v15
	s_nop 0
	v_add_f32_e32 v15, 1.0, v15
	v_cmp_gt_f32_e32 vcc, s16, v15
	s_nop 1
	v_cndmask_b32_e32 v13, 1.0, v13, vcc
	v_mul_f32_e32 v13, v15, v13
	v_log_f32_e32 v13, v13
	v_cndmask_b32_e32 v11, 0, v11, vcc
	v_mul_f32_e32 v15, 0x3f317217, v13
	v_fma_f32 v15, v13, s13, -v15
	v_fmac_f32_e32 v15, 0x3377d1cf, v13
	v_fmac_f32_e32 v15, 0x3f317217, v13
	v_cmp_lt_f32_e64 vcc, |v13|, s14
	s_nop 1
	v_cndmask_b32_e32 v13, v13, v15, vcc
	v_sub_f32_e32 v11, v13, v11
	v_cmp_lt_f32_e32 vcc, s12, v1
	s_nop 1
	v_cndmask_b32_e32 v1, v11, v1, vcc
	v_mul_f32_e32 v11, 0x4f800000, v1
	v_cmp_gt_f32_e32 vcc, s15, v1
	s_nop 1
	v_cndmask_b32_e32 v1, v1, v11, vcc
	v_sqrt_f32_e32 v11, v1
	v_cmp_class_f32_e64 s[4:5], v1, v9
	v_add_u32_e32 v13, -1, v11
	v_add_u32_e32 v15, 1, v11
	v_fma_f32 v16, -v13, v11, v1
	v_fma_f32 v17, -v15, v11, v1
	v_cmp_ge_f32_e64 s[2:3], 0, v16
	s_nop 1
	v_cndmask_b32_e64 v11, v11, v13, s[2:3]
	v_cmp_lt_f32_e64 s[2:3], 0, v17
	s_nop 1
	v_cndmask_b32_e64 v11, v11, v15, s[2:3]
	v_mul_f32_e32 v13, 0x37800000, v11
	v_cndmask_b32_e32 v11, v11, v13, vcc
	v_cndmask_b32_e64 v13, 0, 1, s[6:7]
	v_cmp_ne_u32_e64 s[2:3], 1, v13
	s_andn2_b64 vcc, exec, s[6:7]
	v_cndmask_b32_e64 v1, v11, v1, s[4:5]
	s_cbranch_vccnz .LBB57_8
; %bb.7:
	global_load_dword v9, v14, s[10:11] offset:256
	s_waitcnt vmcnt(0)
	v_add_f32_e32 v1, v1, v9
.LBB57_8:
	s_waitcnt vmcnt(6)
	v_mul_f32_e32 v9, 0x3fb8aa3b, v2
	v_exp_f32_e32 v9, v9
	s_mov_b32 s14, 0x800000
	v_mov_b32_e32 v11, 0x4f800000
	s_mov_b32 s7, 0x3f317217
	v_add_f32_e32 v9, 1.0, v9
	v_cmp_gt_f32_e32 vcc, s14, v9
	s_mov_b32 s12, 0x7f800000
	s_mov_b32 s6, 0x41a00000
	v_cndmask_b32_e32 v13, 1.0, v11, vcc
	v_mul_f32_e32 v9, v9, v13
	v_log_f32_e32 v9, v9
	s_mov_b32 s13, 0xf800000
	v_mul_f32_e32 v13, 0x3f317217, v9
	v_fma_f32 v13, v9, s7, -v13
	v_fmac_f32_e32 v13, 0x3377d1cf, v9
	v_fmac_f32_e32 v13, 0x3f317217, v9
	v_cmp_lt_f32_e64 s[4:5], |v9|, s12
	s_nop 1
	v_cndmask_b32_e64 v9, v9, v13, s[4:5]
	v_mov_b32_e32 v13, 0x41b17218
	v_cndmask_b32_e32 v15, 0, v13, vcc
	v_sub_f32_e32 v9, v9, v15
	v_cmp_lt_f32_e32 vcc, s6, v2
	s_nop 1
	v_cndmask_b32_e32 v2, v9, v2, vcc
	v_mul_f32_e32 v9, 0x4f800000, v2
	v_cmp_gt_f32_e32 vcc, s13, v2
	s_nop 1
	v_cndmask_b32_e32 v2, v2, v9, vcc
	v_sqrt_f32_e32 v9, v2
	s_nop 0
	v_add_u32_e32 v15, -1, v9
	v_fma_f32 v16, -v15, v9, v2
	v_cmp_ge_f32_e64 s[4:5], 0, v16
	v_add_u32_e32 v16, 1, v9
	s_nop 0
	v_cndmask_b32_e64 v15, v9, v15, s[4:5]
	v_fma_f32 v9, -v16, v9, v2
	v_cmp_lt_f32_e64 s[4:5], 0, v9
	s_nop 1
	v_cndmask_b32_e64 v9, v15, v16, s[4:5]
	v_mul_f32_e32 v15, 0x37800000, v9
	v_cndmask_b32_e32 v15, v9, v15, vcc
	v_mov_b32_e32 v9, 0x260
	v_cmp_class_f32_e64 s[4:5], v2, v9
	s_and_b64 vcc, exec, s[2:3]
	s_nop 0
	v_cndmask_b32_e64 v2, v15, v2, s[4:5]
	s_cbranch_vccnz .LBB57_10
; %bb.9:
	global_load_dword v15, v14, s[10:11] offset:512
	s_waitcnt vmcnt(0)
	v_add_f32_e32 v2, v2, v15
.LBB57_10:
	s_waitcnt vmcnt(5)
	v_mul_f32_e32 v15, 0x3fb8aa3b, v3
	v_exp_f32_e32 v15, v15
	s_nop 0
	v_add_f32_e32 v15, 1.0, v15
	v_cmp_gt_f32_e32 vcc, s14, v15
	s_nop 1
	v_cndmask_b32_e32 v11, 1.0, v11, vcc
	v_mul_f32_e32 v11, v15, v11
	v_log_f32_e32 v11, v11
	v_cndmask_b32_e32 v13, 0, v13, vcc
	v_mul_f32_e32 v15, 0x3f317217, v11
	v_fma_f32 v15, v11, s7, -v15
	v_fmac_f32_e32 v15, 0x3377d1cf, v11
	v_fmac_f32_e32 v15, 0x3f317217, v11
	v_cmp_lt_f32_e64 vcc, |v11|, s12
	s_nop 1
	v_cndmask_b32_e32 v11, v11, v15, vcc
	v_sub_f32_e32 v11, v11, v13
	v_cmp_lt_f32_e32 vcc, s6, v3
	s_nop 1
	v_cndmask_b32_e32 v3, v11, v3, vcc
	v_mul_f32_e32 v11, 0x4f800000, v3
	v_cmp_gt_f32_e32 vcc, s13, v3
	s_nop 1
	v_cndmask_b32_e32 v3, v3, v11, vcc
	v_sqrt_f32_e32 v11, v3
	s_nop 0
	v_add_u32_e32 v13, -1, v11
	v_add_u32_e32 v15, 1, v11
	v_fma_f32 v16, -v13, v11, v3
	v_fma_f32 v17, -v15, v11, v3
	v_cmp_ge_f32_e64 s[4:5], 0, v16
	s_nop 1
	v_cndmask_b32_e64 v11, v11, v13, s[4:5]
	v_cmp_lt_f32_e64 s[4:5], 0, v17
	s_nop 1
	v_cndmask_b32_e64 v11, v11, v15, s[4:5]
	v_mul_f32_e32 v13, 0x37800000, v11
	v_cndmask_b32_e32 v11, v11, v13, vcc
	v_cmp_class_f32_e64 s[4:5], v3, v9
	s_and_b64 vcc, exec, s[2:3]
	s_nop 0
	v_cndmask_b32_e64 v3, v11, v3, s[4:5]
	s_cbranch_vccnz .LBB57_12
; %bb.11:
	global_load_dword v9, v14, s[10:11] offset:768
	s_waitcnt vmcnt(0)
	v_add_f32_e32 v3, v3, v9
.LBB57_12:
	s_waitcnt vmcnt(4)
	v_mul_f32_e32 v9, 0x3fb8aa3b, v4
	v_exp_f32_e32 v9, v9
	v_mov_b32_e32 v11, 0x4f800000
	v_add_f32_e32 v9, 1.0, v9
	v_cmp_gt_f32_e32 vcc, s14, v9
	s_nop 1
	v_cndmask_b32_e32 v13, 1.0, v11, vcc
	v_mul_f32_e32 v9, v9, v13
	v_log_f32_e32 v9, v9
	s_nop 0
	v_mul_f32_e32 v13, 0x3f317217, v9
	v_fma_f32 v13, v9, s7, -v13
	v_fmac_f32_e32 v13, 0x3377d1cf, v9
	v_fmac_f32_e32 v13, 0x3f317217, v9
	v_cmp_lt_f32_e64 s[4:5], |v9|, s12
	s_nop 1
	v_cndmask_b32_e64 v9, v9, v13, s[4:5]
	v_mov_b32_e32 v13, 0x41b17218
	v_cndmask_b32_e32 v15, 0, v13, vcc
	v_sub_f32_e32 v9, v9, v15
	v_cmp_lt_f32_e32 vcc, s6, v4
	s_nop 1
	v_cndmask_b32_e32 v4, v9, v4, vcc
	v_mul_f32_e32 v9, 0x4f800000, v4
	v_cmp_gt_f32_e32 vcc, s13, v4
	s_nop 1
	v_cndmask_b32_e32 v4, v4, v9, vcc
	v_sqrt_f32_e32 v9, v4
	s_nop 0
	v_add_u32_e32 v15, -1, v9
	v_fma_f32 v16, -v15, v9, v4
	v_cmp_ge_f32_e64 s[4:5], 0, v16
	v_add_u32_e32 v16, 1, v9
	s_nop 0
	v_cndmask_b32_e64 v15, v9, v15, s[4:5]
	v_fma_f32 v9, -v16, v9, v4
	v_cmp_lt_f32_e64 s[4:5], 0, v9
	s_nop 1
	v_cndmask_b32_e64 v9, v15, v16, s[4:5]
	v_mul_f32_e32 v15, 0x37800000, v9
	v_cndmask_b32_e32 v15, v9, v15, vcc
	v_mov_b32_e32 v9, 0x260
	v_cmp_class_f32_e64 s[4:5], v4, v9
	s_and_b64 vcc, exec, s[2:3]
	s_nop 0
	v_cndmask_b32_e64 v4, v15, v4, s[4:5]
	s_cbranch_vccnz .LBB57_14
; %bb.13:
	global_load_dword v15, v14, s[10:11] offset:1024
	s_waitcnt vmcnt(0)
	v_add_f32_e32 v4, v4, v15
.LBB57_14:
	s_waitcnt vmcnt(3)
	v_mul_f32_e32 v15, 0x3fb8aa3b, v5
	v_exp_f32_e32 v15, v15
	s_nop 0
	v_add_f32_e32 v15, 1.0, v15
	v_cmp_gt_f32_e32 vcc, s14, v15
	s_nop 1
	v_cndmask_b32_e32 v11, 1.0, v11, vcc
	v_mul_f32_e32 v11, v15, v11
	v_log_f32_e32 v11, v11
	v_cndmask_b32_e32 v13, 0, v13, vcc
	v_mul_f32_e32 v15, 0x3f317217, v11
	v_fma_f32 v15, v11, s7, -v15
	v_fmac_f32_e32 v15, 0x3377d1cf, v11
	v_fmac_f32_e32 v15, 0x3f317217, v11
	v_cmp_lt_f32_e64 vcc, |v11|, s12
	s_nop 1
	v_cndmask_b32_e32 v11, v11, v15, vcc
	v_sub_f32_e32 v11, v11, v13
	v_cmp_lt_f32_e32 vcc, s6, v5
	s_nop 1
	v_cndmask_b32_e32 v5, v11, v5, vcc
	v_mul_f32_e32 v11, 0x4f800000, v5
	v_cmp_gt_f32_e32 vcc, s13, v5
	s_nop 1
	v_cndmask_b32_e32 v5, v5, v11, vcc
	v_sqrt_f32_e32 v11, v5
	s_nop 0
	v_add_u32_e32 v13, -1, v11
	v_add_u32_e32 v15, 1, v11
	v_fma_f32 v16, -v13, v11, v5
	v_fma_f32 v17, -v15, v11, v5
	v_cmp_ge_f32_e64 s[4:5], 0, v16
	s_nop 1
	v_cndmask_b32_e64 v11, v11, v13, s[4:5]
	v_cmp_lt_f32_e64 s[4:5], 0, v17
	s_nop 1
	v_cndmask_b32_e64 v11, v11, v15, s[4:5]
	v_mul_f32_e32 v13, 0x37800000, v11
	v_cndmask_b32_e32 v11, v11, v13, vcc
	v_cmp_class_f32_e64 s[4:5], v5, v9
	s_and_b64 vcc, exec, s[2:3]
	s_nop 0
	v_cndmask_b32_e64 v5, v11, v5, s[4:5]
	s_cbranch_vccnz .LBB57_16
; %bb.15:
	global_load_dword v9, v14, s[10:11] offset:1280
	s_waitcnt vmcnt(0)
	v_add_f32_e32 v5, v5, v9
.LBB57_16:
	s_waitcnt vmcnt(2)
	v_mul_f32_e32 v9, 0x3fb8aa3b, v6
	v_exp_f32_e32 v9, v9
	v_mov_b32_e32 v11, 0x4f800000
	v_add_f32_e32 v9, 1.0, v9
	v_cmp_gt_f32_e32 vcc, s14, v9
	s_nop 1
	v_cndmask_b32_e32 v13, 1.0, v11, vcc
	v_mul_f32_e32 v9, v9, v13
	v_log_f32_e32 v9, v9
	s_nop 0
	v_mul_f32_e32 v13, 0x3f317217, v9
	v_fma_f32 v13, v9, s7, -v13
	v_fmac_f32_e32 v13, 0x3377d1cf, v9
	v_fmac_f32_e32 v13, 0x3f317217, v9
	v_cmp_lt_f32_e64 s[4:5], |v9|, s12
	s_nop 1
	v_cndmask_b32_e64 v9, v9, v13, s[4:5]
	v_mov_b32_e32 v13, 0x41b17218
	v_cndmask_b32_e32 v15, 0, v13, vcc
	v_sub_f32_e32 v9, v9, v15
	v_cmp_lt_f32_e32 vcc, s6, v6
	s_nop 1
	v_cndmask_b32_e32 v6, v9, v6, vcc
	v_mul_f32_e32 v9, 0x4f800000, v6
	v_cmp_gt_f32_e32 vcc, s13, v6
	s_nop 1
	v_cndmask_b32_e32 v6, v6, v9, vcc
	v_sqrt_f32_e32 v9, v6
	s_nop 0
	v_add_u32_e32 v15, -1, v9
	v_fma_f32 v16, -v15, v9, v6
	v_cmp_ge_f32_e64 s[4:5], 0, v16
	v_add_u32_e32 v16, 1, v9
	s_nop 0
	v_cndmask_b32_e64 v15, v9, v15, s[4:5]
	v_fma_f32 v9, -v16, v9, v6
	v_cmp_lt_f32_e64 s[4:5], 0, v9
	s_nop 1
	v_cndmask_b32_e64 v9, v15, v16, s[4:5]
	v_mul_f32_e32 v15, 0x37800000, v9
	v_cndmask_b32_e32 v15, v9, v15, vcc
	v_mov_b32_e32 v9, 0x260
	v_cmp_class_f32_e64 s[4:5], v6, v9
	s_and_b64 vcc, exec, s[2:3]
	s_nop 0
	v_cndmask_b32_e64 v6, v15, v6, s[4:5]
	s_cbranch_vccnz .LBB57_18
; %bb.17:
	global_load_dword v15, v14, s[10:11] offset:1536
	s_waitcnt vmcnt(0)
	v_add_f32_e32 v6, v6, v15
.LBB57_18:
	s_waitcnt vmcnt(1)
	v_mul_f32_e32 v15, 0x3fb8aa3b, v7
	v_exp_f32_e32 v15, v15
	s_nop 0
	v_add_f32_e32 v15, 1.0, v15
	v_cmp_gt_f32_e32 vcc, s14, v15
	s_nop 1
	v_cndmask_b32_e32 v11, 1.0, v11, vcc
	v_mul_f32_e32 v11, v15, v11
	v_log_f32_e32 v11, v11
	v_cndmask_b32_e32 v13, 0, v13, vcc
	v_mul_f32_e32 v15, 0x3f317217, v11
	v_fma_f32 v15, v11, s7, -v15
	v_fmac_f32_e32 v15, 0x3377d1cf, v11
	v_fmac_f32_e32 v15, 0x3f317217, v11
	v_cmp_lt_f32_e64 vcc, |v11|, s12
	s_nop 1
	v_cndmask_b32_e32 v11, v11, v15, vcc
	v_sub_f32_e32 v11, v11, v13
	v_cmp_lt_f32_e32 vcc, s6, v7
	s_nop 1
	v_cndmask_b32_e32 v7, v11, v7, vcc
	v_mul_f32_e32 v11, 0x4f800000, v7
	v_cmp_gt_f32_e32 vcc, s13, v7
	s_nop 1
	v_cndmask_b32_e32 v7, v7, v11, vcc
	v_sqrt_f32_e32 v11, v7
	s_nop 0
	v_add_u32_e32 v13, -1, v11
	v_add_u32_e32 v15, 1, v11
	v_fma_f32 v16, -v13, v11, v7
	v_fma_f32 v17, -v15, v11, v7
	v_cmp_ge_f32_e64 s[4:5], 0, v16
	s_nop 1
	v_cndmask_b32_e64 v11, v11, v13, s[4:5]
	v_cmp_lt_f32_e64 s[4:5], 0, v17
	s_nop 1
	v_cndmask_b32_e64 v11, v11, v15, s[4:5]
	v_mul_f32_e32 v13, 0x37800000, v11
	v_cndmask_b32_e32 v11, v11, v13, vcc
	v_cmp_class_f32_e64 s[4:5], v7, v9
	s_and_b64 vcc, exec, s[2:3]
	s_nop 0
	v_cndmask_b32_e64 v7, v11, v7, s[4:5]
	s_cbranch_vccnz .LBB57_20
; %bb.19:
	global_load_dword v9, v14, s[10:11] offset:1792
	s_waitcnt vmcnt(0)
	v_add_f32_e32 v7, v7, v9
.LBB57_20:
	s_waitcnt vmcnt(0)
	v_mul_f32_e32 v9, 0x3fb8aa3b, v8
	v_exp_f32_e32 v9, v9
	s_mov_b32 s4, 0x800000
	v_mov_b32_e32 v11, 0x4f800000
	s_mov_b32 s5, 0x7f800000
	v_add_f32_e32 v9, 1.0, v9
	v_cmp_gt_f32_e32 vcc, s4, v9
	s_mov_b32 s4, 0x3f317217
	s_nop 0
	v_cndmask_b32_e32 v11, 1.0, v11, vcc
	v_mul_f32_e32 v9, v9, v11
	v_log_f32_e32 v9, v9
	s_nop 0
	v_mul_f32_e32 v11, 0x3f317217, v9
	v_fma_f32 v11, v9, s4, -v11
	v_fmamk_f32 v11, v9, 0x3377d1cf, v11
	v_fmac_f32_e32 v11, 0x3f317217, v9
	v_cmp_lt_f32_e64 s[4:5], |v9|, s5
	s_nop 1
	v_cndmask_b32_e64 v9, v9, v11, s[4:5]
	v_mov_b32_e32 v11, 0x41b17218
	v_cndmask_b32_e32 v11, 0, v11, vcc
	v_sub_f32_e32 v9, v9, v11
	v_cmp_lt_f32_e32 vcc, s6, v8
	s_mov_b32 s4, 0xf800000
	s_nop 0
	v_cndmask_b32_e32 v8, v9, v8, vcc
	v_mul_f32_e32 v9, 0x4f800000, v8
	v_cmp_gt_f32_e32 vcc, s4, v8
	s_nop 1
	v_cndmask_b32_e32 v8, v8, v9, vcc
	v_sqrt_f32_e32 v9, v8
	s_nop 0
	v_add_u32_e32 v11, -1, v9
	v_fma_f32 v13, -v11, v9, v8
	v_cmp_ge_f32_e64 s[4:5], 0, v13
	v_add_u32_e32 v13, 1, v9
	s_nop 0
	v_cndmask_b32_e64 v11, v9, v11, s[4:5]
	v_fma_f32 v9, -v13, v9, v8
	v_cmp_lt_f32_e64 s[4:5], 0, v9
	s_nop 1
	v_cndmask_b32_e64 v9, v11, v13, s[4:5]
	v_mul_f32_e32 v11, 0x37800000, v9
	v_cndmask_b32_e32 v9, v9, v11, vcc
	v_mov_b32_e32 v11, 0x260
	v_cmp_class_f32_e64 s[4:5], v8, v11
	s_and_b64 vcc, exec, s[2:3]
	s_nop 0
	v_cndmask_b32_e64 v8, v9, v8, s[4:5]
	s_cbranch_vccnz .LBB57_22
; %bb.21:
	global_load_dword v9, v14, s[10:11] offset:2048
	s_waitcnt vmcnt(0)
	v_add_f32_e32 v8, v8, v9
.LBB57_22:
	s_load_dwordx4 s[12:15], s[0:1], 0x30
	v_cmp_eq_u32_e64 s[6:7], 0, v12
	s_waitcnt lgkmcnt(0)
	s_bitcmp1_b32 s15, 0
	s_cselect_b64 s[4:5], -1, 0
	s_cmp_gt_i32 s12, 0
	s_cselect_b64 s[24:25], -1, 0
	s_and_b64 vcc, exec, s[24:25]
	s_cbranch_vccz .LBB57_53
; %bb.23:
	v_mbcnt_lo_u32_b32 v9, -1, 0
	v_mbcnt_hi_u32_b32 v14, -1, v9
	v_and_b32_e32 v9, 64, v14
	v_add_u32_e32 v15, 64, v9
	v_xor_b32_e32 v18, 32, v14
	v_cmp_lt_i32_e32 vcc, v18, v15
	s_load_dwordx4 s[16:19], s[0:1], 0x20
	s_mov_b32 s15, 0
	v_cndmask_b32_e32 v18, v14, v18, vcc
	v_lshlrev_b32_e32 v23, 2, v18
	v_xor_b32_e32 v18, 16, v14
	v_cmp_lt_i32_e32 vcc, v18, v15
	v_mul_lo_u32 v9, v10, s12
	v_or_b32_e32 v11, 64, v12
	v_cndmask_b32_e32 v18, v14, v18, vcc
	v_lshlrev_b32_e32 v24, 2, v18
	v_xor_b32_e32 v18, 8, v14
	v_cmp_lt_i32_e32 vcc, v18, v15
	v_or_b32_e32 v13, 0x80, v12
	v_or_b32_e32 v16, 0xc0, v12
	v_cndmask_b32_e32 v18, v14, v18, vcc
	v_lshlrev_b32_e32 v25, 2, v18
	v_xor_b32_e32 v18, 4, v14
	v_cmp_lt_i32_e32 vcc, v18, v15
	v_or_b32_e32 v17, 0x100, v12
	;; [unrolled: 6-line block ×4, first 2 shown]
	v_mov_b32_e32 v29, 0x240
	v_cndmask_b32_e32 v14, v14, v18, vcc
	v_lshlrev_b32_e32 v28, 2, v14
	v_mov_b32_e32 v18, 0
	v_mov_b32_e32 v30, 0xc61c4000
	;; [unrolled: 1-line block ×3, first 2 shown]
	s_branch .LBB57_26
.LBB57_24:                              ;   in Loop: Header=BB57_26 Depth=1
	v_add_u32_e32 v34, s15, v9
	v_cmp_le_i32_e32 vcc, s13, v14
	v_cmp_gt_i32_e64 s[0:1], s14, v14
	v_ashrrev_i32_e32 v35, 31, v34
	s_and_b64 s[0:1], vcc, s[0:1]
	v_lshlrev_b64 v[34:35], 2, v[34:35]
	v_lshl_add_u64 v[36:37], s[20:21], 0, v[34:35]
	v_subrev_u32_e32 v15, s13, v14
	s_and_b64 vcc, s[22:23], s[0:1]
	global_store_dword v[36:37], v32, off
	v_cndmask_b32_e32 v15, v29, v15, vcc
	v_lshl_add_u64 v[36:37], s[16:17], 0, v[34:35]
	global_store_dword v[36:37], v15, off
	v_add_f32_e32 v15, v18, v32
	v_lshl_add_u64 v[34:35], s[18:19], 0, v[34:35]
	v_cndmask_b32_e64 v18, v18, v15, s[4:5]
	global_store_dword v[34:35], v31, off
.LBB57_25:                              ;   in Loop: Header=BB57_26 Depth=1
	s_or_b64 exec, exec, s[26:27]
	v_ashrrev_i32_e32 v15, 31, v14
	v_lshrrev_b32_e32 v15, 26, v15
	v_add_u32_e32 v15, v14, v15
	v_and_b32_e32 v32, 0xffffffc0, v15
	v_sub_u32_e32 v14, v14, v32
	s_add_i32 s15, s15, 1
	v_cmp_eq_u32_e32 vcc, v12, v14
	s_cmp_lt_i32 s15, s12
	v_ashrrev_i32_e32 v14, 6, v15
	s_cselect_b64 s[26:27], -1, 0
	v_cmp_ne_u32_e64 s[0:1], 8, v14
	s_and_b64 vcc, s[26:27], vcc
	s_cmp_eq_u32 s12, s15
	v_cndmask_b32_e64 v15, v30, v8, s[0:1]
	v_cmp_ne_u32_e64 s[0:1], 7, v14
	v_cndmask_b32_e32 v8, v8, v15, vcc
	v_add_u32_e32 v31, s30, v31
	v_cndmask_b32_e64 v15, v30, v7, s[0:1]
	v_cmp_ne_u32_e64 s[0:1], 6, v14
	v_cndmask_b32_e32 v7, v7, v15, vcc
	s_nop 0
	v_cndmask_b32_e64 v15, v30, v6, s[0:1]
	v_cmp_ne_u32_e64 s[0:1], 5, v14
	v_cndmask_b32_e32 v6, v6, v15, vcc
	s_nop 0
	;; [unrolled: 4-line block ×7, first 2 shown]
	v_cndmask_b32_e64 v14, v30, v0, s[0:1]
	v_cndmask_b32_e32 v0, v0, v14, vcc
	s_cbranch_scc1 .LBB57_54
.LBB57_26:                              ; =>This Inner Loop Header: Depth=1
	v_cmp_gt_f32_e32 vcc, v1, v0
	s_nop 1
	v_cndmask_b32_e32 v15, v0, v1, vcc
	v_cndmask_b32_e32 v14, v12, v11, vcc
	v_cmp_gt_f32_e32 vcc, v2, v15
	s_nop 1
	v_cndmask_b32_e32 v15, v15, v2, vcc
	v_cndmask_b32_e32 v14, v14, v13, vcc
	;; [unrolled: 4-line block ×8, first 2 shown]
	ds_bpermute_b32 v15, v23, v32
	s_waitcnt lgkmcnt(0)
	ds_bpermute_b32 v33, v23, v14
	s_waitcnt lgkmcnt(0)
	v_cmp_lt_f32_e64 s[26:27], v32, v15
	v_cmp_nlt_f32_e32 vcc, v32, v15
	s_and_saveexec_b64 s[28:29], vcc
; %bb.27:                               ;   in Loop: Header=BB57_26 Depth=1
	v_cmp_eq_f32_e32 vcc, v32, v15
	v_cmp_lt_i32_e64 s[0:1], v33, v14
	s_and_b64 s[0:1], vcc, s[0:1]
	s_andn2_b64 s[26:27], s[26:27], exec
	s_and_b64 s[0:1], s[0:1], exec
	s_or_b64 s[26:27], s[26:27], s[0:1]
; %bb.28:                               ;   in Loop: Header=BB57_26 Depth=1
	s_or_b64 exec, exec, s[28:29]
	s_and_saveexec_b64 s[0:1], s[26:27]
; %bb.29:                               ;   in Loop: Header=BB57_26 Depth=1
	v_mov_b32_e32 v32, v15
	v_mov_b32_e32 v14, v33
; %bb.30:                               ;   in Loop: Header=BB57_26 Depth=1
	s_or_b64 exec, exec, s[0:1]
	ds_bpermute_b32 v15, v24, v32
	ds_bpermute_b32 v33, v24, v14
	s_waitcnt lgkmcnt(1)
	v_cmp_lt_f32_e64 s[26:27], v32, v15
	v_cmp_nlt_f32_e32 vcc, v32, v15
	s_and_saveexec_b64 s[28:29], vcc
	s_cbranch_execz .LBB57_32
; %bb.31:                               ;   in Loop: Header=BB57_26 Depth=1
	v_cmp_eq_f32_e32 vcc, v32, v15
	s_waitcnt lgkmcnt(0)
	v_cmp_lt_i32_e64 s[0:1], v33, v14
	s_and_b64 s[0:1], vcc, s[0:1]
	s_andn2_b64 s[26:27], s[26:27], exec
	s_and_b64 s[0:1], s[0:1], exec
	s_or_b64 s[26:27], s[26:27], s[0:1]
.LBB57_32:                              ;   in Loop: Header=BB57_26 Depth=1
	s_or_b64 exec, exec, s[28:29]
	s_and_saveexec_b64 s[0:1], s[26:27]
	s_cbranch_execz .LBB57_34
; %bb.33:                               ;   in Loop: Header=BB57_26 Depth=1
	v_mov_b32_e32 v32, v15
	s_waitcnt lgkmcnt(0)
	v_mov_b32_e32 v14, v33
.LBB57_34:                              ;   in Loop: Header=BB57_26 Depth=1
	s_or_b64 exec, exec, s[0:1]
	ds_bpermute_b32 v15, v25, v32
	s_waitcnt lgkmcnt(1)
	ds_bpermute_b32 v33, v25, v14
	s_waitcnt lgkmcnt(1)
	v_cmp_lt_f32_e64 s[26:27], v32, v15
	v_cmp_nlt_f32_e32 vcc, v32, v15
	s_and_saveexec_b64 s[28:29], vcc
	s_cbranch_execz .LBB57_36
; %bb.35:                               ;   in Loop: Header=BB57_26 Depth=1
	v_cmp_eq_f32_e32 vcc, v32, v15
	s_waitcnt lgkmcnt(0)
	v_cmp_lt_i32_e64 s[0:1], v33, v14
	s_and_b64 s[0:1], vcc, s[0:1]
	s_andn2_b64 s[26:27], s[26:27], exec
	s_and_b64 s[0:1], s[0:1], exec
	s_or_b64 s[26:27], s[26:27], s[0:1]
.LBB57_36:                              ;   in Loop: Header=BB57_26 Depth=1
	s_or_b64 exec, exec, s[28:29]
	s_and_saveexec_b64 s[0:1], s[26:27]
	s_cbranch_execz .LBB57_38
; %bb.37:                               ;   in Loop: Header=BB57_26 Depth=1
	v_mov_b32_e32 v32, v15
	s_waitcnt lgkmcnt(0)
	v_mov_b32_e32 v14, v33
.LBB57_38:                              ;   in Loop: Header=BB57_26 Depth=1
	s_or_b64 exec, exec, s[0:1]
	ds_bpermute_b32 v15, v26, v32
	s_waitcnt lgkmcnt(1)
	;; [unrolled: 26-line block ×4, first 2 shown]
	ds_bpermute_b32 v33, v28, v14
	s_waitcnt lgkmcnt(1)
	v_cmp_lt_f32_e64 s[26:27], v32, v15
	v_cmp_nlt_f32_e32 vcc, v32, v15
	s_and_saveexec_b64 s[28:29], vcc
	s_cbranch_execnz .LBB57_49
; %bb.47:                               ;   in Loop: Header=BB57_26 Depth=1
	s_or_b64 exec, exec, s[28:29]
	s_and_saveexec_b64 s[0:1], s[26:27]
	s_cbranch_execnz .LBB57_50
.LBB57_48:                              ;   in Loop: Header=BB57_26 Depth=1
	s_or_b64 exec, exec, s[0:1]
	s_and_saveexec_b64 s[26:27], s[6:7]
	s_cbranch_execz .LBB57_25
	s_branch .LBB57_51
.LBB57_49:                              ;   in Loop: Header=BB57_26 Depth=1
	v_cmp_eq_f32_e32 vcc, v32, v15
	s_waitcnt lgkmcnt(0)
	v_cmp_lt_i32_e64 s[0:1], v33, v14
	s_and_b64 s[0:1], vcc, s[0:1]
	s_andn2_b64 s[26:27], s[26:27], exec
	s_and_b64 s[0:1], s[0:1], exec
	s_or_b64 s[26:27], s[26:27], s[0:1]
	s_or_b64 exec, exec, s[28:29]
	s_and_saveexec_b64 s[0:1], s[26:27]
	s_cbranch_execz .LBB57_48
.LBB57_50:                              ;   in Loop: Header=BB57_26 Depth=1
	s_waitcnt lgkmcnt(0)
	v_mov_b32_e32 v14, v33
	v_mov_b32_e32 v32, v15
	s_or_b64 exec, exec, s[0:1]
	s_and_saveexec_b64 s[26:27], s[6:7]
	s_cbranch_execz .LBB57_25
.LBB57_51:                              ;   in Loop: Header=BB57_26 Depth=1
	s_and_b64 vcc, exec, s[2:3]
	s_cbranch_vccnz .LBB57_24
; %bb.52:                               ;   in Loop: Header=BB57_26 Depth=1
	v_ashrrev_i32_e32 v15, 31, v14
	v_lshl_add_u64 v[34:35], v[14:15], 2, s[10:11]
	global_load_dword v15, v[34:35], off
	s_waitcnt vmcnt(0)
	v_sub_f32_e32 v32, v32, v15
	s_branch .LBB57_24
.LBB57_53:
	v_mov_b32_e32 v18, 0
.LBB57_54:
	v_cmp_eq_u32_e32 vcc, 0, v12
	s_and_b64 exec, exec, vcc
	s_cbranch_execz .LBB57_67
; %bb.55:
	s_andn2_b64 vcc, exec, s[4:5]
	v_cvt_f32_f64_e32 v0, s[8:9]
	s_cbranch_vccnz .LBB57_57
; %bb.56:
	v_cmp_lt_f32_e32 vcc, 0, v18
	s_nop 1
	v_cndmask_b32_e32 v1, 1.0, v18, vcc
	v_div_scale_f32 v2, s[0:1], v1, v1, v0
	v_rcp_f32_e32 v3, v2
	s_nop 0
	v_fma_f32 v4, -v2, v3, 1.0
	v_fmac_f32_e32 v3, v4, v3
	v_div_scale_f32 v4, vcc, v0, v1, v0
	v_mul_f32_e32 v5, v4, v3
	v_fma_f32 v6, -v2, v5, v4
	v_fmac_f32_e32 v5, v6, v3
	v_fma_f32 v2, -v2, v5, v4
	v_div_fmas_f32 v2, v2, v3, v5
	v_div_fixup_f32 v0, v2, v1, v0
.LBB57_57:
	s_andn2_b64 vcc, exec, s[24:25]
	s_cbranch_vccnz .LBB57_67
; %bb.58:
	v_mul_lo_u32 v2, v10, s12
	s_cmp_gt_u32 s12, 3
	v_ashrrev_i32_e32 v3, 31, v2
	s_cbranch_scc0 .LBB57_62
; %bb.59:
	s_and_b32 s0, s12, 0x7ffffffc
	v_lshl_add_u64 v[4:5], v[2:3], 2, s[20:21]
	v_mov_b32_e32 v1, v0
	v_lshl_add_u64 v[4:5], v[4:5], 0, 8
	s_mov_b32 s1, s0
.LBB57_60:                              ; =>This Inner Loop Header: Depth=1
	global_load_dwordx4 v[6:9], v[4:5], off offset:-8
	s_add_i32 s1, s1, -4
	s_cmp_lg_u32 s1, 0
	s_waitcnt vmcnt(0)
	v_pk_mul_f32 v[6:7], v[0:1], v[6:7]
	v_pk_mul_f32 v[8:9], v[0:1], v[8:9]
	global_store_dwordx4 v[4:5], v[6:9], off offset:-8
	v_lshl_add_u64 v[4:5], v[4:5], 0, 16
	s_cbranch_scc1 .LBB57_60
; %bb.61:
	s_cmp_lg_u32 s0, s12
	s_cselect_b64 s[2:3], -1, 0
	s_branch .LBB57_64
.LBB57_62:
	s_mov_b64 s[2:3], 0
                                        ; implicit-def: $sgpr0
	s_cbranch_execz .LBB57_64
; %bb.63:
	s_mov_b64 s[2:3], -1
	s_mov_b32 s0, 0
.LBB57_64:
	s_andn2_b64 vcc, exec, s[2:3]
	s_cbranch_vccnz .LBB57_67
; %bb.65:
	s_mov_b32 s1, 0
	v_lshl_add_u64 v[2:3], v[2:3], 0, s[0:1]
	s_sub_i32 s2, s12, s0
	v_lshl_add_u64 v[2:3], v[2:3], 2, s[20:21]
.LBB57_66:                              ; =>This Inner Loop Header: Depth=1
	global_load_dword v1, v[2:3], off
	s_add_i32 s2, s2, -1
	s_cmp_lg_u32 s2, 0
	s_waitcnt vmcnt(0)
	v_mul_f32_e32 v1, v0, v1
	global_store_dword v[2:3], v1, off
	v_lshl_add_u64 v[2:3], v[2:3], 0, 4
	s_cbranch_scc1 .LBB57_66
.LBB57_67:
	s_endpgm
	.section	.rodata,"a",@progbits
	.p2align	6, 0x0
	.amdhsa_kernel _ZN4vllm3moe22topkGatingSoftplusSqrtILi9ELi576ELi4ELi4ELi64ELb0EifEEvPKT6_PKbPfiPT5_PiiiibdPKfPKS8_SE_
		.amdhsa_group_segment_fixed_size 0
		.amdhsa_private_segment_fixed_size 0
		.amdhsa_kernarg_size 96
		.amdhsa_user_sgpr_count 2
		.amdhsa_user_sgpr_dispatch_ptr 0
		.amdhsa_user_sgpr_queue_ptr 0
		.amdhsa_user_sgpr_kernarg_segment_ptr 1
		.amdhsa_user_sgpr_dispatch_id 0
		.amdhsa_user_sgpr_kernarg_preload_length 0
		.amdhsa_user_sgpr_kernarg_preload_offset 0
		.amdhsa_user_sgpr_private_segment_size 0
		.amdhsa_uses_dynamic_stack 0
		.amdhsa_enable_private_segment 0
		.amdhsa_system_sgpr_workgroup_id_x 1
		.amdhsa_system_sgpr_workgroup_id_y 0
		.amdhsa_system_sgpr_workgroup_id_z 0
		.amdhsa_system_sgpr_workgroup_info 0
		.amdhsa_system_vgpr_workitem_id 1
		.amdhsa_next_free_vgpr 38
		.amdhsa_next_free_sgpr 31
		.amdhsa_accum_offset 40
		.amdhsa_reserve_vcc 1
		.amdhsa_float_round_mode_32 0
		.amdhsa_float_round_mode_16_64 0
		.amdhsa_float_denorm_mode_32 3
		.amdhsa_float_denorm_mode_16_64 3
		.amdhsa_dx10_clamp 1
		.amdhsa_ieee_mode 1
		.amdhsa_fp16_overflow 0
		.amdhsa_tg_split 0
		.amdhsa_exception_fp_ieee_invalid_op 0
		.amdhsa_exception_fp_denorm_src 0
		.amdhsa_exception_fp_ieee_div_zero 0
		.amdhsa_exception_fp_ieee_overflow 0
		.amdhsa_exception_fp_ieee_underflow 0
		.amdhsa_exception_fp_ieee_inexact 0
		.amdhsa_exception_int_div_zero 0
	.end_amdhsa_kernel
	.section	.text._ZN4vllm3moe22topkGatingSoftplusSqrtILi9ELi576ELi4ELi4ELi64ELb0EifEEvPKT6_PKbPfiPT5_PiiiibdPKfPKS8_SE_,"axG",@progbits,_ZN4vllm3moe22topkGatingSoftplusSqrtILi9ELi576ELi4ELi4ELi64ELb0EifEEvPKT6_PKbPfiPT5_PiiiibdPKfPKS8_SE_,comdat
.Lfunc_end57:
	.size	_ZN4vllm3moe22topkGatingSoftplusSqrtILi9ELi576ELi4ELi4ELi64ELb0EifEEvPKT6_PKbPfiPT5_PiiiibdPKfPKS8_SE_, .Lfunc_end57-_ZN4vllm3moe22topkGatingSoftplusSqrtILi9ELi576ELi4ELi4ELi64ELb0EifEEvPKT6_PKbPfiPT5_PiiiibdPKfPKS8_SE_
                                        ; -- End function
	.section	.AMDGPU.csdata,"",@progbits
; Kernel info:
; codeLenInByte = 4656
; NumSgprs: 37
; NumVgprs: 38
; NumAgprs: 0
; TotalNumVgprs: 38
; ScratchSize: 0
; MemoryBound: 0
; FloatMode: 240
; IeeeMode: 1
; LDSByteSize: 0 bytes/workgroup (compile time only)
; SGPRBlocks: 4
; VGPRBlocks: 4
; NumSGPRsForWavesPerEU: 37
; NumVGPRsForWavesPerEU: 38
; AccumOffset: 40
; Occupancy: 8
; WaveLimiterHint : 1
; COMPUTE_PGM_RSRC2:SCRATCH_EN: 0
; COMPUTE_PGM_RSRC2:USER_SGPR: 2
; COMPUTE_PGM_RSRC2:TRAP_HANDLER: 0
; COMPUTE_PGM_RSRC2:TGID_X_EN: 1
; COMPUTE_PGM_RSRC2:TGID_Y_EN: 0
; COMPUTE_PGM_RSRC2:TGID_Z_EN: 0
; COMPUTE_PGM_RSRC2:TIDIG_COMP_CNT: 1
; COMPUTE_PGM_RSRC3_GFX90A:ACCUM_OFFSET: 9
; COMPUTE_PGM_RSRC3_GFX90A:TG_SPLIT: 0
	.section	.text._ZN4vllm3moe22topkGatingSoftplusSqrtILi18ELi576ELi4ELi4ELi32ELb1EifEEvPKT6_PKbPfiPT5_PiiiibdPKfPKS8_SE_,"axG",@progbits,_ZN4vllm3moe22topkGatingSoftplusSqrtILi18ELi576ELi4ELi4ELi32ELb1EifEEvPKT6_PKbPfiPT5_PiiiibdPKfPKS8_SE_,comdat
	.protected	_ZN4vllm3moe22topkGatingSoftplusSqrtILi18ELi576ELi4ELi4ELi32ELb1EifEEvPKT6_PKbPfiPT5_PiiiibdPKfPKS8_SE_ ; -- Begin function _ZN4vllm3moe22topkGatingSoftplusSqrtILi18ELi576ELi4ELi4ELi32ELb1EifEEvPKT6_PKbPfiPT5_PiiiibdPKfPKS8_SE_
	.globl	_ZN4vllm3moe22topkGatingSoftplusSqrtILi18ELi576ELi4ELi4ELi32ELb1EifEEvPKT6_PKbPfiPT5_PiiiibdPKfPKS8_SE_
	.p2align	8
	.type	_ZN4vllm3moe22topkGatingSoftplusSqrtILi18ELi576ELi4ELi4ELi32ELb1EifEEvPKT6_PKbPfiPT5_PiiiibdPKfPKS8_SE_,@function
_ZN4vllm3moe22topkGatingSoftplusSqrtILi18ELi576ELi4ELi4ELi32ELb1EifEEvPKT6_PKbPfiPT5_PiiiibdPKfPKS8_SE_: ; @_ZN4vllm3moe22topkGatingSoftplusSqrtILi18ELi576ELi4ELi4ELi32ELb1EifEEvPKT6_PKbPfiPT5_PiiiibdPKfPKS8_SE_
; %bb.0:
	s_load_dword s3, s[0:1], 0x18
	v_and_b32_e32 v1, 0x3ff, v0
	s_lshl_b32 s2, s2, 2
	v_lshrrev_b32_e32 v2, 5, v1
	v_bfe_u32 v0, v0, 10, 10
	v_add3_u32 v6, s2, v0, v2
	s_waitcnt lgkmcnt(0)
	v_cmp_gt_i32_e32 vcc, s3, v6
	s_and_saveexec_b64 s[2:3], vcc
	s_cbranch_execz .LBB58_71
; %bb.1:
	s_load_dwordx2 s[2:3], s[0:1], 0x0
	s_load_dword s33, s[0:1], 0x30
	s_load_dwordx4 s[4:7], s[0:1], 0x50
	s_movk_i32 s8, 0x240
	v_mul_lo_u32 v2, v6, s8
	v_ashrrev_i32_e32 v3, 31, v2
	v_and_b32_e32 v12, 31, v1
	s_waitcnt lgkmcnt(0)
	v_lshl_add_u64 v[2:3], v[2:3], 2, s[2:3]
	v_lshlrev_b32_e32 v4, 2, v12
	v_mov_b32_e32 v5, 0
	v_lshl_add_u64 v[10:11], v[2:3], 0, v[4:5]
	global_load_dword v0, v[10:11], off offset:1024
	global_load_dword v1, v[10:11], off offset:1152
	;; [unrolled: 1-line block ×4, first 2 shown]
	global_load_dword v24, v[10:11], off
	global_load_dword v25, v[10:11], off offset:128
	global_load_dword v26, v[10:11], off offset:256
	;; [unrolled: 1-line block ×3, first 2 shown]
	v_mov_b32_e32 v8, s4
	v_mov_b32_e32 v9, s5
	v_ashrrev_i32_e32 v7, 31, v6
	v_lshl_add_u64 v[8:9], v[6:7], 2, v[8:9]
	global_load_dword v28, v[8:9], off
	global_load_dword v29, v[10:11], off offset:512
	global_load_dword v30, v[10:11], off offset:640
	;; [unrolled: 1-line block ×10, first 2 shown]
	s_mov_b32 s13, 0x800000
	v_mov_b32_e32 v7, 0x4f800000
	s_mov_b32 s11, 0x3f317217
	s_mov_b32 s12, 0x7f800000
	v_mov_b32_e32 v13, 0x41b17218
	s_mov_b32 s9, 0x41a00000
	s_mov_b32 s10, 0xf800000
	v_mov_b32_e32 v8, s6
	v_mov_b32_e32 v9, s7
	;; [unrolled: 1-line block ×3, first 2 shown]
	s_cmp_gt_i32 s33, 0
	s_mov_b32 s8, 0
	s_waitcnt vmcnt(15)
	scratch_store_dwordx4 off, v[0:3], off offset:32
	s_waitcnt vmcnt(15)
	v_mul_f32_e32 v10, 0x3fb8aa3b, v24
	s_waitcnt vmcnt(14)
	v_mul_f32_e32 v11, 0x3fb8aa3b, v25
	v_exp_f32_e32 v20, v10
	v_exp_f32_e32 v21, v11
	s_waitcnt vmcnt(13)
	v_mul_f32_e32 v22, 0x3fb8aa3b, v26
	s_waitcnt vmcnt(12)
	v_mul_f32_e32 v23, 0x3fb8aa3b, v27
	v_exp_f32_e32 v22, v22
	v_pk_add_f32 v[20:21], v[20:21], 1.0 op_sel_hi:[1,0]
	v_exp_f32_e32 v23, v23
	v_cmp_gt_f32_e32 vcc, s13, v21
	s_waitcnt vmcnt(11)
	v_mul_lo_u32 v10, v28, s33
	v_cmp_gt_f32_e64 s[2:3], s13, v20
	v_cndmask_b32_e32 v28, 1.0, v7, vcc
	v_mul_f32_e32 v21, v21, v28
	v_cndmask_b32_e64 v33, 1.0, v7, s[2:3]
	v_mul_f32_e32 v20, v20, v33
	v_log_f32_e32 v21, v21
	v_pk_add_f32 v[22:23], v[22:23], 1.0 op_sel_hi:[1,0]
	v_log_f32_e32 v20, v20
	v_cmp_gt_f32_e64 s[4:5], s13, v23
	v_cndmask_b32_e32 v28, 0, v13, vcc
	v_cmp_lt_f32_e64 vcc, |v21|, s12
	v_cndmask_b32_e64 v34, 1.0, v7, s[4:5]
	v_mul_f32_e32 v23, v23, v34
	v_mul_f32_e32 v34, 0x3f317217, v21
	;; [unrolled: 1-line block ×3, first 2 shown]
	v_fma_f32 v34, v21, s11, -v34
	v_fma_f32 v35, v20, s11, -v35
	v_fmac_f32_e32 v34, 0x3377d1cf, v21
	v_fmac_f32_e32 v35, 0x3377d1cf, v20
	;; [unrolled: 1-line block ×4, first 2 shown]
	v_cndmask_b32_e32 v21, v21, v34, vcc
	v_cmp_lt_f32_e64 vcc, |v20|, s12
	v_cndmask_b32_e64 v33, 0, v13, s[2:3]
	v_sub_f32_e32 v21, v21, v28
	v_cndmask_b32_e32 v20, v20, v35, vcc
	v_sub_f32_e32 v20, v20, v33
	v_cmp_lt_f32_e32 vcc, s9, v24
	v_log_f32_e32 v23, v23
	v_ashrrev_i32_e32 v11, 31, v10
	v_cndmask_b32_e32 v20, v20, v24, vcc
	v_cmp_lt_f32_e32 vcc, s9, v25
	v_cmp_gt_f32_e64 s[2:3], s10, v20
	s_nop 0
	v_cndmask_b32_e32 v21, v21, v25, vcc
	v_mul_f32_e32 v24, 0x4f800000, v21
	v_cmp_gt_f32_e32 vcc, s10, v21
	v_mul_f32_e32 v25, 0x4f800000, v20
	v_cndmask_b32_e64 v20, v20, v25, s[2:3]
	v_cndmask_b32_e32 v21, v21, v24, vcc
	v_sqrt_f32_e32 v24, v21
	v_sqrt_f32_e32 v25, v20
	v_add_u32_e32 v28, -1, v24
	v_add_u32_e32 v34, -1, v25
	v_fma_f32 v36, -v28, v24, v21
	v_add_u32_e32 v33, 1, v24
	v_fma_f32 v38, -v34, v25, v20
	v_cmp_ge_f32_e64 s[6:7], 0, v36
	v_add_u32_e32 v35, 1, v25
	v_fma_f32 v37, -v33, v24, v21
	v_cndmask_b32_e64 v24, v24, v28, s[6:7]
	v_cmp_ge_f32_e64 s[6:7], 0, v38
	v_fma_f32 v39, -v35, v25, v20
	s_nop 0
	v_cndmask_b32_e64 v25, v25, v34, s[6:7]
	v_cmp_lt_f32_e64 s[6:7], 0, v37
	s_nop 1
	v_cndmask_b32_e64 v24, v24, v33, s[6:7]
	v_cmp_lt_f32_e64 s[6:7], 0, v39
	v_mul_f32_e32 v28, 0x37800000, v24
	v_cndmask_b32_e32 v24, v24, v28, vcc
	v_cndmask_b32_e64 v25, v25, v35, s[6:7]
	v_mul_f32_e32 v33, 0x37800000, v25
	v_cmp_class_f32_e32 vcc, v21, v4
	s_nop 1
	v_cndmask_b32_e32 v21, v24, v21, vcc
	v_cndmask_b32_e64 v24, v25, v33, s[2:3]
	v_cmp_class_f32_e32 vcc, v20, v4
	v_cmp_lt_f32_e64 s[2:3], |v23|, s12
	s_nop 0
	v_cndmask_b32_e32 v20, v24, v20, vcc
	v_cmp_gt_f32_e32 vcc, s13, v22
	v_mul_f32_e32 v24, 0x3f317217, v23
	v_fma_f32 v24, v23, s11, -v24
	v_cndmask_b32_e32 v25, 1.0, v7, vcc
	v_mul_f32_e32 v22, v22, v25
	v_log_f32_e32 v22, v22
	v_fmac_f32_e32 v24, 0x3377d1cf, v23
	v_fmac_f32_e32 v24, 0x3f317217, v23
	v_cndmask_b32_e64 v23, v23, v24, s[2:3]
	v_cndmask_b32_e64 v24, 0, v13, s[4:5]
	v_sub_f32_e32 v23, v23, v24
	v_mul_f32_e32 v24, 0x3f317217, v22
	v_fma_f32 v24, v22, s11, -v24
	v_fmac_f32_e32 v24, 0x3377d1cf, v22
	v_fmac_f32_e32 v24, 0x3f317217, v22
	v_cmp_lt_f32_e64 s[2:3], |v22|, s12
	s_nop 1
	v_cndmask_b32_e64 v22, v22, v24, s[2:3]
	v_cndmask_b32_e32 v24, 0, v13, vcc
	v_cmp_lt_f32_e32 vcc, s9, v27
	v_sub_f32_e32 v22, v22, v24
	v_cmp_lt_f32_e64 s[2:3], s9, v26
	v_cndmask_b32_e32 v23, v23, v27, vcc
	v_mul_f32_e32 v25, 0x4f800000, v23
	v_cmp_gt_f32_e32 vcc, s10, v23
	v_cndmask_b32_e64 v22, v22, v26, s[2:3]
	s_nop 0
	v_cndmask_b32_e32 v23, v23, v25, vcc
	v_sqrt_f32_e32 v25, v23
	s_nop 0
	v_add_u32_e32 v24, -1, v25
	v_fma_f32 v26, -v24, v25, v23
	v_cmp_ge_f32_e64 s[2:3], 0, v26
	v_add_u32_e32 v26, 1, v25
	s_nop 0
	v_cndmask_b32_e64 v24, v25, v24, s[2:3]
	v_fma_f32 v25, -v26, v25, v23
	v_cmp_lt_f32_e64 s[2:3], 0, v25
	s_nop 1
	v_cndmask_b32_e64 v24, v24, v26, s[2:3]
	v_mul_f32_e32 v26, 0x4f800000, v22
	v_cmp_gt_f32_e64 s[2:3], s10, v22
	v_mul_f32_e32 v25, 0x37800000, v24
	v_cndmask_b32_e32 v24, v24, v25, vcc
	v_cndmask_b32_e64 v22, v22, v26, s[2:3]
	v_sqrt_f32_e32 v26, v22
	v_cmp_class_f32_e32 vcc, v23, v4
	v_add_u32_e32 v28, 1, v26
	s_nop 0
	v_cndmask_b32_e32 v23, v24, v23, vcc
	v_add_u32_e32 v24, -1, v26
	v_fma_f32 v25, -v24, v26, v22
	v_cmp_ge_f32_e32 vcc, 0, v25
	s_waitcnt vmcnt(9)
	v_mul_f32_e32 v25, 0x3fb8aa3b, v30
	v_exp_f32_e32 v25, v25
	v_cndmask_b32_e32 v27, v26, v24, vcc
	v_mul_f32_e32 v24, 0x3fb8aa3b, v29
	v_exp_f32_e32 v24, v24
	v_fma_f32 v26, -v28, v26, v22
	v_cmp_lt_f32_e32 vcc, 0, v26
	v_pk_add_f32 v[24:25], v[24:25], 1.0 op_sel_hi:[1,0]
	s_nop 0
	v_cndmask_b32_e32 v26, v27, v28, vcc
	v_mul_f32_e32 v27, 0x37800000, v26
	v_cmp_gt_f32_e32 vcc, s13, v25
	v_cndmask_b32_e64 v26, v26, v27, s[2:3]
	v_cmp_class_f32_e64 s[2:3], v22, v4
	v_cndmask_b32_e32 v27, 1.0, v7, vcc
	v_mul_f32_e32 v25, v25, v27
	v_log_f32_e32 v25, v25
	v_cndmask_b32_e64 v22, v26, v22, s[2:3]
	v_cmp_gt_f32_e64 s[2:3], s13, v24
	scratch_store_dwordx4 off, v[20:23], off
	v_cmp_lt_f32_e64 s[4:5], |v25|, s12
	s_nop 0
	v_cndmask_b32_e64 v21, 1.0, v7, s[2:3]
	v_mul_f32_e32 v20, 0x3f317217, v25
	v_mul_f32_e32 v21, v24, v21
	v_fma_f32 v20, v25, s11, -v20
	v_log_f32_e32 v21, v21
	v_fmac_f32_e32 v20, 0x3377d1cf, v25
	v_fmac_f32_e32 v20, 0x3f317217, v25
	v_cndmask_b32_e64 v20, v25, v20, s[4:5]
	v_cndmask_b32_e32 v22, 0, v13, vcc
	v_sub_f32_e32 v20, v20, v22
	v_mul_f32_e32 v22, 0x3f317217, v21
	v_fma_f32 v22, v21, s11, -v22
	v_fmac_f32_e32 v22, 0x3377d1cf, v21
	v_fmac_f32_e32 v22, 0x3f317217, v21
	v_cmp_lt_f32_e64 vcc, |v21|, s12
	s_nop 1
	v_cndmask_b32_e32 v21, v21, v22, vcc
	v_cmp_lt_f32_e32 vcc, s9, v30
	v_cndmask_b32_e64 v22, 0, v13, s[2:3]
	v_sub_f32_e32 v21, v21, v22
	v_cndmask_b32_e32 v20, v20, v30, vcc
	v_mul_f32_e32 v23, 0x4f800000, v20
	v_cmp_gt_f32_e32 vcc, s10, v20
	v_cmp_lt_f32_e64 s[2:3], s9, v29
	s_nop 0
	v_cndmask_b32_e32 v20, v20, v23, vcc
	v_sqrt_f32_e32 v23, v20
	v_cndmask_b32_e64 v21, v21, v29, s[2:3]
	v_add_u32_e32 v22, -1, v23
	v_fma_f32 v24, -v22, v23, v20
	v_cmp_ge_f32_e64 s[2:3], 0, v24
	v_add_u32_e32 v24, 1, v23
	s_nop 0
	v_cndmask_b32_e64 v22, v23, v22, s[2:3]
	v_fma_f32 v23, -v24, v23, v20
	v_cmp_lt_f32_e64 s[2:3], 0, v23
	s_nop 1
	v_cndmask_b32_e64 v22, v22, v24, s[2:3]
	v_mul_f32_e32 v24, 0x4f800000, v21
	v_cmp_gt_f32_e64 s[2:3], s10, v21
	v_mul_f32_e32 v23, 0x37800000, v22
	s_nop 0
	v_cndmask_b32_e64 v24, v21, v24, s[2:3]
	v_sqrt_f32_e32 v25, v24
	v_cndmask_b32_e32 v21, v22, v23, vcc
	v_cmp_class_f32_e32 vcc, v20, v4
	s_waitcnt vmcnt(8)
	v_mul_f32_e32 v23, 0x3fb8aa3b, v32
	v_exp_f32_e32 v23, v23
	v_cndmask_b32_e32 v21, v21, v20, vcc
	v_add_u32_e32 v20, -1, v25
	v_fma_f32 v22, -v20, v25, v24
	v_cmp_ge_f32_e32 vcc, 0, v22
	v_mul_f32_e32 v22, 0x3fb8aa3b, v31
	v_exp_f32_e32 v22, v22
	v_add_u32_e32 v26, 1, v25
	v_cndmask_b32_e32 v20, v25, v20, vcc
	v_fma_f32 v25, -v26, v25, v24
	v_cmp_lt_f32_e32 vcc, 0, v25
	v_pk_add_f32 v[22:23], v[22:23], 1.0 op_sel_hi:[1,0]
	s_nop 0
	v_cndmask_b32_e32 v20, v20, v26, vcc
	v_cmp_gt_f32_e32 vcc, s13, v23
	v_mul_f32_e32 v25, 0x37800000, v20
	v_cndmask_b32_e64 v20, v20, v25, s[2:3]
	v_cndmask_b32_e32 v26, 1.0, v7, vcc
	v_mul_f32_e32 v23, v23, v26
	v_log_f32_e32 v23, v23
	v_cmp_class_f32_e64 s[2:3], v24, v4
	v_cmp_lt_f32_e64 s[4:5], |v23|, s12
	s_nop 0
	v_cndmask_b32_e64 v20, v20, v24, s[2:3]
	v_cmp_gt_f32_e64 s[2:3], s13, v22
	v_mul_f32_e32 v24, 0x3f317217, v23
	v_fma_f32 v24, v23, s11, -v24
	v_cndmask_b32_e64 v25, 1.0, v7, s[2:3]
	v_mul_f32_e32 v22, v22, v25
	v_log_f32_e32 v22, v22
	v_fmac_f32_e32 v24, 0x3377d1cf, v23
	v_fmac_f32_e32 v24, 0x3f317217, v23
	v_cndmask_b32_e64 v23, v23, v24, s[4:5]
	v_cndmask_b32_e32 v24, 0, v13, vcc
	v_sub_f32_e32 v23, v23, v24
	v_mul_f32_e32 v24, 0x3f317217, v22
	v_fma_f32 v24, v22, s11, -v24
	v_fmac_f32_e32 v24, 0x3377d1cf, v22
	v_fmac_f32_e32 v24, 0x3f317217, v22
	v_cmp_lt_f32_e64 vcc, |v22|, s12
	s_nop 1
	v_cndmask_b32_e32 v22, v22, v24, vcc
	v_cmp_lt_f32_e32 vcc, s9, v32
	v_cndmask_b32_e64 v24, 0, v13, s[2:3]
	v_sub_f32_e32 v22, v22, v24
	v_cndmask_b32_e32 v23, v23, v32, vcc
	v_mul_f32_e32 v25, 0x4f800000, v23
	v_cmp_gt_f32_e32 vcc, s10, v23
	v_cmp_lt_f32_e64 s[2:3], s9, v31
	s_nop 0
	v_cndmask_b32_e32 v23, v23, v25, vcc
	v_sqrt_f32_e32 v25, v23
	v_cndmask_b32_e64 v22, v22, v31, s[2:3]
	v_add_u32_e32 v24, -1, v25
	v_fma_f32 v26, -v24, v25, v23
	v_cmp_ge_f32_e64 s[2:3], 0, v26
	v_add_u32_e32 v26, 1, v25
	s_nop 0
	v_cndmask_b32_e64 v24, v25, v24, s[2:3]
	v_fma_f32 v25, -v26, v25, v23
	v_cmp_lt_f32_e64 s[2:3], 0, v25
	s_nop 1
	v_cndmask_b32_e64 v24, v24, v26, s[2:3]
	v_mul_f32_e32 v26, 0x4f800000, v22
	v_cmp_gt_f32_e64 s[2:3], s10, v22
	v_mul_f32_e32 v25, 0x37800000, v24
	v_cndmask_b32_e32 v24, v24, v25, vcc
	v_cndmask_b32_e64 v22, v22, v26, s[2:3]
	v_sqrt_f32_e32 v26, v22
	v_cmp_class_f32_e32 vcc, v23, v4
	v_add_u32_e32 v28, 1, v26
	s_nop 0
	v_cndmask_b32_e32 v23, v24, v23, vcc
	v_add_u32_e32 v24, -1, v26
	v_fma_f32 v25, -v24, v26, v22
	v_cmp_ge_f32_e32 vcc, 0, v25
	v_mul_f32_e32 v25, 0x3fb8aa3b, v1
	v_exp_f32_e32 v25, v25
	v_cndmask_b32_e32 v27, v26, v24, vcc
	v_mul_f32_e32 v24, 0x3fb8aa3b, v0
	v_exp_f32_e32 v24, v24
	v_fma_f32 v26, -v28, v26, v22
	v_cmp_lt_f32_e32 vcc, 0, v26
	v_pk_add_f32 v[24:25], v[24:25], 1.0 op_sel_hi:[1,0]
	s_nop 0
	v_cndmask_b32_e32 v26, v27, v28, vcc
	v_mul_f32_e32 v27, 0x37800000, v26
	v_cmp_gt_f32_e32 vcc, s13, v25
	v_cndmask_b32_e64 v26, v26, v27, s[2:3]
	v_cmp_class_f32_e64 s[2:3], v22, v4
	v_cndmask_b32_e32 v27, 1.0, v7, vcc
	v_mul_f32_e32 v25, v25, v27
	v_log_f32_e32 v25, v25
	v_cndmask_b32_e64 v22, v26, v22, s[2:3]
	v_cmp_gt_f32_e64 s[2:3], s13, v24
	scratch_store_dwordx4 off, v[20:23], off offset:16
	v_cmp_lt_f32_e64 s[4:5], |v25|, s12
	s_nop 0
	v_cndmask_b32_e64 v21, 1.0, v7, s[2:3]
	v_mul_f32_e32 v20, 0x3f317217, v25
	v_mul_f32_e32 v21, v24, v21
	v_fma_f32 v20, v25, s11, -v20
	v_log_f32_e32 v21, v21
	v_fmac_f32_e32 v20, 0x3377d1cf, v25
	v_fmac_f32_e32 v20, 0x3f317217, v25
	v_cndmask_b32_e64 v20, v25, v20, s[4:5]
	v_cndmask_b32_e32 v22, 0, v13, vcc
	v_sub_f32_e32 v20, v20, v22
	v_mul_f32_e32 v22, 0x3f317217, v21
	v_fma_f32 v22, v21, s11, -v22
	v_fmac_f32_e32 v22, 0x3377d1cf, v21
	v_fmac_f32_e32 v22, 0x3f317217, v21
	v_cmp_lt_f32_e64 vcc, |v21|, s12
	s_nop 1
	v_cndmask_b32_e32 v21, v21, v22, vcc
	v_cmp_lt_f32_e32 vcc, s9, v1
	v_cndmask_b32_e64 v22, 0, v13, s[2:3]
	v_sub_f32_e32 v21, v21, v22
	v_cndmask_b32_e32 v1, v20, v1, vcc
	v_mul_f32_e32 v20, 0x4f800000, v1
	v_cmp_gt_f32_e32 vcc, s10, v1
	v_cmp_lt_f32_e64 s[2:3], s9, v0
	s_nop 0
	v_cndmask_b32_e32 v1, v1, v20, vcc
	v_sqrt_f32_e32 v20, v1
	v_cndmask_b32_e64 v0, v21, v0, s[2:3]
	v_add_u32_e32 v21, -1, v20
	v_fma_f32 v22, -v21, v20, v1
	v_cmp_ge_f32_e64 s[2:3], 0, v22
	v_add_u32_e32 v22, 1, v20
	s_nop 0
	v_cndmask_b32_e64 v21, v20, v21, s[2:3]
	v_fma_f32 v20, -v22, v20, v1
	v_cmp_lt_f32_e64 s[2:3], 0, v20
	s_nop 1
	v_cndmask_b32_e64 v20, v21, v22, s[2:3]
	v_mul_f32_e32 v22, 0x4f800000, v0
	v_cmp_gt_f32_e64 s[2:3], s10, v0
	v_mul_f32_e32 v21, 0x37800000, v20
	v_cndmask_b32_e32 v20, v20, v21, vcc
	v_cndmask_b32_e64 v0, v0, v22, s[2:3]
	v_sqrt_f32_e32 v22, v0
	v_cmp_class_f32_e32 vcc, v1, v4
	v_add_u32_e32 v24, 1, v22
	s_nop 0
	v_cndmask_b32_e32 v1, v20, v1, vcc
	v_add_u32_e32 v20, -1, v22
	v_fma_f32 v21, -v20, v22, v0
	v_cmp_ge_f32_e32 vcc, 0, v21
	v_mul_f32_e32 v21, 0x3fb8aa3b, v3
	v_exp_f32_e32 v21, v21
	v_cndmask_b32_e32 v23, v22, v20, vcc
	v_mul_f32_e32 v20, 0x3fb8aa3b, v2
	v_exp_f32_e32 v20, v20
	v_fma_f32 v22, -v24, v22, v0
	v_cmp_lt_f32_e32 vcc, 0, v22
	v_pk_add_f32 v[20:21], v[20:21], 1.0 op_sel_hi:[1,0]
	s_nop 0
	v_cndmask_b32_e32 v22, v23, v24, vcc
	v_cmp_gt_f32_e32 vcc, s13, v21
	v_mul_f32_e32 v23, 0x37800000, v22
	v_cndmask_b32_e64 v22, v22, v23, s[2:3]
	v_cndmask_b32_e32 v24, 1.0, v7, vcc
	v_mul_f32_e32 v21, v21, v24
	v_log_f32_e32 v21, v21
	v_cmp_class_f32_e64 s[2:3], v0, v4
	v_cmp_lt_f32_e64 s[4:5], |v21|, s12
	s_nop 0
	v_cndmask_b32_e64 v0, v22, v0, s[2:3]
	v_cmp_gt_f32_e64 s[2:3], s13, v20
	v_mul_f32_e32 v22, 0x3f317217, v21
	v_fma_f32 v22, v21, s11, -v22
	v_cndmask_b32_e64 v23, 1.0, v7, s[2:3]
	v_mul_f32_e32 v20, v20, v23
	v_log_f32_e32 v20, v20
	v_fmac_f32_e32 v22, 0x3377d1cf, v21
	v_fmac_f32_e32 v22, 0x3f317217, v21
	v_cndmask_b32_e64 v21, v21, v22, s[4:5]
	v_cndmask_b32_e32 v22, 0, v13, vcc
	v_sub_f32_e32 v21, v21, v22
	v_mul_f32_e32 v22, 0x3f317217, v20
	v_fma_f32 v22, v20, s11, -v22
	v_fmac_f32_e32 v22, 0x3377d1cf, v20
	v_fmac_f32_e32 v22, 0x3f317217, v20
	v_cmp_lt_f32_e64 vcc, |v20|, s12
	s_nop 1
	v_cndmask_b32_e32 v20, v20, v22, vcc
	v_cmp_lt_f32_e32 vcc, s9, v3
	v_cndmask_b32_e64 v22, 0, v13, s[2:3]
	v_sub_f32_e32 v20, v20, v22
	v_cndmask_b32_e32 v3, v21, v3, vcc
	v_mul_f32_e32 v21, 0x4f800000, v3
	v_cmp_gt_f32_e32 vcc, s10, v3
	v_cmp_lt_f32_e64 s[2:3], s9, v2
	s_nop 0
	v_cndmask_b32_e32 v3, v3, v21, vcc
	v_sqrt_f32_e32 v21, v3
	v_cndmask_b32_e64 v2, v20, v2, s[2:3]
	v_add_u32_e32 v20, -1, v21
	v_fma_f32 v22, -v20, v21, v3
	v_cmp_ge_f32_e64 s[2:3], 0, v22
	v_add_u32_e32 v22, 1, v21
	s_nop 0
	v_cndmask_b32_e64 v20, v21, v20, s[2:3]
	v_fma_f32 v21, -v22, v21, v3
	v_cmp_lt_f32_e64 s[2:3], 0, v21
	s_nop 1
	v_cndmask_b32_e64 v20, v20, v22, s[2:3]
	v_mul_f32_e32 v22, 0x4f800000, v2
	v_cmp_gt_f32_e64 s[2:3], s10, v2
	v_mul_f32_e32 v21, 0x37800000, v20
	v_cndmask_b32_e32 v20, v20, v21, vcc
	v_cndmask_b32_e64 v2, v2, v22, s[2:3]
	v_sqrt_f32_e32 v22, v2
	v_cmp_class_f32_e32 vcc, v3, v4
	v_add_u32_e32 v24, 1, v22
	s_nop 0
	v_cndmask_b32_e32 v3, v20, v3, vcc
	v_add_u32_e32 v20, -1, v22
	v_fma_f32 v21, -v20, v22, v2
	v_cmp_ge_f32_e32 vcc, 0, v21
	s_waitcnt vmcnt(7)
	v_mul_f32_e32 v21, 0x3fb8aa3b, v19
	v_exp_f32_e32 v21, v21
	v_cndmask_b32_e32 v23, v22, v20, vcc
	v_mul_f32_e32 v20, 0x3fb8aa3b, v18
	v_exp_f32_e32 v20, v20
	v_fma_f32 v22, -v24, v22, v2
	v_cmp_lt_f32_e32 vcc, 0, v22
	v_pk_add_f32 v[20:21], v[20:21], 1.0 op_sel_hi:[1,0]
	s_nop 0
	v_cndmask_b32_e32 v22, v23, v24, vcc
	v_mul_f32_e32 v23, 0x37800000, v22
	v_cmp_gt_f32_e32 vcc, s13, v21
	v_cndmask_b32_e64 v22, v22, v23, s[2:3]
	v_cmp_class_f32_e64 s[2:3], v2, v4
	v_cndmask_b32_e32 v23, 1.0, v7, vcc
	v_mul_f32_e32 v21, v21, v23
	v_log_f32_e32 v21, v21
	v_cndmask_b32_e64 v2, v22, v2, s[2:3]
	v_cmp_gt_f32_e64 s[2:3], s13, v20
	scratch_store_dwordx4 off, v[0:3], off offset:32
	v_cmp_lt_f32_e64 s[4:5], |v21|, s12
	s_nop 0
	v_cndmask_b32_e64 v1, 1.0, v7, s[2:3]
	v_mul_f32_e32 v0, 0x3f317217, v21
	v_mul_f32_e32 v1, v20, v1
	v_fma_f32 v0, v21, s11, -v0
	v_log_f32_e32 v1, v1
	v_fmac_f32_e32 v0, 0x3377d1cf, v21
	v_fmac_f32_e32 v0, 0x3f317217, v21
	v_cndmask_b32_e64 v0, v21, v0, s[4:5]
	v_cndmask_b32_e32 v2, 0, v13, vcc
	v_sub_f32_e32 v0, v0, v2
	v_mul_f32_e32 v2, 0x3f317217, v1
	v_fma_f32 v2, v1, s11, -v2
	v_fmac_f32_e32 v2, 0x3377d1cf, v1
	v_fmac_f32_e32 v2, 0x3f317217, v1
	v_cmp_lt_f32_e64 vcc, |v1|, s12
	s_nop 1
	v_cndmask_b32_e32 v1, v1, v2, vcc
	v_cmp_lt_f32_e32 vcc, s9, v19
	v_cndmask_b32_e64 v2, 0, v13, s[2:3]
	v_sub_f32_e32 v1, v1, v2
	v_cndmask_b32_e32 v0, v0, v19, vcc
	v_mul_f32_e32 v3, 0x4f800000, v0
	v_cmp_gt_f32_e32 vcc, s10, v0
	v_cmp_lt_f32_e64 s[2:3], s9, v18
	s_nop 0
	v_cndmask_b32_e32 v0, v0, v3, vcc
	v_sqrt_f32_e32 v3, v0
	v_cndmask_b32_e64 v1, v1, v18, s[2:3]
	v_add_u32_e32 v2, -1, v3
	v_fma_f32 v18, -v2, v3, v0
	v_cmp_ge_f32_e64 s[2:3], 0, v18
	v_add_u32_e32 v18, 1, v3
	s_nop 0
	v_cndmask_b32_e64 v2, v3, v2, s[2:3]
	v_fma_f32 v3, -v18, v3, v0
	v_cmp_lt_f32_e64 s[2:3], 0, v3
	s_nop 1
	v_cndmask_b32_e64 v2, v2, v18, s[2:3]
	v_mul_f32_e32 v18, 0x4f800000, v1
	v_cmp_gt_f32_e64 s[2:3], s10, v1
	v_mul_f32_e32 v3, 0x37800000, v2
	s_nop 0
	v_cndmask_b32_e64 v18, v1, v18, s[2:3]
	v_sqrt_f32_e32 v19, v18
	v_cndmask_b32_e32 v1, v2, v3, vcc
	v_cmp_class_f32_e32 vcc, v0, v4
	s_waitcnt vmcnt(6)
	v_mul_f32_e32 v3, 0x3fb8aa3b, v17
	v_exp_f32_e32 v3, v3
	v_cndmask_b32_e32 v1, v1, v0, vcc
	v_add_u32_e32 v0, -1, v19
	v_fma_f32 v2, -v0, v19, v18
	v_cmp_ge_f32_e32 vcc, 0, v2
	v_mul_f32_e32 v2, 0x3fb8aa3b, v16
	v_exp_f32_e32 v2, v2
	v_add_u32_e32 v20, 1, v19
	v_cndmask_b32_e32 v0, v19, v0, vcc
	v_fma_f32 v19, -v20, v19, v18
	v_cmp_lt_f32_e32 vcc, 0, v19
	v_pk_add_f32 v[2:3], v[2:3], 1.0 op_sel_hi:[1,0]
	s_nop 0
	v_cndmask_b32_e32 v0, v0, v20, vcc
	v_cmp_gt_f32_e32 vcc, s13, v3
	v_mul_f32_e32 v19, 0x37800000, v0
	v_cndmask_b32_e64 v0, v0, v19, s[2:3]
	v_cndmask_b32_e32 v20, 1.0, v7, vcc
	v_mul_f32_e32 v3, v3, v20
	v_log_f32_e32 v3, v3
	v_cmp_class_f32_e64 s[2:3], v18, v4
	v_cmp_lt_f32_e64 s[4:5], |v3|, s12
	s_nop 0
	v_cndmask_b32_e64 v0, v0, v18, s[2:3]
	v_cmp_gt_f32_e64 s[2:3], s13, v2
	v_mul_f32_e32 v18, 0x3f317217, v3
	v_fma_f32 v18, v3, s11, -v18
	v_cndmask_b32_e64 v19, 1.0, v7, s[2:3]
	v_mul_f32_e32 v2, v2, v19
	v_log_f32_e32 v2, v2
	v_fmac_f32_e32 v18, 0x3377d1cf, v3
	v_fmac_f32_e32 v18, 0x3f317217, v3
	v_cndmask_b32_e64 v3, v3, v18, s[4:5]
	v_cndmask_b32_e32 v18, 0, v13, vcc
	v_sub_f32_e32 v3, v3, v18
	v_mul_f32_e32 v18, 0x3f317217, v2
	v_fma_f32 v18, v2, s11, -v18
	v_fmac_f32_e32 v18, 0x3377d1cf, v2
	v_fmac_f32_e32 v18, 0x3f317217, v2
	v_cmp_lt_f32_e64 vcc, |v2|, s12
	s_nop 1
	v_cndmask_b32_e32 v2, v2, v18, vcc
	v_cmp_lt_f32_e32 vcc, s9, v17
	v_cndmask_b32_e64 v18, 0, v13, s[2:3]
	v_sub_f32_e32 v2, v2, v18
	v_cndmask_b32_e32 v3, v3, v17, vcc
	v_mul_f32_e32 v17, 0x4f800000, v3
	v_cmp_gt_f32_e32 vcc, s10, v3
	v_cmp_lt_f32_e64 s[2:3], s9, v16
	s_nop 0
	v_cndmask_b32_e32 v3, v3, v17, vcc
	v_sqrt_f32_e32 v17, v3
	v_cndmask_b32_e64 v2, v2, v16, s[2:3]
	v_add_u32_e32 v16, -1, v17
	v_fma_f32 v18, -v16, v17, v3
	v_cmp_ge_f32_e64 s[2:3], 0, v18
	v_add_u32_e32 v18, 1, v17
	s_nop 0
	v_cndmask_b32_e64 v16, v17, v16, s[2:3]
	v_fma_f32 v17, -v18, v17, v3
	v_cmp_lt_f32_e64 s[2:3], 0, v17
	s_nop 1
	v_cndmask_b32_e64 v16, v16, v18, s[2:3]
	v_mul_f32_e32 v18, 0x4f800000, v2
	v_cmp_gt_f32_e64 s[2:3], s10, v2
	v_mul_f32_e32 v17, 0x37800000, v16
	v_cndmask_b32_e32 v16, v16, v17, vcc
	v_cndmask_b32_e64 v2, v2, v18, s[2:3]
	v_sqrt_f32_e32 v18, v2
	v_cmp_class_f32_e32 vcc, v3, v4
	v_add_u32_e32 v20, 1, v18
	s_nop 0
	v_cndmask_b32_e32 v3, v16, v3, vcc
	v_add_u32_e32 v16, -1, v18
	v_fma_f32 v17, -v16, v18, v2
	v_cmp_ge_f32_e32 vcc, 0, v17
	s_waitcnt vmcnt(4)
	v_mul_f32_e32 v17, 0x3fb8aa3b, v15
	v_exp_f32_e32 v17, v17
	v_cndmask_b32_e32 v19, v18, v16, vcc
	v_mul_f32_e32 v16, 0x3fb8aa3b, v14
	v_exp_f32_e32 v16, v16
	v_fma_f32 v18, -v20, v18, v2
	v_cmp_lt_f32_e32 vcc, 0, v18
	v_pk_add_f32 v[16:17], v[16:17], 1.0 op_sel_hi:[1,0]
	s_nop 0
	v_cndmask_b32_e32 v18, v19, v20, vcc
	v_mul_f32_e32 v19, 0x37800000, v18
	v_cmp_gt_f32_e32 vcc, s13, v17
	v_cndmask_b32_e64 v18, v18, v19, s[2:3]
	v_cmp_class_f32_e64 s[2:3], v2, v4
	v_cndmask_b32_e32 v19, 1.0, v7, vcc
	v_mul_f32_e32 v17, v17, v19
	v_log_f32_e32 v17, v17
	v_cndmask_b32_e64 v2, v18, v2, s[2:3]
	v_cmp_gt_f32_e64 s[2:3], s13, v16
	scratch_store_dwordx4 off, v[0:3], off offset:48
	v_cmp_lt_f32_e64 s[4:5], |v17|, s12
	s_nop 0
	v_cndmask_b32_e64 v1, 1.0, v7, s[2:3]
	v_mul_f32_e32 v0, 0x3f317217, v17
	v_mul_f32_e32 v1, v16, v1
	v_fma_f32 v0, v17, s11, -v0
	v_log_f32_e32 v1, v1
	v_fmac_f32_e32 v0, 0x3377d1cf, v17
	v_fmac_f32_e32 v0, 0x3f317217, v17
	v_cndmask_b32_e64 v0, v17, v0, s[4:5]
	v_cndmask_b32_e32 v2, 0, v13, vcc
	v_sub_f32_e32 v0, v0, v2
	v_mul_f32_e32 v2, 0x3f317217, v1
	v_fma_f32 v2, v1, s11, -v2
	v_fmac_f32_e32 v2, 0x3377d1cf, v1
	v_fmac_f32_e32 v2, 0x3f317217, v1
	v_cmp_lt_f32_e64 vcc, |v1|, s12
	s_cselect_b64 s[4:5], -1, 0
	s_cmp_lt_i32 s33, 1
	v_cndmask_b32_e32 v1, v1, v2, vcc
	v_cmp_lt_f32_e32 vcc, s9, v15
	v_cndmask_b32_e64 v2, 0, v13, s[2:3]
	v_sub_f32_e32 v1, v1, v2
	v_cndmask_b32_e32 v0, v0, v15, vcc
	v_mul_f32_e32 v3, 0x4f800000, v0
	v_cmp_gt_f32_e32 vcc, s10, v0
	v_cmp_lt_f32_e64 s[2:3], s9, v14
	s_nop 0
	v_cndmask_b32_e32 v0, v0, v3, vcc
	v_sqrt_f32_e32 v3, v0
	v_cndmask_b32_e64 v1, v1, v14, s[2:3]
	v_add_u32_e32 v2, -1, v3
	v_fma_f32 v7, -v2, v3, v0
	v_cmp_ge_f32_e64 s[2:3], 0, v7
	v_add_u32_e32 v7, 1, v3
	s_nop 0
	v_cndmask_b32_e64 v2, v3, v2, s[2:3]
	v_fma_f32 v3, -v7, v3, v0
	v_cmp_lt_f32_e64 s[2:3], 0, v3
	s_nop 1
	v_cndmask_b32_e64 v2, v2, v7, s[2:3]
	v_mul_f32_e32 v7, 0x4f800000, v1
	v_cmp_gt_f32_e64 s[2:3], s10, v1
	v_mul_f32_e32 v3, 0x37800000, v2
	s_nop 0
	v_cndmask_b32_e64 v7, v1, v7, s[2:3]
	v_sqrt_f32_e32 v13, v7
	v_cndmask_b32_e32 v1, v2, v3, vcc
	v_cmp_class_f32_e32 vcc, v0, v4
	s_nop 1
	v_cndmask_b32_e32 v1, v1, v0, vcc
	v_add_u32_e32 v0, -1, v13
	v_fma_f32 v2, -v0, v13, v7
	v_cmp_ge_f32_e32 vcc, 0, v2
	v_add_u32_e32 v2, 1, v13
	v_fma_f32 v3, -v2, v13, v7
	v_cndmask_b32_e32 v0, v13, v0, vcc
	v_cmp_lt_f32_e32 vcc, 0, v3
	s_nop 1
	v_cndmask_b32_e32 v0, v0, v2, vcc
	v_mul_f32_e32 v2, 0x37800000, v0
	v_cndmask_b32_e64 v0, v0, v2, s[2:3]
	v_cmp_class_f32_e32 vcc, v7, v4
	v_mul_lo_u32 v2, v6, s33
	s_nop 0
	v_cndmask_b32_e32 v0, v0, v7, vcc
	scratch_store_dwordx2 off, v[0:1], off offset:64
	v_lshl_add_u64 v[0:1], v[10:11], 2, v[8:9]
	s_cbranch_scc1 .LBB58_28
; %bb.2:
	s_load_dwordx2 s[6:7], s[0:1], 0x20
	s_cmp_lt_u32 s33, 4
	v_mul_lo_u32 v6, v6, s33
	s_cbranch_scc1 .LBB58_21
; %bb.3:
	s_mov_b32 s11, 0
	s_and_b32 s8, s33, 0x7ffffffc
	v_ashrrev_i32_e32 v7, 31, v6
	v_mov_b32_e32 v5, 0
	s_mov_b32 s10, s11
	s_branch .LBB58_5
.LBB58_4:                               ;   in Loop: Header=BB58_5 Depth=1
	s_or_b64 exec, exec, s[12:13]
	s_add_i32 s10, s10, 4
	s_cmp_eq_u32 s10, s8
	s_cbranch_scc1 .LBB58_21
.LBB58_5:                               ; =>This Loop Header: Depth=1
                                        ;     Child Loop BB58_7 Depth 2
                                        ;     Child Loop BB58_11 Depth 2
	;; [unrolled: 1-line block ×4, first 2 shown]
	v_lshl_add_u64 v[8:9], s[10:11], 2, v[0:1]
	global_load_dword v3, v[8:9], off
	v_add_u32_e32 v10, s10, v6
	v_ashrrev_i32_e32 v11, 31, v10
	s_waitcnt lgkmcnt(0)
	v_lshl_add_u64 v[10:11], v[10:11], 2, s[6:7]
	v_mov_b32_e32 v4, 0
	s_mov_b64 s[12:13], 0
	v_mov_b32_e32 v13, v12
	s_mov_b32 s9, 0
	s_branch .LBB58_7
.LBB58_6:                               ;   in Loop: Header=BB58_7 Depth=2
	s_or_b64 exec, exec, s[14:15]
	s_add_i32 s16, s9, 1
	s_cmp_gt_u32 s9, 16
	s_cselect_b64 s[2:3], -1, 0
	s_xor_b64 s[14:15], vcc, -1
	s_or_b64 s[2:3], s[14:15], s[2:3]
	s_and_b64 s[2:3], exec, s[2:3]
	v_add_u32_e32 v13, 32, v13
	v_add_u32_e32 v4, 4, v4
	s_or_b64 s[12:13], s[2:3], s[12:13]
	s_mov_b32 s9, s16
	s_andn2_b64 exec, exec, s[12:13]
	s_cbranch_execz .LBB58_9
.LBB58_7:                               ;   Parent Loop BB58_5 Depth=1
                                        ; =>  This Inner Loop Header: Depth=2
	s_waitcnt vmcnt(0)
	v_cmp_ne_u32_e32 vcc, v3, v13
	v_cmp_eq_u32_e64 s[2:3], v3, v13
	s_and_saveexec_b64 s[14:15], s[2:3]
	s_cbranch_execz .LBB58_6
; %bb.8:                                ;   in Loop: Header=BB58_7 Depth=2
	scratch_load_dword v14, v4, off
	s_waitcnt vmcnt(0)
	v_add_f32_e32 v5, v5, v14
	global_store_dword v[10:11], v3, off
	s_branch .LBB58_6
.LBB58_9:                               ;   in Loop: Header=BB58_5 Depth=1
	s_or_b64 exec, exec, s[12:13]
	global_load_dword v3, v[8:9], off offset:4
	s_ashr_i32 s3, s10, 31
	s_mov_b32 s2, s10
	v_lshl_add_u64 v[10:11], s[2:3], 0, v[6:7]
	v_lshl_add_u64 v[10:11], v[10:11], 2, s[6:7]
	v_mov_b32_e32 v4, 0
	s_mov_b32 s9, 0
	s_mov_b64 s[12:13], 0
	v_mov_b32_e32 v13, v12
	s_branch .LBB58_11
.LBB58_10:                              ;   in Loop: Header=BB58_11 Depth=2
	s_or_b64 exec, exec, s[14:15]
	s_add_i32 s16, s9, 1
	s_cmp_gt_u32 s9, 16
	s_cselect_b64 s[2:3], -1, 0
	s_xor_b64 s[14:15], vcc, -1
	s_or_b64 s[2:3], s[14:15], s[2:3]
	s_and_b64 s[2:3], exec, s[2:3]
	v_add_u32_e32 v4, 4, v4
	v_add_u32_e32 v13, 32, v13
	s_or_b64 s[12:13], s[2:3], s[12:13]
	s_mov_b32 s9, s16
	s_andn2_b64 exec, exec, s[12:13]
	s_cbranch_execz .LBB58_13
.LBB58_11:                              ;   Parent Loop BB58_5 Depth=1
                                        ; =>  This Inner Loop Header: Depth=2
	s_waitcnt vmcnt(0)
	v_cmp_ne_u32_e32 vcc, v3, v13
	v_cmp_eq_u32_e64 s[2:3], v3, v13
	s_and_saveexec_b64 s[14:15], s[2:3]
	s_cbranch_execz .LBB58_10
; %bb.12:                               ;   in Loop: Header=BB58_11 Depth=2
	scratch_load_dword v14, v4, off
	s_waitcnt vmcnt(0)
	v_add_f32_e32 v5, v5, v14
	global_store_dword v[10:11], v3, off offset:4
	s_branch .LBB58_10
.LBB58_13:                              ;   in Loop: Header=BB58_5 Depth=1
	s_or_b64 exec, exec, s[12:13]
	global_load_dword v3, v[8:9], off offset:8
	v_mov_b32_e32 v4, 0
	s_mov_b32 s9, 0
	s_mov_b64 s[12:13], 0
	v_mov_b32_e32 v13, v12
	s_branch .LBB58_15
.LBB58_14:                              ;   in Loop: Header=BB58_15 Depth=2
	s_or_b64 exec, exec, s[14:15]
	s_add_i32 s16, s9, 1
	s_cmp_gt_u32 s9, 16
	s_cselect_b64 s[2:3], -1, 0
	s_xor_b64 s[14:15], vcc, -1
	s_or_b64 s[2:3], s[14:15], s[2:3]
	s_and_b64 s[2:3], exec, s[2:3]
	v_add_u32_e32 v4, 4, v4
	v_add_u32_e32 v13, 32, v13
	s_or_b64 s[12:13], s[2:3], s[12:13]
	s_mov_b32 s9, s16
	s_andn2_b64 exec, exec, s[12:13]
	s_cbranch_execz .LBB58_17
.LBB58_15:                              ;   Parent Loop BB58_5 Depth=1
                                        ; =>  This Inner Loop Header: Depth=2
	s_waitcnt vmcnt(0)
	v_cmp_ne_u32_e32 vcc, v3, v13
	v_cmp_eq_u32_e64 s[2:3], v3, v13
	s_and_saveexec_b64 s[14:15], s[2:3]
	s_cbranch_execz .LBB58_14
; %bb.16:                               ;   in Loop: Header=BB58_15 Depth=2
	scratch_load_dword v14, v4, off
	s_waitcnt vmcnt(0)
	v_add_f32_e32 v5, v5, v14
	global_store_dword v[10:11], v3, off offset:8
	s_branch .LBB58_14
.LBB58_17:                              ;   in Loop: Header=BB58_5 Depth=1
	s_or_b64 exec, exec, s[12:13]
	global_load_dword v3, v[8:9], off offset:12
	v_mov_b32_e32 v4, 0
	s_mov_b32 s9, 0
	s_mov_b64 s[12:13], 0
	v_mov_b32_e32 v8, v12
	s_branch .LBB58_19
.LBB58_18:                              ;   in Loop: Header=BB58_19 Depth=2
	s_or_b64 exec, exec, s[14:15]
	s_add_i32 s16, s9, 1
	s_cmp_gt_u32 s9, 16
	s_cselect_b64 s[2:3], -1, 0
	s_xor_b64 s[14:15], vcc, -1
	s_or_b64 s[2:3], s[14:15], s[2:3]
	s_and_b64 s[2:3], exec, s[2:3]
	v_add_u32_e32 v4, 4, v4
	v_add_u32_e32 v8, 32, v8
	s_or_b64 s[12:13], s[2:3], s[12:13]
	s_mov_b32 s9, s16
	s_andn2_b64 exec, exec, s[12:13]
	s_cbranch_execz .LBB58_4
.LBB58_19:                              ;   Parent Loop BB58_5 Depth=1
                                        ; =>  This Inner Loop Header: Depth=2
	s_waitcnt vmcnt(0)
	v_cmp_ne_u32_e32 vcc, v3, v8
	v_cmp_eq_u32_e64 s[2:3], v3, v8
	s_and_saveexec_b64 s[14:15], s[2:3]
	s_cbranch_execz .LBB58_18
; %bb.20:                               ;   in Loop: Header=BB58_19 Depth=2
	scratch_load_dword v9, v4, off
	s_waitcnt vmcnt(0)
	v_add_f32_e32 v5, v5, v9
	global_store_dword v[10:11], v3, off offset:12
	s_branch .LBB58_18
.LBB58_21:
	s_and_b32 s14, s33, 3
	s_cmp_eq_u32 s14, 0
	s_mov_b32 s9, 0
	s_cbranch_scc1 .LBB58_28
; %bb.22:
	s_mov_b32 s15, s9
	s_branch .LBB58_24
.LBB58_23:                              ;   in Loop: Header=BB58_24 Depth=1
	s_or_b64 exec, exec, s[10:11]
	s_add_i32 s8, s8, 1
	s_add_i32 s15, s15, 1
	s_cmp_lg_u32 s15, s14
	s_cbranch_scc0 .LBB58_28
.LBB58_24:                              ; =>This Loop Header: Depth=1
                                        ;     Child Loop BB58_26 Depth 2
	v_lshl_add_u64 v[8:9], s[8:9], 2, v[0:1]
	global_load_dword v3, v[8:9], off
	v_add_u32_e32 v8, s8, v6
	v_ashrrev_i32_e32 v9, 31, v8
	s_waitcnt lgkmcnt(0)
	v_lshl_add_u64 v[8:9], v[8:9], 2, s[6:7]
	v_mov_b32_e32 v4, 0
	s_mov_b32 s16, 0
	s_mov_b64 s[10:11], 0
	v_mov_b32_e32 v7, v12
	s_branch .LBB58_26
.LBB58_25:                              ;   in Loop: Header=BB58_26 Depth=2
	s_or_b64 exec, exec, s[12:13]
	s_add_i32 s17, s16, 1
	s_cmp_gt_u32 s16, 16
	s_cselect_b64 s[2:3], -1, 0
	s_xor_b64 s[12:13], vcc, -1
	s_or_b64 s[2:3], s[12:13], s[2:3]
	s_and_b64 s[2:3], exec, s[2:3]
	v_add_u32_e32 v4, 4, v4
	v_add_u32_e32 v7, 32, v7
	s_or_b64 s[10:11], s[2:3], s[10:11]
	s_mov_b32 s16, s17
	s_andn2_b64 exec, exec, s[10:11]
	s_cbranch_execz .LBB58_23
.LBB58_26:                              ;   Parent Loop BB58_24 Depth=1
                                        ; =>  This Inner Loop Header: Depth=2
	s_waitcnt vmcnt(0)
	v_cmp_ne_u32_e32 vcc, v3, v7
	v_cmp_eq_u32_e64 s[2:3], v3, v7
	s_and_saveexec_b64 s[12:13], s[2:3]
	s_cbranch_execz .LBB58_25
; %bb.27:                               ;   in Loop: Header=BB58_26 Depth=2
	scratch_load_dword v10, v4, off
	s_waitcnt vmcnt(0)
	v_add_f32_e32 v5, v5, v10
	global_store_dword v[8:9], v3, off
	s_branch .LBB58_25
.LBB58_28:
	s_waitcnt lgkmcnt(0)
	s_load_dword s6, s[0:1], 0x3c
	s_waitcnt lgkmcnt(0)
	s_bitcmp1_b32 s6, 0
	s_cselect_b64 s[2:3], -1, 0
	s_bitcmp0_b32 s6, 0
	s_cbranch_scc0 .LBB58_31
; %bb.29:
	s_load_dwordx2 s[6:7], s[0:1], 0x40
	s_andn2_b64 vcc, exec, s[2:3]
	s_waitcnt lgkmcnt(0)
	v_cvt_f32_f64_e32 v4, s[6:7]
	s_cbranch_vccz .LBB58_32
.LBB58_30:
	s_andn2_b64 vcc, exec, s[4:5]
	s_cbranch_vccz .LBB58_33
	s_branch .LBB58_71
.LBB58_31:
	v_mbcnt_lo_u32_b32 v3, -1, 0
	v_mbcnt_hi_u32_b32 v3, -1, v3
	v_and_b32_e32 v4, 0x60, v3
	v_add_u32_e32 v4, 32, v4
	v_xor_b32_e32 v6, 16, v3
	v_cmp_lt_i32_e32 vcc, v6, v4
	v_xor_b32_e32 v7, 8, v3
	s_nop 0
	v_cndmask_b32_e32 v6, v3, v6, vcc
	v_lshlrev_b32_e32 v6, 2, v6
	ds_bpermute_b32 v6, v6, v5
	v_cmp_lt_i32_e32 vcc, v7, v4
	s_waitcnt lgkmcnt(0)
	v_add_f32_e32 v5, v5, v6
	v_cndmask_b32_e32 v6, v3, v7, vcc
	v_lshlrev_b32_e32 v6, 2, v6
	ds_bpermute_b32 v6, v6, v5
	v_xor_b32_e32 v7, 4, v3
	v_cmp_lt_i32_e32 vcc, v7, v4
	s_waitcnt lgkmcnt(0)
	v_add_f32_e32 v5, v5, v6
	v_cndmask_b32_e32 v6, v3, v7, vcc
	v_lshlrev_b32_e32 v6, 2, v6
	ds_bpermute_b32 v6, v6, v5
	v_xor_b32_e32 v7, 2, v3
	;; [unrolled: 7-line block ×3, first 2 shown]
	v_cmp_lt_i32_e32 vcc, v7, v4
	s_waitcnt lgkmcnt(0)
	v_add_f32_e32 v5, v5, v6
	v_cndmask_b32_e32 v3, v3, v7, vcc
	v_lshlrev_b32_e32 v3, 2, v3
	ds_bpermute_b32 v3, v3, v5
	s_waitcnt lgkmcnt(0)
	v_add_f32_e32 v5, v5, v3
	s_load_dwordx2 s[6:7], s[0:1], 0x40
	s_andn2_b64 vcc, exec, s[2:3]
	s_waitcnt lgkmcnt(0)
	v_cvt_f32_f64_e32 v4, s[6:7]
	s_cbranch_vccnz .LBB58_30
.LBB58_32:
	v_cmp_lt_f32_e32 vcc, 0, v5
	s_nop 1
	v_cndmask_b32_e32 v3, 1.0, v5, vcc
	v_div_scale_f32 v5, s[2:3], v3, v3, v4
	v_rcp_f32_e32 v6, v5
	s_nop 0
	v_fma_f32 v7, -v5, v6, 1.0
	v_fmac_f32_e32 v6, v7, v6
	v_div_scale_f32 v7, vcc, v4, v3, v4
	v_mul_f32_e32 v8, v7, v6
	v_fma_f32 v9, -v5, v8, v7
	v_fmac_f32_e32 v8, v9, v6
	v_fma_f32 v5, -v5, v8, v7
	v_div_fmas_f32 v5, v5, v6, v8
	v_div_fixup_f32 v4, v5, v3, v4
	s_andn2_b64 vcc, exec, s[4:5]
	s_cbranch_vccnz .LBB58_71
.LBB58_33:
	s_load_dwordx2 s[34:35], s[0:1], 0x10
	v_mov_b32_e32 v3, 0
	v_or_b32_e32 v5, 4, v3
	v_or_b32_e32 v6, 8, v3
	v_or_b32_e32 v7, 12, v3
	v_add_u32_e32 v8, 16, v3
	v_add_u32_e32 v9, 20, v3
	v_add_u32_e32 v10, 24, v3
	v_add_u32_e32 v11, 28, v3
	v_add_u32_e32 v13, 32, v3
	v_add_u32_e32 v14, 36, v3
	v_add_u32_e32 v15, 40, v3
	v_add_u32_e32 v16, 44, v3
	v_add_u32_e32 v17, 48, v3
	v_add_u32_e32 v18, 52, v3
	v_add_u32_e32 v19, 56, v3
	v_add_u32_e32 v20, 60, v3
	v_add_u32_e32 v21, 64, v3
	v_add_u32_e32 v22, 0x44, v3
	v_or_b32_e32 v23, 32, v12
	v_or_b32_e32 v24, 64, v12
	;; [unrolled: 1-line block ×17, first 2 shown]
	s_branch .LBB58_35
.LBB58_34:                              ;   in Loop: Header=BB58_35 Depth=1
	s_or_b64 exec, exec, s[0:1]
	s_add_i32 s33, s33, -1
	v_add_u32_e32 v2, 1, v2
	s_cmp_eq_u32 s33, 0
	v_lshl_add_u64 v[0:1], v[0:1], 0, 4
	s_cbranch_scc1 .LBB58_71
.LBB58_35:                              ; =>This Inner Loop Header: Depth=1
	global_load_dword v40, v[0:1], off
	v_mov_b32_e32 v3, 0
	s_waitcnt vmcnt(0)
	v_cmp_eq_u32_e32 vcc, v40, v12
	v_cmp_ne_u32_e64 s[0:1], v40, v12
	s_and_saveexec_b64 s[36:37], s[0:1]
	s_cbranch_execz .LBB58_69
; %bb.36:                               ;   in Loop: Header=BB58_35 Depth=1
	v_cmp_eq_u32_e64 s[0:1], v40, v23
	v_cmp_ne_u32_e64 s[2:3], v40, v23
	v_mov_b32_e32 v3, v5
	s_and_saveexec_b64 s[38:39], s[2:3]
	s_cbranch_execz .LBB58_68
; %bb.37:                               ;   in Loop: Header=BB58_35 Depth=1
	v_cmp_eq_u32_e64 s[2:3], v40, v24
	v_cmp_ne_u32_e64 s[4:5], v40, v24
	v_mov_b32_e32 v3, v6
	s_and_saveexec_b64 s[40:41], s[4:5]
	s_cbranch_execz .LBB58_67
; %bb.38:                               ;   in Loop: Header=BB58_35 Depth=1
	v_cmp_eq_u32_e64 s[4:5], v40, v25
	v_cmp_ne_u32_e64 s[6:7], v40, v25
	v_mov_b32_e32 v3, v7
	s_and_saveexec_b64 s[42:43], s[6:7]
	s_cbranch_execz .LBB58_66
; %bb.39:                               ;   in Loop: Header=BB58_35 Depth=1
	v_cmp_eq_u32_e64 s[6:7], v40, v26
	v_cmp_ne_u32_e64 s[8:9], v40, v26
	v_mov_b32_e32 v3, v8
	s_and_saveexec_b64 s[44:45], s[8:9]
	s_cbranch_execz .LBB58_65
; %bb.40:                               ;   in Loop: Header=BB58_35 Depth=1
	v_cmp_eq_u32_e64 s[8:9], v40, v27
	v_cmp_ne_u32_e64 s[10:11], v40, v27
	v_mov_b32_e32 v3, v9
	s_and_saveexec_b64 s[46:47], s[10:11]
	s_cbranch_execz .LBB58_64
; %bb.41:                               ;   in Loop: Header=BB58_35 Depth=1
	v_cmp_eq_u32_e64 s[10:11], v40, v28
	v_cmp_ne_u32_e64 s[12:13], v40, v28
	v_mov_b32_e32 v3, v10
	s_and_saveexec_b64 s[48:49], s[12:13]
	s_cbranch_execz .LBB58_63
; %bb.42:                               ;   in Loop: Header=BB58_35 Depth=1
	v_cmp_eq_u32_e64 s[12:13], v40, v29
	v_cmp_ne_u32_e64 s[14:15], v40, v29
	v_mov_b32_e32 v3, v11
	s_and_saveexec_b64 s[50:51], s[14:15]
	s_cbranch_execz .LBB58_62
; %bb.43:                               ;   in Loop: Header=BB58_35 Depth=1
	v_cmp_eq_u32_e64 s[14:15], v40, v30
	v_cmp_ne_u32_e64 s[16:17], v40, v30
	v_mov_b32_e32 v3, v13
	s_and_saveexec_b64 s[52:53], s[16:17]
	s_cbranch_execz .LBB58_61
; %bb.44:                               ;   in Loop: Header=BB58_35 Depth=1
	v_cmp_eq_u32_e64 s[16:17], v40, v31
	v_cmp_ne_u32_e64 s[18:19], v40, v31
	v_mov_b32_e32 v3, v14
	s_and_saveexec_b64 s[54:55], s[18:19]
	s_cbranch_execz .LBB58_60
; %bb.45:                               ;   in Loop: Header=BB58_35 Depth=1
	v_cmp_eq_u32_e64 s[18:19], v40, v32
	v_cmp_ne_u32_e64 s[20:21], v40, v32
	v_mov_b32_e32 v3, v15
	s_and_saveexec_b64 s[56:57], s[20:21]
	s_cbranch_execz .LBB58_59
; %bb.46:                               ;   in Loop: Header=BB58_35 Depth=1
	v_cmp_eq_u32_e64 s[20:21], v40, v33
	v_cmp_ne_u32_e64 s[22:23], v40, v33
	v_mov_b32_e32 v3, v16
	s_and_saveexec_b64 s[58:59], s[22:23]
	s_cbranch_execz .LBB58_58
; %bb.47:                               ;   in Loop: Header=BB58_35 Depth=1
	v_cmp_eq_u32_e64 s[22:23], v40, v34
	v_cmp_ne_u32_e64 s[24:25], v40, v34
	v_mov_b32_e32 v3, v17
	s_and_saveexec_b64 s[60:61], s[24:25]
	s_cbranch_execz .LBB58_57
; %bb.48:                               ;   in Loop: Header=BB58_35 Depth=1
	v_cmp_eq_u32_e64 s[24:25], v40, v35
	v_cmp_ne_u32_e64 s[26:27], v40, v35
	v_mov_b32_e32 v3, v18
	s_and_saveexec_b64 s[62:63], s[26:27]
	s_cbranch_execz .LBB58_56
; %bb.49:                               ;   in Loop: Header=BB58_35 Depth=1
	v_cmp_eq_u32_e64 s[26:27], v40, v36
	v_cmp_ne_u32_e64 s[28:29], v40, v36
	v_mov_b32_e32 v3, v19
	s_and_saveexec_b64 s[64:65], s[28:29]
	s_cbranch_execz .LBB58_55
; %bb.50:                               ;   in Loop: Header=BB58_35 Depth=1
	v_cmp_eq_u32_e64 s[28:29], v40, v37
	v_cmp_ne_u32_e64 s[30:31], v40, v37
	v_mov_b32_e32 v3, v20
	s_and_saveexec_b64 s[66:67], s[30:31]
	s_cbranch_execz .LBB58_54
; %bb.51:                               ;   in Loop: Header=BB58_35 Depth=1
	v_cmp_eq_u32_e64 s[68:69], v40, v38
	v_cmp_ne_u32_e64 s[30:31], v40, v38
	v_mov_b32_e32 v3, v21
	s_and_saveexec_b64 s[70:71], s[30:31]
	s_xor_b64 s[70:71], exec, s[70:71]
; %bb.52:                               ;   in Loop: Header=BB58_35 Depth=1
	v_cmp_eq_u32_e64 s[30:31], v40, v39
	s_andn2_b64 s[68:69], s[68:69], exec
	s_and_b64 s[30:31], s[30:31], exec
	s_or_b64 s[68:69], s[68:69], s[30:31]
	v_mov_b32_e32 v3, v22
; %bb.53:                               ;   in Loop: Header=BB58_35 Depth=1
	s_or_b64 exec, exec, s[70:71]
	s_andn2_b64 s[28:29], s[28:29], exec
	s_and_b64 s[30:31], s[68:69], exec
	s_or_b64 s[28:29], s[28:29], s[30:31]
.LBB58_54:                              ;   in Loop: Header=BB58_35 Depth=1
	s_or_b64 exec, exec, s[66:67]
	s_andn2_b64 s[26:27], s[26:27], exec
	s_and_b64 s[28:29], s[28:29], exec
	s_or_b64 s[26:27], s[26:27], s[28:29]
.LBB58_55:                              ;   in Loop: Header=BB58_35 Depth=1
	s_or_b64 exec, exec, s[64:65]
	s_andn2_b64 s[24:25], s[24:25], exec
	s_and_b64 s[26:27], s[26:27], exec
	s_or_b64 s[24:25], s[24:25], s[26:27]
.LBB58_56:                              ;   in Loop: Header=BB58_35 Depth=1
	s_or_b64 exec, exec, s[62:63]
	s_andn2_b64 s[22:23], s[22:23], exec
	s_and_b64 s[24:25], s[24:25], exec
	s_or_b64 s[22:23], s[22:23], s[24:25]
.LBB58_57:                              ;   in Loop: Header=BB58_35 Depth=1
	s_or_b64 exec, exec, s[60:61]
	s_andn2_b64 s[20:21], s[20:21], exec
	s_and_b64 s[22:23], s[22:23], exec
	s_or_b64 s[20:21], s[20:21], s[22:23]
.LBB58_58:                              ;   in Loop: Header=BB58_35 Depth=1
	s_or_b64 exec, exec, s[58:59]
	s_andn2_b64 s[18:19], s[18:19], exec
	s_and_b64 s[20:21], s[20:21], exec
	s_or_b64 s[18:19], s[18:19], s[20:21]
.LBB58_59:                              ;   in Loop: Header=BB58_35 Depth=1
	s_or_b64 exec, exec, s[56:57]
	s_andn2_b64 s[16:17], s[16:17], exec
	s_and_b64 s[18:19], s[18:19], exec
	s_or_b64 s[16:17], s[16:17], s[18:19]
.LBB58_60:                              ;   in Loop: Header=BB58_35 Depth=1
	s_or_b64 exec, exec, s[54:55]
	s_andn2_b64 s[14:15], s[14:15], exec
	s_and_b64 s[16:17], s[16:17], exec
	s_or_b64 s[14:15], s[14:15], s[16:17]
.LBB58_61:                              ;   in Loop: Header=BB58_35 Depth=1
	s_or_b64 exec, exec, s[52:53]
	s_andn2_b64 s[12:13], s[12:13], exec
	s_and_b64 s[14:15], s[14:15], exec
	s_or_b64 s[12:13], s[12:13], s[14:15]
.LBB58_62:                              ;   in Loop: Header=BB58_35 Depth=1
	s_or_b64 exec, exec, s[50:51]
	s_andn2_b64 s[10:11], s[10:11], exec
	s_and_b64 s[12:13], s[12:13], exec
	s_or_b64 s[10:11], s[10:11], s[12:13]
.LBB58_63:                              ;   in Loop: Header=BB58_35 Depth=1
	s_or_b64 exec, exec, s[48:49]
	s_andn2_b64 s[8:9], s[8:9], exec
	s_and_b64 s[10:11], s[10:11], exec
	s_or_b64 s[8:9], s[8:9], s[10:11]
.LBB58_64:                              ;   in Loop: Header=BB58_35 Depth=1
	s_or_b64 exec, exec, s[46:47]
	s_andn2_b64 s[6:7], s[6:7], exec
	s_and_b64 s[8:9], s[8:9], exec
	s_or_b64 s[6:7], s[6:7], s[8:9]
.LBB58_65:                              ;   in Loop: Header=BB58_35 Depth=1
	s_or_b64 exec, exec, s[44:45]
	s_andn2_b64 s[4:5], s[4:5], exec
	s_and_b64 s[6:7], s[6:7], exec
	s_or_b64 s[4:5], s[4:5], s[6:7]
.LBB58_66:                              ;   in Loop: Header=BB58_35 Depth=1
	s_or_b64 exec, exec, s[42:43]
	s_andn2_b64 s[2:3], s[2:3], exec
	s_and_b64 s[4:5], s[4:5], exec
	s_or_b64 s[2:3], s[2:3], s[4:5]
.LBB58_67:                              ;   in Loop: Header=BB58_35 Depth=1
	s_or_b64 exec, exec, s[40:41]
	s_andn2_b64 s[0:1], s[0:1], exec
	s_and_b64 s[2:3], s[2:3], exec
	s_or_b64 s[0:1], s[0:1], s[2:3]
.LBB58_68:                              ;   in Loop: Header=BB58_35 Depth=1
	s_or_b64 exec, exec, s[38:39]
	s_andn2_b64 s[2:3], vcc, exec
	s_and_b64 s[0:1], s[0:1], exec
	s_or_b64 vcc, s[2:3], s[0:1]
.LBB58_69:                              ;   in Loop: Header=BB58_35 Depth=1
	s_or_b64 exec, exec, s[36:37]
	s_and_saveexec_b64 s[0:1], vcc
	s_cbranch_execz .LBB58_34
; %bb.70:                               ;   in Loop: Header=BB58_35 Depth=1
	scratch_load_dword v40, v3, off
	v_ashrrev_i32_e32 v3, 31, v2
	s_waitcnt vmcnt(0)
	v_mul_f32_e32 v42, v4, v40
	s_waitcnt lgkmcnt(0)
	v_lshl_add_u64 v[40:41], v[2:3], 2, s[34:35]
	global_store_dword v[40:41], v42, off
	s_branch .LBB58_34
.LBB58_71:
	s_endpgm
	.section	.rodata,"a",@progbits
	.p2align	6, 0x0
	.amdhsa_kernel _ZN4vllm3moe22topkGatingSoftplusSqrtILi18ELi576ELi4ELi4ELi32ELb1EifEEvPKT6_PKbPfiPT5_PiiiibdPKfPKS8_SE_
		.amdhsa_group_segment_fixed_size 0
		.amdhsa_private_segment_fixed_size 80
		.amdhsa_kernarg_size 96
		.amdhsa_user_sgpr_count 2
		.amdhsa_user_sgpr_dispatch_ptr 0
		.amdhsa_user_sgpr_queue_ptr 0
		.amdhsa_user_sgpr_kernarg_segment_ptr 1
		.amdhsa_user_sgpr_dispatch_id 0
		.amdhsa_user_sgpr_kernarg_preload_length 0
		.amdhsa_user_sgpr_kernarg_preload_offset 0
		.amdhsa_user_sgpr_private_segment_size 0
		.amdhsa_uses_dynamic_stack 0
		.amdhsa_enable_private_segment 1
		.amdhsa_system_sgpr_workgroup_id_x 1
		.amdhsa_system_sgpr_workgroup_id_y 0
		.amdhsa_system_sgpr_workgroup_id_z 0
		.amdhsa_system_sgpr_workgroup_info 0
		.amdhsa_system_vgpr_workitem_id 1
		.amdhsa_next_free_vgpr 43
		.amdhsa_next_free_sgpr 72
		.amdhsa_accum_offset 44
		.amdhsa_reserve_vcc 1
		.amdhsa_float_round_mode_32 0
		.amdhsa_float_round_mode_16_64 0
		.amdhsa_float_denorm_mode_32 3
		.amdhsa_float_denorm_mode_16_64 3
		.amdhsa_dx10_clamp 1
		.amdhsa_ieee_mode 1
		.amdhsa_fp16_overflow 0
		.amdhsa_tg_split 0
		.amdhsa_exception_fp_ieee_invalid_op 0
		.amdhsa_exception_fp_denorm_src 0
		.amdhsa_exception_fp_ieee_div_zero 0
		.amdhsa_exception_fp_ieee_overflow 0
		.amdhsa_exception_fp_ieee_underflow 0
		.amdhsa_exception_fp_ieee_inexact 0
		.amdhsa_exception_int_div_zero 0
	.end_amdhsa_kernel
	.section	.text._ZN4vllm3moe22topkGatingSoftplusSqrtILi18ELi576ELi4ELi4ELi32ELb1EifEEvPKT6_PKbPfiPT5_PiiiibdPKfPKS8_SE_,"axG",@progbits,_ZN4vllm3moe22topkGatingSoftplusSqrtILi18ELi576ELi4ELi4ELi32ELb1EifEEvPKT6_PKbPfiPT5_PiiiibdPKfPKS8_SE_,comdat
.Lfunc_end58:
	.size	_ZN4vllm3moe22topkGatingSoftplusSqrtILi18ELi576ELi4ELi4ELi32ELb1EifEEvPKT6_PKbPfiPT5_PiiiibdPKfPKS8_SE_, .Lfunc_end58-_ZN4vllm3moe22topkGatingSoftplusSqrtILi18ELi576ELi4ELi4ELi32ELb1EifEEvPKT6_PKbPfiPT5_PiiiibdPKfPKS8_SE_
                                        ; -- End function
	.section	.AMDGPU.csdata,"",@progbits
; Kernel info:
; codeLenInByte = 6700
; NumSgprs: 78
; NumVgprs: 43
; NumAgprs: 0
; TotalNumVgprs: 43
; ScratchSize: 80
; MemoryBound: 0
; FloatMode: 240
; IeeeMode: 1
; LDSByteSize: 0 bytes/workgroup (compile time only)
; SGPRBlocks: 9
; VGPRBlocks: 5
; NumSGPRsForWavesPerEU: 78
; NumVGPRsForWavesPerEU: 43
; AccumOffset: 44
; Occupancy: 8
; WaveLimiterHint : 1
; COMPUTE_PGM_RSRC2:SCRATCH_EN: 1
; COMPUTE_PGM_RSRC2:USER_SGPR: 2
; COMPUTE_PGM_RSRC2:TRAP_HANDLER: 0
; COMPUTE_PGM_RSRC2:TGID_X_EN: 1
; COMPUTE_PGM_RSRC2:TGID_Y_EN: 0
; COMPUTE_PGM_RSRC2:TGID_Z_EN: 0
; COMPUTE_PGM_RSRC2:TIDIG_COMP_CNT: 1
; COMPUTE_PGM_RSRC3_GFX90A:ACCUM_OFFSET: 10
; COMPUTE_PGM_RSRC3_GFX90A:TG_SPLIT: 0
	.section	.text._ZN4vllm3moe22topkGatingSoftplusSqrtILi18ELi576ELi4ELi4ELi32ELb0EifEEvPKT6_PKbPfiPT5_PiiiibdPKfPKS8_SE_,"axG",@progbits,_ZN4vllm3moe22topkGatingSoftplusSqrtILi18ELi576ELi4ELi4ELi32ELb0EifEEvPKT6_PKbPfiPT5_PiiiibdPKfPKS8_SE_,comdat
	.protected	_ZN4vllm3moe22topkGatingSoftplusSqrtILi18ELi576ELi4ELi4ELi32ELb0EifEEvPKT6_PKbPfiPT5_PiiiibdPKfPKS8_SE_ ; -- Begin function _ZN4vllm3moe22topkGatingSoftplusSqrtILi18ELi576ELi4ELi4ELi32ELb0EifEEvPKT6_PKbPfiPT5_PiiiibdPKfPKS8_SE_
	.globl	_ZN4vllm3moe22topkGatingSoftplusSqrtILi18ELi576ELi4ELi4ELi32ELb0EifEEvPKT6_PKbPfiPT5_PiiiibdPKfPKS8_SE_
	.p2align	8
	.type	_ZN4vllm3moe22topkGatingSoftplusSqrtILi18ELi576ELi4ELi4ELi32ELb0EifEEvPKT6_PKbPfiPT5_PiiiibdPKfPKS8_SE_,@function
_ZN4vllm3moe22topkGatingSoftplusSqrtILi18ELi576ELi4ELi4ELi32ELb0EifEEvPKT6_PKbPfiPT5_PiiiibdPKfPKS8_SE_: ; @_ZN4vllm3moe22topkGatingSoftplusSqrtILi18ELi576ELi4ELi4ELi32ELb0EifEEvPKT6_PKbPfiPT5_PiiiibdPKfPKS8_SE_
; %bb.0:
	s_load_dword s30, s[0:1], 0x18
	v_and_b32_e32 v1, 0x3ff, v0
	s_lshl_b32 s2, s2, 2
	v_lshrrev_b32_e32 v2, 5, v1
	v_bfe_u32 v0, v0, 10, 10
	v_add3_u32 v16, s2, v0, v2
	s_waitcnt lgkmcnt(0)
	v_cmp_gt_i32_e32 vcc, s30, v16
	s_and_saveexec_b64 s[2:3], vcc
	s_cbranch_execz .LBB59_83
; %bb.1:
	s_load_dwordx4 s[4:7], s[0:1], 0x0
	s_load_dwordx2 s[20:21], s[0:1], 0x10
	s_waitcnt lgkmcnt(0)
	s_cmp_eq_u64 s[6:7], 0
	s_cbranch_scc1 .LBB59_3
; %bb.2:
	v_ashrrev_i32_e32 v17, 31, v16
	v_lshl_add_u64 v[2:3], s[6:7], 0, v[16:17]
	global_load_ubyte v0, v[2:3], off
	s_waitcnt vmcnt(0)
	v_and_b32_e32 v0, 1, v0
	v_cmp_eq_u32_e32 vcc, 1, v0
	s_xor_b64 s[2:3], vcc, -1
	s_orn2_b64 s[22:23], s[2:3], exec
	s_branch .LBB59_4
.LBB59_3:
	s_mov_b64 s[22:23], -1
.LBB59_4:
	s_movk_i32 s2, 0x240
	v_mul_lo_u32 v4, v16, s2
	v_mov_b32_e32 v2, s4
	v_mov_b32_e32 v3, s5
	v_ashrrev_i32_e32 v5, 31, v4
	v_and_b32_e32 v18, 31, v1
	v_lshl_add_u64 v[2:3], v[4:5], 2, v[2:3]
	v_mov_b32_e32 v21, 0
	v_lshlrev_b32_e32 v20, 2, v18
	v_lshl_add_u64 v[24:25], v[2:3], 0, v[20:21]
	global_load_dword v12, v[24:25], off
	global_load_dword v13, v[24:25], off offset:128
	global_load_dword v14, v[24:25], off offset:256
	;; [unrolled: 1-line block ×17, first 2 shown]
	s_mov_b32 s16, 0x800000
	v_mov_b32_e32 v19, 0x4f800000
	s_mov_b32 s13, 0x3f317217
	s_mov_b32 s14, 0x7f800000
	v_mov_b32_e32 v21, 0x41b17218
	s_mov_b32 s12, 0x41a00000
	s_mov_b32 s15, 0xf800000
	s_load_dwordx4 s[8:11], s[0:1], 0x40
	v_mov_b32_e32 v17, 0x260
	s_waitcnt vmcnt(14)
	scratch_store_dwordx4 off, v[12:15], off
	s_waitcnt vmcnt(11)
	scratch_store_dwordx4 off, v[8:11], off offset:16
	v_mul_f32_e32 v24, 0x3fb8aa3b, v12
	v_exp_f32_e32 v24, v24
	s_waitcnt lgkmcnt(0)
	s_cmp_lg_u64 s[10:11], 0
	s_cselect_b64 s[6:7], -1, 0
	s_and_b64 vcc, exec, s[6:7]
	v_add_f32_e32 v24, 1.0, v24
	v_cmp_gt_f32_e64 s[2:3], s16, v24
	s_waitcnt vmcnt(8)
	scratch_store_dwordx4 off, v[4:7], off offset:32
	s_waitcnt vmcnt(5)
	scratch_store_dwordx4 off, v[0:3], off offset:48
	s_waitcnt vmcnt(4)
	scratch_store_dwordx2 off, v[22:23], off offset:64
	v_cndmask_b32_e64 v25, 1.0, v19, s[2:3]
	v_mul_f32_e32 v24, v24, v25
	v_log_f32_e32 v24, v24
	v_cndmask_b32_e64 v25, 0, v21, s[2:3]
	v_mul_f32_e32 v26, 0x3f317217, v24
	v_fma_f32 v26, v24, s13, -v26
	v_fmac_f32_e32 v26, 0x3377d1cf, v24
	v_fmac_f32_e32 v26, 0x3f317217, v24
	v_cmp_lt_f32_e64 s[2:3], |v24|, s14
	s_nop 1
	v_cndmask_b32_e64 v24, v24, v26, s[2:3]
	v_sub_f32_e32 v24, v24, v25
	v_cmp_lt_f32_e64 s[2:3], s12, v12
	s_nop 1
	v_cndmask_b32_e64 v12, v24, v12, s[2:3]
	v_mul_f32_e32 v24, 0x4f800000, v12
	v_cmp_gt_f32_e64 s[2:3], s15, v12
	s_nop 1
	v_cndmask_b32_e64 v12, v12, v24, s[2:3]
	v_sqrt_f32_e32 v24, v12
	s_nop 0
	v_add_u32_e32 v25, -1, v24
	v_add_u32_e32 v26, 1, v24
	v_fma_f32 v27, -v25, v24, v12
	v_fma_f32 v28, -v26, v24, v12
	v_cmp_ge_f32_e64 s[4:5], 0, v27
	s_nop 1
	v_cndmask_b32_e64 v24, v24, v25, s[4:5]
	v_cmp_lt_f32_e64 s[4:5], 0, v28
	s_nop 1
	v_cndmask_b32_e64 v24, v24, v26, s[4:5]
	v_mul_f32_e32 v25, 0x37800000, v24
	v_cndmask_b32_e64 v24, v24, v25, s[2:3]
	v_cmp_class_f32_e64 s[2:3], v12, v17
	s_nop 1
	v_cndmask_b32_e64 v12, v24, v12, s[2:3]
	s_cbranch_vccz .LBB59_6
; %bb.5:
	global_load_dword v24, v20, s[10:11]
	s_waitcnt vmcnt(0)
	v_add_f32_e32 v12, v12, v24
.LBB59_6:
	v_mul_f32_e32 v24, 0x3fb8aa3b, v13
	v_exp_f32_e32 v24, v24
	scratch_store_dword off, v12, off
	v_add_f32_e32 v24, 1.0, v24
	v_cmp_gt_f32_e32 vcc, s16, v24
	s_nop 1
	v_cndmask_b32_e32 v19, 1.0, v19, vcc
	v_mul_f32_e32 v19, v24, v19
	v_log_f32_e32 v19, v19
	v_cndmask_b32_e32 v21, 0, v21, vcc
	v_mul_f32_e32 v24, 0x3f317217, v19
	v_fma_f32 v24, v19, s13, -v24
	v_fmac_f32_e32 v24, 0x3377d1cf, v19
	v_fmac_f32_e32 v24, 0x3f317217, v19
	v_cmp_lt_f32_e64 vcc, |v19|, s14
	s_nop 1
	v_cndmask_b32_e32 v19, v19, v24, vcc
	v_sub_f32_e32 v19, v19, v21
	v_cmp_lt_f32_e32 vcc, s12, v13
	s_nop 1
	v_cndmask_b32_e32 v13, v19, v13, vcc
	v_mul_f32_e32 v19, 0x4f800000, v13
	v_cmp_gt_f32_e32 vcc, s15, v13
	s_nop 1
	v_cndmask_b32_e32 v13, v13, v19, vcc
	v_sqrt_f32_e32 v19, v13
	v_cmp_class_f32_e64 s[4:5], v13, v17
	v_add_u32_e32 v12, -1, v19
	v_add_u32_e32 v21, 1, v19
	v_fma_f32 v24, -v12, v19, v13
	v_fma_f32 v25, -v21, v19, v13
	v_cmp_ge_f32_e64 s[2:3], 0, v24
	s_nop 1
	v_cndmask_b32_e64 v12, v19, v12, s[2:3]
	v_cmp_lt_f32_e64 s[2:3], 0, v25
	s_nop 1
	v_cndmask_b32_e64 v12, v12, v21, s[2:3]
	v_mul_f32_e32 v19, 0x37800000, v12
	v_cndmask_b32_e32 v12, v12, v19, vcc
	v_cndmask_b32_e64 v19, 0, 1, s[6:7]
	v_cmp_ne_u32_e64 s[2:3], 1, v19
	s_andn2_b64 vcc, exec, s[6:7]
	v_cndmask_b32_e64 v13, v12, v13, s[4:5]
	s_cbranch_vccnz .LBB59_8
; %bb.7:
	global_load_dword v12, v20, s[10:11] offset:128
	s_waitcnt vmcnt(0)
	v_add_f32_e32 v13, v13, v12
.LBB59_8:
	v_mul_f32_e32 v12, 0x3fb8aa3b, v14
	v_exp_f32_e32 v17, v12
	s_mov_b32 s13, 0x800000
	v_mov_b32_e32 v12, 0x4f800000
	s_mov_b32 s7, 0x3f317217
	v_add_f32_e32 v17, 1.0, v17
	v_cmp_gt_f32_e32 vcc, s13, v17
	s_mov_b32 s12, 0x7f800000
	s_mov_b32 s6, 0x41a00000
	v_cndmask_b32_e32 v19, 1.0, v12, vcc
	v_mul_f32_e32 v17, v17, v19
	v_log_f32_e32 v17, v17
	s_mov_b32 s14, 0xf800000
	scratch_store_dword off, v13, off offset:4
	v_mul_f32_e32 v19, 0x3f317217, v17
	v_fma_f32 v19, v17, s7, -v19
	v_fmac_f32_e32 v19, 0x3377d1cf, v17
	v_fmac_f32_e32 v19, 0x3f317217, v17
	v_cmp_lt_f32_e64 s[4:5], |v17|, s12
	s_nop 1
	v_cndmask_b32_e64 v19, v17, v19, s[4:5]
	v_mov_b32_e32 v17, 0x41b17218
	v_cndmask_b32_e32 v21, 0, v17, vcc
	v_sub_f32_e32 v19, v19, v21
	v_cmp_lt_f32_e32 vcc, s6, v14
	s_nop 1
	v_cndmask_b32_e32 v14, v19, v14, vcc
	v_mul_f32_e32 v19, 0x4f800000, v14
	v_cmp_gt_f32_e32 vcc, s14, v14
	s_nop 1
	v_cndmask_b32_e32 v14, v14, v19, vcc
	v_sqrt_f32_e32 v19, v14
	s_nop 0
	v_add_u32_e32 v13, -1, v19
	v_fma_f32 v21, -v13, v19, v14
	v_cmp_ge_f32_e64 s[4:5], 0, v21
	v_add_u32_e32 v21, 1, v19
	s_nop 0
	v_cndmask_b32_e64 v13, v19, v13, s[4:5]
	v_fma_f32 v19, -v21, v19, v14
	v_cmp_lt_f32_e64 s[4:5], 0, v19
	s_nop 1
	v_cndmask_b32_e64 v13, v13, v21, s[4:5]
	v_mul_f32_e32 v19, 0x37800000, v13
	v_cndmask_b32_e32 v19, v13, v19, vcc
	v_mov_b32_e32 v13, 0x260
	v_cmp_class_f32_e64 s[4:5], v14, v13
	s_and_b64 vcc, exec, s[2:3]
	s_nop 0
	v_cndmask_b32_e64 v14, v19, v14, s[4:5]
	s_cbranch_vccnz .LBB59_10
; %bb.9:
	global_load_dword v19, v20, s[10:11] offset:256
	s_waitcnt vmcnt(0)
	v_add_f32_e32 v14, v14, v19
.LBB59_10:
	v_mul_f32_e32 v19, 0x3fb8aa3b, v15
	v_exp_f32_e32 v19, v19
	scratch_store_dword off, v14, off offset:8
	v_add_f32_e32 v19, 1.0, v19
	v_cmp_gt_f32_e32 vcc, s13, v19
	s_nop 1
	v_cndmask_b32_e32 v12, 1.0, v12, vcc
	v_mul_f32_e32 v12, v19, v12
	v_log_f32_e32 v12, v12
	v_cndmask_b32_e32 v17, 0, v17, vcc
	v_mul_f32_e32 v19, 0x3f317217, v12
	v_fma_f32 v19, v12, s7, -v19
	v_fmac_f32_e32 v19, 0x3377d1cf, v12
	v_fmac_f32_e32 v19, 0x3f317217, v12
	v_cmp_lt_f32_e64 vcc, |v12|, s12
	s_nop 1
	v_cndmask_b32_e32 v12, v12, v19, vcc
	v_sub_f32_e32 v12, v12, v17
	v_cmp_lt_f32_e32 vcc, s6, v15
	s_nop 1
	v_cndmask_b32_e32 v12, v12, v15, vcc
	v_mul_f32_e32 v15, 0x4f800000, v12
	v_cmp_gt_f32_e32 vcc, s14, v12
	s_nop 1
	v_cndmask_b32_e32 v12, v12, v15, vcc
	v_sqrt_f32_e32 v15, v12
	s_nop 0
	v_add_u32_e32 v14, -1, v15
	v_add_u32_e32 v17, 1, v15
	v_fma_f32 v19, -v14, v15, v12
	v_fma_f32 v21, -v17, v15, v12
	v_cmp_ge_f32_e64 s[4:5], 0, v19
	s_nop 1
	v_cndmask_b32_e64 v14, v15, v14, s[4:5]
	v_cmp_lt_f32_e64 s[4:5], 0, v21
	s_nop 1
	v_cndmask_b32_e64 v14, v14, v17, s[4:5]
	v_mul_f32_e32 v15, 0x37800000, v14
	v_cndmask_b32_e32 v14, v14, v15, vcc
	v_cmp_class_f32_e64 s[4:5], v12, v13
	s_and_b64 vcc, exec, s[2:3]
	s_nop 0
	v_cndmask_b32_e64 v14, v14, v12, s[4:5]
	s_cbranch_vccnz .LBB59_12
; %bb.11:
	global_load_dword v12, v20, s[10:11] offset:384
	s_waitcnt vmcnt(0)
	v_add_f32_e32 v14, v14, v12
.LBB59_12:
	v_mul_f32_e32 v12, 0x3fb8aa3b, v8
	v_exp_f32_e32 v13, v12
	v_mov_b32_e32 v12, 0x4f800000
	scratch_store_dword off, v14, off offset:12
	v_add_f32_e32 v13, 1.0, v13
	v_cmp_gt_f32_e32 vcc, s13, v13
	s_nop 1
	v_cndmask_b32_e32 v15, 1.0, v12, vcc
	v_mul_f32_e32 v13, v13, v15
	v_log_f32_e32 v13, v13
	s_nop 0
	v_mul_f32_e32 v15, 0x3f317217, v13
	v_fma_f32 v15, v13, s7, -v15
	v_fmac_f32_e32 v15, 0x3377d1cf, v13
	v_fmac_f32_e32 v15, 0x3f317217, v13
	v_cmp_lt_f32_e64 s[4:5], |v13|, s12
	s_nop 1
	v_cndmask_b32_e64 v15, v13, v15, s[4:5]
	v_mov_b32_e32 v13, 0x41b17218
	v_cndmask_b32_e32 v17, 0, v13, vcc
	v_sub_f32_e32 v15, v15, v17
	v_cmp_lt_f32_e32 vcc, s6, v8
	s_nop 1
	v_cndmask_b32_e32 v8, v15, v8, vcc
	v_mul_f32_e32 v15, 0x4f800000, v8
	v_cmp_gt_f32_e32 vcc, s14, v8
	s_nop 1
	v_cndmask_b32_e32 v15, v8, v15, vcc
	v_sqrt_f32_e32 v8, v15
	s_nop 0
	v_add_u32_e32 v14, -1, v8
	v_fma_f32 v17, -v14, v8, v15
	v_cmp_ge_f32_e64 s[4:5], 0, v17
	v_add_u32_e32 v17, 1, v8
	s_nop 0
	v_cndmask_b32_e64 v14, v8, v14, s[4:5]
	v_fma_f32 v8, -v17, v8, v15
	v_cmp_lt_f32_e64 s[4:5], 0, v8
	s_nop 1
	v_cndmask_b32_e64 v8, v14, v17, s[4:5]
	v_mul_f32_e32 v14, 0x37800000, v8
	v_cndmask_b32_e32 v14, v8, v14, vcc
	v_mov_b32_e32 v8, 0x260
	v_cmp_class_f32_e64 s[4:5], v15, v8
	s_and_b64 vcc, exec, s[2:3]
	s_nop 0
	v_cndmask_b32_e64 v14, v14, v15, s[4:5]
	s_cbranch_vccnz .LBB59_14
; %bb.13:
	global_load_dword v15, v20, s[10:11] offset:512
	s_waitcnt vmcnt(0)
	v_add_f32_e32 v14, v14, v15
.LBB59_14:
	v_mul_f32_e32 v15, 0x3fb8aa3b, v9
	v_exp_f32_e32 v15, v15
	scratch_store_dword off, v14, off offset:16
	v_add_f32_e32 v15, 1.0, v15
	v_cmp_gt_f32_e32 vcc, s13, v15
	s_nop 1
	v_cndmask_b32_e32 v12, 1.0, v12, vcc
	v_mul_f32_e32 v12, v15, v12
	v_log_f32_e32 v12, v12
	v_cndmask_b32_e32 v13, 0, v13, vcc
	v_mul_f32_e32 v15, 0x3f317217, v12
	v_fma_f32 v15, v12, s7, -v15
	v_fmac_f32_e32 v15, 0x3377d1cf, v12
	v_fmac_f32_e32 v15, 0x3f317217, v12
	v_cmp_lt_f32_e64 vcc, |v12|, s12
	s_nop 1
	v_cndmask_b32_e32 v12, v12, v15, vcc
	v_sub_f32_e32 v12, v12, v13
	v_cmp_lt_f32_e32 vcc, s6, v9
	s_nop 1
	v_cndmask_b32_e32 v9, v12, v9, vcc
	v_mul_f32_e32 v12, 0x4f800000, v9
	v_cmp_gt_f32_e32 vcc, s14, v9
	s_nop 1
	v_cndmask_b32_e32 v9, v9, v12, vcc
	v_sqrt_f32_e32 v12, v9
	s_nop 0
	v_add_u32_e32 v13, -1, v12
	v_add_u32_e32 v14, 1, v12
	v_fma_f32 v15, -v13, v12, v9
	v_fma_f32 v17, -v14, v12, v9
	v_cmp_ge_f32_e64 s[4:5], 0, v15
	s_nop 1
	v_cndmask_b32_e64 v12, v12, v13, s[4:5]
	v_cmp_lt_f32_e64 s[4:5], 0, v17
	s_nop 1
	v_cndmask_b32_e64 v12, v12, v14, s[4:5]
	v_mul_f32_e32 v13, 0x37800000, v12
	v_cndmask_b32_e32 v12, v12, v13, vcc
	v_cmp_class_f32_e64 s[4:5], v9, v8
	s_and_b64 vcc, exec, s[2:3]
	s_nop 0
	v_cndmask_b32_e64 v9, v12, v9, s[4:5]
	s_cbranch_vccnz .LBB59_16
; %bb.15:
	global_load_dword v8, v20, s[10:11] offset:640
	s_waitcnt vmcnt(0)
	v_add_f32_e32 v9, v9, v8
.LBB59_16:
	v_mul_f32_e32 v8, 0x3fb8aa3b, v10
	v_exp_f32_e32 v12, v8
	v_mov_b32_e32 v8, 0x4f800000
	scratch_store_dword off, v9, off offset:20
	v_add_f32_e32 v12, 1.0, v12
	v_cmp_gt_f32_e32 vcc, s13, v12
	s_nop 1
	v_cndmask_b32_e32 v13, 1.0, v8, vcc
	v_mul_f32_e32 v12, v12, v13
	v_log_f32_e32 v12, v12
	s_nop 0
	v_mul_f32_e32 v13, 0x3f317217, v12
	v_fma_f32 v13, v12, s7, -v13
	v_fmac_f32_e32 v13, 0x3377d1cf, v12
	v_fmac_f32_e32 v13, 0x3f317217, v12
	v_cmp_lt_f32_e64 s[4:5], |v12|, s12
	s_nop 1
	v_cndmask_b32_e64 v13, v12, v13, s[4:5]
	v_mov_b32_e32 v12, 0x41b17218
	v_cndmask_b32_e32 v14, 0, v12, vcc
	v_sub_f32_e32 v13, v13, v14
	v_cmp_lt_f32_e32 vcc, s6, v10
	s_nop 1
	v_cndmask_b32_e32 v10, v13, v10, vcc
	v_mul_f32_e32 v13, 0x4f800000, v10
	v_cmp_gt_f32_e32 vcc, s14, v10
	s_nop 1
	v_cndmask_b32_e32 v10, v10, v13, vcc
	v_sqrt_f32_e32 v13, v10
	s_nop 0
	v_add_u32_e32 v9, -1, v13
	v_fma_f32 v14, -v9, v13, v10
	v_cmp_ge_f32_e64 s[4:5], 0, v14
	v_add_u32_e32 v14, 1, v13
	s_nop 0
	v_cndmask_b32_e64 v9, v13, v9, s[4:5]
	v_fma_f32 v13, -v14, v13, v10
	v_cmp_lt_f32_e64 s[4:5], 0, v13
	s_nop 1
	v_cndmask_b32_e64 v9, v9, v14, s[4:5]
	v_mul_f32_e32 v13, 0x37800000, v9
	v_cndmask_b32_e32 v13, v9, v13, vcc
	v_mov_b32_e32 v9, 0x260
	v_cmp_class_f32_e64 s[4:5], v10, v9
	s_and_b64 vcc, exec, s[2:3]
	s_nop 0
	v_cndmask_b32_e64 v10, v13, v10, s[4:5]
	s_cbranch_vccnz .LBB59_18
; %bb.17:
	global_load_dword v13, v20, s[10:11] offset:768
	s_waitcnt vmcnt(0)
	v_add_f32_e32 v10, v10, v13
.LBB59_18:
	v_mul_f32_e32 v13, 0x3fb8aa3b, v11
	v_exp_f32_e32 v13, v13
	scratch_store_dword off, v10, off offset:24
	v_add_f32_e32 v13, 1.0, v13
	v_cmp_gt_f32_e32 vcc, s13, v13
	s_nop 1
	v_cndmask_b32_e32 v8, 1.0, v8, vcc
	v_mul_f32_e32 v8, v13, v8
	v_log_f32_e32 v8, v8
	v_cndmask_b32_e32 v12, 0, v12, vcc
	v_mul_f32_e32 v13, 0x3f317217, v8
	v_fma_f32 v13, v8, s7, -v13
	v_fmac_f32_e32 v13, 0x3377d1cf, v8
	v_fmac_f32_e32 v13, 0x3f317217, v8
	v_cmp_lt_f32_e64 vcc, |v8|, s12
	s_nop 1
	v_cndmask_b32_e32 v8, v8, v13, vcc
	v_sub_f32_e32 v8, v8, v12
	v_cmp_lt_f32_e32 vcc, s6, v11
	s_nop 1
	v_cndmask_b32_e32 v8, v8, v11, vcc
	v_mul_f32_e32 v11, 0x4f800000, v8
	v_cmp_gt_f32_e32 vcc, s14, v8
	s_nop 1
	v_cndmask_b32_e32 v8, v8, v11, vcc
	v_sqrt_f32_e32 v11, v8
	s_nop 0
	v_add_u32_e32 v10, -1, v11
	v_add_u32_e32 v12, 1, v11
	v_fma_f32 v13, -v10, v11, v8
	v_fma_f32 v14, -v12, v11, v8
	v_cmp_ge_f32_e64 s[4:5], 0, v13
	s_nop 1
	v_cndmask_b32_e64 v10, v11, v10, s[4:5]
	v_cmp_lt_f32_e64 s[4:5], 0, v14
	s_nop 1
	v_cndmask_b32_e64 v10, v10, v12, s[4:5]
	v_mul_f32_e32 v11, 0x37800000, v10
	v_cndmask_b32_e32 v10, v10, v11, vcc
	v_cmp_class_f32_e64 s[4:5], v8, v9
	s_and_b64 vcc, exec, s[2:3]
	s_nop 0
	v_cndmask_b32_e64 v10, v10, v8, s[4:5]
	s_cbranch_vccnz .LBB59_20
; %bb.19:
	global_load_dword v8, v20, s[10:11] offset:896
	s_waitcnt vmcnt(0)
	v_add_f32_e32 v10, v10, v8
.LBB59_20:
	v_mul_f32_e32 v8, 0x3fb8aa3b, v4
	v_exp_f32_e32 v9, v8
	v_mov_b32_e32 v8, 0x4f800000
	scratch_store_dword off, v10, off offset:28
	v_add_f32_e32 v9, 1.0, v9
	v_cmp_gt_f32_e32 vcc, s13, v9
	s_nop 1
	v_cndmask_b32_e32 v11, 1.0, v8, vcc
	v_mul_f32_e32 v9, v9, v11
	v_log_f32_e32 v9, v9
	s_nop 0
	v_mul_f32_e32 v11, 0x3f317217, v9
	v_fma_f32 v11, v9, s7, -v11
	v_fmac_f32_e32 v11, 0x3377d1cf, v9
	v_fmac_f32_e32 v11, 0x3f317217, v9
	v_cmp_lt_f32_e64 s[4:5], |v9|, s12
	s_nop 1
	v_cndmask_b32_e64 v11, v9, v11, s[4:5]
	v_mov_b32_e32 v9, 0x41b17218
	v_cndmask_b32_e32 v12, 0, v9, vcc
	v_sub_f32_e32 v11, v11, v12
	v_cmp_lt_f32_e32 vcc, s6, v4
	s_nop 1
	v_cndmask_b32_e32 v4, v11, v4, vcc
	v_mul_f32_e32 v11, 0x4f800000, v4
	v_cmp_gt_f32_e32 vcc, s14, v4
	s_nop 1
	v_cndmask_b32_e32 v11, v4, v11, vcc
	v_sqrt_f32_e32 v4, v11
	s_nop 0
	v_add_u32_e32 v10, -1, v4
	v_fma_f32 v12, -v10, v4, v11
	v_cmp_ge_f32_e64 s[4:5], 0, v12
	v_add_u32_e32 v12, 1, v4
	s_nop 0
	v_cndmask_b32_e64 v10, v4, v10, s[4:5]
	v_fma_f32 v4, -v12, v4, v11
	v_cmp_lt_f32_e64 s[4:5], 0, v4
	s_nop 1
	v_cndmask_b32_e64 v4, v10, v12, s[4:5]
	v_mul_f32_e32 v10, 0x37800000, v4
	v_cndmask_b32_e32 v10, v4, v10, vcc
	v_mov_b32_e32 v4, 0x260
	v_cmp_class_f32_e64 s[4:5], v11, v4
	s_and_b64 vcc, exec, s[2:3]
	s_nop 0
	v_cndmask_b32_e64 v10, v10, v11, s[4:5]
	s_cbranch_vccnz .LBB59_22
; %bb.21:
	global_load_dword v11, v20, s[10:11] offset:1024
	s_waitcnt vmcnt(0)
	v_add_f32_e32 v10, v10, v11
.LBB59_22:
	v_mul_f32_e32 v11, 0x3fb8aa3b, v5
	v_exp_f32_e32 v11, v11
	scratch_store_dword off, v10, off offset:32
	v_add_f32_e32 v11, 1.0, v11
	v_cmp_gt_f32_e32 vcc, s13, v11
	s_nop 1
	v_cndmask_b32_e32 v8, 1.0, v8, vcc
	v_mul_f32_e32 v8, v11, v8
	v_log_f32_e32 v8, v8
	v_cndmask_b32_e32 v9, 0, v9, vcc
	v_mul_f32_e32 v11, 0x3f317217, v8
	v_fma_f32 v11, v8, s7, -v11
	v_fmac_f32_e32 v11, 0x3377d1cf, v8
	v_fmac_f32_e32 v11, 0x3f317217, v8
	v_cmp_lt_f32_e64 vcc, |v8|, s12
	s_nop 1
	v_cndmask_b32_e32 v8, v8, v11, vcc
	v_sub_f32_e32 v8, v8, v9
	v_cmp_lt_f32_e32 vcc, s6, v5
	s_nop 1
	v_cndmask_b32_e32 v5, v8, v5, vcc
	v_mul_f32_e32 v8, 0x4f800000, v5
	v_cmp_gt_f32_e32 vcc, s14, v5
	s_nop 1
	v_cndmask_b32_e32 v5, v5, v8, vcc
	v_sqrt_f32_e32 v8, v5
	s_nop 0
	v_add_u32_e32 v9, -1, v8
	v_add_u32_e32 v10, 1, v8
	v_fma_f32 v11, -v9, v8, v5
	v_fma_f32 v12, -v10, v8, v5
	v_cmp_ge_f32_e64 s[4:5], 0, v11
	s_nop 1
	v_cndmask_b32_e64 v8, v8, v9, s[4:5]
	v_cmp_lt_f32_e64 s[4:5], 0, v12
	s_nop 1
	v_cndmask_b32_e64 v8, v8, v10, s[4:5]
	v_mul_f32_e32 v9, 0x37800000, v8
	v_cndmask_b32_e32 v8, v8, v9, vcc
	v_cmp_class_f32_e64 s[4:5], v5, v4
	s_and_b64 vcc, exec, s[2:3]
	s_nop 0
	v_cndmask_b32_e64 v5, v8, v5, s[4:5]
	s_cbranch_vccnz .LBB59_24
; %bb.23:
	global_load_dword v4, v20, s[10:11] offset:1152
	s_waitcnt vmcnt(0)
	v_add_f32_e32 v5, v5, v4
.LBB59_24:
	v_mul_f32_e32 v4, 0x3fb8aa3b, v6
	v_exp_f32_e32 v8, v4
	v_mov_b32_e32 v4, 0x4f800000
	scratch_store_dword off, v5, off offset:36
	v_add_f32_e32 v8, 1.0, v8
	v_cmp_gt_f32_e32 vcc, s13, v8
	s_nop 1
	v_cndmask_b32_e32 v9, 1.0, v4, vcc
	v_mul_f32_e32 v8, v8, v9
	v_log_f32_e32 v8, v8
	s_nop 0
	v_mul_f32_e32 v9, 0x3f317217, v8
	v_fma_f32 v9, v8, s7, -v9
	v_fmac_f32_e32 v9, 0x3377d1cf, v8
	v_fmac_f32_e32 v9, 0x3f317217, v8
	v_cmp_lt_f32_e64 s[4:5], |v8|, s12
	s_nop 1
	v_cndmask_b32_e64 v9, v8, v9, s[4:5]
	v_mov_b32_e32 v8, 0x41b17218
	v_cndmask_b32_e32 v10, 0, v8, vcc
	v_sub_f32_e32 v9, v9, v10
	v_cmp_lt_f32_e32 vcc, s6, v6
	s_nop 1
	v_cndmask_b32_e32 v6, v9, v6, vcc
	v_mul_f32_e32 v9, 0x4f800000, v6
	v_cmp_gt_f32_e32 vcc, s14, v6
	s_nop 1
	v_cndmask_b32_e32 v6, v6, v9, vcc
	v_sqrt_f32_e32 v9, v6
	s_nop 0
	v_add_u32_e32 v5, -1, v9
	v_fma_f32 v10, -v5, v9, v6
	v_cmp_ge_f32_e64 s[4:5], 0, v10
	v_add_u32_e32 v10, 1, v9
	s_nop 0
	v_cndmask_b32_e64 v5, v9, v5, s[4:5]
	v_fma_f32 v9, -v10, v9, v6
	v_cmp_lt_f32_e64 s[4:5], 0, v9
	s_nop 1
	v_cndmask_b32_e64 v5, v5, v10, s[4:5]
	v_mul_f32_e32 v9, 0x37800000, v5
	v_cndmask_b32_e32 v9, v5, v9, vcc
	v_mov_b32_e32 v5, 0x260
	v_cmp_class_f32_e64 s[4:5], v6, v5
	s_and_b64 vcc, exec, s[2:3]
	s_nop 0
	v_cndmask_b32_e64 v6, v9, v6, s[4:5]
	s_cbranch_vccnz .LBB59_26
; %bb.25:
	global_load_dword v9, v20, s[10:11] offset:1280
	s_waitcnt vmcnt(0)
	v_add_f32_e32 v6, v6, v9
.LBB59_26:
	v_mul_f32_e32 v9, 0x3fb8aa3b, v7
	v_exp_f32_e32 v9, v9
	scratch_store_dword off, v6, off offset:40
	v_add_f32_e32 v9, 1.0, v9
	v_cmp_gt_f32_e32 vcc, s13, v9
	s_nop 1
	v_cndmask_b32_e32 v4, 1.0, v4, vcc
	v_mul_f32_e32 v4, v9, v4
	v_log_f32_e32 v4, v4
	v_cndmask_b32_e32 v8, 0, v8, vcc
	v_mul_f32_e32 v9, 0x3f317217, v4
	v_fma_f32 v9, v4, s7, -v9
	v_fmac_f32_e32 v9, 0x3377d1cf, v4
	v_fmac_f32_e32 v9, 0x3f317217, v4
	v_cmp_lt_f32_e64 vcc, |v4|, s12
	s_nop 1
	v_cndmask_b32_e32 v4, v4, v9, vcc
	v_sub_f32_e32 v4, v4, v8
	v_cmp_lt_f32_e32 vcc, s6, v7
	s_nop 1
	v_cndmask_b32_e32 v4, v4, v7, vcc
	v_mul_f32_e32 v7, 0x4f800000, v4
	v_cmp_gt_f32_e32 vcc, s14, v4
	s_nop 1
	v_cndmask_b32_e32 v4, v4, v7, vcc
	v_sqrt_f32_e32 v7, v4
	s_nop 0
	v_add_u32_e32 v6, -1, v7
	v_add_u32_e32 v8, 1, v7
	v_fma_f32 v9, -v6, v7, v4
	v_fma_f32 v10, -v8, v7, v4
	v_cmp_ge_f32_e64 s[4:5], 0, v9
	s_nop 1
	v_cndmask_b32_e64 v6, v7, v6, s[4:5]
	v_cmp_lt_f32_e64 s[4:5], 0, v10
	s_nop 1
	v_cndmask_b32_e64 v6, v6, v8, s[4:5]
	v_mul_f32_e32 v7, 0x37800000, v6
	v_cndmask_b32_e32 v6, v6, v7, vcc
	v_cmp_class_f32_e64 s[4:5], v4, v5
	s_and_b64 vcc, exec, s[2:3]
	s_nop 0
	v_cndmask_b32_e64 v6, v6, v4, s[4:5]
	s_cbranch_vccnz .LBB59_28
; %bb.27:
	global_load_dword v4, v20, s[10:11] offset:1408
	s_waitcnt vmcnt(0)
	v_add_f32_e32 v6, v6, v4
.LBB59_28:
	v_mul_f32_e32 v4, 0x3fb8aa3b, v0
	v_exp_f32_e32 v5, v4
	v_mov_b32_e32 v4, 0x4f800000
	scratch_store_dword off, v6, off offset:44
	v_add_f32_e32 v5, 1.0, v5
	v_cmp_gt_f32_e32 vcc, s13, v5
	s_nop 1
	v_cndmask_b32_e32 v7, 1.0, v4, vcc
	v_mul_f32_e32 v5, v5, v7
	v_log_f32_e32 v5, v5
	s_nop 0
	v_mul_f32_e32 v7, 0x3f317217, v5
	v_fma_f32 v7, v5, s7, -v7
	v_fmac_f32_e32 v7, 0x3377d1cf, v5
	v_fmac_f32_e32 v7, 0x3f317217, v5
	v_cmp_lt_f32_e64 s[4:5], |v5|, s12
	s_nop 1
	v_cndmask_b32_e64 v7, v5, v7, s[4:5]
	v_mov_b32_e32 v5, 0x41b17218
	v_cndmask_b32_e32 v8, 0, v5, vcc
	v_sub_f32_e32 v7, v7, v8
	v_cmp_lt_f32_e32 vcc, s6, v0
	s_nop 1
	v_cndmask_b32_e32 v0, v7, v0, vcc
	v_mul_f32_e32 v7, 0x4f800000, v0
	v_cmp_gt_f32_e32 vcc, s14, v0
	s_nop 1
	v_cndmask_b32_e32 v7, v0, v7, vcc
	v_sqrt_f32_e32 v0, v7
	s_nop 0
	v_add_u32_e32 v6, -1, v0
	v_fma_f32 v8, -v6, v0, v7
	v_cmp_ge_f32_e64 s[4:5], 0, v8
	v_add_u32_e32 v8, 1, v0
	s_nop 0
	v_cndmask_b32_e64 v6, v0, v6, s[4:5]
	v_fma_f32 v0, -v8, v0, v7
	v_cmp_lt_f32_e64 s[4:5], 0, v0
	s_nop 1
	v_cndmask_b32_e64 v0, v6, v8, s[4:5]
	v_mul_f32_e32 v6, 0x37800000, v0
	v_cndmask_b32_e32 v6, v0, v6, vcc
	v_mov_b32_e32 v0, 0x260
	v_cmp_class_f32_e64 s[4:5], v7, v0
	s_and_b64 vcc, exec, s[2:3]
	s_nop 0
	v_cndmask_b32_e64 v6, v6, v7, s[4:5]
	s_cbranch_vccnz .LBB59_30
; %bb.29:
	global_load_dword v7, v20, s[10:11] offset:1536
	s_waitcnt vmcnt(0)
	v_add_f32_e32 v6, v6, v7
.LBB59_30:
	v_mul_f32_e32 v7, 0x3fb8aa3b, v1
	v_exp_f32_e32 v7, v7
	scratch_store_dword off, v6, off offset:48
	v_add_f32_e32 v7, 1.0, v7
	v_cmp_gt_f32_e32 vcc, s13, v7
	s_nop 1
	v_cndmask_b32_e32 v4, 1.0, v4, vcc
	v_mul_f32_e32 v4, v7, v4
	v_log_f32_e32 v4, v4
	v_cndmask_b32_e32 v5, 0, v5, vcc
	v_mul_f32_e32 v7, 0x3f317217, v4
	v_fma_f32 v7, v4, s7, -v7
	v_fmac_f32_e32 v7, 0x3377d1cf, v4
	v_fmac_f32_e32 v7, 0x3f317217, v4
	v_cmp_lt_f32_e64 vcc, |v4|, s12
	s_nop 1
	v_cndmask_b32_e32 v4, v4, v7, vcc
	v_sub_f32_e32 v4, v4, v5
	v_cmp_lt_f32_e32 vcc, s6, v1
	s_nop 1
	v_cndmask_b32_e32 v1, v4, v1, vcc
	v_mul_f32_e32 v4, 0x4f800000, v1
	v_cmp_gt_f32_e32 vcc, s14, v1
	s_nop 1
	v_cndmask_b32_e32 v1, v1, v4, vcc
	v_sqrt_f32_e32 v4, v1
	s_nop 0
	v_add_u32_e32 v5, -1, v4
	v_add_u32_e32 v6, 1, v4
	v_fma_f32 v7, -v5, v4, v1
	v_fma_f32 v8, -v6, v4, v1
	v_cmp_ge_f32_e64 s[4:5], 0, v7
	s_nop 1
	v_cndmask_b32_e64 v4, v4, v5, s[4:5]
	v_cmp_lt_f32_e64 s[4:5], 0, v8
	s_nop 1
	v_cndmask_b32_e64 v4, v4, v6, s[4:5]
	v_mul_f32_e32 v5, 0x37800000, v4
	v_cndmask_b32_e32 v4, v4, v5, vcc
	v_cmp_class_f32_e64 s[4:5], v1, v0
	s_and_b64 vcc, exec, s[2:3]
	s_nop 0
	v_cndmask_b32_e64 v1, v4, v1, s[4:5]
	s_cbranch_vccnz .LBB59_32
; %bb.31:
	global_load_dword v0, v20, s[10:11] offset:1664
	s_waitcnt vmcnt(0)
	v_add_f32_e32 v1, v1, v0
.LBB59_32:
	v_mul_f32_e32 v0, 0x3fb8aa3b, v2
	v_exp_f32_e32 v4, v0
	v_mov_b32_e32 v0, 0x4f800000
	scratch_store_dword off, v1, off offset:52
	v_add_f32_e32 v4, 1.0, v4
	v_cmp_gt_f32_e32 vcc, s13, v4
	s_nop 1
	v_cndmask_b32_e32 v5, 1.0, v0, vcc
	v_mul_f32_e32 v4, v4, v5
	v_log_f32_e32 v4, v4
	s_nop 0
	v_mul_f32_e32 v5, 0x3f317217, v4
	v_fma_f32 v5, v4, s7, -v5
	v_fmac_f32_e32 v5, 0x3377d1cf, v4
	v_fmac_f32_e32 v5, 0x3f317217, v4
	v_cmp_lt_f32_e64 s[4:5], |v4|, s12
	s_nop 1
	v_cndmask_b32_e64 v5, v4, v5, s[4:5]
	v_mov_b32_e32 v4, 0x41b17218
	v_cndmask_b32_e32 v6, 0, v4, vcc
	v_sub_f32_e32 v5, v5, v6
	v_cmp_lt_f32_e32 vcc, s6, v2
	s_nop 1
	v_cndmask_b32_e32 v2, v5, v2, vcc
	v_mul_f32_e32 v5, 0x4f800000, v2
	v_cmp_gt_f32_e32 vcc, s14, v2
	s_nop 1
	v_cndmask_b32_e32 v2, v2, v5, vcc
	v_sqrt_f32_e32 v5, v2
	s_nop 0
	v_add_u32_e32 v1, -1, v5
	v_fma_f32 v6, -v1, v5, v2
	v_cmp_ge_f32_e64 s[4:5], 0, v6
	v_add_u32_e32 v6, 1, v5
	s_nop 0
	v_cndmask_b32_e64 v1, v5, v1, s[4:5]
	v_fma_f32 v5, -v6, v5, v2
	v_cmp_lt_f32_e64 s[4:5], 0, v5
	s_nop 1
	v_cndmask_b32_e64 v1, v1, v6, s[4:5]
	v_mul_f32_e32 v5, 0x37800000, v1
	v_cndmask_b32_e32 v5, v1, v5, vcc
	v_mov_b32_e32 v1, 0x260
	v_cmp_class_f32_e64 s[4:5], v2, v1
	s_and_b64 vcc, exec, s[2:3]
	s_nop 0
	v_cndmask_b32_e64 v2, v5, v2, s[4:5]
	s_cbranch_vccnz .LBB59_34
; %bb.33:
	global_load_dword v5, v20, s[10:11] offset:1792
	s_waitcnt vmcnt(0)
	v_add_f32_e32 v2, v2, v5
.LBB59_34:
	v_mul_f32_e32 v5, 0x3fb8aa3b, v3
	v_exp_f32_e32 v5, v5
	scratch_store_dword off, v2, off offset:56
	v_add_f32_e32 v5, 1.0, v5
	v_cmp_gt_f32_e32 vcc, s13, v5
	s_nop 1
	v_cndmask_b32_e32 v0, 1.0, v0, vcc
	v_mul_f32_e32 v0, v5, v0
	v_log_f32_e32 v0, v0
	v_cndmask_b32_e32 v4, 0, v4, vcc
	v_mul_f32_e32 v5, 0x3f317217, v0
	v_fma_f32 v5, v0, s7, -v5
	v_fmac_f32_e32 v5, 0x3377d1cf, v0
	v_fmac_f32_e32 v5, 0x3f317217, v0
	v_cmp_lt_f32_e64 vcc, |v0|, s12
	s_nop 1
	v_cndmask_b32_e32 v0, v0, v5, vcc
	v_sub_f32_e32 v0, v0, v4
	v_cmp_lt_f32_e32 vcc, s6, v3
	s_nop 1
	v_cndmask_b32_e32 v0, v0, v3, vcc
	v_mul_f32_e32 v3, 0x4f800000, v0
	v_cmp_gt_f32_e32 vcc, s14, v0
	s_nop 1
	v_cndmask_b32_e32 v0, v0, v3, vcc
	v_sqrt_f32_e32 v3, v0
	s_nop 0
	v_add_u32_e32 v2, -1, v3
	v_add_u32_e32 v4, 1, v3
	v_fma_f32 v5, -v2, v3, v0
	v_fma_f32 v6, -v4, v3, v0
	v_cmp_ge_f32_e64 s[4:5], 0, v5
	s_nop 1
	v_cndmask_b32_e64 v2, v3, v2, s[4:5]
	v_cmp_lt_f32_e64 s[4:5], 0, v6
	s_nop 1
	v_cndmask_b32_e64 v2, v2, v4, s[4:5]
	v_mul_f32_e32 v3, 0x37800000, v2
	v_cndmask_b32_e32 v2, v2, v3, vcc
	v_cmp_class_f32_e64 s[4:5], v0, v1
	s_and_b64 vcc, exec, s[2:3]
	s_nop 0
	v_cndmask_b32_e64 v1, v2, v0, s[4:5]
	s_cbranch_vccnz .LBB59_36
; %bb.35:
	global_load_dword v0, v20, s[10:11] offset:1920
	s_waitcnt vmcnt(0)
	v_add_f32_e32 v1, v1, v0
.LBB59_36:
	v_mul_f32_e32 v0, 0x3fb8aa3b, v22
	v_exp_f32_e32 v2, v0
	v_mov_b32_e32 v0, 0x4f800000
	scratch_store_dword off, v1, off offset:60
	v_add_f32_e32 v2, 1.0, v2
	v_cmp_gt_f32_e32 vcc, s13, v2
	s_nop 1
	v_cndmask_b32_e32 v3, 1.0, v0, vcc
	v_mul_f32_e32 v2, v2, v3
	v_log_f32_e32 v2, v2
	s_nop 0
	v_mul_f32_e32 v3, 0x3f317217, v2
	v_fma_f32 v3, v2, s7, -v3
	v_fmac_f32_e32 v3, 0x3377d1cf, v2
	v_fmac_f32_e32 v3, 0x3f317217, v2
	v_cmp_lt_f32_e64 s[4:5], |v2|, s12
	s_nop 1
	v_cndmask_b32_e64 v3, v2, v3, s[4:5]
	v_mov_b32_e32 v2, 0x41b17218
	v_cndmask_b32_e32 v4, 0, v2, vcc
	v_sub_f32_e32 v3, v3, v4
	v_cmp_lt_f32_e32 vcc, s6, v22
	s_nop 1
	v_cndmask_b32_e32 v3, v3, v22, vcc
	v_mul_f32_e32 v4, 0x4f800000, v3
	v_cmp_gt_f32_e32 vcc, s14, v3
	s_nop 1
	v_cndmask_b32_e32 v3, v3, v4, vcc
	v_sqrt_f32_e32 v4, v3
	s_nop 0
	v_add_u32_e32 v1, -1, v4
	v_fma_f32 v5, -v1, v4, v3
	v_cmp_ge_f32_e64 s[4:5], 0, v5
	v_add_u32_e32 v5, 1, v4
	s_nop 0
	v_cndmask_b32_e64 v1, v4, v1, s[4:5]
	v_fma_f32 v4, -v5, v4, v3
	v_cmp_lt_f32_e64 s[4:5], 0, v4
	s_nop 1
	v_cndmask_b32_e64 v1, v1, v5, s[4:5]
	v_mul_f32_e32 v4, 0x37800000, v1
	v_cndmask_b32_e32 v4, v1, v4, vcc
	v_mov_b32_e32 v1, 0x260
	v_cmp_class_f32_e64 s[4:5], v3, v1
	s_and_b64 vcc, exec, s[2:3]
	s_nop 0
	v_cndmask_b32_e64 v3, v4, v3, s[4:5]
	s_cbranch_vccnz .LBB59_38
; %bb.37:
	global_load_dword v4, v20, s[10:11] offset:2048
	s_waitcnt vmcnt(0)
	v_add_f32_e32 v3, v3, v4
.LBB59_38:
	v_mul_f32_e32 v4, 0x3fb8aa3b, v23
	v_exp_f32_e32 v4, v4
	scratch_store_dword off, v3, off offset:64
	v_add_f32_e32 v4, 1.0, v4
	v_cmp_gt_f32_e32 vcc, s13, v4
	s_nop 1
	v_cndmask_b32_e32 v0, 1.0, v0, vcc
	v_mul_f32_e32 v0, v4, v0
	v_log_f32_e32 v0, v0
	v_cndmask_b32_e32 v2, 0, v2, vcc
	v_mul_f32_e32 v4, 0x3f317217, v0
	v_fma_f32 v4, v0, s7, -v4
	v_fmac_f32_e32 v4, 0x3377d1cf, v0
	v_fmac_f32_e32 v4, 0x3f317217, v0
	v_cmp_lt_f32_e64 vcc, |v0|, s12
	s_nop 1
	v_cndmask_b32_e32 v0, v0, v4, vcc
	v_sub_f32_e32 v0, v0, v2
	v_cmp_lt_f32_e32 vcc, s6, v23
	s_nop 1
	v_cndmask_b32_e32 v0, v0, v23, vcc
	v_mul_f32_e32 v2, 0x4f800000, v0
	v_cmp_gt_f32_e32 vcc, s14, v0
	s_nop 1
	v_cndmask_b32_e32 v0, v0, v2, vcc
	v_sqrt_f32_e32 v2, v0
	s_nop 0
	v_add_u32_e32 v3, -1, v2
	v_add_u32_e32 v4, 1, v2
	v_fma_f32 v5, -v3, v2, v0
	v_fma_f32 v6, -v4, v2, v0
	v_cmp_ge_f32_e64 s[4:5], 0, v5
	s_nop 1
	v_cndmask_b32_e64 v2, v2, v3, s[4:5]
	v_cmp_lt_f32_e64 s[4:5], 0, v6
	s_nop 1
	v_cndmask_b32_e64 v2, v2, v4, s[4:5]
	v_mul_f32_e32 v3, 0x37800000, v2
	v_cndmask_b32_e32 v2, v2, v3, vcc
	v_cmp_class_f32_e64 s[4:5], v0, v1
	s_and_b64 vcc, exec, s[2:3]
	s_nop 0
	v_cndmask_b32_e64 v0, v2, v0, s[4:5]
	s_cbranch_vccnz .LBB59_40
; %bb.39:
	global_load_dword v1, v20, s[10:11] offset:2176
	s_waitcnt vmcnt(0)
	v_add_f32_e32 v0, v0, v1
.LBB59_40:
	s_load_dwordx4 s[12:15], s[0:1], 0x30
	s_mov_b32 s31, 0
	v_cmp_eq_u32_e64 s[6:7], 0, v18
	scratch_store_dword off, v0, off offset:68
	s_waitcnt lgkmcnt(0)
	s_bitcmp1_b32 s15, 0
	s_cselect_b64 s[4:5], -1, 0
	s_cmp_gt_i32 s12, 0
	s_cselect_b64 s[24:25], -1, 0
	s_and_b64 vcc, exec, s[24:25]
	s_cbranch_vccz .LBB59_69
; %bb.41:
	v_mbcnt_lo_u32_b32 v0, -1, 0
	v_mbcnt_hi_u32_b32 v0, -1, v0
	v_and_b32_e32 v1, 0x60, v0
	v_add_u32_e32 v1, 32, v1
	v_xor_b32_e32 v12, 16, v0
	v_cmp_lt_i32_e32 vcc, v12, v1
	s_load_dwordx4 s[16:19], s[0:1], 0x20
	v_mul_lo_u32 v2, v16, s12
	v_cndmask_b32_e32 v12, v0, v12, vcc
	v_lshlrev_b32_e32 v23, 2, v12
	v_xor_b32_e32 v12, 8, v0
	v_cmp_lt_i32_e32 vcc, v12, v1
	v_or_b32_e32 v3, 32, v18
	v_or_b32_e32 v4, 64, v18
	v_cndmask_b32_e32 v12, v0, v12, vcc
	v_lshlrev_b32_e32 v24, 2, v12
	v_xor_b32_e32 v12, 4, v0
	v_cmp_lt_i32_e32 vcc, v12, v1
	v_or_b32_e32 v5, 0x60, v18
	v_or_b32_e32 v6, 0x80, v18
	;; [unrolled: 6-line block ×4, first 2 shown]
	v_cndmask_b32_e32 v0, v0, v12, vcc
	v_or_b32_e32 v11, 0x120, v18
	v_or_b32_e32 v13, 0x140, v18
	;; [unrolled: 1-line block ×9, first 2 shown]
	v_lshlrev_b32_e32 v27, 2, v0
	v_mov_b32_e32 v12, 0
	v_mov_b32_e32 v28, 0
	;; [unrolled: 1-line block ×5, first 2 shown]
	s_branch .LBB59_43
.LBB59_42:                              ;   in Loop: Header=BB59_43 Depth=1
	s_or_b64 exec, exec, s[0:1]
	s_cmp_eq_u32 s12, s31
	v_add_u32_e32 v31, s30, v31
	s_cbranch_scc1 .LBB59_70
.LBB59_43:                              ; =>This Inner Loop Header: Depth=1
	s_waitcnt lgkmcnt(0)
	scratch_load_dwordx4 v[32:35], off, off
	scratch_load_dwordx4 v[36:39], off, off offset:16
	scratch_load_dwordx4 v[40:43], off, off offset:32
	;; [unrolled: 1-line block ×3, first 2 shown]
	scratch_load_dwordx2 v[0:1], off, off offset:64
	s_waitcnt vmcnt(4)
	v_cmp_gt_f32_e32 vcc, v33, v32
	s_nop 1
	v_cndmask_b32_e32 v32, v32, v33, vcc
	v_cndmask_b32_e32 v48, v18, v3, vcc
	v_cmp_gt_f32_e32 vcc, v34, v32
	s_nop 1
	v_cndmask_b32_e32 v32, v32, v34, vcc
	v_cndmask_b32_e32 v33, v48, v4, vcc
	v_cmp_gt_f32_e32 vcc, v35, v32
	s_nop 1
	v_cndmask_b32_e32 v32, v32, v35, vcc
	v_cndmask_b32_e32 v33, v33, v5, vcc
	s_waitcnt vmcnt(3)
	v_cmp_gt_f32_e32 vcc, v36, v32
	s_nop 1
	v_cndmask_b32_e32 v32, v32, v36, vcc
	v_cndmask_b32_e32 v33, v33, v6, vcc
	v_cmp_gt_f32_e32 vcc, v37, v32
	s_nop 1
	v_cndmask_b32_e32 v32, v32, v37, vcc
	v_cndmask_b32_e32 v33, v33, v7, vcc
	v_cmp_gt_f32_e32 vcc, v38, v32
	s_nop 1
	v_cndmask_b32_e32 v32, v32, v38, vcc
	v_cndmask_b32_e32 v33, v33, v8, vcc
	v_cmp_gt_f32_e32 vcc, v39, v32
	s_nop 1
	v_cndmask_b32_e32 v32, v32, v39, vcc
	v_cndmask_b32_e32 v33, v33, v9, vcc
	s_waitcnt vmcnt(2)
	v_cmp_gt_f32_e32 vcc, v40, v32
	s_nop 1
	v_cndmask_b32_e32 v32, v32, v40, vcc
	v_cndmask_b32_e32 v33, v33, v10, vcc
	;; [unrolled: 17-line block ×4, first 2 shown]
	v_cmp_gt_f32_e32 vcc, v1, v32
	s_nop 1
	v_cndmask_b32_e32 v32, v32, v1, vcc
	v_cndmask_b32_e32 v0, v33, v22, vcc
	ds_bpermute_b32 v1, v23, v32
	ds_bpermute_b32 v33, v23, v0
	s_waitcnt lgkmcnt(0)
	v_cmp_lt_f32_e64 s[26:27], v32, v1
	v_cmp_nlt_f32_e32 vcc, v32, v1
	s_and_saveexec_b64 s[28:29], vcc
; %bb.44:                               ;   in Loop: Header=BB59_43 Depth=1
	v_cmp_eq_f32_e32 vcc, v32, v1
	v_cmp_lt_i32_e64 s[0:1], v33, v0
	s_and_b64 s[0:1], vcc, s[0:1]
	s_andn2_b64 s[26:27], s[26:27], exec
	s_and_b64 s[0:1], s[0:1], exec
	s_or_b64 s[26:27], s[26:27], s[0:1]
; %bb.45:                               ;   in Loop: Header=BB59_43 Depth=1
	s_or_b64 exec, exec, s[28:29]
	s_and_saveexec_b64 s[0:1], s[26:27]
; %bb.46:                               ;   in Loop: Header=BB59_43 Depth=1
	v_mov_b32_e32 v32, v1
	v_mov_b32_e32 v0, v33
; %bb.47:                               ;   in Loop: Header=BB59_43 Depth=1
	s_or_b64 exec, exec, s[0:1]
	ds_bpermute_b32 v1, v24, v32
	ds_bpermute_b32 v33, v24, v0
	s_waitcnt lgkmcnt(1)
	v_cmp_lt_f32_e64 s[26:27], v32, v1
	v_cmp_nlt_f32_e32 vcc, v32, v1
	s_and_saveexec_b64 s[28:29], vcc
	s_cbranch_execz .LBB59_49
; %bb.48:                               ;   in Loop: Header=BB59_43 Depth=1
	v_cmp_eq_f32_e32 vcc, v32, v1
	s_waitcnt lgkmcnt(0)
	v_cmp_lt_i32_e64 s[0:1], v33, v0
	s_and_b64 s[0:1], vcc, s[0:1]
	s_andn2_b64 s[26:27], s[26:27], exec
	s_and_b64 s[0:1], s[0:1], exec
	s_or_b64 s[26:27], s[26:27], s[0:1]
.LBB59_49:                              ;   in Loop: Header=BB59_43 Depth=1
	s_or_b64 exec, exec, s[28:29]
	s_and_saveexec_b64 s[0:1], s[26:27]
	s_cbranch_execz .LBB59_51
; %bb.50:                               ;   in Loop: Header=BB59_43 Depth=1
	v_mov_b32_e32 v32, v1
	s_waitcnt lgkmcnt(0)
	v_mov_b32_e32 v0, v33
.LBB59_51:                              ;   in Loop: Header=BB59_43 Depth=1
	s_or_b64 exec, exec, s[0:1]
	ds_bpermute_b32 v1, v25, v32
	s_waitcnt lgkmcnt(1)
	ds_bpermute_b32 v33, v25, v0
	s_waitcnt lgkmcnt(1)
	v_cmp_lt_f32_e64 s[26:27], v32, v1
	v_cmp_nlt_f32_e32 vcc, v32, v1
	s_and_saveexec_b64 s[28:29], vcc
	s_cbranch_execz .LBB59_53
; %bb.52:                               ;   in Loop: Header=BB59_43 Depth=1
	v_cmp_eq_f32_e32 vcc, v32, v1
	s_waitcnt lgkmcnt(0)
	v_cmp_lt_i32_e64 s[0:1], v33, v0
	s_and_b64 s[0:1], vcc, s[0:1]
	s_andn2_b64 s[26:27], s[26:27], exec
	s_and_b64 s[0:1], s[0:1], exec
	s_or_b64 s[26:27], s[26:27], s[0:1]
.LBB59_53:                              ;   in Loop: Header=BB59_43 Depth=1
	s_or_b64 exec, exec, s[28:29]
	s_and_saveexec_b64 s[0:1], s[26:27]
	s_cbranch_execz .LBB59_55
; %bb.54:                               ;   in Loop: Header=BB59_43 Depth=1
	v_mov_b32_e32 v32, v1
	s_waitcnt lgkmcnt(0)
	v_mov_b32_e32 v0, v33
.LBB59_55:                              ;   in Loop: Header=BB59_43 Depth=1
	s_or_b64 exec, exec, s[0:1]
	ds_bpermute_b32 v1, v26, v32
	s_waitcnt lgkmcnt(1)
	;; [unrolled: 26-line block ×3, first 2 shown]
	ds_bpermute_b32 v33, v27, v0
	s_waitcnt lgkmcnt(1)
	v_cmp_lt_f32_e64 s[26:27], v32, v1
	v_cmp_nlt_f32_e32 vcc, v32, v1
	s_and_saveexec_b64 s[28:29], vcc
	s_cbranch_execnz .LBB59_62
; %bb.60:                               ;   in Loop: Header=BB59_43 Depth=1
	s_or_b64 exec, exec, s[28:29]
	s_and_saveexec_b64 s[0:1], s[26:27]
	s_cbranch_execnz .LBB59_63
.LBB59_61:                              ;   in Loop: Header=BB59_43 Depth=1
	s_or_b64 exec, exec, s[0:1]
	s_and_saveexec_b64 s[26:27], s[6:7]
	s_cbranch_execnz .LBB59_64
	s_branch .LBB59_67
.LBB59_62:                              ;   in Loop: Header=BB59_43 Depth=1
	v_cmp_eq_f32_e32 vcc, v32, v1
	s_waitcnt lgkmcnt(0)
	v_cmp_lt_i32_e64 s[0:1], v33, v0
	s_and_b64 s[0:1], vcc, s[0:1]
	s_andn2_b64 s[26:27], s[26:27], exec
	s_and_b64 s[0:1], s[0:1], exec
	s_or_b64 s[26:27], s[26:27], s[0:1]
	s_or_b64 exec, exec, s[28:29]
	s_and_saveexec_b64 s[0:1], s[26:27]
	s_cbranch_execz .LBB59_61
.LBB59_63:                              ;   in Loop: Header=BB59_43 Depth=1
	s_waitcnt lgkmcnt(0)
	v_mov_b32_e32 v0, v33
	v_mov_b32_e32 v32, v1
	s_or_b64 exec, exec, s[0:1]
	s_and_saveexec_b64 s[26:27], s[6:7]
	s_cbranch_execz .LBB59_67
.LBB59_64:                              ;   in Loop: Header=BB59_43 Depth=1
	s_and_b64 vcc, exec, s[2:3]
	s_cbranch_vccnz .LBB59_66
; %bb.65:                               ;   in Loop: Header=BB59_43 Depth=1
	v_ashrrev_i32_e32 v1, 31, v0
	v_lshl_add_u64 v[34:35], v[0:1], 2, s[10:11]
	global_load_dword v1, v[34:35], off
	s_waitcnt vmcnt(0)
	v_sub_f32_e32 v32, v32, v1
.LBB59_66:                              ;   in Loop: Header=BB59_43 Depth=1
	v_add_u32_e32 v34, s31, v2
	v_cmp_le_i32_e32 vcc, s13, v0
	v_cmp_gt_i32_e64 s[0:1], s14, v0
	v_ashrrev_i32_e32 v35, 31, v34
	s_and_b64 s[0:1], vcc, s[0:1]
	v_lshlrev_b64 v[34:35], 2, v[34:35]
	v_lshl_add_u64 v[36:37], s[20:21], 0, v[34:35]
	v_subrev_u32_e32 v1, s13, v0
	s_and_b64 vcc, s[22:23], s[0:1]
	global_store_dword v[36:37], v32, off
	v_cndmask_b32_e32 v1, v30, v1, vcc
	v_lshl_add_u64 v[36:37], s[16:17], 0, v[34:35]
	global_store_dword v[36:37], v1, off
	v_add_f32_e32 v1, v12, v32
	v_lshl_add_u64 v[34:35], s[18:19], 0, v[34:35]
	v_cndmask_b32_e64 v12, v12, v1, s[4:5]
	global_store_dword v[34:35], v31, off
.LBB59_67:                              ;   in Loop: Header=BB59_43 Depth=1
	s_or_b64 exec, exec, s[26:27]
	v_ashrrev_i32_e32 v1, 31, v0
	v_lshrrev_b32_e32 v1, 27, v1
	v_add_u32_e32 v1, v0, v1
	s_add_i32 s31, s31, 1
	v_and_b32_e32 v32, 0xffffffe0, v1
	s_cmp_lt_i32 s31, s12
	v_sub_u32_e32 v0, v0, v32
	s_cselect_b64 s[0:1], -1, 0
	v_cmp_eq_u32_e32 vcc, v18, v0
	s_and_b64 s[26:27], s[0:1], vcc
	s_and_saveexec_b64 s[0:1], s[26:27]
	s_cbranch_execz .LBB59_42
; %bb.68:                               ;   in Loop: Header=BB59_43 Depth=1
	v_ashrrev_i32_e32 v0, 5, v1
	v_lshl_add_u32 v0, v0, 2, v28
	scratch_store_dword v0, v29, off
	s_branch .LBB59_42
.LBB59_69:
	v_mov_b32_e32 v12, 0
.LBB59_70:
	v_cmp_eq_u32_e32 vcc, 0, v18
	s_and_b64 exec, exec, vcc
	s_cbranch_execz .LBB59_83
; %bb.71:
	s_andn2_b64 vcc, exec, s[4:5]
	v_cvt_f32_f64_e32 v0, s[8:9]
	s_cbranch_vccnz .LBB59_73
; %bb.72:
	v_cmp_lt_f32_e32 vcc, 0, v12
	s_nop 1
	v_cndmask_b32_e32 v1, 1.0, v12, vcc
	v_div_scale_f32 v2, s[0:1], v1, v1, v0
	v_rcp_f32_e32 v3, v2
	s_nop 0
	v_fma_f32 v4, -v2, v3, 1.0
	v_fmac_f32_e32 v3, v4, v3
	v_div_scale_f32 v4, vcc, v0, v1, v0
	v_mul_f32_e32 v5, v4, v3
	v_fma_f32 v6, -v2, v5, v4
	v_fmac_f32_e32 v5, v6, v3
	v_fma_f32 v2, -v2, v5, v4
	v_div_fmas_f32 v2, v2, v3, v5
	v_div_fixup_f32 v0, v2, v1, v0
.LBB59_73:
	s_andn2_b64 vcc, exec, s[24:25]
	s_cbranch_vccnz .LBB59_83
; %bb.74:
	v_mul_lo_u32 v2, v16, s12
	s_cmp_gt_u32 s12, 3
	v_ashrrev_i32_e32 v3, 31, v2
	s_cbranch_scc0 .LBB59_78
; %bb.75:
	s_and_b32 s0, s12, 0x7ffffffc
	v_lshl_add_u64 v[4:5], v[2:3], 2, s[20:21]
	v_mov_b32_e32 v1, v0
	v_lshl_add_u64 v[4:5], v[4:5], 0, 8
	s_mov_b32 s1, s0
.LBB59_76:                              ; =>This Inner Loop Header: Depth=1
	global_load_dwordx4 v[6:9], v[4:5], off offset:-8
	s_add_i32 s1, s1, -4
	s_cmp_lg_u32 s1, 0
	s_waitcnt vmcnt(0)
	v_pk_mul_f32 v[6:7], v[0:1], v[6:7]
	v_pk_mul_f32 v[8:9], v[0:1], v[8:9]
	global_store_dwordx4 v[4:5], v[6:9], off offset:-8
	v_lshl_add_u64 v[4:5], v[4:5], 0, 16
	s_cbranch_scc1 .LBB59_76
; %bb.77:
	s_cmp_lg_u32 s0, s12
	s_cselect_b64 s[2:3], -1, 0
	s_branch .LBB59_80
.LBB59_78:
	s_mov_b64 s[2:3], 0
                                        ; implicit-def: $sgpr0
	s_cbranch_execz .LBB59_80
; %bb.79:
	s_mov_b64 s[2:3], -1
	s_mov_b32 s0, 0
.LBB59_80:
	s_andn2_b64 vcc, exec, s[2:3]
	s_cbranch_vccnz .LBB59_83
; %bb.81:
	s_mov_b32 s1, 0
	v_lshl_add_u64 v[2:3], v[2:3], 0, s[0:1]
	s_sub_i32 s2, s12, s0
	v_lshl_add_u64 v[2:3], v[2:3], 2, s[20:21]
.LBB59_82:                              ; =>This Inner Loop Header: Depth=1
	global_load_dword v1, v[2:3], off
	s_add_i32 s2, s2, -1
	s_cmp_lg_u32 s2, 0
	s_waitcnt vmcnt(0)
	v_mul_f32_e32 v1, v0, v1
	global_store_dword v[2:3], v1, off
	v_lshl_add_u64 v[2:3], v[2:3], 0, 4
	s_cbranch_scc1 .LBB59_82
.LBB59_83:
	s_endpgm
	.section	.rodata,"a",@progbits
	.p2align	6, 0x0
	.amdhsa_kernel _ZN4vllm3moe22topkGatingSoftplusSqrtILi18ELi576ELi4ELi4ELi32ELb0EifEEvPKT6_PKbPfiPT5_PiiiibdPKfPKS8_SE_
		.amdhsa_group_segment_fixed_size 0
		.amdhsa_private_segment_fixed_size 80
		.amdhsa_kernarg_size 96
		.amdhsa_user_sgpr_count 2
		.amdhsa_user_sgpr_dispatch_ptr 0
		.amdhsa_user_sgpr_queue_ptr 0
		.amdhsa_user_sgpr_kernarg_segment_ptr 1
		.amdhsa_user_sgpr_dispatch_id 0
		.amdhsa_user_sgpr_kernarg_preload_length 0
		.amdhsa_user_sgpr_kernarg_preload_offset 0
		.amdhsa_user_sgpr_private_segment_size 0
		.amdhsa_uses_dynamic_stack 0
		.amdhsa_enable_private_segment 1
		.amdhsa_system_sgpr_workgroup_id_x 1
		.amdhsa_system_sgpr_workgroup_id_y 0
		.amdhsa_system_sgpr_workgroup_id_z 0
		.amdhsa_system_sgpr_workgroup_info 0
		.amdhsa_system_vgpr_workitem_id 1
		.amdhsa_next_free_vgpr 49
		.amdhsa_next_free_sgpr 32
		.amdhsa_accum_offset 52
		.amdhsa_reserve_vcc 1
		.amdhsa_float_round_mode_32 0
		.amdhsa_float_round_mode_16_64 0
		.amdhsa_float_denorm_mode_32 3
		.amdhsa_float_denorm_mode_16_64 3
		.amdhsa_dx10_clamp 1
		.amdhsa_ieee_mode 1
		.amdhsa_fp16_overflow 0
		.amdhsa_tg_split 0
		.amdhsa_exception_fp_ieee_invalid_op 0
		.amdhsa_exception_fp_denorm_src 0
		.amdhsa_exception_fp_ieee_div_zero 0
		.amdhsa_exception_fp_ieee_overflow 0
		.amdhsa_exception_fp_ieee_underflow 0
		.amdhsa_exception_fp_ieee_inexact 0
		.amdhsa_exception_int_div_zero 0
	.end_amdhsa_kernel
	.section	.text._ZN4vllm3moe22topkGatingSoftplusSqrtILi18ELi576ELi4ELi4ELi32ELb0EifEEvPKT6_PKbPfiPT5_PiiiibdPKfPKS8_SE_,"axG",@progbits,_ZN4vllm3moe22topkGatingSoftplusSqrtILi18ELi576ELi4ELi4ELi32ELb0EifEEvPKT6_PKbPfiPT5_PiiiibdPKfPKS8_SE_,comdat
.Lfunc_end59:
	.size	_ZN4vllm3moe22topkGatingSoftplusSqrtILi18ELi576ELi4ELi4ELi32ELb0EifEEvPKT6_PKbPfiPT5_PiiiibdPKfPKS8_SE_, .Lfunc_end59-_ZN4vllm3moe22topkGatingSoftplusSqrtILi18ELi576ELi4ELi4ELi32ELb0EifEEvPKT6_PKbPfiPT5_PiiiibdPKfPKS8_SE_
                                        ; -- End function
	.section	.AMDGPU.csdata,"",@progbits
; Kernel info:
; codeLenInByte = 7256
; NumSgprs: 38
; NumVgprs: 49
; NumAgprs: 0
; TotalNumVgprs: 49
; ScratchSize: 80
; MemoryBound: 0
; FloatMode: 240
; IeeeMode: 1
; LDSByteSize: 0 bytes/workgroup (compile time only)
; SGPRBlocks: 4
; VGPRBlocks: 6
; NumSGPRsForWavesPerEU: 38
; NumVGPRsForWavesPerEU: 49
; AccumOffset: 52
; Occupancy: 8
; WaveLimiterHint : 1
; COMPUTE_PGM_RSRC2:SCRATCH_EN: 1
; COMPUTE_PGM_RSRC2:USER_SGPR: 2
; COMPUTE_PGM_RSRC2:TRAP_HANDLER: 0
; COMPUTE_PGM_RSRC2:TGID_X_EN: 1
; COMPUTE_PGM_RSRC2:TGID_Y_EN: 0
; COMPUTE_PGM_RSRC2:TGID_Z_EN: 0
; COMPUTE_PGM_RSRC2:TIDIG_COMP_CNT: 1
; COMPUTE_PGM_RSRC3_GFX90A:ACCUM_OFFSET: 12
; COMPUTE_PGM_RSRC3_GFX90A:TG_SPLIT: 0
	.section	.text._ZN4vllm3moe22topkGatingSoftplusSqrtILi1ELi1ELi4ELi4ELi64ELb1EjfEEvPKT6_PKbPfiPT5_PiiiibdPKfPKS8_SE_,"axG",@progbits,_ZN4vllm3moe22topkGatingSoftplusSqrtILi1ELi1ELi4ELi4ELi64ELb1EjfEEvPKT6_PKbPfiPT5_PiiiibdPKfPKS8_SE_,comdat
	.protected	_ZN4vllm3moe22topkGatingSoftplusSqrtILi1ELi1ELi4ELi4ELi64ELb1EjfEEvPKT6_PKbPfiPT5_PiiiibdPKfPKS8_SE_ ; -- Begin function _ZN4vllm3moe22topkGatingSoftplusSqrtILi1ELi1ELi4ELi4ELi64ELb1EjfEEvPKT6_PKbPfiPT5_PiiiibdPKfPKS8_SE_
	.globl	_ZN4vllm3moe22topkGatingSoftplusSqrtILi1ELi1ELi4ELi4ELi64ELb1EjfEEvPKT6_PKbPfiPT5_PiiiibdPKfPKS8_SE_
	.p2align	8
	.type	_ZN4vllm3moe22topkGatingSoftplusSqrtILi1ELi1ELi4ELi4ELi64ELb1EjfEEvPKT6_PKbPfiPT5_PiiiibdPKfPKS8_SE_,@function
_ZN4vllm3moe22topkGatingSoftplusSqrtILi1ELi1ELi4ELi4ELi64ELb1EjfEEvPKT6_PKbPfiPT5_PiiiibdPKfPKS8_SE_: ; @_ZN4vllm3moe22topkGatingSoftplusSqrtILi1ELi1ELi4ELi4ELi64ELb1EjfEEvPKT6_PKbPfiPT5_PiiiibdPKfPKS8_SE_
; %bb.0:
	s_load_dword s3, s[0:1], 0x18
	v_bfe_u32 v1, v0, 10, 10
	s_lshl_b32 s2, s2, 8
	v_lshlrev_b32_e32 v1, 6, v1
	v_and_b32_e32 v0, 0x3ff, v0
	v_add3_u32 v2, v1, v0, s2
	s_waitcnt lgkmcnt(0)
	v_cmp_gt_i32_e32 vcc, s3, v2
	s_and_saveexec_b64 s[2:3], vcc
	s_cbranch_execz .LBB60_55
; %bb.1:
	s_load_dwordx2 s[2:3], s[0:1], 0x0
	s_load_dword s14, s[0:1], 0x30
	v_ashrrev_i32_e32 v3, 31, v2
	v_lshlrev_b64 v[0:1], 2, v[2:3]
	s_load_dwordx4 s[4:7], s[0:1], 0x50
	s_waitcnt lgkmcnt(0)
	v_lshl_add_u64 v[4:5], s[2:3], 0, v[0:1]
	global_load_dword v3, v[4:5], off
	s_mov_b32 s3, 0x800000
	v_mov_b32_e32 v4, 0x4f800000
	v_lshl_add_u64 v[0:1], s[4:5], 0, v[0:1]
	global_load_dword v0, v[0:1], off
	v_mov_b32_e32 v6, 0x41b17218
	s_mov_b32 s9, 0x3f317217
	s_mov_b32 s10, 0x7f800000
	;; [unrolled: 1-line block ×4, first 2 shown]
	v_mov_b32_e32 v7, 0x260
	v_mov_b32_e32 v1, 0
	s_cmp_gt_i32 s14, 0
	s_mov_b32 s8, 0
	s_cselect_b64 s[4:5], -1, 0
	s_cmp_lt_i32 s14, 1
	v_mul_lo_u32 v2, v2, s14
	s_waitcnt vmcnt(1)
	v_mul_f32_e32 v5, 0x3fb8aa3b, v3
	v_exp_f32_e32 v5, v5
	s_waitcnt vmcnt(0)
	v_mul_lo_u32 v0, v0, s14
	v_add_f32_e32 v5, 1.0, v5
	v_cmp_gt_f32_e32 vcc, s3, v5
	s_nop 1
	v_cndmask_b32_e32 v4, 1.0, v4, vcc
	v_mul_f32_e32 v4, v5, v4
	v_log_f32_e32 v4, v4
	v_cndmask_b32_e32 v5, 0, v6, vcc
	v_mul_f32_e32 v6, 0x3f317217, v4
	v_fma_f32 v6, v4, s9, -v6
	v_fmamk_f32 v6, v4, 0x3377d1cf, v6
	v_fmac_f32_e32 v6, 0x3f317217, v4
	v_cmp_lt_f32_e64 vcc, |v4|, s10
	s_nop 1
	v_cndmask_b32_e32 v4, v4, v6, vcc
	v_sub_f32_e32 v4, v4, v5
	v_cmp_lt_f32_e32 vcc, s2, v3
	s_nop 1
	v_cndmask_b32_e32 v3, v4, v3, vcc
	v_mul_f32_e32 v4, 0x4f800000, v3
	v_cmp_gt_f32_e32 vcc, s11, v3
	s_nop 1
	v_cndmask_b32_e32 v3, v3, v4, vcc
	v_sqrt_f32_e32 v6, v3
	v_lshl_add_u64 v[4:5], v[0:1], 2, s[6:7]
	v_add_u32_e32 v8, -1, v6
	v_add_u32_e32 v9, 1, v6
	v_fma_f32 v10, -v8, v6, v3
	v_fma_f32 v11, -v9, v6, v3
	v_cmp_ge_f32_e64 s[2:3], 0, v10
	s_nop 1
	v_cndmask_b32_e64 v6, v6, v8, s[2:3]
	v_cmp_lt_f32_e64 s[2:3], 0, v11
	s_nop 1
	v_cndmask_b32_e64 v6, v6, v9, s[2:3]
	v_mul_f32_e32 v8, 0x37800000, v6
	v_cndmask_b32_e32 v6, v6, v8, vcc
	v_cmp_class_f32_e32 vcc, v3, v7
	s_nop 1
	v_cndmask_b32_e32 v10, v6, v3, vcc
	s_cbranch_scc1 .LBB60_21
; %bb.2:
	s_load_dwordx2 s[2:3], s[0:1], 0x20
	s_cmp_lt_u32 s14, 8
	s_cbranch_scc1 .LBB60_22
; %bb.3:
	v_ashrrev_i32_e32 v3, 31, v2
	s_and_b32 s8, s14, 0x7ffffff8
	s_waitcnt lgkmcnt(0)
	v_lshl_add_u64 v[6:7], v[2:3], 2, s[2:3]
	s_mov_b32 s9, 0
	s_mov_b64 s[10:11], 0
	v_mov_b32_e32 v11, 0
	v_mov_b32_e32 v3, 0
	s_branch .LBB60_5
.LBB60_4:                               ;   in Loop: Header=BB60_5 Depth=1
	s_or_b64 exec, exec, s[12:13]
	s_add_i32 s9, s9, 8
	s_add_u32 s10, s10, 32
	s_addc_u32 s11, s11, 0
	s_cmp_eq_u32 s8, s9
	s_cbranch_scc1 .LBB60_23
.LBB60_5:                               ; =>This Inner Loop Header: Depth=1
	v_lshl_add_u64 v[8:9], v[4:5], 0, s[10:11]
	global_load_dword v12, v[8:9], off
	s_waitcnt vmcnt(0)
	v_cmp_eq_u32_e32 vcc, 0, v12
	s_and_saveexec_b64 s[12:13], vcc
	s_cbranch_execz .LBB60_7
; %bb.6:                                ;   in Loop: Header=BB60_5 Depth=1
	v_add_u32_e32 v12, s9, v2
	v_ashrrev_i32_e32 v13, 31, v12
	v_lshl_add_u64 v[12:13], v[12:13], 2, s[2:3]
	v_add_f32_e32 v3, v10, v3
	global_store_dword v[12:13], v11, off
.LBB60_7:                               ;   in Loop: Header=BB60_5 Depth=1
	s_or_b64 exec, exec, s[12:13]
	global_load_dword v12, v[8:9], off offset:4
	s_waitcnt vmcnt(0)
	v_cmp_eq_u32_e32 vcc, 0, v12
	s_and_saveexec_b64 s[12:13], vcc
	s_cbranch_execz .LBB60_9
; %bb.8:                                ;   in Loop: Header=BB60_5 Depth=1
	v_lshl_add_u64 v[12:13], v[6:7], 0, s[10:11]
	v_add_f32_e32 v3, v10, v3
	global_store_dword v[12:13], v11, off offset:4
.LBB60_9:                               ;   in Loop: Header=BB60_5 Depth=1
	s_or_b64 exec, exec, s[12:13]
	global_load_dword v12, v[8:9], off offset:8
	s_waitcnt vmcnt(0)
	v_cmp_eq_u32_e32 vcc, 0, v12
	s_and_saveexec_b64 s[12:13], vcc
	s_cbranch_execz .LBB60_11
; %bb.10:                               ;   in Loop: Header=BB60_5 Depth=1
	v_lshl_add_u64 v[12:13], v[6:7], 0, s[10:11]
	v_add_f32_e32 v3, v10, v3
	global_store_dword v[12:13], v11, off offset:8
.LBB60_11:                              ;   in Loop: Header=BB60_5 Depth=1
	s_or_b64 exec, exec, s[12:13]
	global_load_dword v12, v[8:9], off offset:12
	s_waitcnt vmcnt(0)
	v_cmp_eq_u32_e32 vcc, 0, v12
	s_and_saveexec_b64 s[12:13], vcc
	s_cbranch_execz .LBB60_13
; %bb.12:                               ;   in Loop: Header=BB60_5 Depth=1
	v_lshl_add_u64 v[12:13], v[6:7], 0, s[10:11]
	v_add_f32_e32 v3, v10, v3
	global_store_dword v[12:13], v11, off offset:12
.LBB60_13:                              ;   in Loop: Header=BB60_5 Depth=1
	s_or_b64 exec, exec, s[12:13]
	global_load_dword v12, v[8:9], off offset:16
	s_waitcnt vmcnt(0)
	v_cmp_eq_u32_e32 vcc, 0, v12
	s_and_saveexec_b64 s[12:13], vcc
	s_cbranch_execz .LBB60_15
; %bb.14:                               ;   in Loop: Header=BB60_5 Depth=1
	v_lshl_add_u64 v[12:13], v[6:7], 0, s[10:11]
	v_add_f32_e32 v3, v10, v3
	global_store_dword v[12:13], v11, off offset:16
.LBB60_15:                              ;   in Loop: Header=BB60_5 Depth=1
	s_or_b64 exec, exec, s[12:13]
	global_load_dword v12, v[8:9], off offset:20
	s_waitcnt vmcnt(0)
	v_cmp_eq_u32_e32 vcc, 0, v12
	s_and_saveexec_b64 s[12:13], vcc
	s_cbranch_execz .LBB60_17
; %bb.16:                               ;   in Loop: Header=BB60_5 Depth=1
	v_lshl_add_u64 v[12:13], v[6:7], 0, s[10:11]
	v_add_f32_e32 v3, v10, v3
	global_store_dword v[12:13], v11, off offset:20
.LBB60_17:                              ;   in Loop: Header=BB60_5 Depth=1
	s_or_b64 exec, exec, s[12:13]
	global_load_dword v12, v[8:9], off offset:24
	s_waitcnt vmcnt(0)
	v_cmp_eq_u32_e32 vcc, 0, v12
	s_and_saveexec_b64 s[12:13], vcc
	s_cbranch_execz .LBB60_19
; %bb.18:                               ;   in Loop: Header=BB60_5 Depth=1
	v_lshl_add_u64 v[12:13], v[6:7], 0, s[10:11]
	v_add_f32_e32 v3, v10, v3
	global_store_dword v[12:13], v11, off offset:24
.LBB60_19:                              ;   in Loop: Header=BB60_5 Depth=1
	s_or_b64 exec, exec, s[12:13]
	global_load_dword v8, v[8:9], off offset:28
	s_waitcnt vmcnt(0)
	v_cmp_eq_u32_e32 vcc, 0, v8
	s_and_saveexec_b64 s[12:13], vcc
	s_cbranch_execz .LBB60_4
; %bb.20:                               ;   in Loop: Header=BB60_5 Depth=1
	v_lshl_add_u64 v[8:9], v[6:7], 0, s[10:11]
	v_add_f32_e32 v3, v10, v3
	global_store_dword v[8:9], v11, off offset:28
	s_branch .LBB60_4
.LBB60_21:
	v_mov_b32_e32 v3, v1
	s_branch .LBB60_28
.LBB60_22:
	v_mov_b32_e32 v3, v1
.LBB60_23:
	s_and_b32 s10, s14, 7
	s_cmp_eq_u32 s10, 0
	s_mov_b32 s9, 0
	s_cbranch_scc1 .LBB60_28
; %bb.24:
	v_add_u32_e32 v6, s8, v2
	s_lshl_b64 s[8:9], s[8:9], 2
	s_add_u32 s8, s6, s8
	s_addc_u32 s9, s7, s9
	v_lshl_add_u64 v[8:9], v[0:1], 2, s[8:9]
	v_mov_b32_e32 v11, 0
	s_branch .LBB60_26
.LBB60_25:                              ;   in Loop: Header=BB60_26 Depth=1
	s_or_b64 exec, exec, s[8:9]
	s_add_i32 s10, s10, -1
	v_add_u32_e32 v6, 1, v6
	s_cmp_lg_u32 s10, 0
	v_lshl_add_u64 v[8:9], v[8:9], 0, 4
	s_cbranch_scc0 .LBB60_28
.LBB60_26:                              ; =>This Inner Loop Header: Depth=1
	global_load_dword v7, v[8:9], off
	s_waitcnt vmcnt(0)
	v_cmp_eq_u32_e32 vcc, 0, v7
	s_and_saveexec_b64 s[8:9], vcc
	s_cbranch_execz .LBB60_25
; %bb.27:                               ;   in Loop: Header=BB60_26 Depth=1
	v_ashrrev_i32_e32 v7, 31, v6
	s_waitcnt lgkmcnt(0)
	v_lshl_add_u64 v[12:13], v[6:7], 2, s[2:3]
	v_add_f32_e32 v3, v10, v3
	global_store_dword v[12:13], v11, off
	s_branch .LBB60_25
.LBB60_28:
	s_load_dword s8, s[0:1], 0x3c
	s_waitcnt lgkmcnt(0)
	s_load_dwordx2 s[2:3], s[0:1], 0x40
	s_bitcmp1_b32 s8, 0
	s_cselect_b64 s[8:9], -1, 0
	s_waitcnt lgkmcnt(0)
	v_cvt_f32_f64_e32 v6, s[2:3]
	s_and_b64 vcc, exec, s[8:9]
	s_cbranch_vccz .LBB60_30
; %bb.29:
	v_cmp_lt_f32_e32 vcc, 0, v3
	s_nop 1
	v_cndmask_b32_e32 v3, 1.0, v3, vcc
	v_div_scale_f32 v7, s[2:3], v3, v3, v6
	v_rcp_f32_e32 v8, v7
	s_nop 0
	v_fma_f32 v9, -v7, v8, 1.0
	v_fmac_f32_e32 v8, v9, v8
	v_div_scale_f32 v9, vcc, v6, v3, v6
	v_mul_f32_e32 v11, v9, v8
	v_fma_f32 v12, -v7, v11, v9
	v_fmac_f32_e32 v11, v12, v8
	v_fma_f32 v7, -v7, v11, v9
	v_div_fmas_f32 v7, v7, v8, v11
	v_div_fixup_f32 v6, v7, v3, v6
.LBB60_30:
	s_andn2_b64 vcc, exec, s[4:5]
	s_cbranch_vccnz .LBB60_55
; %bb.31:
	s_load_dwordx2 s[0:1], s[0:1], 0x10
	v_mul_f32_e32 v10, v10, v6
	s_cmp_lt_u32 s14, 8
	s_mov_b32 s2, 0
	s_cbranch_scc1 .LBB60_50
; %bb.32:
	v_ashrrev_i32_e32 v3, 31, v2
	s_and_b32 s2, s14, 0x7ffffff8
	s_waitcnt lgkmcnt(0)
	v_lshl_add_u64 v[6:7], v[2:3], 2, s[0:1]
	s_mov_b32 s3, 0
	s_mov_b64 s[4:5], 0
	s_branch .LBB60_34
.LBB60_33:                              ;   in Loop: Header=BB60_34 Depth=1
	s_or_b64 exec, exec, s[8:9]
	s_add_i32 s3, s3, 8
	s_add_u32 s4, s4, 32
	s_addc_u32 s5, s5, 0
	s_cmp_lg_u32 s2, s3
	s_cbranch_scc0 .LBB60_50
.LBB60_34:                              ; =>This Inner Loop Header: Depth=1
	v_lshl_add_u64 v[8:9], v[4:5], 0, s[4:5]
	global_load_dword v3, v[8:9], off
	s_waitcnt vmcnt(0)
	v_cmp_eq_u32_e32 vcc, 0, v3
	s_and_saveexec_b64 s[8:9], vcc
	s_cbranch_execz .LBB60_36
; %bb.35:                               ;   in Loop: Header=BB60_34 Depth=1
	v_add_u32_e32 v12, s3, v2
	v_ashrrev_i32_e32 v13, 31, v12
	v_lshl_add_u64 v[12:13], v[12:13], 2, s[0:1]
	global_store_dword v[12:13], v10, off
.LBB60_36:                              ;   in Loop: Header=BB60_34 Depth=1
	s_or_b64 exec, exec, s[8:9]
	global_load_dword v3, v[8:9], off offset:4
	s_waitcnt vmcnt(0)
	v_cmp_eq_u32_e32 vcc, 0, v3
	s_and_saveexec_b64 s[8:9], vcc
	s_cbranch_execz .LBB60_38
; %bb.37:                               ;   in Loop: Header=BB60_34 Depth=1
	v_lshl_add_u64 v[12:13], v[6:7], 0, s[4:5]
	global_store_dword v[12:13], v10, off offset:4
.LBB60_38:                              ;   in Loop: Header=BB60_34 Depth=1
	s_or_b64 exec, exec, s[8:9]
	global_load_dword v3, v[8:9], off offset:8
	s_waitcnt vmcnt(0)
	v_cmp_eq_u32_e32 vcc, 0, v3
	s_and_saveexec_b64 s[8:9], vcc
	s_cbranch_execz .LBB60_40
; %bb.39:                               ;   in Loop: Header=BB60_34 Depth=1
	v_lshl_add_u64 v[12:13], v[6:7], 0, s[4:5]
	global_store_dword v[12:13], v10, off offset:8
.LBB60_40:                              ;   in Loop: Header=BB60_34 Depth=1
	;; [unrolled: 10-line block ×6, first 2 shown]
	s_or_b64 exec, exec, s[8:9]
	global_load_dword v3, v[8:9], off offset:28
	s_waitcnt vmcnt(0)
	v_cmp_eq_u32_e32 vcc, 0, v3
	s_and_saveexec_b64 s[8:9], vcc
	s_cbranch_execz .LBB60_33
; %bb.49:                               ;   in Loop: Header=BB60_34 Depth=1
	v_lshl_add_u64 v[8:9], v[6:7], 0, s[4:5]
	global_store_dword v[8:9], v10, off offset:28
	s_branch .LBB60_33
.LBB60_50:
	s_and_b32 s4, s14, 7
	s_cmp_eq_u32 s4, 0
	s_mov_b32 s3, 0
	s_cbranch_scc1 .LBB60_55
; %bb.51:
	v_add_u32_e32 v2, s2, v2
	s_lshl_b64 s[2:3], s[2:3], 2
	s_add_u32 s2, s6, s2
	s_addc_u32 s3, s7, s3
	v_lshl_add_u64 v[0:1], v[0:1], 2, s[2:3]
	s_branch .LBB60_53
.LBB60_52:                              ;   in Loop: Header=BB60_53 Depth=1
	s_or_b64 exec, exec, s[2:3]
	s_add_i32 s4, s4, -1
	v_add_u32_e32 v2, 1, v2
	s_cmp_lg_u32 s4, 0
	v_lshl_add_u64 v[0:1], v[0:1], 0, 4
	s_cbranch_scc0 .LBB60_55
.LBB60_53:                              ; =>This Inner Loop Header: Depth=1
	global_load_dword v3, v[0:1], off
	s_waitcnt vmcnt(0)
	v_cmp_eq_u32_e32 vcc, 0, v3
	s_and_saveexec_b64 s[2:3], vcc
	s_cbranch_execz .LBB60_52
; %bb.54:                               ;   in Loop: Header=BB60_53 Depth=1
	v_ashrrev_i32_e32 v3, 31, v2
	s_waitcnt lgkmcnt(0)
	v_lshl_add_u64 v[4:5], v[2:3], 2, s[0:1]
	global_store_dword v[4:5], v10, off
	s_branch .LBB60_52
.LBB60_55:
	s_endpgm
	.section	.rodata,"a",@progbits
	.p2align	6, 0x0
	.amdhsa_kernel _ZN4vllm3moe22topkGatingSoftplusSqrtILi1ELi1ELi4ELi4ELi64ELb1EjfEEvPKT6_PKbPfiPT5_PiiiibdPKfPKS8_SE_
		.amdhsa_group_segment_fixed_size 0
		.amdhsa_private_segment_fixed_size 0
		.amdhsa_kernarg_size 96
		.amdhsa_user_sgpr_count 2
		.amdhsa_user_sgpr_dispatch_ptr 0
		.amdhsa_user_sgpr_queue_ptr 0
		.amdhsa_user_sgpr_kernarg_segment_ptr 1
		.amdhsa_user_sgpr_dispatch_id 0
		.amdhsa_user_sgpr_kernarg_preload_length 0
		.amdhsa_user_sgpr_kernarg_preload_offset 0
		.amdhsa_user_sgpr_private_segment_size 0
		.amdhsa_uses_dynamic_stack 0
		.amdhsa_enable_private_segment 0
		.amdhsa_system_sgpr_workgroup_id_x 1
		.amdhsa_system_sgpr_workgroup_id_y 0
		.amdhsa_system_sgpr_workgroup_id_z 0
		.amdhsa_system_sgpr_workgroup_info 0
		.amdhsa_system_vgpr_workitem_id 1
		.amdhsa_next_free_vgpr 14
		.amdhsa_next_free_sgpr 15
		.amdhsa_accum_offset 16
		.amdhsa_reserve_vcc 1
		.amdhsa_float_round_mode_32 0
		.amdhsa_float_round_mode_16_64 0
		.amdhsa_float_denorm_mode_32 3
		.amdhsa_float_denorm_mode_16_64 3
		.amdhsa_dx10_clamp 1
		.amdhsa_ieee_mode 1
		.amdhsa_fp16_overflow 0
		.amdhsa_tg_split 0
		.amdhsa_exception_fp_ieee_invalid_op 0
		.amdhsa_exception_fp_denorm_src 0
		.amdhsa_exception_fp_ieee_div_zero 0
		.amdhsa_exception_fp_ieee_overflow 0
		.amdhsa_exception_fp_ieee_underflow 0
		.amdhsa_exception_fp_ieee_inexact 0
		.amdhsa_exception_int_div_zero 0
	.end_amdhsa_kernel
	.section	.text._ZN4vllm3moe22topkGatingSoftplusSqrtILi1ELi1ELi4ELi4ELi64ELb1EjfEEvPKT6_PKbPfiPT5_PiiiibdPKfPKS8_SE_,"axG",@progbits,_ZN4vllm3moe22topkGatingSoftplusSqrtILi1ELi1ELi4ELi4ELi64ELb1EjfEEvPKT6_PKbPfiPT5_PiiiibdPKfPKS8_SE_,comdat
.Lfunc_end60:
	.size	_ZN4vllm3moe22topkGatingSoftplusSqrtILi1ELi1ELi4ELi4ELi64ELb1EjfEEvPKT6_PKbPfiPT5_PiiiibdPKfPKS8_SE_, .Lfunc_end60-_ZN4vllm3moe22topkGatingSoftplusSqrtILi1ELi1ELi4ELi4ELi64ELb1EjfEEvPKT6_PKbPfiPT5_PiiiibdPKfPKS8_SE_
                                        ; -- End function
	.section	.AMDGPU.csdata,"",@progbits
; Kernel info:
; codeLenInByte = 1812
; NumSgprs: 21
; NumVgprs: 14
; NumAgprs: 0
; TotalNumVgprs: 14
; ScratchSize: 0
; MemoryBound: 0
; FloatMode: 240
; IeeeMode: 1
; LDSByteSize: 0 bytes/workgroup (compile time only)
; SGPRBlocks: 2
; VGPRBlocks: 1
; NumSGPRsForWavesPerEU: 21
; NumVGPRsForWavesPerEU: 14
; AccumOffset: 16
; Occupancy: 8
; WaveLimiterHint : 1
; COMPUTE_PGM_RSRC2:SCRATCH_EN: 0
; COMPUTE_PGM_RSRC2:USER_SGPR: 2
; COMPUTE_PGM_RSRC2:TRAP_HANDLER: 0
; COMPUTE_PGM_RSRC2:TGID_X_EN: 1
; COMPUTE_PGM_RSRC2:TGID_Y_EN: 0
; COMPUTE_PGM_RSRC2:TGID_Z_EN: 0
; COMPUTE_PGM_RSRC2:TIDIG_COMP_CNT: 1
; COMPUTE_PGM_RSRC3_GFX90A:ACCUM_OFFSET: 3
; COMPUTE_PGM_RSRC3_GFX90A:TG_SPLIT: 0
	.section	.text._ZN4vllm3moe22topkGatingSoftplusSqrtILi1ELi1ELi4ELi4ELi64ELb0EjfEEvPKT6_PKbPfiPT5_PiiiibdPKfPKS8_SE_,"axG",@progbits,_ZN4vllm3moe22topkGatingSoftplusSqrtILi1ELi1ELi4ELi4ELi64ELb0EjfEEvPKT6_PKbPfiPT5_PiiiibdPKfPKS8_SE_,comdat
	.protected	_ZN4vllm3moe22topkGatingSoftplusSqrtILi1ELi1ELi4ELi4ELi64ELb0EjfEEvPKT6_PKbPfiPT5_PiiiibdPKfPKS8_SE_ ; -- Begin function _ZN4vllm3moe22topkGatingSoftplusSqrtILi1ELi1ELi4ELi4ELi64ELb0EjfEEvPKT6_PKbPfiPT5_PiiiibdPKfPKS8_SE_
	.globl	_ZN4vllm3moe22topkGatingSoftplusSqrtILi1ELi1ELi4ELi4ELi64ELb0EjfEEvPKT6_PKbPfiPT5_PiiiibdPKfPKS8_SE_
	.p2align	8
	.type	_ZN4vllm3moe22topkGatingSoftplusSqrtILi1ELi1ELi4ELi4ELi64ELb0EjfEEvPKT6_PKbPfiPT5_PiiiibdPKfPKS8_SE_,@function
_ZN4vllm3moe22topkGatingSoftplusSqrtILi1ELi1ELi4ELi4ELi64ELb0EjfEEvPKT6_PKbPfiPT5_PiiiibdPKfPKS8_SE_: ; @_ZN4vllm3moe22topkGatingSoftplusSqrtILi1ELi1ELi4ELi4ELi64ELb0EjfEEvPKT6_PKbPfiPT5_PiiiibdPKfPKS8_SE_
; %bb.0:
	s_load_dword s24, s[0:1], 0x18
	v_bfe_u32 v1, v0, 10, 10
	s_lshl_b32 s2, s2, 8
	v_lshlrev_b32_e32 v1, 6, v1
	v_and_b32_e32 v0, 0x3ff, v0
	v_add3_u32 v2, v1, v0, s2
	s_waitcnt lgkmcnt(0)
	v_cmp_gt_i32_e32 vcc, s24, v2
	s_and_saveexec_b64 s[2:3], vcc
	s_cbranch_execz .LBB61_24
; %bb.1:
	s_load_dwordx4 s[4:7], s[0:1], 0x0
	s_load_dwordx2 s[16:17], s[0:1], 0x10
	v_ashrrev_i32_e32 v3, 31, v2
	s_waitcnt lgkmcnt(0)
	s_cmp_eq_u64 s[6:7], 0
	s_cbranch_scc1 .LBB61_3
; %bb.2:
	v_lshl_add_u64 v[0:1], s[6:7], 0, v[2:3]
	global_load_ubyte v0, v[0:1], off
	s_waitcnt vmcnt(0)
	v_and_b32_e32 v0, 1, v0
	v_cmp_eq_u32_e32 vcc, 1, v0
	s_xor_b64 s[2:3], vcc, -1
	s_orn2_b64 s[18:19], s[2:3], exec
	s_branch .LBB61_4
.LBB61_3:
	s_mov_b64 s[18:19], -1
.LBB61_4:
	v_mov_b32_e32 v0, s4
	v_mov_b32_e32 v1, s5
	v_lshl_add_u64 v[0:1], v[2:3], 2, v[0:1]
	global_load_dword v0, v[0:1], off
	s_mov_b32 s3, 0x800000
	v_mov_b32_e32 v1, 0x4f800000
	s_mov_b32 s4, 0x3f317217
	s_mov_b32 s5, 0x7f800000
	v_mov_b32_e32 v4, 0x41b17218
	s_mov_b32 s2, 0x41a00000
	s_load_dwordx4 s[8:11], s[0:1], 0x40
	s_waitcnt lgkmcnt(0)
	s_cmp_lg_u64 s[10:11], 0
	s_cselect_b64 s[22:23], -1, 0
	s_cmp_eq_u64 s[10:11], 0
	s_waitcnt vmcnt(0)
	v_mul_f32_e32 v3, 0x3fb8aa3b, v0
	v_exp_f32_e32 v3, v3
	s_nop 0
	v_add_f32_e32 v3, 1.0, v3
	v_cmp_gt_f32_e32 vcc, s3, v3
	s_mov_b32 s3, 0xf800000
	s_nop 0
	v_cndmask_b32_e32 v1, 1.0, v1, vcc
	v_mul_f32_e32 v1, v3, v1
	v_log_f32_e32 v1, v1
	v_cndmask_b32_e32 v4, 0, v4, vcc
	v_mov_b32_e32 v3, 0x260
	v_mul_f32_e32 v5, 0x3f317217, v1
	v_fma_f32 v5, v1, s4, -v5
	v_fmamk_f32 v5, v1, 0x3377d1cf, v5
	v_fmac_f32_e32 v5, 0x3f317217, v1
	v_cmp_lt_f32_e64 vcc, |v1|, s5
	s_nop 1
	v_cndmask_b32_e32 v1, v1, v5, vcc
	v_sub_f32_e32 v1, v1, v4
	v_cmp_lt_f32_e32 vcc, s2, v0
	s_nop 1
	v_cndmask_b32_e32 v0, v1, v0, vcc
	v_mul_f32_e32 v1, 0x4f800000, v0
	v_cmp_gt_f32_e32 vcc, s3, v0
	s_nop 1
	v_cndmask_b32_e32 v0, v0, v1, vcc
	v_sqrt_f32_e32 v1, v0
	s_nop 0
	v_add_u32_e32 v4, -1, v1
	v_add_u32_e32 v5, 1, v1
	v_fma_f32 v6, -v4, v1, v0
	v_fma_f32 v7, -v5, v1, v0
	v_cmp_ge_f32_e64 s[2:3], 0, v6
	s_nop 1
	v_cndmask_b32_e64 v1, v1, v4, s[2:3]
	v_cmp_lt_f32_e64 s[2:3], 0, v7
	s_nop 1
	v_cndmask_b32_e64 v1, v1, v5, s[2:3]
	v_mul_f32_e32 v4, 0x37800000, v1
	v_cndmask_b32_e32 v1, v1, v4, vcc
	v_cmp_class_f32_e32 vcc, v0, v3
	s_nop 1
	v_cndmask_b32_e32 v1, v1, v0, vcc
	s_cbranch_scc1 .LBB61_6
; %bb.5:
	s_load_dword s2, s[10:11], 0x0
	s_waitcnt lgkmcnt(0)
	v_add_f32_e32 v1, s2, v1
.LBB61_6:
	s_load_dwordx4 s[4:7], s[0:1], 0x30
	s_waitcnt lgkmcnt(0)
	s_bitcmp1_b32 s7, 0
	s_cselect_b64 s[2:3], -1, 0
	s_cmp_gt_i32 s4, 0
	s_cselect_b64 s[20:21], -1, 0
	s_cmp_lt_i32 s4, 1
	v_mul_lo_u32 v0, v2, s4
	s_cbranch_scc1 .LBB61_11
; %bb.7:
	s_cmp_lt_i32 s5, 1
	s_load_dwordx4 s[12:15], s[0:1], 0x20
	s_cselect_b64 s[0:1], -1, 0
	s_cmp_gt_i32 s6, 0
	s_cselect_b64 s[26:27], -1, 0
	s_and_b64 s[0:1], s[0:1], s[26:27]
	s_sub_i32 s5, 0, s5
	v_mov_b32_e32 v3, s5
	s_and_b64 vcc, s[18:19], s[0:1]
	v_cndmask_b32_e32 v4, 1, v3, vcc
	v_cndmask_b32_e64 v3, 0, 1, s[22:23]
	s_mov_b32 s7, 0
	v_mov_b32_e32 v5, 0
	v_cmp_ne_u32_e64 s[0:1], 1, v3
	v_mov_b32_e32 v6, 0xc61c4000
	v_mov_b32_e32 v3, 0
	s_branch .LBB61_9
.LBB61_8:                               ;   in Loop: Header=BB61_9 Depth=1
	v_add_u32_e32 v8, s7, v0
	v_ashrrev_i32_e32 v9, 31, v8
	v_lshlrev_b64 v[8:9], 2, v[8:9]
	s_add_i32 s7, s7, 1
	v_lshl_add_u64 v[10:11], s[16:17], 0, v[8:9]
	s_cmp_ge_i32 s7, s4
	global_store_dword v[10:11], v7, off
	s_waitcnt lgkmcnt(0)
	v_lshl_add_u64 v[10:11], s[12:13], 0, v[8:9]
	v_lshl_add_u64 v[8:9], s[14:15], 0, v[8:9]
	v_add_f32_e32 v7, v3, v7
	s_cselect_b64 vcc, -1, 0
	global_store_dword v[10:11], v4, off
	global_store_dword v[8:9], v2, off
	v_cndmask_b32_e64 v3, v3, v7, s[2:3]
	v_cndmask_b32_e32 v1, v6, v1, vcc
	s_cmp_lg_u32 s4, s7
	v_add_u32_e32 v2, s24, v2
	s_cbranch_scc0 .LBB61_12
.LBB61_9:                               ; =>This Inner Loop Header: Depth=1
	s_and_b64 vcc, exec, s[0:1]
	v_mov_b32_e32 v7, v1
	s_cbranch_vccnz .LBB61_8
; %bb.10:                               ;   in Loop: Header=BB61_9 Depth=1
	global_load_dword v7, v5, s[10:11]
	s_waitcnt vmcnt(0)
	v_sub_f32_e32 v7, v1, v7
	s_branch .LBB61_8
.LBB61_11:
	v_mov_b32_e32 v3, 0
.LBB61_12:
	s_andn2_b64 vcc, exec, s[2:3]
	v_cvt_f32_f64_e32 v2, s[8:9]
	s_cbranch_vccnz .LBB61_14
; %bb.13:
	v_cmp_lt_f32_e32 vcc, 0, v3
	s_nop 1
	v_cndmask_b32_e32 v1, 1.0, v3, vcc
	v_div_scale_f32 v3, s[0:1], v1, v1, v2
	v_rcp_f32_e32 v4, v3
	s_nop 0
	v_fma_f32 v5, -v3, v4, 1.0
	v_fmac_f32_e32 v4, v5, v4
	v_div_scale_f32 v5, vcc, v2, v1, v2
	v_mul_f32_e32 v6, v5, v4
	v_fma_f32 v7, -v3, v6, v5
	v_fmac_f32_e32 v6, v7, v4
	v_fma_f32 v3, -v3, v6, v5
	v_div_fmas_f32 v3, v3, v4, v6
	v_div_fixup_f32 v2, v3, v1, v2
.LBB61_14:
	s_andn2_b64 vcc, exec, s[20:21]
	s_cbranch_vccnz .LBB61_24
; %bb.15:
	s_cmp_gt_u32 s4, 3
	v_ashrrev_i32_e32 v1, 31, v0
	s_cbranch_scc0 .LBB61_19
; %bb.16:
	s_and_b32 s0, s4, 0x7ffffffc
	v_lshl_add_u64 v[4:5], v[0:1], 2, s[16:17]
	v_mov_b32_e32 v3, v2
	v_lshl_add_u64 v[4:5], v[4:5], 0, 8
	s_mov_b32 s1, s0
.LBB61_17:                              ; =>This Inner Loop Header: Depth=1
	global_load_dwordx4 v[6:9], v[4:5], off offset:-8
	s_add_i32 s1, s1, -4
	s_cmp_lg_u32 s1, 0
	s_waitcnt vmcnt(0)
	v_pk_mul_f32 v[6:7], v[2:3], v[6:7]
	v_pk_mul_f32 v[8:9], v[2:3], v[8:9]
	global_store_dwordx4 v[4:5], v[6:9], off offset:-8
	v_lshl_add_u64 v[4:5], v[4:5], 0, 16
	s_cbranch_scc1 .LBB61_17
; %bb.18:
	s_cmp_lg_u32 s0, s4
	s_cselect_b64 s[2:3], -1, 0
	s_branch .LBB61_21
.LBB61_19:
	s_mov_b64 s[2:3], 0
                                        ; implicit-def: $sgpr0
	s_cbranch_execz .LBB61_21
; %bb.20:
	s_mov_b64 s[2:3], -1
	s_mov_b32 s0, 0
.LBB61_21:
	s_andn2_b64 vcc, exec, s[2:3]
	s_cbranch_vccnz .LBB61_24
; %bb.22:
	s_mov_b32 s1, 0
	v_lshl_add_u64 v[0:1], v[0:1], 0, s[0:1]
	s_sub_i32 s2, s4, s0
	v_lshl_add_u64 v[0:1], v[0:1], 2, s[16:17]
.LBB61_23:                              ; =>This Inner Loop Header: Depth=1
	global_load_dword v3, v[0:1], off
	s_add_i32 s2, s2, -1
	s_cmp_lg_u32 s2, 0
	s_waitcnt vmcnt(0)
	v_mul_f32_e32 v3, v2, v3
	global_store_dword v[0:1], v3, off
	v_lshl_add_u64 v[0:1], v[0:1], 0, 4
	s_cbranch_scc1 .LBB61_23
.LBB61_24:
	s_endpgm
	.section	.rodata,"a",@progbits
	.p2align	6, 0x0
	.amdhsa_kernel _ZN4vllm3moe22topkGatingSoftplusSqrtILi1ELi1ELi4ELi4ELi64ELb0EjfEEvPKT6_PKbPfiPT5_PiiiibdPKfPKS8_SE_
		.amdhsa_group_segment_fixed_size 0
		.amdhsa_private_segment_fixed_size 0
		.amdhsa_kernarg_size 96
		.amdhsa_user_sgpr_count 2
		.amdhsa_user_sgpr_dispatch_ptr 0
		.amdhsa_user_sgpr_queue_ptr 0
		.amdhsa_user_sgpr_kernarg_segment_ptr 1
		.amdhsa_user_sgpr_dispatch_id 0
		.amdhsa_user_sgpr_kernarg_preload_length 0
		.amdhsa_user_sgpr_kernarg_preload_offset 0
		.amdhsa_user_sgpr_private_segment_size 0
		.amdhsa_uses_dynamic_stack 0
		.amdhsa_enable_private_segment 0
		.amdhsa_system_sgpr_workgroup_id_x 1
		.amdhsa_system_sgpr_workgroup_id_y 0
		.amdhsa_system_sgpr_workgroup_id_z 0
		.amdhsa_system_sgpr_workgroup_info 0
		.amdhsa_system_vgpr_workitem_id 1
		.amdhsa_next_free_vgpr 12
		.amdhsa_next_free_sgpr 28
		.amdhsa_accum_offset 12
		.amdhsa_reserve_vcc 1
		.amdhsa_float_round_mode_32 0
		.amdhsa_float_round_mode_16_64 0
		.amdhsa_float_denorm_mode_32 3
		.amdhsa_float_denorm_mode_16_64 3
		.amdhsa_dx10_clamp 1
		.amdhsa_ieee_mode 1
		.amdhsa_fp16_overflow 0
		.amdhsa_tg_split 0
		.amdhsa_exception_fp_ieee_invalid_op 0
		.amdhsa_exception_fp_denorm_src 0
		.amdhsa_exception_fp_ieee_div_zero 0
		.amdhsa_exception_fp_ieee_overflow 0
		.amdhsa_exception_fp_ieee_underflow 0
		.amdhsa_exception_fp_ieee_inexact 0
		.amdhsa_exception_int_div_zero 0
	.end_amdhsa_kernel
	.section	.text._ZN4vllm3moe22topkGatingSoftplusSqrtILi1ELi1ELi4ELi4ELi64ELb0EjfEEvPKT6_PKbPfiPT5_PiiiibdPKfPKS8_SE_,"axG",@progbits,_ZN4vllm3moe22topkGatingSoftplusSqrtILi1ELi1ELi4ELi4ELi64ELb0EjfEEvPKT6_PKbPfiPT5_PiiiibdPKfPKS8_SE_,comdat
.Lfunc_end61:
	.size	_ZN4vllm3moe22topkGatingSoftplusSqrtILi1ELi1ELi4ELi4ELi64ELb0EjfEEvPKT6_PKbPfiPT5_PiiiibdPKfPKS8_SE_, .Lfunc_end61-_ZN4vllm3moe22topkGatingSoftplusSqrtILi1ELi1ELi4ELi4ELi64ELb0EjfEEvPKT6_PKbPfiPT5_PiiiibdPKfPKS8_SE_
                                        ; -- End function
	.section	.AMDGPU.csdata,"",@progbits
; Kernel info:
; codeLenInByte = 1080
; NumSgprs: 34
; NumVgprs: 12
; NumAgprs: 0
; TotalNumVgprs: 12
; ScratchSize: 0
; MemoryBound: 0
; FloatMode: 240
; IeeeMode: 1
; LDSByteSize: 0 bytes/workgroup (compile time only)
; SGPRBlocks: 4
; VGPRBlocks: 1
; NumSGPRsForWavesPerEU: 34
; NumVGPRsForWavesPerEU: 12
; AccumOffset: 12
; Occupancy: 8
; WaveLimiterHint : 0
; COMPUTE_PGM_RSRC2:SCRATCH_EN: 0
; COMPUTE_PGM_RSRC2:USER_SGPR: 2
; COMPUTE_PGM_RSRC2:TRAP_HANDLER: 0
; COMPUTE_PGM_RSRC2:TGID_X_EN: 1
; COMPUTE_PGM_RSRC2:TGID_Y_EN: 0
; COMPUTE_PGM_RSRC2:TGID_Z_EN: 0
; COMPUTE_PGM_RSRC2:TIDIG_COMP_CNT: 1
; COMPUTE_PGM_RSRC3_GFX90A:ACCUM_OFFSET: 2
; COMPUTE_PGM_RSRC3_GFX90A:TG_SPLIT: 0
	.section	.text._ZN4vllm3moe22topkGatingSoftplusSqrtILi1ELi1ELi4ELi4ELi32ELb1EjfEEvPKT6_PKbPfiPT5_PiiiibdPKfPKS8_SE_,"axG",@progbits,_ZN4vllm3moe22topkGatingSoftplusSqrtILi1ELi1ELi4ELi4ELi32ELb1EjfEEvPKT6_PKbPfiPT5_PiiiibdPKfPKS8_SE_,comdat
	.protected	_ZN4vllm3moe22topkGatingSoftplusSqrtILi1ELi1ELi4ELi4ELi32ELb1EjfEEvPKT6_PKbPfiPT5_PiiiibdPKfPKS8_SE_ ; -- Begin function _ZN4vllm3moe22topkGatingSoftplusSqrtILi1ELi1ELi4ELi4ELi32ELb1EjfEEvPKT6_PKbPfiPT5_PiiiibdPKfPKS8_SE_
	.globl	_ZN4vllm3moe22topkGatingSoftplusSqrtILi1ELi1ELi4ELi4ELi32ELb1EjfEEvPKT6_PKbPfiPT5_PiiiibdPKfPKS8_SE_
	.p2align	8
	.type	_ZN4vllm3moe22topkGatingSoftplusSqrtILi1ELi1ELi4ELi4ELi32ELb1EjfEEvPKT6_PKbPfiPT5_PiiiibdPKfPKS8_SE_,@function
_ZN4vllm3moe22topkGatingSoftplusSqrtILi1ELi1ELi4ELi4ELi32ELb1EjfEEvPKT6_PKbPfiPT5_PiiiibdPKfPKS8_SE_: ; @_ZN4vllm3moe22topkGatingSoftplusSqrtILi1ELi1ELi4ELi4ELi32ELb1EjfEEvPKT6_PKbPfiPT5_PiiiibdPKfPKS8_SE_
; %bb.0:
	s_load_dword s3, s[0:1], 0x18
	v_bfe_u32 v1, v0, 10, 10
	s_lshl_b32 s2, s2, 7
	v_lshlrev_b32_e32 v1, 5, v1
	v_and_b32_e32 v0, 0x3ff, v0
	v_add3_u32 v2, v1, v0, s2
	s_waitcnt lgkmcnt(0)
	v_cmp_gt_i32_e32 vcc, s3, v2
	s_and_saveexec_b64 s[2:3], vcc
	s_cbranch_execz .LBB62_55
; %bb.1:
	s_load_dwordx2 s[2:3], s[0:1], 0x0
	s_load_dword s14, s[0:1], 0x30
	v_ashrrev_i32_e32 v3, 31, v2
	v_lshlrev_b64 v[0:1], 2, v[2:3]
	s_load_dwordx4 s[4:7], s[0:1], 0x50
	s_waitcnt lgkmcnt(0)
	v_lshl_add_u64 v[4:5], s[2:3], 0, v[0:1]
	global_load_dword v3, v[4:5], off
	s_mov_b32 s3, 0x800000
	v_mov_b32_e32 v4, 0x4f800000
	v_lshl_add_u64 v[0:1], s[4:5], 0, v[0:1]
	global_load_dword v0, v[0:1], off
	v_mov_b32_e32 v6, 0x41b17218
	s_mov_b32 s9, 0x3f317217
	s_mov_b32 s10, 0x7f800000
	;; [unrolled: 1-line block ×4, first 2 shown]
	v_mov_b32_e32 v7, 0x260
	v_mov_b32_e32 v1, 0
	s_cmp_gt_i32 s14, 0
	s_mov_b32 s8, 0
	s_cselect_b64 s[4:5], -1, 0
	s_cmp_lt_i32 s14, 1
	v_mul_lo_u32 v2, v2, s14
	s_waitcnt vmcnt(1)
	v_mul_f32_e32 v5, 0x3fb8aa3b, v3
	v_exp_f32_e32 v5, v5
	s_waitcnt vmcnt(0)
	v_mul_lo_u32 v0, v0, s14
	v_add_f32_e32 v5, 1.0, v5
	v_cmp_gt_f32_e32 vcc, s3, v5
	s_nop 1
	v_cndmask_b32_e32 v4, 1.0, v4, vcc
	v_mul_f32_e32 v4, v5, v4
	v_log_f32_e32 v4, v4
	v_cndmask_b32_e32 v5, 0, v6, vcc
	v_mul_f32_e32 v6, 0x3f317217, v4
	v_fma_f32 v6, v4, s9, -v6
	v_fmamk_f32 v6, v4, 0x3377d1cf, v6
	v_fmac_f32_e32 v6, 0x3f317217, v4
	v_cmp_lt_f32_e64 vcc, |v4|, s10
	s_nop 1
	v_cndmask_b32_e32 v4, v4, v6, vcc
	v_sub_f32_e32 v4, v4, v5
	v_cmp_lt_f32_e32 vcc, s2, v3
	s_nop 1
	v_cndmask_b32_e32 v3, v4, v3, vcc
	v_mul_f32_e32 v4, 0x4f800000, v3
	v_cmp_gt_f32_e32 vcc, s11, v3
	s_nop 1
	v_cndmask_b32_e32 v3, v3, v4, vcc
	v_sqrt_f32_e32 v6, v3
	v_lshl_add_u64 v[4:5], v[0:1], 2, s[6:7]
	v_add_u32_e32 v8, -1, v6
	v_add_u32_e32 v9, 1, v6
	v_fma_f32 v10, -v8, v6, v3
	v_fma_f32 v11, -v9, v6, v3
	v_cmp_ge_f32_e64 s[2:3], 0, v10
	s_nop 1
	v_cndmask_b32_e64 v6, v6, v8, s[2:3]
	v_cmp_lt_f32_e64 s[2:3], 0, v11
	s_nop 1
	v_cndmask_b32_e64 v6, v6, v9, s[2:3]
	v_mul_f32_e32 v8, 0x37800000, v6
	v_cndmask_b32_e32 v6, v6, v8, vcc
	v_cmp_class_f32_e32 vcc, v3, v7
	s_nop 1
	v_cndmask_b32_e32 v10, v6, v3, vcc
	s_cbranch_scc1 .LBB62_21
; %bb.2:
	s_load_dwordx2 s[2:3], s[0:1], 0x20
	s_cmp_lt_u32 s14, 8
	s_cbranch_scc1 .LBB62_22
; %bb.3:
	v_ashrrev_i32_e32 v3, 31, v2
	s_and_b32 s8, s14, 0x7ffffff8
	s_waitcnt lgkmcnt(0)
	v_lshl_add_u64 v[6:7], v[2:3], 2, s[2:3]
	s_mov_b32 s9, 0
	s_mov_b64 s[10:11], 0
	v_mov_b32_e32 v11, 0
	v_mov_b32_e32 v3, 0
	s_branch .LBB62_5
.LBB62_4:                               ;   in Loop: Header=BB62_5 Depth=1
	s_or_b64 exec, exec, s[12:13]
	s_add_i32 s9, s9, 8
	s_add_u32 s10, s10, 32
	s_addc_u32 s11, s11, 0
	s_cmp_eq_u32 s8, s9
	s_cbranch_scc1 .LBB62_23
.LBB62_5:                               ; =>This Inner Loop Header: Depth=1
	v_lshl_add_u64 v[8:9], v[4:5], 0, s[10:11]
	global_load_dword v12, v[8:9], off
	s_waitcnt vmcnt(0)
	v_cmp_eq_u32_e32 vcc, 0, v12
	s_and_saveexec_b64 s[12:13], vcc
	s_cbranch_execz .LBB62_7
; %bb.6:                                ;   in Loop: Header=BB62_5 Depth=1
	v_add_u32_e32 v12, s9, v2
	v_ashrrev_i32_e32 v13, 31, v12
	v_lshl_add_u64 v[12:13], v[12:13], 2, s[2:3]
	v_add_f32_e32 v3, v10, v3
	global_store_dword v[12:13], v11, off
.LBB62_7:                               ;   in Loop: Header=BB62_5 Depth=1
	s_or_b64 exec, exec, s[12:13]
	global_load_dword v12, v[8:9], off offset:4
	s_waitcnt vmcnt(0)
	v_cmp_eq_u32_e32 vcc, 0, v12
	s_and_saveexec_b64 s[12:13], vcc
	s_cbranch_execz .LBB62_9
; %bb.8:                                ;   in Loop: Header=BB62_5 Depth=1
	v_lshl_add_u64 v[12:13], v[6:7], 0, s[10:11]
	v_add_f32_e32 v3, v10, v3
	global_store_dword v[12:13], v11, off offset:4
.LBB62_9:                               ;   in Loop: Header=BB62_5 Depth=1
	s_or_b64 exec, exec, s[12:13]
	global_load_dword v12, v[8:9], off offset:8
	s_waitcnt vmcnt(0)
	v_cmp_eq_u32_e32 vcc, 0, v12
	s_and_saveexec_b64 s[12:13], vcc
	s_cbranch_execz .LBB62_11
; %bb.10:                               ;   in Loop: Header=BB62_5 Depth=1
	v_lshl_add_u64 v[12:13], v[6:7], 0, s[10:11]
	v_add_f32_e32 v3, v10, v3
	global_store_dword v[12:13], v11, off offset:8
.LBB62_11:                              ;   in Loop: Header=BB62_5 Depth=1
	s_or_b64 exec, exec, s[12:13]
	global_load_dword v12, v[8:9], off offset:12
	s_waitcnt vmcnt(0)
	v_cmp_eq_u32_e32 vcc, 0, v12
	s_and_saveexec_b64 s[12:13], vcc
	s_cbranch_execz .LBB62_13
; %bb.12:                               ;   in Loop: Header=BB62_5 Depth=1
	v_lshl_add_u64 v[12:13], v[6:7], 0, s[10:11]
	v_add_f32_e32 v3, v10, v3
	global_store_dword v[12:13], v11, off offset:12
.LBB62_13:                              ;   in Loop: Header=BB62_5 Depth=1
	s_or_b64 exec, exec, s[12:13]
	global_load_dword v12, v[8:9], off offset:16
	s_waitcnt vmcnt(0)
	v_cmp_eq_u32_e32 vcc, 0, v12
	s_and_saveexec_b64 s[12:13], vcc
	s_cbranch_execz .LBB62_15
; %bb.14:                               ;   in Loop: Header=BB62_5 Depth=1
	v_lshl_add_u64 v[12:13], v[6:7], 0, s[10:11]
	v_add_f32_e32 v3, v10, v3
	global_store_dword v[12:13], v11, off offset:16
.LBB62_15:                              ;   in Loop: Header=BB62_5 Depth=1
	s_or_b64 exec, exec, s[12:13]
	global_load_dword v12, v[8:9], off offset:20
	s_waitcnt vmcnt(0)
	v_cmp_eq_u32_e32 vcc, 0, v12
	s_and_saveexec_b64 s[12:13], vcc
	s_cbranch_execz .LBB62_17
; %bb.16:                               ;   in Loop: Header=BB62_5 Depth=1
	v_lshl_add_u64 v[12:13], v[6:7], 0, s[10:11]
	v_add_f32_e32 v3, v10, v3
	global_store_dword v[12:13], v11, off offset:20
.LBB62_17:                              ;   in Loop: Header=BB62_5 Depth=1
	s_or_b64 exec, exec, s[12:13]
	global_load_dword v12, v[8:9], off offset:24
	s_waitcnt vmcnt(0)
	v_cmp_eq_u32_e32 vcc, 0, v12
	s_and_saveexec_b64 s[12:13], vcc
	s_cbranch_execz .LBB62_19
; %bb.18:                               ;   in Loop: Header=BB62_5 Depth=1
	v_lshl_add_u64 v[12:13], v[6:7], 0, s[10:11]
	v_add_f32_e32 v3, v10, v3
	global_store_dword v[12:13], v11, off offset:24
.LBB62_19:                              ;   in Loop: Header=BB62_5 Depth=1
	s_or_b64 exec, exec, s[12:13]
	global_load_dword v8, v[8:9], off offset:28
	s_waitcnt vmcnt(0)
	v_cmp_eq_u32_e32 vcc, 0, v8
	s_and_saveexec_b64 s[12:13], vcc
	s_cbranch_execz .LBB62_4
; %bb.20:                               ;   in Loop: Header=BB62_5 Depth=1
	v_lshl_add_u64 v[8:9], v[6:7], 0, s[10:11]
	v_add_f32_e32 v3, v10, v3
	global_store_dword v[8:9], v11, off offset:28
	s_branch .LBB62_4
.LBB62_21:
	v_mov_b32_e32 v3, v1
	s_branch .LBB62_28
.LBB62_22:
	v_mov_b32_e32 v3, v1
.LBB62_23:
	s_and_b32 s10, s14, 7
	s_cmp_eq_u32 s10, 0
	s_mov_b32 s9, 0
	s_cbranch_scc1 .LBB62_28
; %bb.24:
	v_add_u32_e32 v6, s8, v2
	s_lshl_b64 s[8:9], s[8:9], 2
	s_add_u32 s8, s6, s8
	s_addc_u32 s9, s7, s9
	v_lshl_add_u64 v[8:9], v[0:1], 2, s[8:9]
	v_mov_b32_e32 v11, 0
	s_branch .LBB62_26
.LBB62_25:                              ;   in Loop: Header=BB62_26 Depth=1
	s_or_b64 exec, exec, s[8:9]
	s_add_i32 s10, s10, -1
	v_add_u32_e32 v6, 1, v6
	s_cmp_lg_u32 s10, 0
	v_lshl_add_u64 v[8:9], v[8:9], 0, 4
	s_cbranch_scc0 .LBB62_28
.LBB62_26:                              ; =>This Inner Loop Header: Depth=1
	global_load_dword v7, v[8:9], off
	s_waitcnt vmcnt(0)
	v_cmp_eq_u32_e32 vcc, 0, v7
	s_and_saveexec_b64 s[8:9], vcc
	s_cbranch_execz .LBB62_25
; %bb.27:                               ;   in Loop: Header=BB62_26 Depth=1
	v_ashrrev_i32_e32 v7, 31, v6
	s_waitcnt lgkmcnt(0)
	v_lshl_add_u64 v[12:13], v[6:7], 2, s[2:3]
	v_add_f32_e32 v3, v10, v3
	global_store_dword v[12:13], v11, off
	s_branch .LBB62_25
.LBB62_28:
	s_load_dword s8, s[0:1], 0x3c
	s_waitcnt lgkmcnt(0)
	s_load_dwordx2 s[2:3], s[0:1], 0x40
	s_bitcmp1_b32 s8, 0
	s_cselect_b64 s[8:9], -1, 0
	s_waitcnt lgkmcnt(0)
	v_cvt_f32_f64_e32 v6, s[2:3]
	s_and_b64 vcc, exec, s[8:9]
	s_cbranch_vccz .LBB62_30
; %bb.29:
	v_cmp_lt_f32_e32 vcc, 0, v3
	s_nop 1
	v_cndmask_b32_e32 v3, 1.0, v3, vcc
	v_div_scale_f32 v7, s[2:3], v3, v3, v6
	v_rcp_f32_e32 v8, v7
	s_nop 0
	v_fma_f32 v9, -v7, v8, 1.0
	v_fmac_f32_e32 v8, v9, v8
	v_div_scale_f32 v9, vcc, v6, v3, v6
	v_mul_f32_e32 v11, v9, v8
	v_fma_f32 v12, -v7, v11, v9
	v_fmac_f32_e32 v11, v12, v8
	v_fma_f32 v7, -v7, v11, v9
	v_div_fmas_f32 v7, v7, v8, v11
	v_div_fixup_f32 v6, v7, v3, v6
.LBB62_30:
	s_andn2_b64 vcc, exec, s[4:5]
	s_cbranch_vccnz .LBB62_55
; %bb.31:
	s_load_dwordx2 s[0:1], s[0:1], 0x10
	v_mul_f32_e32 v10, v10, v6
	s_cmp_lt_u32 s14, 8
	s_mov_b32 s2, 0
	s_cbranch_scc1 .LBB62_50
; %bb.32:
	v_ashrrev_i32_e32 v3, 31, v2
	s_and_b32 s2, s14, 0x7ffffff8
	s_waitcnt lgkmcnt(0)
	v_lshl_add_u64 v[6:7], v[2:3], 2, s[0:1]
	s_mov_b32 s3, 0
	s_mov_b64 s[4:5], 0
	s_branch .LBB62_34
.LBB62_33:                              ;   in Loop: Header=BB62_34 Depth=1
	s_or_b64 exec, exec, s[8:9]
	s_add_i32 s3, s3, 8
	s_add_u32 s4, s4, 32
	s_addc_u32 s5, s5, 0
	s_cmp_lg_u32 s2, s3
	s_cbranch_scc0 .LBB62_50
.LBB62_34:                              ; =>This Inner Loop Header: Depth=1
	v_lshl_add_u64 v[8:9], v[4:5], 0, s[4:5]
	global_load_dword v3, v[8:9], off
	s_waitcnt vmcnt(0)
	v_cmp_eq_u32_e32 vcc, 0, v3
	s_and_saveexec_b64 s[8:9], vcc
	s_cbranch_execz .LBB62_36
; %bb.35:                               ;   in Loop: Header=BB62_34 Depth=1
	v_add_u32_e32 v12, s3, v2
	v_ashrrev_i32_e32 v13, 31, v12
	v_lshl_add_u64 v[12:13], v[12:13], 2, s[0:1]
	global_store_dword v[12:13], v10, off
.LBB62_36:                              ;   in Loop: Header=BB62_34 Depth=1
	s_or_b64 exec, exec, s[8:9]
	global_load_dword v3, v[8:9], off offset:4
	s_waitcnt vmcnt(0)
	v_cmp_eq_u32_e32 vcc, 0, v3
	s_and_saveexec_b64 s[8:9], vcc
	s_cbranch_execz .LBB62_38
; %bb.37:                               ;   in Loop: Header=BB62_34 Depth=1
	v_lshl_add_u64 v[12:13], v[6:7], 0, s[4:5]
	global_store_dword v[12:13], v10, off offset:4
.LBB62_38:                              ;   in Loop: Header=BB62_34 Depth=1
	s_or_b64 exec, exec, s[8:9]
	global_load_dword v3, v[8:9], off offset:8
	s_waitcnt vmcnt(0)
	v_cmp_eq_u32_e32 vcc, 0, v3
	s_and_saveexec_b64 s[8:9], vcc
	s_cbranch_execz .LBB62_40
; %bb.39:                               ;   in Loop: Header=BB62_34 Depth=1
	v_lshl_add_u64 v[12:13], v[6:7], 0, s[4:5]
	global_store_dword v[12:13], v10, off offset:8
.LBB62_40:                              ;   in Loop: Header=BB62_34 Depth=1
	;; [unrolled: 10-line block ×6, first 2 shown]
	s_or_b64 exec, exec, s[8:9]
	global_load_dword v3, v[8:9], off offset:28
	s_waitcnt vmcnt(0)
	v_cmp_eq_u32_e32 vcc, 0, v3
	s_and_saveexec_b64 s[8:9], vcc
	s_cbranch_execz .LBB62_33
; %bb.49:                               ;   in Loop: Header=BB62_34 Depth=1
	v_lshl_add_u64 v[8:9], v[6:7], 0, s[4:5]
	global_store_dword v[8:9], v10, off offset:28
	s_branch .LBB62_33
.LBB62_50:
	s_and_b32 s4, s14, 7
	s_cmp_eq_u32 s4, 0
	s_mov_b32 s3, 0
	s_cbranch_scc1 .LBB62_55
; %bb.51:
	v_add_u32_e32 v2, s2, v2
	s_lshl_b64 s[2:3], s[2:3], 2
	s_add_u32 s2, s6, s2
	s_addc_u32 s3, s7, s3
	v_lshl_add_u64 v[0:1], v[0:1], 2, s[2:3]
	s_branch .LBB62_53
.LBB62_52:                              ;   in Loop: Header=BB62_53 Depth=1
	s_or_b64 exec, exec, s[2:3]
	s_add_i32 s4, s4, -1
	v_add_u32_e32 v2, 1, v2
	s_cmp_lg_u32 s4, 0
	v_lshl_add_u64 v[0:1], v[0:1], 0, 4
	s_cbranch_scc0 .LBB62_55
.LBB62_53:                              ; =>This Inner Loop Header: Depth=1
	global_load_dword v3, v[0:1], off
	s_waitcnt vmcnt(0)
	v_cmp_eq_u32_e32 vcc, 0, v3
	s_and_saveexec_b64 s[2:3], vcc
	s_cbranch_execz .LBB62_52
; %bb.54:                               ;   in Loop: Header=BB62_53 Depth=1
	v_ashrrev_i32_e32 v3, 31, v2
	s_waitcnt lgkmcnt(0)
	v_lshl_add_u64 v[4:5], v[2:3], 2, s[0:1]
	global_store_dword v[4:5], v10, off
	s_branch .LBB62_52
.LBB62_55:
	s_endpgm
	.section	.rodata,"a",@progbits
	.p2align	6, 0x0
	.amdhsa_kernel _ZN4vllm3moe22topkGatingSoftplusSqrtILi1ELi1ELi4ELi4ELi32ELb1EjfEEvPKT6_PKbPfiPT5_PiiiibdPKfPKS8_SE_
		.amdhsa_group_segment_fixed_size 0
		.amdhsa_private_segment_fixed_size 0
		.amdhsa_kernarg_size 96
		.amdhsa_user_sgpr_count 2
		.amdhsa_user_sgpr_dispatch_ptr 0
		.amdhsa_user_sgpr_queue_ptr 0
		.amdhsa_user_sgpr_kernarg_segment_ptr 1
		.amdhsa_user_sgpr_dispatch_id 0
		.amdhsa_user_sgpr_kernarg_preload_length 0
		.amdhsa_user_sgpr_kernarg_preload_offset 0
		.amdhsa_user_sgpr_private_segment_size 0
		.amdhsa_uses_dynamic_stack 0
		.amdhsa_enable_private_segment 0
		.amdhsa_system_sgpr_workgroup_id_x 1
		.amdhsa_system_sgpr_workgroup_id_y 0
		.amdhsa_system_sgpr_workgroup_id_z 0
		.amdhsa_system_sgpr_workgroup_info 0
		.amdhsa_system_vgpr_workitem_id 1
		.amdhsa_next_free_vgpr 14
		.amdhsa_next_free_sgpr 15
		.amdhsa_accum_offset 16
		.amdhsa_reserve_vcc 1
		.amdhsa_float_round_mode_32 0
		.amdhsa_float_round_mode_16_64 0
		.amdhsa_float_denorm_mode_32 3
		.amdhsa_float_denorm_mode_16_64 3
		.amdhsa_dx10_clamp 1
		.amdhsa_ieee_mode 1
		.amdhsa_fp16_overflow 0
		.amdhsa_tg_split 0
		.amdhsa_exception_fp_ieee_invalid_op 0
		.amdhsa_exception_fp_denorm_src 0
		.amdhsa_exception_fp_ieee_div_zero 0
		.amdhsa_exception_fp_ieee_overflow 0
		.amdhsa_exception_fp_ieee_underflow 0
		.amdhsa_exception_fp_ieee_inexact 0
		.amdhsa_exception_int_div_zero 0
	.end_amdhsa_kernel
	.section	.text._ZN4vllm3moe22topkGatingSoftplusSqrtILi1ELi1ELi4ELi4ELi32ELb1EjfEEvPKT6_PKbPfiPT5_PiiiibdPKfPKS8_SE_,"axG",@progbits,_ZN4vllm3moe22topkGatingSoftplusSqrtILi1ELi1ELi4ELi4ELi32ELb1EjfEEvPKT6_PKbPfiPT5_PiiiibdPKfPKS8_SE_,comdat
.Lfunc_end62:
	.size	_ZN4vllm3moe22topkGatingSoftplusSqrtILi1ELi1ELi4ELi4ELi32ELb1EjfEEvPKT6_PKbPfiPT5_PiiiibdPKfPKS8_SE_, .Lfunc_end62-_ZN4vllm3moe22topkGatingSoftplusSqrtILi1ELi1ELi4ELi4ELi32ELb1EjfEEvPKT6_PKbPfiPT5_PiiiibdPKfPKS8_SE_
                                        ; -- End function
	.section	.AMDGPU.csdata,"",@progbits
; Kernel info:
; codeLenInByte = 1812
; NumSgprs: 21
; NumVgprs: 14
; NumAgprs: 0
; TotalNumVgprs: 14
; ScratchSize: 0
; MemoryBound: 0
; FloatMode: 240
; IeeeMode: 1
; LDSByteSize: 0 bytes/workgroup (compile time only)
; SGPRBlocks: 2
; VGPRBlocks: 1
; NumSGPRsForWavesPerEU: 21
; NumVGPRsForWavesPerEU: 14
; AccumOffset: 16
; Occupancy: 8
; WaveLimiterHint : 1
; COMPUTE_PGM_RSRC2:SCRATCH_EN: 0
; COMPUTE_PGM_RSRC2:USER_SGPR: 2
; COMPUTE_PGM_RSRC2:TRAP_HANDLER: 0
; COMPUTE_PGM_RSRC2:TGID_X_EN: 1
; COMPUTE_PGM_RSRC2:TGID_Y_EN: 0
; COMPUTE_PGM_RSRC2:TGID_Z_EN: 0
; COMPUTE_PGM_RSRC2:TIDIG_COMP_CNT: 1
; COMPUTE_PGM_RSRC3_GFX90A:ACCUM_OFFSET: 3
; COMPUTE_PGM_RSRC3_GFX90A:TG_SPLIT: 0
	.section	.text._ZN4vllm3moe22topkGatingSoftplusSqrtILi1ELi1ELi4ELi4ELi32ELb0EjfEEvPKT6_PKbPfiPT5_PiiiibdPKfPKS8_SE_,"axG",@progbits,_ZN4vllm3moe22topkGatingSoftplusSqrtILi1ELi1ELi4ELi4ELi32ELb0EjfEEvPKT6_PKbPfiPT5_PiiiibdPKfPKS8_SE_,comdat
	.protected	_ZN4vllm3moe22topkGatingSoftplusSqrtILi1ELi1ELi4ELi4ELi32ELb0EjfEEvPKT6_PKbPfiPT5_PiiiibdPKfPKS8_SE_ ; -- Begin function _ZN4vllm3moe22topkGatingSoftplusSqrtILi1ELi1ELi4ELi4ELi32ELb0EjfEEvPKT6_PKbPfiPT5_PiiiibdPKfPKS8_SE_
	.globl	_ZN4vllm3moe22topkGatingSoftplusSqrtILi1ELi1ELi4ELi4ELi32ELb0EjfEEvPKT6_PKbPfiPT5_PiiiibdPKfPKS8_SE_
	.p2align	8
	.type	_ZN4vllm3moe22topkGatingSoftplusSqrtILi1ELi1ELi4ELi4ELi32ELb0EjfEEvPKT6_PKbPfiPT5_PiiiibdPKfPKS8_SE_,@function
_ZN4vllm3moe22topkGatingSoftplusSqrtILi1ELi1ELi4ELi4ELi32ELb0EjfEEvPKT6_PKbPfiPT5_PiiiibdPKfPKS8_SE_: ; @_ZN4vllm3moe22topkGatingSoftplusSqrtILi1ELi1ELi4ELi4ELi32ELb0EjfEEvPKT6_PKbPfiPT5_PiiiibdPKfPKS8_SE_
; %bb.0:
	s_load_dword s24, s[0:1], 0x18
	v_bfe_u32 v1, v0, 10, 10
	s_lshl_b32 s2, s2, 7
	v_lshlrev_b32_e32 v1, 5, v1
	v_and_b32_e32 v0, 0x3ff, v0
	v_add3_u32 v2, v1, v0, s2
	s_waitcnt lgkmcnt(0)
	v_cmp_gt_i32_e32 vcc, s24, v2
	s_and_saveexec_b64 s[2:3], vcc
	s_cbranch_execz .LBB63_24
; %bb.1:
	s_load_dwordx4 s[4:7], s[0:1], 0x0
	s_load_dwordx2 s[16:17], s[0:1], 0x10
	v_ashrrev_i32_e32 v3, 31, v2
	s_waitcnt lgkmcnt(0)
	s_cmp_eq_u64 s[6:7], 0
	s_cbranch_scc1 .LBB63_3
; %bb.2:
	v_lshl_add_u64 v[0:1], s[6:7], 0, v[2:3]
	global_load_ubyte v0, v[0:1], off
	s_waitcnt vmcnt(0)
	v_and_b32_e32 v0, 1, v0
	v_cmp_eq_u32_e32 vcc, 1, v0
	s_xor_b64 s[2:3], vcc, -1
	s_orn2_b64 s[18:19], s[2:3], exec
	s_branch .LBB63_4
.LBB63_3:
	s_mov_b64 s[18:19], -1
.LBB63_4:
	v_mov_b32_e32 v0, s4
	v_mov_b32_e32 v1, s5
	v_lshl_add_u64 v[0:1], v[2:3], 2, v[0:1]
	global_load_dword v0, v[0:1], off
	s_mov_b32 s3, 0x800000
	v_mov_b32_e32 v1, 0x4f800000
	s_mov_b32 s4, 0x3f317217
	s_mov_b32 s5, 0x7f800000
	v_mov_b32_e32 v4, 0x41b17218
	s_mov_b32 s2, 0x41a00000
	s_load_dwordx4 s[8:11], s[0:1], 0x40
	s_waitcnt lgkmcnt(0)
	s_cmp_lg_u64 s[10:11], 0
	s_cselect_b64 s[22:23], -1, 0
	s_cmp_eq_u64 s[10:11], 0
	s_waitcnt vmcnt(0)
	v_mul_f32_e32 v3, 0x3fb8aa3b, v0
	v_exp_f32_e32 v3, v3
	s_nop 0
	v_add_f32_e32 v3, 1.0, v3
	v_cmp_gt_f32_e32 vcc, s3, v3
	s_mov_b32 s3, 0xf800000
	s_nop 0
	v_cndmask_b32_e32 v1, 1.0, v1, vcc
	v_mul_f32_e32 v1, v3, v1
	v_log_f32_e32 v1, v1
	v_cndmask_b32_e32 v4, 0, v4, vcc
	v_mov_b32_e32 v3, 0x260
	v_mul_f32_e32 v5, 0x3f317217, v1
	v_fma_f32 v5, v1, s4, -v5
	v_fmamk_f32 v5, v1, 0x3377d1cf, v5
	v_fmac_f32_e32 v5, 0x3f317217, v1
	v_cmp_lt_f32_e64 vcc, |v1|, s5
	s_nop 1
	v_cndmask_b32_e32 v1, v1, v5, vcc
	v_sub_f32_e32 v1, v1, v4
	v_cmp_lt_f32_e32 vcc, s2, v0
	s_nop 1
	v_cndmask_b32_e32 v0, v1, v0, vcc
	v_mul_f32_e32 v1, 0x4f800000, v0
	v_cmp_gt_f32_e32 vcc, s3, v0
	s_nop 1
	v_cndmask_b32_e32 v0, v0, v1, vcc
	v_sqrt_f32_e32 v1, v0
	s_nop 0
	v_add_u32_e32 v4, -1, v1
	v_add_u32_e32 v5, 1, v1
	v_fma_f32 v6, -v4, v1, v0
	v_fma_f32 v7, -v5, v1, v0
	v_cmp_ge_f32_e64 s[2:3], 0, v6
	s_nop 1
	v_cndmask_b32_e64 v1, v1, v4, s[2:3]
	v_cmp_lt_f32_e64 s[2:3], 0, v7
	s_nop 1
	v_cndmask_b32_e64 v1, v1, v5, s[2:3]
	v_mul_f32_e32 v4, 0x37800000, v1
	v_cndmask_b32_e32 v1, v1, v4, vcc
	v_cmp_class_f32_e32 vcc, v0, v3
	s_nop 1
	v_cndmask_b32_e32 v1, v1, v0, vcc
	s_cbranch_scc1 .LBB63_6
; %bb.5:
	s_load_dword s2, s[10:11], 0x0
	s_waitcnt lgkmcnt(0)
	v_add_f32_e32 v1, s2, v1
.LBB63_6:
	s_load_dwordx4 s[4:7], s[0:1], 0x30
	s_waitcnt lgkmcnt(0)
	s_bitcmp1_b32 s7, 0
	s_cselect_b64 s[2:3], -1, 0
	s_cmp_gt_i32 s4, 0
	s_cselect_b64 s[20:21], -1, 0
	s_cmp_lt_i32 s4, 1
	v_mul_lo_u32 v0, v2, s4
	s_cbranch_scc1 .LBB63_11
; %bb.7:
	s_cmp_lt_i32 s5, 1
	s_load_dwordx4 s[12:15], s[0:1], 0x20
	s_cselect_b64 s[0:1], -1, 0
	s_cmp_gt_i32 s6, 0
	s_cselect_b64 s[26:27], -1, 0
	s_and_b64 s[0:1], s[0:1], s[26:27]
	s_sub_i32 s5, 0, s5
	v_mov_b32_e32 v3, s5
	s_and_b64 vcc, s[18:19], s[0:1]
	v_cndmask_b32_e32 v4, 1, v3, vcc
	v_cndmask_b32_e64 v3, 0, 1, s[22:23]
	s_mov_b32 s7, 0
	v_mov_b32_e32 v5, 0
	v_cmp_ne_u32_e64 s[0:1], 1, v3
	v_mov_b32_e32 v6, 0xc61c4000
	v_mov_b32_e32 v3, 0
	s_branch .LBB63_9
.LBB63_8:                               ;   in Loop: Header=BB63_9 Depth=1
	v_add_u32_e32 v8, s7, v0
	v_ashrrev_i32_e32 v9, 31, v8
	v_lshlrev_b64 v[8:9], 2, v[8:9]
	s_add_i32 s7, s7, 1
	v_lshl_add_u64 v[10:11], s[16:17], 0, v[8:9]
	s_cmp_ge_i32 s7, s4
	global_store_dword v[10:11], v7, off
	s_waitcnt lgkmcnt(0)
	v_lshl_add_u64 v[10:11], s[12:13], 0, v[8:9]
	v_lshl_add_u64 v[8:9], s[14:15], 0, v[8:9]
	v_add_f32_e32 v7, v3, v7
	s_cselect_b64 vcc, -1, 0
	global_store_dword v[10:11], v4, off
	global_store_dword v[8:9], v2, off
	v_cndmask_b32_e64 v3, v3, v7, s[2:3]
	v_cndmask_b32_e32 v1, v6, v1, vcc
	s_cmp_lg_u32 s4, s7
	v_add_u32_e32 v2, s24, v2
	s_cbranch_scc0 .LBB63_12
.LBB63_9:                               ; =>This Inner Loop Header: Depth=1
	s_and_b64 vcc, exec, s[0:1]
	v_mov_b32_e32 v7, v1
	s_cbranch_vccnz .LBB63_8
; %bb.10:                               ;   in Loop: Header=BB63_9 Depth=1
	global_load_dword v7, v5, s[10:11]
	s_waitcnt vmcnt(0)
	v_sub_f32_e32 v7, v1, v7
	s_branch .LBB63_8
.LBB63_11:
	v_mov_b32_e32 v3, 0
.LBB63_12:
	s_andn2_b64 vcc, exec, s[2:3]
	v_cvt_f32_f64_e32 v2, s[8:9]
	s_cbranch_vccnz .LBB63_14
; %bb.13:
	v_cmp_lt_f32_e32 vcc, 0, v3
	s_nop 1
	v_cndmask_b32_e32 v1, 1.0, v3, vcc
	v_div_scale_f32 v3, s[0:1], v1, v1, v2
	v_rcp_f32_e32 v4, v3
	s_nop 0
	v_fma_f32 v5, -v3, v4, 1.0
	v_fmac_f32_e32 v4, v5, v4
	v_div_scale_f32 v5, vcc, v2, v1, v2
	v_mul_f32_e32 v6, v5, v4
	v_fma_f32 v7, -v3, v6, v5
	v_fmac_f32_e32 v6, v7, v4
	v_fma_f32 v3, -v3, v6, v5
	v_div_fmas_f32 v3, v3, v4, v6
	v_div_fixup_f32 v2, v3, v1, v2
.LBB63_14:
	s_andn2_b64 vcc, exec, s[20:21]
	s_cbranch_vccnz .LBB63_24
; %bb.15:
	s_cmp_gt_u32 s4, 3
	v_ashrrev_i32_e32 v1, 31, v0
	s_cbranch_scc0 .LBB63_19
; %bb.16:
	s_and_b32 s0, s4, 0x7ffffffc
	v_lshl_add_u64 v[4:5], v[0:1], 2, s[16:17]
	v_mov_b32_e32 v3, v2
	v_lshl_add_u64 v[4:5], v[4:5], 0, 8
	s_mov_b32 s1, s0
.LBB63_17:                              ; =>This Inner Loop Header: Depth=1
	global_load_dwordx4 v[6:9], v[4:5], off offset:-8
	s_add_i32 s1, s1, -4
	s_cmp_lg_u32 s1, 0
	s_waitcnt vmcnt(0)
	v_pk_mul_f32 v[6:7], v[2:3], v[6:7]
	v_pk_mul_f32 v[8:9], v[2:3], v[8:9]
	global_store_dwordx4 v[4:5], v[6:9], off offset:-8
	v_lshl_add_u64 v[4:5], v[4:5], 0, 16
	s_cbranch_scc1 .LBB63_17
; %bb.18:
	s_cmp_lg_u32 s0, s4
	s_cselect_b64 s[2:3], -1, 0
	s_branch .LBB63_21
.LBB63_19:
	s_mov_b64 s[2:3], 0
                                        ; implicit-def: $sgpr0
	s_cbranch_execz .LBB63_21
; %bb.20:
	s_mov_b64 s[2:3], -1
	s_mov_b32 s0, 0
.LBB63_21:
	s_andn2_b64 vcc, exec, s[2:3]
	s_cbranch_vccnz .LBB63_24
; %bb.22:
	s_mov_b32 s1, 0
	v_lshl_add_u64 v[0:1], v[0:1], 0, s[0:1]
	s_sub_i32 s2, s4, s0
	v_lshl_add_u64 v[0:1], v[0:1], 2, s[16:17]
.LBB63_23:                              ; =>This Inner Loop Header: Depth=1
	global_load_dword v3, v[0:1], off
	s_add_i32 s2, s2, -1
	s_cmp_lg_u32 s2, 0
	s_waitcnt vmcnt(0)
	v_mul_f32_e32 v3, v2, v3
	global_store_dword v[0:1], v3, off
	v_lshl_add_u64 v[0:1], v[0:1], 0, 4
	s_cbranch_scc1 .LBB63_23
.LBB63_24:
	s_endpgm
	.section	.rodata,"a",@progbits
	.p2align	6, 0x0
	.amdhsa_kernel _ZN4vllm3moe22topkGatingSoftplusSqrtILi1ELi1ELi4ELi4ELi32ELb0EjfEEvPKT6_PKbPfiPT5_PiiiibdPKfPKS8_SE_
		.amdhsa_group_segment_fixed_size 0
		.amdhsa_private_segment_fixed_size 0
		.amdhsa_kernarg_size 96
		.amdhsa_user_sgpr_count 2
		.amdhsa_user_sgpr_dispatch_ptr 0
		.amdhsa_user_sgpr_queue_ptr 0
		.amdhsa_user_sgpr_kernarg_segment_ptr 1
		.amdhsa_user_sgpr_dispatch_id 0
		.amdhsa_user_sgpr_kernarg_preload_length 0
		.amdhsa_user_sgpr_kernarg_preload_offset 0
		.amdhsa_user_sgpr_private_segment_size 0
		.amdhsa_uses_dynamic_stack 0
		.amdhsa_enable_private_segment 0
		.amdhsa_system_sgpr_workgroup_id_x 1
		.amdhsa_system_sgpr_workgroup_id_y 0
		.amdhsa_system_sgpr_workgroup_id_z 0
		.amdhsa_system_sgpr_workgroup_info 0
		.amdhsa_system_vgpr_workitem_id 1
		.amdhsa_next_free_vgpr 12
		.amdhsa_next_free_sgpr 28
		.amdhsa_accum_offset 12
		.amdhsa_reserve_vcc 1
		.amdhsa_float_round_mode_32 0
		.amdhsa_float_round_mode_16_64 0
		.amdhsa_float_denorm_mode_32 3
		.amdhsa_float_denorm_mode_16_64 3
		.amdhsa_dx10_clamp 1
		.amdhsa_ieee_mode 1
		.amdhsa_fp16_overflow 0
		.amdhsa_tg_split 0
		.amdhsa_exception_fp_ieee_invalid_op 0
		.amdhsa_exception_fp_denorm_src 0
		.amdhsa_exception_fp_ieee_div_zero 0
		.amdhsa_exception_fp_ieee_overflow 0
		.amdhsa_exception_fp_ieee_underflow 0
		.amdhsa_exception_fp_ieee_inexact 0
		.amdhsa_exception_int_div_zero 0
	.end_amdhsa_kernel
	.section	.text._ZN4vllm3moe22topkGatingSoftplusSqrtILi1ELi1ELi4ELi4ELi32ELb0EjfEEvPKT6_PKbPfiPT5_PiiiibdPKfPKS8_SE_,"axG",@progbits,_ZN4vllm3moe22topkGatingSoftplusSqrtILi1ELi1ELi4ELi4ELi32ELb0EjfEEvPKT6_PKbPfiPT5_PiiiibdPKfPKS8_SE_,comdat
.Lfunc_end63:
	.size	_ZN4vllm3moe22topkGatingSoftplusSqrtILi1ELi1ELi4ELi4ELi32ELb0EjfEEvPKT6_PKbPfiPT5_PiiiibdPKfPKS8_SE_, .Lfunc_end63-_ZN4vllm3moe22topkGatingSoftplusSqrtILi1ELi1ELi4ELi4ELi32ELb0EjfEEvPKT6_PKbPfiPT5_PiiiibdPKfPKS8_SE_
                                        ; -- End function
	.section	.AMDGPU.csdata,"",@progbits
; Kernel info:
; codeLenInByte = 1080
; NumSgprs: 34
; NumVgprs: 12
; NumAgprs: 0
; TotalNumVgprs: 12
; ScratchSize: 0
; MemoryBound: 0
; FloatMode: 240
; IeeeMode: 1
; LDSByteSize: 0 bytes/workgroup (compile time only)
; SGPRBlocks: 4
; VGPRBlocks: 1
; NumSGPRsForWavesPerEU: 34
; NumVGPRsForWavesPerEU: 12
; AccumOffset: 12
; Occupancy: 8
; WaveLimiterHint : 0
; COMPUTE_PGM_RSRC2:SCRATCH_EN: 0
; COMPUTE_PGM_RSRC2:USER_SGPR: 2
; COMPUTE_PGM_RSRC2:TRAP_HANDLER: 0
; COMPUTE_PGM_RSRC2:TGID_X_EN: 1
; COMPUTE_PGM_RSRC2:TGID_Y_EN: 0
; COMPUTE_PGM_RSRC2:TGID_Z_EN: 0
; COMPUTE_PGM_RSRC2:TIDIG_COMP_CNT: 1
; COMPUTE_PGM_RSRC3_GFX90A:ACCUM_OFFSET: 2
; COMPUTE_PGM_RSRC3_GFX90A:TG_SPLIT: 0
	.section	.text._ZN4vllm3moe22topkGatingSoftplusSqrtILi2ELi2ELi4ELi8ELi64ELb1EjfEEvPKT6_PKbPfiPT5_PiiiibdPKfPKS8_SE_,"axG",@progbits,_ZN4vllm3moe22topkGatingSoftplusSqrtILi2ELi2ELi4ELi8ELi64ELb1EjfEEvPKT6_PKbPfiPT5_PiiiibdPKfPKS8_SE_,comdat
	.protected	_ZN4vllm3moe22topkGatingSoftplusSqrtILi2ELi2ELi4ELi8ELi64ELb1EjfEEvPKT6_PKbPfiPT5_PiiiibdPKfPKS8_SE_ ; -- Begin function _ZN4vllm3moe22topkGatingSoftplusSqrtILi2ELi2ELi4ELi8ELi64ELb1EjfEEvPKT6_PKbPfiPT5_PiiiibdPKfPKS8_SE_
	.globl	_ZN4vllm3moe22topkGatingSoftplusSqrtILi2ELi2ELi4ELi8ELi64ELb1EjfEEvPKT6_PKbPfiPT5_PiiiibdPKfPKS8_SE_
	.p2align	8
	.type	_ZN4vllm3moe22topkGatingSoftplusSqrtILi2ELi2ELi4ELi8ELi64ELb1EjfEEvPKT6_PKbPfiPT5_PiiiibdPKfPKS8_SE_,@function
_ZN4vllm3moe22topkGatingSoftplusSqrtILi2ELi2ELi4ELi8ELi64ELb1EjfEEvPKT6_PKbPfiPT5_PiiiibdPKfPKS8_SE_: ; @_ZN4vllm3moe22topkGatingSoftplusSqrtILi2ELi2ELi4ELi8ELi64ELb1EjfEEvPKT6_PKbPfiPT5_PiiiibdPKfPKS8_SE_
; %bb.0:
	s_load_dword s3, s[0:1], 0x18
	v_bfe_u32 v1, v0, 10, 10
	s_lshl_b32 s2, s2, 8
	v_lshlrev_b32_e32 v1, 6, v1
	v_and_b32_e32 v0, 0x3ff, v0
	v_add3_u32 v4, v1, v0, s2
	s_waitcnt lgkmcnt(0)
	v_cmp_gt_i32_e32 vcc, s3, v4
	s_and_saveexec_b64 s[2:3], vcc
	s_cbranch_execz .LBB64_57
; %bb.1:
	s_load_dwordx2 s[2:3], s[0:1], 0x0
	s_load_dword s16, s[0:1], 0x30
	s_load_dwordx4 s[4:7], s[0:1], 0x50
	v_lshlrev_b32_e32 v0, 1, v4
	v_ashrrev_i32_e32 v1, 31, v0
	s_waitcnt lgkmcnt(0)
	v_lshl_add_u64 v[0:1], v[0:1], 2, s[2:3]
	global_load_dwordx2 v[2:3], v[0:1], off
	v_ashrrev_i32_e32 v5, 31, v4
	v_mov_b32_e32 v0, s4
	v_mov_b32_e32 v1, s5
	v_lshl_add_u64 v[0:1], v[4:5], 2, v[0:1]
	global_load_dword v0, v[0:1], off
	s_mov_b32 s2, 0x800000
	v_mov_b32_e32 v5, 0x4f800000
	s_mov_b32 s5, 0x3f317217
	s_mov_b32 s9, 0x7f800000
	v_mov_b32_e32 v8, 0x41b17218
	s_mov_b32 s4, 0x41a00000
	s_mov_b32 s12, 0xf800000
	v_mov_b32_e32 v9, 0x260
	v_mov_b32_e32 v1, 0
	s_cmp_gt_i32 s16, 0
	s_mov_b32 s8, 0
	s_cselect_b64 s[10:11], -1, 0
	s_cmp_lt_i32 s16, 1
	v_mul_lo_u32 v4, v4, s16
	s_waitcnt vmcnt(1)
	v_mul_f32_e32 v6, 0x3fb8aa3b, v2
	v_mul_f32_e32 v7, 0x3fb8aa3b, v3
	v_exp_f32_e32 v6, v6
	v_exp_f32_e32 v7, v7
	s_waitcnt vmcnt(0)
	v_mul_lo_u32 v0, v0, s16
	v_pk_add_f32 v[6:7], v[6:7], 1.0 op_sel_hi:[1,0]
	s_nop 0
	v_cmp_gt_f32_e32 vcc, s2, v7
	v_cmp_gt_f32_e64 s[2:3], s2, v6
	s_nop 0
	v_cndmask_b32_e32 v10, 1.0, v5, vcc
	v_cndmask_b32_e64 v5, 1.0, v5, s[2:3]
	v_mul_f32_e32 v7, v7, v10
	v_mul_f32_e32 v5, v6, v5
	v_log_f32_e32 v6, v7
	v_log_f32_e32 v5, v5
	v_cndmask_b32_e32 v7, 0, v8, vcc
	v_cndmask_b32_e64 v8, 0, v8, s[2:3]
	v_mul_f32_e32 v10, 0x3f317217, v6
	v_mul_f32_e32 v11, 0x3f317217, v5
	v_fma_f32 v10, v6, s5, -v10
	v_fma_f32 v11, v5, s5, -v11
	v_fmac_f32_e32 v10, 0x3377d1cf, v6
	v_fmac_f32_e32 v11, 0x3377d1cf, v5
	;; [unrolled: 1-line block ×3, first 2 shown]
	v_cmp_lt_f32_e64 vcc, |v6|, s9
	v_fmac_f32_e32 v11, 0x3f317217, v5
	s_nop 0
	v_cndmask_b32_e32 v6, v6, v10, vcc
	v_cmp_lt_f32_e64 vcc, |v5|, s9
	v_sub_f32_e32 v6, v6, v7
	s_nop 0
	v_cndmask_b32_e32 v5, v5, v11, vcc
	v_sub_f32_e32 v5, v5, v8
	v_cmp_lt_f32_e32 vcc, s4, v2
	s_nop 1
	v_cndmask_b32_e32 v2, v5, v2, vcc
	v_cmp_lt_f32_e32 vcc, s4, v3
	v_cmp_gt_f32_e64 s[2:3], s12, v2
	s_nop 0
	v_cndmask_b32_e32 v3, v6, v3, vcc
	v_mul_f32_e32 v5, 0x4f800000, v3
	v_cmp_gt_f32_e32 vcc, s12, v3
	v_mul_f32_e32 v6, 0x4f800000, v2
	v_cndmask_b32_e64 v6, v2, v6, s[2:3]
	v_cndmask_b32_e32 v5, v3, v5, vcc
	v_sqrt_f32_e32 v7, v5
	v_sqrt_f32_e32 v8, v6
	v_lshl_add_u64 v[2:3], v[0:1], 2, s[6:7]
	v_add_u32_e32 v10, -1, v7
	v_add_u32_e32 v12, -1, v8
	v_fma_f32 v14, -v10, v7, v5
	v_add_u32_e32 v11, 1, v7
	v_fma_f32 v16, -v12, v8, v6
	v_cmp_ge_f32_e64 s[4:5], 0, v14
	v_add_u32_e32 v13, 1, v8
	v_fma_f32 v15, -v11, v7, v5
	v_cndmask_b32_e64 v7, v7, v10, s[4:5]
	v_cmp_ge_f32_e64 s[4:5], 0, v16
	v_fma_f32 v17, -v13, v8, v6
	s_nop 0
	v_cndmask_b32_e64 v8, v8, v12, s[4:5]
	v_cmp_lt_f32_e64 s[4:5], 0, v15
	s_nop 1
	v_cndmask_b32_e64 v7, v7, v11, s[4:5]
	v_cmp_lt_f32_e64 s[4:5], 0, v17
	v_mul_f32_e32 v10, 0x37800000, v7
	v_cndmask_b32_e32 v7, v7, v10, vcc
	v_cndmask_b32_e64 v8, v8, v13, s[4:5]
	v_mul_f32_e32 v11, 0x37800000, v8
	v_cmp_class_f32_e32 vcc, v5, v9
	v_cndmask_b32_e64 v8, v8, v11, s[2:3]
	s_nop 0
	v_cndmask_b32_e32 v10, v7, v5, vcc
	v_cmp_class_f32_e32 vcc, v6, v9
	s_nop 1
	v_cndmask_b32_e32 v11, v8, v6, vcc
	s_cbranch_scc1 .LBB64_21
; %bb.2:
	s_load_dwordx2 s[2:3], s[0:1], 0x20
	s_cmp_lt_u32 s16, 4
	s_cbranch_scc1 .LBB64_22
; %bb.3:
	s_mov_b32 s5, 0
	s_and_b32 s8, s16, 0x7ffffffc
	v_ashrrev_i32_e32 v5, 31, v4
	v_mov_b32_e32 v12, 0
	s_mov_b32 s4, s5
	s_branch .LBB64_5
.LBB64_4:                               ;   in Loop: Header=BB64_5 Depth=1
	s_or_b64 exec, exec, s[12:13]
	s_add_i32 s4, s4, 4
	s_cmp_eq_u32 s4, s8
	s_cbranch_scc1 .LBB64_23
.LBB64_5:                               ; =>This Loop Header: Depth=1
                                        ;     Child Loop BB64_7 Depth 2
                                        ;     Child Loop BB64_11 Depth 2
	;; [unrolled: 1-line block ×4, first 2 shown]
	v_lshl_add_u64 v[6:7], s[4:5], 2, v[2:3]
	global_load_dword v13, v[6:7], off
	v_add_u32_e32 v8, s4, v4
	v_ashrrev_i32_e32 v9, 31, v8
	s_mov_b64 s[12:13], 0
	s_waitcnt lgkmcnt(0)
	v_lshl_add_u64 v[8:9], v[8:9], 2, s[2:3]
	s_mov_b32 s9, 0
	s_waitcnt vmcnt(0)
	v_cmp_eq_u32_e32 vcc, 0, v13
	s_nop 1
	v_cndmask_b32_e64 v14, 2, 1, vcc
	v_cmp_eq_u32_e32 vcc, 1, v13
	s_nop 1
	v_cndmask_b32_e32 v15, v11, v10, vcc
	s_branch .LBB64_7
.LBB64_6:                               ;   in Loop: Header=BB64_7 Depth=2
	s_or_b64 exec, exec, s[14:15]
	s_add_i32 s9, s9, 1
	v_cmp_eq_u32_e32 vcc, s9, v14
	s_or_b64 s[12:13], vcc, s[12:13]
	s_andn2_b64 exec, exec, s[12:13]
	s_cbranch_execz .LBB64_9
.LBB64_7:                               ;   Parent Loop BB64_5 Depth=1
                                        ; =>  This Inner Loop Header: Depth=2
	v_cmp_eq_u32_e32 vcc, s9, v13
	s_and_saveexec_b64 s[14:15], vcc
	s_cbranch_execz .LBB64_6
; %bb.8:                                ;   in Loop: Header=BB64_7 Depth=2
	v_add_f32_e32 v12, v12, v15
	global_store_dword v[8:9], v13, off
	s_branch .LBB64_6
.LBB64_9:                               ;   in Loop: Header=BB64_5 Depth=1
	s_or_b64 exec, exec, s[12:13]
	global_load_dword v13, v[6:7], off offset:4
	s_ashr_i32 s13, s4, 31
	s_mov_b32 s12, s4
	v_lshl_add_u64 v[8:9], s[12:13], 0, v[4:5]
	s_mov_b32 s9, 0
	v_lshl_add_u64 v[8:9], v[8:9], 2, s[2:3]
	s_mov_b64 s[12:13], 0
	s_waitcnt vmcnt(0)
	v_cmp_eq_u32_e32 vcc, 0, v13
	s_nop 1
	v_cndmask_b32_e64 v14, 2, 1, vcc
	v_cmp_eq_u32_e32 vcc, 1, v13
	s_nop 1
	v_cndmask_b32_e32 v15, v11, v10, vcc
	s_branch .LBB64_11
.LBB64_10:                              ;   in Loop: Header=BB64_11 Depth=2
	s_or_b64 exec, exec, s[14:15]
	s_add_i32 s9, s9, 1
	v_cmp_eq_u32_e32 vcc, s9, v14
	s_or_b64 s[12:13], vcc, s[12:13]
	s_andn2_b64 exec, exec, s[12:13]
	s_cbranch_execz .LBB64_13
.LBB64_11:                              ;   Parent Loop BB64_5 Depth=1
                                        ; =>  This Inner Loop Header: Depth=2
	v_cmp_eq_u32_e32 vcc, s9, v13
	s_and_saveexec_b64 s[14:15], vcc
	s_cbranch_execz .LBB64_10
; %bb.12:                               ;   in Loop: Header=BB64_11 Depth=2
	v_add_f32_e32 v12, v12, v15
	global_store_dword v[8:9], v13, off offset:4
	s_branch .LBB64_10
.LBB64_13:                              ;   in Loop: Header=BB64_5 Depth=1
	s_or_b64 exec, exec, s[12:13]
	global_load_dword v13, v[6:7], off offset:8
	s_mov_b32 s9, 0
	s_mov_b64 s[12:13], 0
	s_waitcnt vmcnt(0)
	v_cmp_eq_u32_e32 vcc, 0, v13
	s_nop 1
	v_cndmask_b32_e64 v14, 2, 1, vcc
	v_cmp_eq_u32_e32 vcc, 1, v13
	s_nop 1
	v_cndmask_b32_e32 v15, v11, v10, vcc
	s_branch .LBB64_15
.LBB64_14:                              ;   in Loop: Header=BB64_15 Depth=2
	s_or_b64 exec, exec, s[14:15]
	s_add_i32 s9, s9, 1
	v_cmp_eq_u32_e32 vcc, s9, v14
	s_or_b64 s[12:13], vcc, s[12:13]
	s_andn2_b64 exec, exec, s[12:13]
	s_cbranch_execz .LBB64_17
.LBB64_15:                              ;   Parent Loop BB64_5 Depth=1
                                        ; =>  This Inner Loop Header: Depth=2
	v_cmp_eq_u32_e32 vcc, s9, v13
	s_and_saveexec_b64 s[14:15], vcc
	s_cbranch_execz .LBB64_14
; %bb.16:                               ;   in Loop: Header=BB64_15 Depth=2
	v_add_f32_e32 v12, v12, v15
	global_store_dword v[8:9], v13, off offset:8
	s_branch .LBB64_14
.LBB64_17:                              ;   in Loop: Header=BB64_5 Depth=1
	s_or_b64 exec, exec, s[12:13]
	global_load_dword v6, v[6:7], off offset:12
	s_mov_b32 s9, 0
	s_mov_b64 s[12:13], 0
	s_waitcnt vmcnt(0)
	v_cmp_eq_u32_e32 vcc, 0, v6
	s_nop 1
	v_cndmask_b32_e64 v7, 2, 1, vcc
	v_cmp_eq_u32_e32 vcc, 1, v6
	s_nop 1
	v_cndmask_b32_e32 v13, v11, v10, vcc
	s_branch .LBB64_19
.LBB64_18:                              ;   in Loop: Header=BB64_19 Depth=2
	s_or_b64 exec, exec, s[14:15]
	s_add_i32 s9, s9, 1
	v_cmp_eq_u32_e32 vcc, s9, v7
	s_or_b64 s[12:13], vcc, s[12:13]
	s_andn2_b64 exec, exec, s[12:13]
	s_cbranch_execz .LBB64_4
.LBB64_19:                              ;   Parent Loop BB64_5 Depth=1
                                        ; =>  This Inner Loop Header: Depth=2
	v_cmp_eq_u32_e32 vcc, s9, v6
	s_and_saveexec_b64 s[14:15], vcc
	s_cbranch_execz .LBB64_18
; %bb.20:                               ;   in Loop: Header=BB64_19 Depth=2
	v_add_f32_e32 v12, v12, v13
	global_store_dword v[8:9], v6, off offset:12
	s_branch .LBB64_18
.LBB64_21:
	v_mov_b32_e32 v12, v1
	s_branch .LBB64_30
.LBB64_22:
	v_mov_b32_e32 v12, v1
.LBB64_23:
	s_and_b32 s14, s16, 3
	s_cmp_eq_u32 s14, 0
	s_mov_b32 s9, 0
	s_cbranch_scc1 .LBB64_30
; %bb.24:
	s_mov_b32 s15, s9
	s_branch .LBB64_26
.LBB64_25:                              ;   in Loop: Header=BB64_26 Depth=1
	s_or_b64 exec, exec, s[4:5]
	s_add_i32 s8, s8, 1
	s_add_i32 s15, s15, 1
	s_cmp_lg_u32 s15, s14
	s_cbranch_scc0 .LBB64_30
.LBB64_26:                              ; =>This Loop Header: Depth=1
                                        ;     Child Loop BB64_28 Depth 2
	v_lshl_add_u64 v[6:7], s[8:9], 2, v[2:3]
	global_load_dword v5, v[6:7], off
	v_add_u32_e32 v6, s8, v4
	v_ashrrev_i32_e32 v7, 31, v6
	s_mov_b32 s17, 0
	s_waitcnt lgkmcnt(0)
	v_lshl_add_u64 v[6:7], v[6:7], 2, s[2:3]
	s_mov_b64 s[4:5], 0
	s_waitcnt vmcnt(0)
	v_cmp_eq_u32_e32 vcc, 0, v5
	s_nop 1
	v_cndmask_b32_e64 v8, 2, 1, vcc
	v_cmp_eq_u32_e32 vcc, 1, v5
	s_nop 1
	v_cndmask_b32_e32 v9, v11, v10, vcc
	s_branch .LBB64_28
.LBB64_27:                              ;   in Loop: Header=BB64_28 Depth=2
	s_or_b64 exec, exec, s[12:13]
	s_add_i32 s17, s17, 1
	v_cmp_eq_u32_e32 vcc, s17, v8
	s_or_b64 s[4:5], vcc, s[4:5]
	s_andn2_b64 exec, exec, s[4:5]
	s_cbranch_execz .LBB64_25
.LBB64_28:                              ;   Parent Loop BB64_26 Depth=1
                                        ; =>  This Inner Loop Header: Depth=2
	v_cmp_eq_u32_e32 vcc, s17, v5
	s_and_saveexec_b64 s[12:13], vcc
	s_cbranch_execz .LBB64_27
; %bb.29:                               ;   in Loop: Header=BB64_28 Depth=2
	v_add_f32_e32 v12, v12, v9
	global_store_dword v[6:7], v5, off
	s_branch .LBB64_27
.LBB64_30:
	s_load_dword s4, s[0:1], 0x3c
	s_waitcnt lgkmcnt(0)
	s_load_dwordx2 s[2:3], s[0:1], 0x40
	s_bitcmp1_b32 s4, 0
	s_cselect_b64 s[4:5], -1, 0
	s_waitcnt lgkmcnt(0)
	v_cvt_f32_f64_e32 v13, s[2:3]
	s_and_b64 vcc, exec, s[4:5]
	s_cbranch_vccz .LBB64_32
; %bb.31:
	v_cmp_lt_f32_e32 vcc, 0, v12
	s_nop 1
	v_cndmask_b32_e32 v5, 1.0, v12, vcc
	v_div_scale_f32 v6, s[2:3], v5, v5, v13
	v_rcp_f32_e32 v7, v6
	s_nop 0
	v_fma_f32 v8, -v6, v7, 1.0
	v_fmac_f32_e32 v7, v8, v7
	v_div_scale_f32 v8, vcc, v13, v5, v13
	v_mul_f32_e32 v9, v8, v7
	v_fma_f32 v12, -v6, v9, v8
	v_fmac_f32_e32 v9, v12, v7
	v_fma_f32 v6, -v6, v9, v8
	v_div_fmas_f32 v6, v6, v7, v9
	v_div_fixup_f32 v13, v6, v5, v13
.LBB64_32:
	s_andn2_b64 vcc, exec, s[10:11]
	s_cbranch_vccnz .LBB64_57
; %bb.33:
	s_load_dwordx2 s[0:1], s[0:1], 0x10
	s_cmp_lt_u32 s16, 8
	s_mov_b32 s2, 0
	s_cbranch_scc1 .LBB64_52
; %bb.34:
	v_ashrrev_i32_e32 v5, 31, v4
	s_and_b32 s2, s16, 0x7ffffff8
	s_waitcnt lgkmcnt(0)
	v_lshl_add_u64 v[6:7], v[4:5], 2, s[0:1]
	s_mov_b32 s3, 0
	s_mov_b64 s[4:5], 0
	s_branch .LBB64_36
.LBB64_35:                              ;   in Loop: Header=BB64_36 Depth=1
	s_or_b64 exec, exec, s[8:9]
	s_add_i32 s3, s3, 8
	s_add_u32 s4, s4, 32
	s_addc_u32 s5, s5, 0
	s_cmp_lg_u32 s2, s3
	s_cbranch_scc0 .LBB64_52
.LBB64_36:                              ; =>This Inner Loop Header: Depth=1
	v_lshl_add_u64 v[8:9], v[2:3], 0, s[4:5]
	global_load_dword v5, v[8:9], off
	s_waitcnt vmcnt(0)
	v_cmp_gt_u32_e32 vcc, 2, v5
	s_and_saveexec_b64 s[8:9], vcc
	s_cbranch_execz .LBB64_38
; %bb.37:                               ;   in Loop: Header=BB64_36 Depth=1
	v_add_u32_e32 v14, s3, v4
	v_cmp_eq_u32_e32 vcc, 1, v5
	v_ashrrev_i32_e32 v15, 31, v14
	v_lshl_add_u64 v[14:15], v[14:15], 2, s[0:1]
	v_cndmask_b32_e32 v5, v11, v10, vcc
	v_mul_f32_e32 v5, v13, v5
	global_store_dword v[14:15], v5, off
.LBB64_38:                              ;   in Loop: Header=BB64_36 Depth=1
	s_or_b64 exec, exec, s[8:9]
	global_load_dword v5, v[8:9], off offset:4
	s_waitcnt vmcnt(0)
	v_cmp_gt_u32_e32 vcc, 2, v5
	s_and_saveexec_b64 s[8:9], vcc
	s_cbranch_execz .LBB64_40
; %bb.39:                               ;   in Loop: Header=BB64_36 Depth=1
	v_cmp_eq_u32_e32 vcc, 1, v5
	v_lshl_add_u64 v[14:15], v[6:7], 0, s[4:5]
	s_nop 0
	v_cndmask_b32_e32 v5, v11, v10, vcc
	v_mul_f32_e32 v5, v13, v5
	global_store_dword v[14:15], v5, off offset:4
.LBB64_40:                              ;   in Loop: Header=BB64_36 Depth=1
	s_or_b64 exec, exec, s[8:9]
	global_load_dword v5, v[8:9], off offset:8
	s_waitcnt vmcnt(0)
	v_cmp_gt_u32_e32 vcc, 2, v5
	s_and_saveexec_b64 s[8:9], vcc
	s_cbranch_execz .LBB64_42
; %bb.41:                               ;   in Loop: Header=BB64_36 Depth=1
	v_cmp_eq_u32_e32 vcc, 1, v5
	v_lshl_add_u64 v[14:15], v[6:7], 0, s[4:5]
	s_nop 0
	v_cndmask_b32_e32 v5, v11, v10, vcc
	v_mul_f32_e32 v5, v13, v5
	global_store_dword v[14:15], v5, off offset:8
.LBB64_42:                              ;   in Loop: Header=BB64_36 Depth=1
	;; [unrolled: 14-line block ×6, first 2 shown]
	s_or_b64 exec, exec, s[8:9]
	global_load_dword v5, v[8:9], off offset:28
	s_waitcnt vmcnt(0)
	v_cmp_gt_u32_e32 vcc, 2, v5
	s_and_saveexec_b64 s[8:9], vcc
	s_cbranch_execz .LBB64_35
; %bb.51:                               ;   in Loop: Header=BB64_36 Depth=1
	v_cmp_eq_u32_e32 vcc, 1, v5
	v_lshl_add_u64 v[8:9], v[6:7], 0, s[4:5]
	s_nop 0
	v_cndmask_b32_e32 v5, v11, v10, vcc
	v_mul_f32_e32 v5, v13, v5
	global_store_dword v[8:9], v5, off offset:28
	s_branch .LBB64_35
.LBB64_52:
	s_and_b32 s4, s16, 7
	s_cmp_eq_u32 s4, 0
	s_mov_b32 s3, 0
	s_cbranch_scc1 .LBB64_57
; %bb.53:
	v_add_u32_e32 v2, s2, v4
	s_lshl_b64 s[2:3], s[2:3], 2
	s_add_u32 s2, s6, s2
	s_addc_u32 s3, s7, s3
	v_lshl_add_u64 v[0:1], v[0:1], 2, s[2:3]
	s_branch .LBB64_55
.LBB64_54:                              ;   in Loop: Header=BB64_55 Depth=1
	s_or_b64 exec, exec, s[2:3]
	s_add_i32 s4, s4, -1
	v_add_u32_e32 v2, 1, v2
	s_cmp_lg_u32 s4, 0
	v_lshl_add_u64 v[0:1], v[0:1], 0, 4
	s_cbranch_scc0 .LBB64_57
.LBB64_55:                              ; =>This Inner Loop Header: Depth=1
	global_load_dword v3, v[0:1], off
	s_waitcnt vmcnt(0)
	v_cmp_gt_u32_e32 vcc, 2, v3
	s_and_saveexec_b64 s[2:3], vcc
	s_cbranch_execz .LBB64_54
; %bb.56:                               ;   in Loop: Header=BB64_55 Depth=1
	v_cmp_eq_u32_e32 vcc, 1, v3
	s_nop 1
	v_cndmask_b32_e32 v3, v11, v10, vcc
	v_mul_f32_e32 v6, v13, v3
	v_ashrrev_i32_e32 v3, 31, v2
	s_waitcnt lgkmcnt(0)
	v_lshl_add_u64 v[4:5], v[2:3], 2, s[0:1]
	global_store_dword v[4:5], v6, off
	s_branch .LBB64_54
.LBB64_57:
	s_endpgm
	.section	.rodata,"a",@progbits
	.p2align	6, 0x0
	.amdhsa_kernel _ZN4vllm3moe22topkGatingSoftplusSqrtILi2ELi2ELi4ELi8ELi64ELb1EjfEEvPKT6_PKbPfiPT5_PiiiibdPKfPKS8_SE_
		.amdhsa_group_segment_fixed_size 0
		.amdhsa_private_segment_fixed_size 0
		.amdhsa_kernarg_size 96
		.amdhsa_user_sgpr_count 2
		.amdhsa_user_sgpr_dispatch_ptr 0
		.amdhsa_user_sgpr_queue_ptr 0
		.amdhsa_user_sgpr_kernarg_segment_ptr 1
		.amdhsa_user_sgpr_dispatch_id 0
		.amdhsa_user_sgpr_kernarg_preload_length 0
		.amdhsa_user_sgpr_kernarg_preload_offset 0
		.amdhsa_user_sgpr_private_segment_size 0
		.amdhsa_uses_dynamic_stack 0
		.amdhsa_enable_private_segment 0
		.amdhsa_system_sgpr_workgroup_id_x 1
		.amdhsa_system_sgpr_workgroup_id_y 0
		.amdhsa_system_sgpr_workgroup_id_z 0
		.amdhsa_system_sgpr_workgroup_info 0
		.amdhsa_system_vgpr_workitem_id 1
		.amdhsa_next_free_vgpr 18
		.amdhsa_next_free_sgpr 18
		.amdhsa_accum_offset 20
		.amdhsa_reserve_vcc 1
		.amdhsa_float_round_mode_32 0
		.amdhsa_float_round_mode_16_64 0
		.amdhsa_float_denorm_mode_32 3
		.amdhsa_float_denorm_mode_16_64 3
		.amdhsa_dx10_clamp 1
		.amdhsa_ieee_mode 1
		.amdhsa_fp16_overflow 0
		.amdhsa_tg_split 0
		.amdhsa_exception_fp_ieee_invalid_op 0
		.amdhsa_exception_fp_denorm_src 0
		.amdhsa_exception_fp_ieee_div_zero 0
		.amdhsa_exception_fp_ieee_overflow 0
		.amdhsa_exception_fp_ieee_underflow 0
		.amdhsa_exception_fp_ieee_inexact 0
		.amdhsa_exception_int_div_zero 0
	.end_amdhsa_kernel
	.section	.text._ZN4vllm3moe22topkGatingSoftplusSqrtILi2ELi2ELi4ELi8ELi64ELb1EjfEEvPKT6_PKbPfiPT5_PiiiibdPKfPKS8_SE_,"axG",@progbits,_ZN4vllm3moe22topkGatingSoftplusSqrtILi2ELi2ELi4ELi8ELi64ELb1EjfEEvPKT6_PKbPfiPT5_PiiiibdPKfPKS8_SE_,comdat
.Lfunc_end64:
	.size	_ZN4vllm3moe22topkGatingSoftplusSqrtILi2ELi2ELi4ELi8ELi64ELb1EjfEEvPKT6_PKbPfiPT5_PiiiibdPKfPKS8_SE_, .Lfunc_end64-_ZN4vllm3moe22topkGatingSoftplusSqrtILi2ELi2ELi4ELi8ELi64ELb1EjfEEvPKT6_PKbPfiPT5_PiiiibdPKfPKS8_SE_
                                        ; -- End function
	.section	.AMDGPU.csdata,"",@progbits
; Kernel info:
; codeLenInByte = 2280
; NumSgprs: 24
; NumVgprs: 18
; NumAgprs: 0
; TotalNumVgprs: 18
; ScratchSize: 0
; MemoryBound: 0
; FloatMode: 240
; IeeeMode: 1
; LDSByteSize: 0 bytes/workgroup (compile time only)
; SGPRBlocks: 2
; VGPRBlocks: 2
; NumSGPRsForWavesPerEU: 24
; NumVGPRsForWavesPerEU: 18
; AccumOffset: 20
; Occupancy: 8
; WaveLimiterHint : 1
; COMPUTE_PGM_RSRC2:SCRATCH_EN: 0
; COMPUTE_PGM_RSRC2:USER_SGPR: 2
; COMPUTE_PGM_RSRC2:TRAP_HANDLER: 0
; COMPUTE_PGM_RSRC2:TGID_X_EN: 1
; COMPUTE_PGM_RSRC2:TGID_Y_EN: 0
; COMPUTE_PGM_RSRC2:TGID_Z_EN: 0
; COMPUTE_PGM_RSRC2:TIDIG_COMP_CNT: 1
; COMPUTE_PGM_RSRC3_GFX90A:ACCUM_OFFSET: 4
; COMPUTE_PGM_RSRC3_GFX90A:TG_SPLIT: 0
	.section	.text._ZN4vllm3moe22topkGatingSoftplusSqrtILi2ELi2ELi4ELi8ELi64ELb0EjfEEvPKT6_PKbPfiPT5_PiiiibdPKfPKS8_SE_,"axG",@progbits,_ZN4vllm3moe22topkGatingSoftplusSqrtILi2ELi2ELi4ELi8ELi64ELb0EjfEEvPKT6_PKbPfiPT5_PiiiibdPKfPKS8_SE_,comdat
	.protected	_ZN4vllm3moe22topkGatingSoftplusSqrtILi2ELi2ELi4ELi8ELi64ELb0EjfEEvPKT6_PKbPfiPT5_PiiiibdPKfPKS8_SE_ ; -- Begin function _ZN4vllm3moe22topkGatingSoftplusSqrtILi2ELi2ELi4ELi8ELi64ELb0EjfEEvPKT6_PKbPfiPT5_PiiiibdPKfPKS8_SE_
	.globl	_ZN4vllm3moe22topkGatingSoftplusSqrtILi2ELi2ELi4ELi8ELi64ELb0EjfEEvPKT6_PKbPfiPT5_PiiiibdPKfPKS8_SE_
	.p2align	8
	.type	_ZN4vllm3moe22topkGatingSoftplusSqrtILi2ELi2ELi4ELi8ELi64ELb0EjfEEvPKT6_PKbPfiPT5_PiiiibdPKfPKS8_SE_,@function
_ZN4vllm3moe22topkGatingSoftplusSqrtILi2ELi2ELi4ELi8ELi64ELb0EjfEEvPKT6_PKbPfiPT5_PiiiibdPKfPKS8_SE_: ; @_ZN4vllm3moe22topkGatingSoftplusSqrtILi2ELi2ELi4ELi8ELi64ELb0EjfEEvPKT6_PKbPfiPT5_PiiiibdPKfPKS8_SE_
; %bb.0:
	s_load_dword s24, s[0:1], 0x18
	v_bfe_u32 v1, v0, 10, 10
	s_lshl_b32 s2, s2, 8
	v_lshlrev_b32_e32 v1, 6, v1
	v_and_b32_e32 v0, 0x3ff, v0
	v_add3_u32 v0, v1, v0, s2
	s_waitcnt lgkmcnt(0)
	v_cmp_gt_i32_e32 vcc, s24, v0
	s_and_saveexec_b64 s[2:3], vcc
	s_cbranch_execz .LBB65_28
; %bb.1:
	s_load_dwordx4 s[4:7], s[0:1], 0x0
	s_load_dwordx2 s[16:17], s[0:1], 0x10
	s_waitcnt lgkmcnt(0)
	s_cmp_eq_u64 s[6:7], 0
	s_cbranch_scc1 .LBB65_3
; %bb.2:
	v_ashrrev_i32_e32 v1, 31, v0
	v_lshl_add_u64 v[2:3], s[6:7], 0, v[0:1]
	global_load_ubyte v1, v[2:3], off
	s_waitcnt vmcnt(0)
	v_and_b32_e32 v1, 1, v1
	v_cmp_eq_u32_e32 vcc, 1, v1
	s_xor_b64 s[2:3], vcc, -1
	s_orn2_b64 s[18:19], s[2:3], exec
	s_branch .LBB65_4
.LBB65_3:
	s_mov_b64 s[18:19], -1
.LBB65_4:
	v_lshlrev_b32_e32 v4, 1, v0
	v_mov_b32_e32 v2, s4
	v_mov_b32_e32 v3, s5
	v_ashrrev_i32_e32 v5, 31, v4
	v_lshl_add_u64 v[2:3], v[4:5], 2, v[2:3]
	global_load_dwordx2 v[2:3], v[2:3], off
	s_mov_b32 s14, 0x800000
	v_mov_b32_e32 v6, 0x4f800000
	s_mov_b32 s7, 0x3f317217
	s_mov_b32 s12, 0x7f800000
	v_mov_b32_e32 v5, 0x41b17218
	s_mov_b32 s6, 0x41a00000
	s_mov_b32 s13, 0xf800000
	s_load_dwordx4 s[8:11], s[0:1], 0x40
	s_waitcnt lgkmcnt(0)
	s_cmp_lg_u64 s[10:11], 0
	s_cselect_b64 s[20:21], -1, 0
	s_and_b64 s[2:3], exec, s[20:21]
	s_waitcnt vmcnt(0)
	v_mul_f32_e32 v1, 0x3fb8aa3b, v2
	v_exp_f32_e32 v1, v1
	s_nop 0
	v_add_f32_e32 v1, 1.0, v1
	v_cmp_gt_f32_e32 vcc, s14, v1
	s_nop 1
	v_cndmask_b32_e32 v4, 1.0, v6, vcc
	v_mul_f32_e32 v1, v1, v4
	v_log_f32_e32 v4, v1
	v_cndmask_b32_e32 v7, 0, v5, vcc
	v_mov_b32_e32 v1, 0x260
	v_mul_f32_e32 v8, 0x3f317217, v4
	v_fma_f32 v8, v4, s7, -v8
	v_fmac_f32_e32 v8, 0x3377d1cf, v4
	v_fmac_f32_e32 v8, 0x3f317217, v4
	v_cmp_lt_f32_e64 vcc, |v4|, s12
	s_nop 1
	v_cndmask_b32_e32 v4, v4, v8, vcc
	v_sub_f32_e32 v4, v4, v7
	v_cmp_lt_f32_e32 vcc, s6, v2
	s_nop 1
	v_cndmask_b32_e32 v2, v4, v2, vcc
	v_mul_f32_e32 v4, 0x4f800000, v2
	v_cmp_gt_f32_e32 vcc, s13, v2
	s_nop 1
	v_cndmask_b32_e32 v2, v2, v4, vcc
	v_sqrt_f32_e32 v4, v2
	s_nop 0
	v_add_u32_e32 v7, -1, v4
	v_add_u32_e32 v8, 1, v4
	v_fma_f32 v9, -v7, v4, v2
	v_fma_f32 v10, -v8, v4, v2
	v_cmp_ge_f32_e64 s[4:5], 0, v9
	s_nop 1
	v_cndmask_b32_e64 v4, v4, v7, s[4:5]
	v_cmp_lt_f32_e64 s[4:5], 0, v10
	s_nop 1
	v_cndmask_b32_e64 v4, v4, v8, s[4:5]
	v_mul_f32_e32 v7, 0x37800000, v4
	v_cndmask_b32_e32 v4, v4, v7, vcc
	v_cmp_class_f32_e32 vcc, v2, v1
	s_nop 1
	v_cndmask_b32_e32 v4, v4, v2, vcc
	s_mov_b64 vcc, s[2:3]
	s_cbranch_vccz .LBB65_6
; %bb.5:
	s_load_dword s2, s[10:11], 0x0
	s_waitcnt lgkmcnt(0)
	v_add_f32_e32 v4, s2, v4
.LBB65_6:
	v_mul_f32_e32 v2, 0x3fb8aa3b, v3
	v_exp_f32_e32 v2, v2
	s_nop 0
	v_add_f32_e32 v2, 1.0, v2
	v_cmp_gt_f32_e32 vcc, s14, v2
	s_nop 1
	v_cndmask_b32_e32 v6, 1.0, v6, vcc
	v_mul_f32_e32 v2, v2, v6
	v_log_f32_e32 v2, v2
	v_cndmask_b32_e32 v5, 0, v5, vcc
	v_mul_f32_e32 v6, 0x3f317217, v2
	v_fma_f32 v6, v2, s7, -v6
	v_fmac_f32_e32 v6, 0x3377d1cf, v2
	v_fmac_f32_e32 v6, 0x3f317217, v2
	v_cmp_lt_f32_e64 vcc, |v2|, s12
	s_nop 1
	v_cndmask_b32_e32 v2, v2, v6, vcc
	v_sub_f32_e32 v2, v2, v5
	v_cmp_lt_f32_e32 vcc, s6, v3
	s_nop 1
	v_cndmask_b32_e32 v2, v2, v3, vcc
	v_mul_f32_e32 v3, 0x4f800000, v2
	v_cmp_gt_f32_e32 vcc, s13, v2
	s_nop 1
	v_cndmask_b32_e32 v2, v2, v3, vcc
	v_sqrt_f32_e32 v3, v2
	s_nop 0
	v_add_u32_e32 v5, -1, v3
	v_add_u32_e32 v6, 1, v3
	v_fma_f32 v7, -v5, v3, v2
	v_fma_f32 v8, -v6, v3, v2
	v_cmp_ge_f32_e64 s[2:3], 0, v7
	s_nop 1
	v_cndmask_b32_e64 v3, v3, v5, s[2:3]
	v_cmp_lt_f32_e64 s[2:3], 0, v8
	s_nop 1
	v_cndmask_b32_e64 v3, v3, v6, s[2:3]
	v_mul_f32_e32 v5, 0x37800000, v3
	v_cndmask_b32_e32 v3, v3, v5, vcc
	v_cmp_class_f32_e64 s[2:3], v2, v1
	s_andn2_b64 vcc, exec, s[20:21]
	s_nop 0
	v_cndmask_b32_e64 v1, v3, v2, s[2:3]
	s_cbranch_vccnz .LBB65_8
; %bb.7:
	s_load_dword s2, s[10:11], 0x4
	s_waitcnt lgkmcnt(0)
	v_add_f32_e32 v1, s2, v1
.LBB65_8:
	s_load_dwordx4 s[4:7], s[0:1], 0x30
	s_mov_b32 s25, 0
	s_waitcnt lgkmcnt(0)
	s_bitcmp1_b32 s7, 0
	s_cselect_b64 s[2:3], -1, 0
	s_cmp_gt_i32 s4, 0
	s_cselect_b64 s[22:23], -1, 0
	s_and_b64 vcc, exec, s[22:23]
	v_mul_lo_u32 v2, v0, s4
	s_cbranch_vccz .LBB65_15
; %bb.9:
	s_load_dwordx4 s[12:15], s[0:1], 0x20
	v_mov_b32_e32 v3, 0
	v_mov_b32_e32 v5, 0xc61c4000
	s_branch .LBB65_11
.LBB65_10:                              ;   in Loop: Header=BB65_11 Depth=1
	v_add_u32_e32 v8, s25, v2
	v_ashrrev_i32_e32 v9, 31, v8
	v_cmp_le_i32_e32 vcc, s5, v6
	v_cmp_gt_i32_e64 s[0:1], s6, v6
	v_lshlrev_b64 v[8:9], 2, v[8:9]
	s_and_b64 s[0:1], vcc, s[0:1]
	v_lshl_add_u64 v[10:11], s[16:17], 0, v[8:9]
	global_store_dword v[10:11], v7, off
	v_subrev_u32_e32 v10, s5, v6
	s_and_b64 vcc, s[18:19], s[0:1]
	v_cndmask_b32_e32 v12, 2, v10, vcc
	v_add_f32_e32 v7, v3, v7
	s_add_i32 s25, s25, 1
	v_cmp_ne_u32_e32 vcc, 0, v6
	v_cndmask_b32_e64 v3, v3, v7, s[2:3]
	s_cmp_lt_i32 s25, s4
	v_cndmask_b32_e32 v7, v5, v4, vcc
	v_cmp_ne_u32_e32 vcc, 1, v6
	s_waitcnt lgkmcnt(0)
	v_lshl_add_u64 v[10:11], s[12:13], 0, v[8:9]
	v_lshl_add_u64 v[8:9], s[14:15], 0, v[8:9]
	v_cndmask_b32_e32 v6, v5, v1, vcc
	s_cselect_b64 vcc, -1, 0
	global_store_dword v[10:11], v12, off
	global_store_dword v[8:9], v0, off
	v_cndmask_b32_e32 v1, v1, v6, vcc
	v_cndmask_b32_e32 v4, v4, v7, vcc
	s_cmp_lg_u32 s4, s25
	v_add_u32_e32 v0, s24, v0
	s_cbranch_scc0 .LBB65_16
.LBB65_11:                              ; =>This Inner Loop Header: Depth=1
	v_cmp_gt_f32_e32 vcc, v1, v4
	s_and_b64 s[0:1], exec, s[20:21]
	s_nop 0
	v_cndmask_b32_e32 v8, v4, v1, vcc
	v_cndmask_b32_e64 v6, 0, 1, vcc
	s_mov_b64 vcc, s[0:1]
	s_cbranch_vccz .LBB65_13
; %bb.12:                               ;   in Loop: Header=BB65_11 Depth=1
	v_lshlrev_b32_e32 v7, 2, v6
	global_load_dword v7, v7, s[10:11]
	s_waitcnt vmcnt(0)
	v_sub_f32_e32 v7, v8, v7
	s_cbranch_execnz .LBB65_10
	s_branch .LBB65_14
.LBB65_13:                              ;   in Loop: Header=BB65_11 Depth=1
                                        ; implicit-def: $vgpr7
.LBB65_14:                              ;   in Loop: Header=BB65_11 Depth=1
	v_mov_b32_e32 v7, v8
	s_branch .LBB65_10
.LBB65_15:
	v_mov_b32_e32 v3, 0
.LBB65_16:
	s_andn2_b64 vcc, exec, s[2:3]
	v_cvt_f32_f64_e32 v0, s[8:9]
	s_cbranch_vccnz .LBB65_18
; %bb.17:
	v_cmp_lt_f32_e32 vcc, 0, v3
	s_nop 1
	v_cndmask_b32_e32 v1, 1.0, v3, vcc
	v_div_scale_f32 v3, s[0:1], v1, v1, v0
	v_rcp_f32_e32 v4, v3
	s_nop 0
	v_fma_f32 v5, -v3, v4, 1.0
	v_fmac_f32_e32 v4, v5, v4
	v_div_scale_f32 v5, vcc, v0, v1, v0
	v_mul_f32_e32 v6, v5, v4
	v_fma_f32 v7, -v3, v6, v5
	v_fmac_f32_e32 v6, v7, v4
	v_fma_f32 v3, -v3, v6, v5
	v_div_fmas_f32 v3, v3, v4, v6
	v_div_fixup_f32 v0, v3, v1, v0
.LBB65_18:
	s_andn2_b64 vcc, exec, s[22:23]
	s_cbranch_vccnz .LBB65_28
; %bb.19:
	s_cmp_gt_u32 s4, 3
	v_ashrrev_i32_e32 v3, 31, v2
	s_cbranch_scc0 .LBB65_23
; %bb.20:
	s_and_b32 s0, s4, 0x7ffffffc
	v_lshl_add_u64 v[4:5], v[2:3], 2, s[16:17]
	v_mov_b32_e32 v1, v0
	v_lshl_add_u64 v[4:5], v[4:5], 0, 8
	s_mov_b32 s1, s0
.LBB65_21:                              ; =>This Inner Loop Header: Depth=1
	global_load_dwordx4 v[6:9], v[4:5], off offset:-8
	s_add_i32 s1, s1, -4
	s_cmp_lg_u32 s1, 0
	s_waitcnt vmcnt(0)
	v_pk_mul_f32 v[6:7], v[0:1], v[6:7]
	v_pk_mul_f32 v[8:9], v[0:1], v[8:9]
	global_store_dwordx4 v[4:5], v[6:9], off offset:-8
	v_lshl_add_u64 v[4:5], v[4:5], 0, 16
	s_cbranch_scc1 .LBB65_21
; %bb.22:
	s_cmp_lg_u32 s0, s4
	s_cselect_b64 s[2:3], -1, 0
	s_branch .LBB65_25
.LBB65_23:
	s_mov_b64 s[2:3], 0
                                        ; implicit-def: $sgpr0
	s_cbranch_execz .LBB65_25
; %bb.24:
	s_mov_b64 s[2:3], -1
	s_mov_b32 s0, 0
.LBB65_25:
	s_andn2_b64 vcc, exec, s[2:3]
	s_cbranch_vccnz .LBB65_28
; %bb.26:
	s_mov_b32 s1, 0
	v_lshl_add_u64 v[2:3], v[2:3], 0, s[0:1]
	s_sub_i32 s2, s4, s0
	v_lshl_add_u64 v[2:3], v[2:3], 2, s[16:17]
.LBB65_27:                              ; =>This Inner Loop Header: Depth=1
	global_load_dword v1, v[2:3], off
	s_add_i32 s2, s2, -1
	s_cmp_lg_u32 s2, 0
	s_waitcnt vmcnt(0)
	v_mul_f32_e32 v1, v0, v1
	global_store_dword v[2:3], v1, off
	v_lshl_add_u64 v[2:3], v[2:3], 0, 4
	s_cbranch_scc1 .LBB65_27
.LBB65_28:
	s_endpgm
	.section	.rodata,"a",@progbits
	.p2align	6, 0x0
	.amdhsa_kernel _ZN4vllm3moe22topkGatingSoftplusSqrtILi2ELi2ELi4ELi8ELi64ELb0EjfEEvPKT6_PKbPfiPT5_PiiiibdPKfPKS8_SE_
		.amdhsa_group_segment_fixed_size 0
		.amdhsa_private_segment_fixed_size 0
		.amdhsa_kernarg_size 96
		.amdhsa_user_sgpr_count 2
		.amdhsa_user_sgpr_dispatch_ptr 0
		.amdhsa_user_sgpr_queue_ptr 0
		.amdhsa_user_sgpr_kernarg_segment_ptr 1
		.amdhsa_user_sgpr_dispatch_id 0
		.amdhsa_user_sgpr_kernarg_preload_length 0
		.amdhsa_user_sgpr_kernarg_preload_offset 0
		.amdhsa_user_sgpr_private_segment_size 0
		.amdhsa_uses_dynamic_stack 0
		.amdhsa_enable_private_segment 0
		.amdhsa_system_sgpr_workgroup_id_x 1
		.amdhsa_system_sgpr_workgroup_id_y 0
		.amdhsa_system_sgpr_workgroup_id_z 0
		.amdhsa_system_sgpr_workgroup_info 0
		.amdhsa_system_vgpr_workitem_id 1
		.amdhsa_next_free_vgpr 13
		.amdhsa_next_free_sgpr 26
		.amdhsa_accum_offset 16
		.amdhsa_reserve_vcc 1
		.amdhsa_float_round_mode_32 0
		.amdhsa_float_round_mode_16_64 0
		.amdhsa_float_denorm_mode_32 3
		.amdhsa_float_denorm_mode_16_64 3
		.amdhsa_dx10_clamp 1
		.amdhsa_ieee_mode 1
		.amdhsa_fp16_overflow 0
		.amdhsa_tg_split 0
		.amdhsa_exception_fp_ieee_invalid_op 0
		.amdhsa_exception_fp_denorm_src 0
		.amdhsa_exception_fp_ieee_div_zero 0
		.amdhsa_exception_fp_ieee_overflow 0
		.amdhsa_exception_fp_ieee_underflow 0
		.amdhsa_exception_fp_ieee_inexact 0
		.amdhsa_exception_int_div_zero 0
	.end_amdhsa_kernel
	.section	.text._ZN4vllm3moe22topkGatingSoftplusSqrtILi2ELi2ELi4ELi8ELi64ELb0EjfEEvPKT6_PKbPfiPT5_PiiiibdPKfPKS8_SE_,"axG",@progbits,_ZN4vllm3moe22topkGatingSoftplusSqrtILi2ELi2ELi4ELi8ELi64ELb0EjfEEvPKT6_PKbPfiPT5_PiiiibdPKfPKS8_SE_,comdat
.Lfunc_end65:
	.size	_ZN4vllm3moe22topkGatingSoftplusSqrtILi2ELi2ELi4ELi8ELi64ELb0EjfEEvPKT6_PKbPfiPT5_PiiiibdPKfPKS8_SE_, .Lfunc_end65-_ZN4vllm3moe22topkGatingSoftplusSqrtILi2ELi2ELi4ELi8ELi64ELb0EjfEEvPKT6_PKbPfiPT5_PiiiibdPKfPKS8_SE_
                                        ; -- End function
	.section	.AMDGPU.csdata,"",@progbits
; Kernel info:
; codeLenInByte = 1376
; NumSgprs: 32
; NumVgprs: 13
; NumAgprs: 0
; TotalNumVgprs: 13
; ScratchSize: 0
; MemoryBound: 0
; FloatMode: 240
; IeeeMode: 1
; LDSByteSize: 0 bytes/workgroup (compile time only)
; SGPRBlocks: 3
; VGPRBlocks: 1
; NumSGPRsForWavesPerEU: 32
; NumVGPRsForWavesPerEU: 13
; AccumOffset: 16
; Occupancy: 8
; WaveLimiterHint : 0
; COMPUTE_PGM_RSRC2:SCRATCH_EN: 0
; COMPUTE_PGM_RSRC2:USER_SGPR: 2
; COMPUTE_PGM_RSRC2:TRAP_HANDLER: 0
; COMPUTE_PGM_RSRC2:TGID_X_EN: 1
; COMPUTE_PGM_RSRC2:TGID_Y_EN: 0
; COMPUTE_PGM_RSRC2:TGID_Z_EN: 0
; COMPUTE_PGM_RSRC2:TIDIG_COMP_CNT: 1
; COMPUTE_PGM_RSRC3_GFX90A:ACCUM_OFFSET: 3
; COMPUTE_PGM_RSRC3_GFX90A:TG_SPLIT: 0
	.section	.text._ZN4vllm3moe22topkGatingSoftplusSqrtILi2ELi2ELi4ELi8ELi32ELb1EjfEEvPKT6_PKbPfiPT5_PiiiibdPKfPKS8_SE_,"axG",@progbits,_ZN4vllm3moe22topkGatingSoftplusSqrtILi2ELi2ELi4ELi8ELi32ELb1EjfEEvPKT6_PKbPfiPT5_PiiiibdPKfPKS8_SE_,comdat
	.protected	_ZN4vllm3moe22topkGatingSoftplusSqrtILi2ELi2ELi4ELi8ELi32ELb1EjfEEvPKT6_PKbPfiPT5_PiiiibdPKfPKS8_SE_ ; -- Begin function _ZN4vllm3moe22topkGatingSoftplusSqrtILi2ELi2ELi4ELi8ELi32ELb1EjfEEvPKT6_PKbPfiPT5_PiiiibdPKfPKS8_SE_
	.globl	_ZN4vllm3moe22topkGatingSoftplusSqrtILi2ELi2ELi4ELi8ELi32ELb1EjfEEvPKT6_PKbPfiPT5_PiiiibdPKfPKS8_SE_
	.p2align	8
	.type	_ZN4vllm3moe22topkGatingSoftplusSqrtILi2ELi2ELi4ELi8ELi32ELb1EjfEEvPKT6_PKbPfiPT5_PiiiibdPKfPKS8_SE_,@function
_ZN4vllm3moe22topkGatingSoftplusSqrtILi2ELi2ELi4ELi8ELi32ELb1EjfEEvPKT6_PKbPfiPT5_PiiiibdPKfPKS8_SE_: ; @_ZN4vllm3moe22topkGatingSoftplusSqrtILi2ELi2ELi4ELi8ELi32ELb1EjfEEvPKT6_PKbPfiPT5_PiiiibdPKfPKS8_SE_
; %bb.0:
	s_load_dword s3, s[0:1], 0x18
	v_bfe_u32 v1, v0, 10, 10
	s_lshl_b32 s2, s2, 7
	v_lshlrev_b32_e32 v1, 5, v1
	v_and_b32_e32 v0, 0x3ff, v0
	v_add3_u32 v4, v1, v0, s2
	s_waitcnt lgkmcnt(0)
	v_cmp_gt_i32_e32 vcc, s3, v4
	s_and_saveexec_b64 s[2:3], vcc
	s_cbranch_execz .LBB66_57
; %bb.1:
	s_load_dwordx2 s[2:3], s[0:1], 0x0
	s_load_dword s16, s[0:1], 0x30
	s_load_dwordx4 s[4:7], s[0:1], 0x50
	v_lshlrev_b32_e32 v0, 1, v4
	v_ashrrev_i32_e32 v1, 31, v0
	s_waitcnt lgkmcnt(0)
	v_lshl_add_u64 v[0:1], v[0:1], 2, s[2:3]
	global_load_dwordx2 v[2:3], v[0:1], off
	v_ashrrev_i32_e32 v5, 31, v4
	v_mov_b32_e32 v0, s4
	v_mov_b32_e32 v1, s5
	v_lshl_add_u64 v[0:1], v[4:5], 2, v[0:1]
	global_load_dword v0, v[0:1], off
	s_mov_b32 s2, 0x800000
	v_mov_b32_e32 v5, 0x4f800000
	s_mov_b32 s5, 0x3f317217
	s_mov_b32 s9, 0x7f800000
	v_mov_b32_e32 v8, 0x41b17218
	s_mov_b32 s4, 0x41a00000
	s_mov_b32 s12, 0xf800000
	v_mov_b32_e32 v9, 0x260
	v_mov_b32_e32 v1, 0
	s_cmp_gt_i32 s16, 0
	s_mov_b32 s8, 0
	s_cselect_b64 s[10:11], -1, 0
	s_cmp_lt_i32 s16, 1
	v_mul_lo_u32 v4, v4, s16
	s_waitcnt vmcnt(1)
	v_mul_f32_e32 v6, 0x3fb8aa3b, v2
	v_mul_f32_e32 v7, 0x3fb8aa3b, v3
	v_exp_f32_e32 v6, v6
	v_exp_f32_e32 v7, v7
	s_waitcnt vmcnt(0)
	v_mul_lo_u32 v0, v0, s16
	v_pk_add_f32 v[6:7], v[6:7], 1.0 op_sel_hi:[1,0]
	s_nop 0
	v_cmp_gt_f32_e32 vcc, s2, v7
	v_cmp_gt_f32_e64 s[2:3], s2, v6
	s_nop 0
	v_cndmask_b32_e32 v10, 1.0, v5, vcc
	v_cndmask_b32_e64 v5, 1.0, v5, s[2:3]
	v_mul_f32_e32 v7, v7, v10
	v_mul_f32_e32 v5, v6, v5
	v_log_f32_e32 v6, v7
	v_log_f32_e32 v5, v5
	v_cndmask_b32_e32 v7, 0, v8, vcc
	v_cndmask_b32_e64 v8, 0, v8, s[2:3]
	v_mul_f32_e32 v10, 0x3f317217, v6
	v_mul_f32_e32 v11, 0x3f317217, v5
	v_fma_f32 v10, v6, s5, -v10
	v_fma_f32 v11, v5, s5, -v11
	v_fmac_f32_e32 v10, 0x3377d1cf, v6
	v_fmac_f32_e32 v11, 0x3377d1cf, v5
	;; [unrolled: 1-line block ×3, first 2 shown]
	v_cmp_lt_f32_e64 vcc, |v6|, s9
	v_fmac_f32_e32 v11, 0x3f317217, v5
	s_nop 0
	v_cndmask_b32_e32 v6, v6, v10, vcc
	v_cmp_lt_f32_e64 vcc, |v5|, s9
	v_sub_f32_e32 v6, v6, v7
	s_nop 0
	v_cndmask_b32_e32 v5, v5, v11, vcc
	v_sub_f32_e32 v5, v5, v8
	v_cmp_lt_f32_e32 vcc, s4, v2
	s_nop 1
	v_cndmask_b32_e32 v2, v5, v2, vcc
	v_cmp_lt_f32_e32 vcc, s4, v3
	v_cmp_gt_f32_e64 s[2:3], s12, v2
	s_nop 0
	v_cndmask_b32_e32 v3, v6, v3, vcc
	v_mul_f32_e32 v5, 0x4f800000, v3
	v_cmp_gt_f32_e32 vcc, s12, v3
	v_mul_f32_e32 v6, 0x4f800000, v2
	v_cndmask_b32_e64 v6, v2, v6, s[2:3]
	v_cndmask_b32_e32 v5, v3, v5, vcc
	v_sqrt_f32_e32 v7, v5
	v_sqrt_f32_e32 v8, v6
	v_lshl_add_u64 v[2:3], v[0:1], 2, s[6:7]
	v_add_u32_e32 v10, -1, v7
	v_add_u32_e32 v12, -1, v8
	v_fma_f32 v14, -v10, v7, v5
	v_add_u32_e32 v11, 1, v7
	v_fma_f32 v16, -v12, v8, v6
	v_cmp_ge_f32_e64 s[4:5], 0, v14
	v_add_u32_e32 v13, 1, v8
	v_fma_f32 v15, -v11, v7, v5
	v_cndmask_b32_e64 v7, v7, v10, s[4:5]
	v_cmp_ge_f32_e64 s[4:5], 0, v16
	v_fma_f32 v17, -v13, v8, v6
	s_nop 0
	v_cndmask_b32_e64 v8, v8, v12, s[4:5]
	v_cmp_lt_f32_e64 s[4:5], 0, v15
	s_nop 1
	v_cndmask_b32_e64 v7, v7, v11, s[4:5]
	v_cmp_lt_f32_e64 s[4:5], 0, v17
	v_mul_f32_e32 v10, 0x37800000, v7
	v_cndmask_b32_e32 v7, v7, v10, vcc
	v_cndmask_b32_e64 v8, v8, v13, s[4:5]
	v_mul_f32_e32 v11, 0x37800000, v8
	v_cmp_class_f32_e32 vcc, v5, v9
	v_cndmask_b32_e64 v8, v8, v11, s[2:3]
	s_nop 0
	v_cndmask_b32_e32 v10, v7, v5, vcc
	v_cmp_class_f32_e32 vcc, v6, v9
	s_nop 1
	v_cndmask_b32_e32 v11, v8, v6, vcc
	s_cbranch_scc1 .LBB66_21
; %bb.2:
	s_load_dwordx2 s[2:3], s[0:1], 0x20
	s_cmp_lt_u32 s16, 4
	s_cbranch_scc1 .LBB66_22
; %bb.3:
	s_mov_b32 s5, 0
	s_and_b32 s8, s16, 0x7ffffffc
	v_ashrrev_i32_e32 v5, 31, v4
	v_mov_b32_e32 v12, 0
	s_mov_b32 s4, s5
	s_branch .LBB66_5
.LBB66_4:                               ;   in Loop: Header=BB66_5 Depth=1
	s_or_b64 exec, exec, s[12:13]
	s_add_i32 s4, s4, 4
	s_cmp_eq_u32 s4, s8
	s_cbranch_scc1 .LBB66_23
.LBB66_5:                               ; =>This Loop Header: Depth=1
                                        ;     Child Loop BB66_7 Depth 2
                                        ;     Child Loop BB66_11 Depth 2
                                        ;     Child Loop BB66_15 Depth 2
                                        ;     Child Loop BB66_19 Depth 2
	v_lshl_add_u64 v[6:7], s[4:5], 2, v[2:3]
	global_load_dword v13, v[6:7], off
	v_add_u32_e32 v8, s4, v4
	v_ashrrev_i32_e32 v9, 31, v8
	s_mov_b64 s[12:13], 0
	s_waitcnt lgkmcnt(0)
	v_lshl_add_u64 v[8:9], v[8:9], 2, s[2:3]
	s_mov_b32 s9, 0
	s_waitcnt vmcnt(0)
	v_cmp_eq_u32_e32 vcc, 0, v13
	s_nop 1
	v_cndmask_b32_e64 v14, 2, 1, vcc
	v_cmp_eq_u32_e32 vcc, 1, v13
	s_nop 1
	v_cndmask_b32_e32 v15, v11, v10, vcc
	s_branch .LBB66_7
.LBB66_6:                               ;   in Loop: Header=BB66_7 Depth=2
	s_or_b64 exec, exec, s[14:15]
	s_add_i32 s9, s9, 1
	v_cmp_eq_u32_e32 vcc, s9, v14
	s_or_b64 s[12:13], vcc, s[12:13]
	s_andn2_b64 exec, exec, s[12:13]
	s_cbranch_execz .LBB66_9
.LBB66_7:                               ;   Parent Loop BB66_5 Depth=1
                                        ; =>  This Inner Loop Header: Depth=2
	v_cmp_eq_u32_e32 vcc, s9, v13
	s_and_saveexec_b64 s[14:15], vcc
	s_cbranch_execz .LBB66_6
; %bb.8:                                ;   in Loop: Header=BB66_7 Depth=2
	v_add_f32_e32 v12, v12, v15
	global_store_dword v[8:9], v13, off
	s_branch .LBB66_6
.LBB66_9:                               ;   in Loop: Header=BB66_5 Depth=1
	s_or_b64 exec, exec, s[12:13]
	global_load_dword v13, v[6:7], off offset:4
	s_ashr_i32 s13, s4, 31
	s_mov_b32 s12, s4
	v_lshl_add_u64 v[8:9], s[12:13], 0, v[4:5]
	s_mov_b32 s9, 0
	v_lshl_add_u64 v[8:9], v[8:9], 2, s[2:3]
	s_mov_b64 s[12:13], 0
	s_waitcnt vmcnt(0)
	v_cmp_eq_u32_e32 vcc, 0, v13
	s_nop 1
	v_cndmask_b32_e64 v14, 2, 1, vcc
	v_cmp_eq_u32_e32 vcc, 1, v13
	s_nop 1
	v_cndmask_b32_e32 v15, v11, v10, vcc
	s_branch .LBB66_11
.LBB66_10:                              ;   in Loop: Header=BB66_11 Depth=2
	s_or_b64 exec, exec, s[14:15]
	s_add_i32 s9, s9, 1
	v_cmp_eq_u32_e32 vcc, s9, v14
	s_or_b64 s[12:13], vcc, s[12:13]
	s_andn2_b64 exec, exec, s[12:13]
	s_cbranch_execz .LBB66_13
.LBB66_11:                              ;   Parent Loop BB66_5 Depth=1
                                        ; =>  This Inner Loop Header: Depth=2
	v_cmp_eq_u32_e32 vcc, s9, v13
	s_and_saveexec_b64 s[14:15], vcc
	s_cbranch_execz .LBB66_10
; %bb.12:                               ;   in Loop: Header=BB66_11 Depth=2
	v_add_f32_e32 v12, v12, v15
	global_store_dword v[8:9], v13, off offset:4
	s_branch .LBB66_10
.LBB66_13:                              ;   in Loop: Header=BB66_5 Depth=1
	s_or_b64 exec, exec, s[12:13]
	global_load_dword v13, v[6:7], off offset:8
	s_mov_b32 s9, 0
	s_mov_b64 s[12:13], 0
	s_waitcnt vmcnt(0)
	v_cmp_eq_u32_e32 vcc, 0, v13
	s_nop 1
	v_cndmask_b32_e64 v14, 2, 1, vcc
	v_cmp_eq_u32_e32 vcc, 1, v13
	s_nop 1
	v_cndmask_b32_e32 v15, v11, v10, vcc
	s_branch .LBB66_15
.LBB66_14:                              ;   in Loop: Header=BB66_15 Depth=2
	s_or_b64 exec, exec, s[14:15]
	s_add_i32 s9, s9, 1
	v_cmp_eq_u32_e32 vcc, s9, v14
	s_or_b64 s[12:13], vcc, s[12:13]
	s_andn2_b64 exec, exec, s[12:13]
	s_cbranch_execz .LBB66_17
.LBB66_15:                              ;   Parent Loop BB66_5 Depth=1
                                        ; =>  This Inner Loop Header: Depth=2
	v_cmp_eq_u32_e32 vcc, s9, v13
	s_and_saveexec_b64 s[14:15], vcc
	s_cbranch_execz .LBB66_14
; %bb.16:                               ;   in Loop: Header=BB66_15 Depth=2
	v_add_f32_e32 v12, v12, v15
	global_store_dword v[8:9], v13, off offset:8
	s_branch .LBB66_14
.LBB66_17:                              ;   in Loop: Header=BB66_5 Depth=1
	s_or_b64 exec, exec, s[12:13]
	global_load_dword v6, v[6:7], off offset:12
	s_mov_b32 s9, 0
	s_mov_b64 s[12:13], 0
	s_waitcnt vmcnt(0)
	v_cmp_eq_u32_e32 vcc, 0, v6
	s_nop 1
	v_cndmask_b32_e64 v7, 2, 1, vcc
	v_cmp_eq_u32_e32 vcc, 1, v6
	s_nop 1
	v_cndmask_b32_e32 v13, v11, v10, vcc
	s_branch .LBB66_19
.LBB66_18:                              ;   in Loop: Header=BB66_19 Depth=2
	s_or_b64 exec, exec, s[14:15]
	s_add_i32 s9, s9, 1
	v_cmp_eq_u32_e32 vcc, s9, v7
	s_or_b64 s[12:13], vcc, s[12:13]
	s_andn2_b64 exec, exec, s[12:13]
	s_cbranch_execz .LBB66_4
.LBB66_19:                              ;   Parent Loop BB66_5 Depth=1
                                        ; =>  This Inner Loop Header: Depth=2
	v_cmp_eq_u32_e32 vcc, s9, v6
	s_and_saveexec_b64 s[14:15], vcc
	s_cbranch_execz .LBB66_18
; %bb.20:                               ;   in Loop: Header=BB66_19 Depth=2
	v_add_f32_e32 v12, v12, v13
	global_store_dword v[8:9], v6, off offset:12
	s_branch .LBB66_18
.LBB66_21:
	v_mov_b32_e32 v12, v1
	s_branch .LBB66_30
.LBB66_22:
	v_mov_b32_e32 v12, v1
.LBB66_23:
	s_and_b32 s14, s16, 3
	s_cmp_eq_u32 s14, 0
	s_mov_b32 s9, 0
	s_cbranch_scc1 .LBB66_30
; %bb.24:
	s_mov_b32 s15, s9
	s_branch .LBB66_26
.LBB66_25:                              ;   in Loop: Header=BB66_26 Depth=1
	s_or_b64 exec, exec, s[4:5]
	s_add_i32 s8, s8, 1
	s_add_i32 s15, s15, 1
	s_cmp_lg_u32 s15, s14
	s_cbranch_scc0 .LBB66_30
.LBB66_26:                              ; =>This Loop Header: Depth=1
                                        ;     Child Loop BB66_28 Depth 2
	v_lshl_add_u64 v[6:7], s[8:9], 2, v[2:3]
	global_load_dword v5, v[6:7], off
	v_add_u32_e32 v6, s8, v4
	v_ashrrev_i32_e32 v7, 31, v6
	s_mov_b32 s17, 0
	s_waitcnt lgkmcnt(0)
	v_lshl_add_u64 v[6:7], v[6:7], 2, s[2:3]
	s_mov_b64 s[4:5], 0
	s_waitcnt vmcnt(0)
	v_cmp_eq_u32_e32 vcc, 0, v5
	s_nop 1
	v_cndmask_b32_e64 v8, 2, 1, vcc
	v_cmp_eq_u32_e32 vcc, 1, v5
	s_nop 1
	v_cndmask_b32_e32 v9, v11, v10, vcc
	s_branch .LBB66_28
.LBB66_27:                              ;   in Loop: Header=BB66_28 Depth=2
	s_or_b64 exec, exec, s[12:13]
	s_add_i32 s17, s17, 1
	v_cmp_eq_u32_e32 vcc, s17, v8
	s_or_b64 s[4:5], vcc, s[4:5]
	s_andn2_b64 exec, exec, s[4:5]
	s_cbranch_execz .LBB66_25
.LBB66_28:                              ;   Parent Loop BB66_26 Depth=1
                                        ; =>  This Inner Loop Header: Depth=2
	v_cmp_eq_u32_e32 vcc, s17, v5
	s_and_saveexec_b64 s[12:13], vcc
	s_cbranch_execz .LBB66_27
; %bb.29:                               ;   in Loop: Header=BB66_28 Depth=2
	v_add_f32_e32 v12, v12, v9
	global_store_dword v[6:7], v5, off
	s_branch .LBB66_27
.LBB66_30:
	s_load_dword s4, s[0:1], 0x3c
	s_waitcnt lgkmcnt(0)
	s_load_dwordx2 s[2:3], s[0:1], 0x40
	s_bitcmp1_b32 s4, 0
	s_cselect_b64 s[4:5], -1, 0
	s_waitcnt lgkmcnt(0)
	v_cvt_f32_f64_e32 v13, s[2:3]
	s_and_b64 vcc, exec, s[4:5]
	s_cbranch_vccz .LBB66_32
; %bb.31:
	v_cmp_lt_f32_e32 vcc, 0, v12
	s_nop 1
	v_cndmask_b32_e32 v5, 1.0, v12, vcc
	v_div_scale_f32 v6, s[2:3], v5, v5, v13
	v_rcp_f32_e32 v7, v6
	s_nop 0
	v_fma_f32 v8, -v6, v7, 1.0
	v_fmac_f32_e32 v7, v8, v7
	v_div_scale_f32 v8, vcc, v13, v5, v13
	v_mul_f32_e32 v9, v8, v7
	v_fma_f32 v12, -v6, v9, v8
	v_fmac_f32_e32 v9, v12, v7
	v_fma_f32 v6, -v6, v9, v8
	v_div_fmas_f32 v6, v6, v7, v9
	v_div_fixup_f32 v13, v6, v5, v13
.LBB66_32:
	s_andn2_b64 vcc, exec, s[10:11]
	s_cbranch_vccnz .LBB66_57
; %bb.33:
	s_load_dwordx2 s[0:1], s[0:1], 0x10
	s_cmp_lt_u32 s16, 8
	s_mov_b32 s2, 0
	s_cbranch_scc1 .LBB66_52
; %bb.34:
	v_ashrrev_i32_e32 v5, 31, v4
	s_and_b32 s2, s16, 0x7ffffff8
	s_waitcnt lgkmcnt(0)
	v_lshl_add_u64 v[6:7], v[4:5], 2, s[0:1]
	s_mov_b32 s3, 0
	s_mov_b64 s[4:5], 0
	s_branch .LBB66_36
.LBB66_35:                              ;   in Loop: Header=BB66_36 Depth=1
	s_or_b64 exec, exec, s[8:9]
	s_add_i32 s3, s3, 8
	s_add_u32 s4, s4, 32
	s_addc_u32 s5, s5, 0
	s_cmp_lg_u32 s2, s3
	s_cbranch_scc0 .LBB66_52
.LBB66_36:                              ; =>This Inner Loop Header: Depth=1
	v_lshl_add_u64 v[8:9], v[2:3], 0, s[4:5]
	global_load_dword v5, v[8:9], off
	s_waitcnt vmcnt(0)
	v_cmp_gt_u32_e32 vcc, 2, v5
	s_and_saveexec_b64 s[8:9], vcc
	s_cbranch_execz .LBB66_38
; %bb.37:                               ;   in Loop: Header=BB66_36 Depth=1
	v_add_u32_e32 v14, s3, v4
	v_cmp_eq_u32_e32 vcc, 1, v5
	v_ashrrev_i32_e32 v15, 31, v14
	v_lshl_add_u64 v[14:15], v[14:15], 2, s[0:1]
	v_cndmask_b32_e32 v5, v11, v10, vcc
	v_mul_f32_e32 v5, v13, v5
	global_store_dword v[14:15], v5, off
.LBB66_38:                              ;   in Loop: Header=BB66_36 Depth=1
	s_or_b64 exec, exec, s[8:9]
	global_load_dword v5, v[8:9], off offset:4
	s_waitcnt vmcnt(0)
	v_cmp_gt_u32_e32 vcc, 2, v5
	s_and_saveexec_b64 s[8:9], vcc
	s_cbranch_execz .LBB66_40
; %bb.39:                               ;   in Loop: Header=BB66_36 Depth=1
	v_cmp_eq_u32_e32 vcc, 1, v5
	v_lshl_add_u64 v[14:15], v[6:7], 0, s[4:5]
	s_nop 0
	v_cndmask_b32_e32 v5, v11, v10, vcc
	v_mul_f32_e32 v5, v13, v5
	global_store_dword v[14:15], v5, off offset:4
.LBB66_40:                              ;   in Loop: Header=BB66_36 Depth=1
	s_or_b64 exec, exec, s[8:9]
	global_load_dword v5, v[8:9], off offset:8
	s_waitcnt vmcnt(0)
	v_cmp_gt_u32_e32 vcc, 2, v5
	s_and_saveexec_b64 s[8:9], vcc
	s_cbranch_execz .LBB66_42
; %bb.41:                               ;   in Loop: Header=BB66_36 Depth=1
	v_cmp_eq_u32_e32 vcc, 1, v5
	v_lshl_add_u64 v[14:15], v[6:7], 0, s[4:5]
	s_nop 0
	v_cndmask_b32_e32 v5, v11, v10, vcc
	v_mul_f32_e32 v5, v13, v5
	global_store_dword v[14:15], v5, off offset:8
.LBB66_42:                              ;   in Loop: Header=BB66_36 Depth=1
	;; [unrolled: 14-line block ×6, first 2 shown]
	s_or_b64 exec, exec, s[8:9]
	global_load_dword v5, v[8:9], off offset:28
	s_waitcnt vmcnt(0)
	v_cmp_gt_u32_e32 vcc, 2, v5
	s_and_saveexec_b64 s[8:9], vcc
	s_cbranch_execz .LBB66_35
; %bb.51:                               ;   in Loop: Header=BB66_36 Depth=1
	v_cmp_eq_u32_e32 vcc, 1, v5
	v_lshl_add_u64 v[8:9], v[6:7], 0, s[4:5]
	s_nop 0
	v_cndmask_b32_e32 v5, v11, v10, vcc
	v_mul_f32_e32 v5, v13, v5
	global_store_dword v[8:9], v5, off offset:28
	s_branch .LBB66_35
.LBB66_52:
	s_and_b32 s4, s16, 7
	s_cmp_eq_u32 s4, 0
	s_mov_b32 s3, 0
	s_cbranch_scc1 .LBB66_57
; %bb.53:
	v_add_u32_e32 v2, s2, v4
	s_lshl_b64 s[2:3], s[2:3], 2
	s_add_u32 s2, s6, s2
	s_addc_u32 s3, s7, s3
	v_lshl_add_u64 v[0:1], v[0:1], 2, s[2:3]
	s_branch .LBB66_55
.LBB66_54:                              ;   in Loop: Header=BB66_55 Depth=1
	s_or_b64 exec, exec, s[2:3]
	s_add_i32 s4, s4, -1
	v_add_u32_e32 v2, 1, v2
	s_cmp_lg_u32 s4, 0
	v_lshl_add_u64 v[0:1], v[0:1], 0, 4
	s_cbranch_scc0 .LBB66_57
.LBB66_55:                              ; =>This Inner Loop Header: Depth=1
	global_load_dword v3, v[0:1], off
	s_waitcnt vmcnt(0)
	v_cmp_gt_u32_e32 vcc, 2, v3
	s_and_saveexec_b64 s[2:3], vcc
	s_cbranch_execz .LBB66_54
; %bb.56:                               ;   in Loop: Header=BB66_55 Depth=1
	v_cmp_eq_u32_e32 vcc, 1, v3
	s_nop 1
	v_cndmask_b32_e32 v3, v11, v10, vcc
	v_mul_f32_e32 v6, v13, v3
	v_ashrrev_i32_e32 v3, 31, v2
	s_waitcnt lgkmcnt(0)
	v_lshl_add_u64 v[4:5], v[2:3], 2, s[0:1]
	global_store_dword v[4:5], v6, off
	s_branch .LBB66_54
.LBB66_57:
	s_endpgm
	.section	.rodata,"a",@progbits
	.p2align	6, 0x0
	.amdhsa_kernel _ZN4vllm3moe22topkGatingSoftplusSqrtILi2ELi2ELi4ELi8ELi32ELb1EjfEEvPKT6_PKbPfiPT5_PiiiibdPKfPKS8_SE_
		.amdhsa_group_segment_fixed_size 0
		.amdhsa_private_segment_fixed_size 0
		.amdhsa_kernarg_size 96
		.amdhsa_user_sgpr_count 2
		.amdhsa_user_sgpr_dispatch_ptr 0
		.amdhsa_user_sgpr_queue_ptr 0
		.amdhsa_user_sgpr_kernarg_segment_ptr 1
		.amdhsa_user_sgpr_dispatch_id 0
		.amdhsa_user_sgpr_kernarg_preload_length 0
		.amdhsa_user_sgpr_kernarg_preload_offset 0
		.amdhsa_user_sgpr_private_segment_size 0
		.amdhsa_uses_dynamic_stack 0
		.amdhsa_enable_private_segment 0
		.amdhsa_system_sgpr_workgroup_id_x 1
		.amdhsa_system_sgpr_workgroup_id_y 0
		.amdhsa_system_sgpr_workgroup_id_z 0
		.amdhsa_system_sgpr_workgroup_info 0
		.amdhsa_system_vgpr_workitem_id 1
		.amdhsa_next_free_vgpr 18
		.amdhsa_next_free_sgpr 18
		.amdhsa_accum_offset 20
		.amdhsa_reserve_vcc 1
		.amdhsa_float_round_mode_32 0
		.amdhsa_float_round_mode_16_64 0
		.amdhsa_float_denorm_mode_32 3
		.amdhsa_float_denorm_mode_16_64 3
		.amdhsa_dx10_clamp 1
		.amdhsa_ieee_mode 1
		.amdhsa_fp16_overflow 0
		.amdhsa_tg_split 0
		.amdhsa_exception_fp_ieee_invalid_op 0
		.amdhsa_exception_fp_denorm_src 0
		.amdhsa_exception_fp_ieee_div_zero 0
		.amdhsa_exception_fp_ieee_overflow 0
		.amdhsa_exception_fp_ieee_underflow 0
		.amdhsa_exception_fp_ieee_inexact 0
		.amdhsa_exception_int_div_zero 0
	.end_amdhsa_kernel
	.section	.text._ZN4vllm3moe22topkGatingSoftplusSqrtILi2ELi2ELi4ELi8ELi32ELb1EjfEEvPKT6_PKbPfiPT5_PiiiibdPKfPKS8_SE_,"axG",@progbits,_ZN4vllm3moe22topkGatingSoftplusSqrtILi2ELi2ELi4ELi8ELi32ELb1EjfEEvPKT6_PKbPfiPT5_PiiiibdPKfPKS8_SE_,comdat
.Lfunc_end66:
	.size	_ZN4vllm3moe22topkGatingSoftplusSqrtILi2ELi2ELi4ELi8ELi32ELb1EjfEEvPKT6_PKbPfiPT5_PiiiibdPKfPKS8_SE_, .Lfunc_end66-_ZN4vllm3moe22topkGatingSoftplusSqrtILi2ELi2ELi4ELi8ELi32ELb1EjfEEvPKT6_PKbPfiPT5_PiiiibdPKfPKS8_SE_
                                        ; -- End function
	.section	.AMDGPU.csdata,"",@progbits
; Kernel info:
; codeLenInByte = 2280
; NumSgprs: 24
; NumVgprs: 18
; NumAgprs: 0
; TotalNumVgprs: 18
; ScratchSize: 0
; MemoryBound: 0
; FloatMode: 240
; IeeeMode: 1
; LDSByteSize: 0 bytes/workgroup (compile time only)
; SGPRBlocks: 2
; VGPRBlocks: 2
; NumSGPRsForWavesPerEU: 24
; NumVGPRsForWavesPerEU: 18
; AccumOffset: 20
; Occupancy: 8
; WaveLimiterHint : 1
; COMPUTE_PGM_RSRC2:SCRATCH_EN: 0
; COMPUTE_PGM_RSRC2:USER_SGPR: 2
; COMPUTE_PGM_RSRC2:TRAP_HANDLER: 0
; COMPUTE_PGM_RSRC2:TGID_X_EN: 1
; COMPUTE_PGM_RSRC2:TGID_Y_EN: 0
; COMPUTE_PGM_RSRC2:TGID_Z_EN: 0
; COMPUTE_PGM_RSRC2:TIDIG_COMP_CNT: 1
; COMPUTE_PGM_RSRC3_GFX90A:ACCUM_OFFSET: 4
; COMPUTE_PGM_RSRC3_GFX90A:TG_SPLIT: 0
	.section	.text._ZN4vllm3moe22topkGatingSoftplusSqrtILi2ELi2ELi4ELi8ELi32ELb0EjfEEvPKT6_PKbPfiPT5_PiiiibdPKfPKS8_SE_,"axG",@progbits,_ZN4vllm3moe22topkGatingSoftplusSqrtILi2ELi2ELi4ELi8ELi32ELb0EjfEEvPKT6_PKbPfiPT5_PiiiibdPKfPKS8_SE_,comdat
	.protected	_ZN4vllm3moe22topkGatingSoftplusSqrtILi2ELi2ELi4ELi8ELi32ELb0EjfEEvPKT6_PKbPfiPT5_PiiiibdPKfPKS8_SE_ ; -- Begin function _ZN4vllm3moe22topkGatingSoftplusSqrtILi2ELi2ELi4ELi8ELi32ELb0EjfEEvPKT6_PKbPfiPT5_PiiiibdPKfPKS8_SE_
	.globl	_ZN4vllm3moe22topkGatingSoftplusSqrtILi2ELi2ELi4ELi8ELi32ELb0EjfEEvPKT6_PKbPfiPT5_PiiiibdPKfPKS8_SE_
	.p2align	8
	.type	_ZN4vllm3moe22topkGatingSoftplusSqrtILi2ELi2ELi4ELi8ELi32ELb0EjfEEvPKT6_PKbPfiPT5_PiiiibdPKfPKS8_SE_,@function
_ZN4vllm3moe22topkGatingSoftplusSqrtILi2ELi2ELi4ELi8ELi32ELb0EjfEEvPKT6_PKbPfiPT5_PiiiibdPKfPKS8_SE_: ; @_ZN4vllm3moe22topkGatingSoftplusSqrtILi2ELi2ELi4ELi8ELi32ELb0EjfEEvPKT6_PKbPfiPT5_PiiiibdPKfPKS8_SE_
; %bb.0:
	s_load_dword s24, s[0:1], 0x18
	v_bfe_u32 v1, v0, 10, 10
	s_lshl_b32 s2, s2, 7
	v_lshlrev_b32_e32 v1, 5, v1
	v_and_b32_e32 v0, 0x3ff, v0
	v_add3_u32 v0, v1, v0, s2
	s_waitcnt lgkmcnt(0)
	v_cmp_gt_i32_e32 vcc, s24, v0
	s_and_saveexec_b64 s[2:3], vcc
	s_cbranch_execz .LBB67_28
; %bb.1:
	s_load_dwordx4 s[4:7], s[0:1], 0x0
	s_load_dwordx2 s[16:17], s[0:1], 0x10
	s_waitcnt lgkmcnt(0)
	s_cmp_eq_u64 s[6:7], 0
	s_cbranch_scc1 .LBB67_3
; %bb.2:
	v_ashrrev_i32_e32 v1, 31, v0
	v_lshl_add_u64 v[2:3], s[6:7], 0, v[0:1]
	global_load_ubyte v1, v[2:3], off
	s_waitcnt vmcnt(0)
	v_and_b32_e32 v1, 1, v1
	v_cmp_eq_u32_e32 vcc, 1, v1
	s_xor_b64 s[2:3], vcc, -1
	s_orn2_b64 s[18:19], s[2:3], exec
	s_branch .LBB67_4
.LBB67_3:
	s_mov_b64 s[18:19], -1
.LBB67_4:
	v_lshlrev_b32_e32 v4, 1, v0
	v_mov_b32_e32 v2, s4
	v_mov_b32_e32 v3, s5
	v_ashrrev_i32_e32 v5, 31, v4
	v_lshl_add_u64 v[2:3], v[4:5], 2, v[2:3]
	global_load_dwordx2 v[2:3], v[2:3], off
	s_mov_b32 s14, 0x800000
	v_mov_b32_e32 v6, 0x4f800000
	s_mov_b32 s7, 0x3f317217
	s_mov_b32 s12, 0x7f800000
	v_mov_b32_e32 v5, 0x41b17218
	s_mov_b32 s6, 0x41a00000
	s_mov_b32 s13, 0xf800000
	s_load_dwordx4 s[8:11], s[0:1], 0x40
	s_waitcnt lgkmcnt(0)
	s_cmp_lg_u64 s[10:11], 0
	s_cselect_b64 s[20:21], -1, 0
	s_and_b64 s[2:3], exec, s[20:21]
	s_waitcnt vmcnt(0)
	v_mul_f32_e32 v1, 0x3fb8aa3b, v2
	v_exp_f32_e32 v1, v1
	s_nop 0
	v_add_f32_e32 v1, 1.0, v1
	v_cmp_gt_f32_e32 vcc, s14, v1
	s_nop 1
	v_cndmask_b32_e32 v4, 1.0, v6, vcc
	v_mul_f32_e32 v1, v1, v4
	v_log_f32_e32 v4, v1
	v_cndmask_b32_e32 v7, 0, v5, vcc
	v_mov_b32_e32 v1, 0x260
	v_mul_f32_e32 v8, 0x3f317217, v4
	v_fma_f32 v8, v4, s7, -v8
	v_fmac_f32_e32 v8, 0x3377d1cf, v4
	v_fmac_f32_e32 v8, 0x3f317217, v4
	v_cmp_lt_f32_e64 vcc, |v4|, s12
	s_nop 1
	v_cndmask_b32_e32 v4, v4, v8, vcc
	v_sub_f32_e32 v4, v4, v7
	v_cmp_lt_f32_e32 vcc, s6, v2
	s_nop 1
	v_cndmask_b32_e32 v2, v4, v2, vcc
	v_mul_f32_e32 v4, 0x4f800000, v2
	v_cmp_gt_f32_e32 vcc, s13, v2
	s_nop 1
	v_cndmask_b32_e32 v2, v2, v4, vcc
	v_sqrt_f32_e32 v4, v2
	s_nop 0
	v_add_u32_e32 v7, -1, v4
	v_add_u32_e32 v8, 1, v4
	v_fma_f32 v9, -v7, v4, v2
	v_fma_f32 v10, -v8, v4, v2
	v_cmp_ge_f32_e64 s[4:5], 0, v9
	s_nop 1
	v_cndmask_b32_e64 v4, v4, v7, s[4:5]
	v_cmp_lt_f32_e64 s[4:5], 0, v10
	s_nop 1
	v_cndmask_b32_e64 v4, v4, v8, s[4:5]
	v_mul_f32_e32 v7, 0x37800000, v4
	v_cndmask_b32_e32 v4, v4, v7, vcc
	v_cmp_class_f32_e32 vcc, v2, v1
	s_nop 1
	v_cndmask_b32_e32 v4, v4, v2, vcc
	s_mov_b64 vcc, s[2:3]
	s_cbranch_vccz .LBB67_6
; %bb.5:
	s_load_dword s2, s[10:11], 0x0
	s_waitcnt lgkmcnt(0)
	v_add_f32_e32 v4, s2, v4
.LBB67_6:
	v_mul_f32_e32 v2, 0x3fb8aa3b, v3
	v_exp_f32_e32 v2, v2
	s_nop 0
	v_add_f32_e32 v2, 1.0, v2
	v_cmp_gt_f32_e32 vcc, s14, v2
	s_nop 1
	v_cndmask_b32_e32 v6, 1.0, v6, vcc
	v_mul_f32_e32 v2, v2, v6
	v_log_f32_e32 v2, v2
	v_cndmask_b32_e32 v5, 0, v5, vcc
	v_mul_f32_e32 v6, 0x3f317217, v2
	v_fma_f32 v6, v2, s7, -v6
	v_fmac_f32_e32 v6, 0x3377d1cf, v2
	v_fmac_f32_e32 v6, 0x3f317217, v2
	v_cmp_lt_f32_e64 vcc, |v2|, s12
	s_nop 1
	v_cndmask_b32_e32 v2, v2, v6, vcc
	v_sub_f32_e32 v2, v2, v5
	v_cmp_lt_f32_e32 vcc, s6, v3
	s_nop 1
	v_cndmask_b32_e32 v2, v2, v3, vcc
	v_mul_f32_e32 v3, 0x4f800000, v2
	v_cmp_gt_f32_e32 vcc, s13, v2
	s_nop 1
	v_cndmask_b32_e32 v2, v2, v3, vcc
	v_sqrt_f32_e32 v3, v2
	s_nop 0
	v_add_u32_e32 v5, -1, v3
	v_add_u32_e32 v6, 1, v3
	v_fma_f32 v7, -v5, v3, v2
	v_fma_f32 v8, -v6, v3, v2
	v_cmp_ge_f32_e64 s[2:3], 0, v7
	s_nop 1
	v_cndmask_b32_e64 v3, v3, v5, s[2:3]
	v_cmp_lt_f32_e64 s[2:3], 0, v8
	s_nop 1
	v_cndmask_b32_e64 v3, v3, v6, s[2:3]
	v_mul_f32_e32 v5, 0x37800000, v3
	v_cndmask_b32_e32 v3, v3, v5, vcc
	v_cmp_class_f32_e64 s[2:3], v2, v1
	s_andn2_b64 vcc, exec, s[20:21]
	s_nop 0
	v_cndmask_b32_e64 v1, v3, v2, s[2:3]
	s_cbranch_vccnz .LBB67_8
; %bb.7:
	s_load_dword s2, s[10:11], 0x4
	s_waitcnt lgkmcnt(0)
	v_add_f32_e32 v1, s2, v1
.LBB67_8:
	s_load_dwordx4 s[4:7], s[0:1], 0x30
	s_mov_b32 s25, 0
	s_waitcnt lgkmcnt(0)
	s_bitcmp1_b32 s7, 0
	s_cselect_b64 s[2:3], -1, 0
	s_cmp_gt_i32 s4, 0
	s_cselect_b64 s[22:23], -1, 0
	s_and_b64 vcc, exec, s[22:23]
	v_mul_lo_u32 v2, v0, s4
	s_cbranch_vccz .LBB67_15
; %bb.9:
	s_load_dwordx4 s[12:15], s[0:1], 0x20
	v_mov_b32_e32 v3, 0
	v_mov_b32_e32 v5, 0xc61c4000
	s_branch .LBB67_11
.LBB67_10:                              ;   in Loop: Header=BB67_11 Depth=1
	v_add_u32_e32 v8, s25, v2
	v_ashrrev_i32_e32 v9, 31, v8
	v_cmp_le_i32_e32 vcc, s5, v6
	v_cmp_gt_i32_e64 s[0:1], s6, v6
	v_lshlrev_b64 v[8:9], 2, v[8:9]
	s_and_b64 s[0:1], vcc, s[0:1]
	v_lshl_add_u64 v[10:11], s[16:17], 0, v[8:9]
	global_store_dword v[10:11], v7, off
	v_subrev_u32_e32 v10, s5, v6
	s_and_b64 vcc, s[18:19], s[0:1]
	v_cndmask_b32_e32 v12, 2, v10, vcc
	v_add_f32_e32 v7, v3, v7
	s_add_i32 s25, s25, 1
	v_cmp_ne_u32_e32 vcc, 0, v6
	v_cndmask_b32_e64 v3, v3, v7, s[2:3]
	s_cmp_lt_i32 s25, s4
	v_cndmask_b32_e32 v7, v5, v4, vcc
	v_cmp_ne_u32_e32 vcc, 1, v6
	s_waitcnt lgkmcnt(0)
	v_lshl_add_u64 v[10:11], s[12:13], 0, v[8:9]
	v_lshl_add_u64 v[8:9], s[14:15], 0, v[8:9]
	v_cndmask_b32_e32 v6, v5, v1, vcc
	s_cselect_b64 vcc, -1, 0
	global_store_dword v[10:11], v12, off
	global_store_dword v[8:9], v0, off
	v_cndmask_b32_e32 v1, v1, v6, vcc
	v_cndmask_b32_e32 v4, v4, v7, vcc
	s_cmp_lg_u32 s4, s25
	v_add_u32_e32 v0, s24, v0
	s_cbranch_scc0 .LBB67_16
.LBB67_11:                              ; =>This Inner Loop Header: Depth=1
	v_cmp_gt_f32_e32 vcc, v1, v4
	s_and_b64 s[0:1], exec, s[20:21]
	s_nop 0
	v_cndmask_b32_e32 v8, v4, v1, vcc
	v_cndmask_b32_e64 v6, 0, 1, vcc
	s_mov_b64 vcc, s[0:1]
	s_cbranch_vccz .LBB67_13
; %bb.12:                               ;   in Loop: Header=BB67_11 Depth=1
	v_lshlrev_b32_e32 v7, 2, v6
	global_load_dword v7, v7, s[10:11]
	s_waitcnt vmcnt(0)
	v_sub_f32_e32 v7, v8, v7
	s_cbranch_execnz .LBB67_10
	s_branch .LBB67_14
.LBB67_13:                              ;   in Loop: Header=BB67_11 Depth=1
                                        ; implicit-def: $vgpr7
.LBB67_14:                              ;   in Loop: Header=BB67_11 Depth=1
	v_mov_b32_e32 v7, v8
	s_branch .LBB67_10
.LBB67_15:
	v_mov_b32_e32 v3, 0
.LBB67_16:
	s_andn2_b64 vcc, exec, s[2:3]
	v_cvt_f32_f64_e32 v0, s[8:9]
	s_cbranch_vccnz .LBB67_18
; %bb.17:
	v_cmp_lt_f32_e32 vcc, 0, v3
	s_nop 1
	v_cndmask_b32_e32 v1, 1.0, v3, vcc
	v_div_scale_f32 v3, s[0:1], v1, v1, v0
	v_rcp_f32_e32 v4, v3
	s_nop 0
	v_fma_f32 v5, -v3, v4, 1.0
	v_fmac_f32_e32 v4, v5, v4
	v_div_scale_f32 v5, vcc, v0, v1, v0
	v_mul_f32_e32 v6, v5, v4
	v_fma_f32 v7, -v3, v6, v5
	v_fmac_f32_e32 v6, v7, v4
	v_fma_f32 v3, -v3, v6, v5
	v_div_fmas_f32 v3, v3, v4, v6
	v_div_fixup_f32 v0, v3, v1, v0
.LBB67_18:
	s_andn2_b64 vcc, exec, s[22:23]
	s_cbranch_vccnz .LBB67_28
; %bb.19:
	s_cmp_gt_u32 s4, 3
	v_ashrrev_i32_e32 v3, 31, v2
	s_cbranch_scc0 .LBB67_23
; %bb.20:
	s_and_b32 s0, s4, 0x7ffffffc
	v_lshl_add_u64 v[4:5], v[2:3], 2, s[16:17]
	v_mov_b32_e32 v1, v0
	v_lshl_add_u64 v[4:5], v[4:5], 0, 8
	s_mov_b32 s1, s0
.LBB67_21:                              ; =>This Inner Loop Header: Depth=1
	global_load_dwordx4 v[6:9], v[4:5], off offset:-8
	s_add_i32 s1, s1, -4
	s_cmp_lg_u32 s1, 0
	s_waitcnt vmcnt(0)
	v_pk_mul_f32 v[6:7], v[0:1], v[6:7]
	v_pk_mul_f32 v[8:9], v[0:1], v[8:9]
	global_store_dwordx4 v[4:5], v[6:9], off offset:-8
	v_lshl_add_u64 v[4:5], v[4:5], 0, 16
	s_cbranch_scc1 .LBB67_21
; %bb.22:
	s_cmp_lg_u32 s0, s4
	s_cselect_b64 s[2:3], -1, 0
	s_branch .LBB67_25
.LBB67_23:
	s_mov_b64 s[2:3], 0
                                        ; implicit-def: $sgpr0
	s_cbranch_execz .LBB67_25
; %bb.24:
	s_mov_b64 s[2:3], -1
	s_mov_b32 s0, 0
.LBB67_25:
	s_andn2_b64 vcc, exec, s[2:3]
	s_cbranch_vccnz .LBB67_28
; %bb.26:
	s_mov_b32 s1, 0
	v_lshl_add_u64 v[2:3], v[2:3], 0, s[0:1]
	s_sub_i32 s2, s4, s0
	v_lshl_add_u64 v[2:3], v[2:3], 2, s[16:17]
.LBB67_27:                              ; =>This Inner Loop Header: Depth=1
	global_load_dword v1, v[2:3], off
	s_add_i32 s2, s2, -1
	s_cmp_lg_u32 s2, 0
	s_waitcnt vmcnt(0)
	v_mul_f32_e32 v1, v0, v1
	global_store_dword v[2:3], v1, off
	v_lshl_add_u64 v[2:3], v[2:3], 0, 4
	s_cbranch_scc1 .LBB67_27
.LBB67_28:
	s_endpgm
	.section	.rodata,"a",@progbits
	.p2align	6, 0x0
	.amdhsa_kernel _ZN4vllm3moe22topkGatingSoftplusSqrtILi2ELi2ELi4ELi8ELi32ELb0EjfEEvPKT6_PKbPfiPT5_PiiiibdPKfPKS8_SE_
		.amdhsa_group_segment_fixed_size 0
		.amdhsa_private_segment_fixed_size 0
		.amdhsa_kernarg_size 96
		.amdhsa_user_sgpr_count 2
		.amdhsa_user_sgpr_dispatch_ptr 0
		.amdhsa_user_sgpr_queue_ptr 0
		.amdhsa_user_sgpr_kernarg_segment_ptr 1
		.amdhsa_user_sgpr_dispatch_id 0
		.amdhsa_user_sgpr_kernarg_preload_length 0
		.amdhsa_user_sgpr_kernarg_preload_offset 0
		.amdhsa_user_sgpr_private_segment_size 0
		.amdhsa_uses_dynamic_stack 0
		.amdhsa_enable_private_segment 0
		.amdhsa_system_sgpr_workgroup_id_x 1
		.amdhsa_system_sgpr_workgroup_id_y 0
		.amdhsa_system_sgpr_workgroup_id_z 0
		.amdhsa_system_sgpr_workgroup_info 0
		.amdhsa_system_vgpr_workitem_id 1
		.amdhsa_next_free_vgpr 13
		.amdhsa_next_free_sgpr 26
		.amdhsa_accum_offset 16
		.amdhsa_reserve_vcc 1
		.amdhsa_float_round_mode_32 0
		.amdhsa_float_round_mode_16_64 0
		.amdhsa_float_denorm_mode_32 3
		.amdhsa_float_denorm_mode_16_64 3
		.amdhsa_dx10_clamp 1
		.amdhsa_ieee_mode 1
		.amdhsa_fp16_overflow 0
		.amdhsa_tg_split 0
		.amdhsa_exception_fp_ieee_invalid_op 0
		.amdhsa_exception_fp_denorm_src 0
		.amdhsa_exception_fp_ieee_div_zero 0
		.amdhsa_exception_fp_ieee_overflow 0
		.amdhsa_exception_fp_ieee_underflow 0
		.amdhsa_exception_fp_ieee_inexact 0
		.amdhsa_exception_int_div_zero 0
	.end_amdhsa_kernel
	.section	.text._ZN4vllm3moe22topkGatingSoftplusSqrtILi2ELi2ELi4ELi8ELi32ELb0EjfEEvPKT6_PKbPfiPT5_PiiiibdPKfPKS8_SE_,"axG",@progbits,_ZN4vllm3moe22topkGatingSoftplusSqrtILi2ELi2ELi4ELi8ELi32ELb0EjfEEvPKT6_PKbPfiPT5_PiiiibdPKfPKS8_SE_,comdat
.Lfunc_end67:
	.size	_ZN4vllm3moe22topkGatingSoftplusSqrtILi2ELi2ELi4ELi8ELi32ELb0EjfEEvPKT6_PKbPfiPT5_PiiiibdPKfPKS8_SE_, .Lfunc_end67-_ZN4vllm3moe22topkGatingSoftplusSqrtILi2ELi2ELi4ELi8ELi32ELb0EjfEEvPKT6_PKbPfiPT5_PiiiibdPKfPKS8_SE_
                                        ; -- End function
	.section	.AMDGPU.csdata,"",@progbits
; Kernel info:
; codeLenInByte = 1376
; NumSgprs: 32
; NumVgprs: 13
; NumAgprs: 0
; TotalNumVgprs: 13
; ScratchSize: 0
; MemoryBound: 0
; FloatMode: 240
; IeeeMode: 1
; LDSByteSize: 0 bytes/workgroup (compile time only)
; SGPRBlocks: 3
; VGPRBlocks: 1
; NumSGPRsForWavesPerEU: 32
; NumVGPRsForWavesPerEU: 13
; AccumOffset: 16
; Occupancy: 8
; WaveLimiterHint : 0
; COMPUTE_PGM_RSRC2:SCRATCH_EN: 0
; COMPUTE_PGM_RSRC2:USER_SGPR: 2
; COMPUTE_PGM_RSRC2:TRAP_HANDLER: 0
; COMPUTE_PGM_RSRC2:TGID_X_EN: 1
; COMPUTE_PGM_RSRC2:TGID_Y_EN: 0
; COMPUTE_PGM_RSRC2:TGID_Z_EN: 0
; COMPUTE_PGM_RSRC2:TIDIG_COMP_CNT: 1
; COMPUTE_PGM_RSRC3_GFX90A:ACCUM_OFFSET: 3
; COMPUTE_PGM_RSRC3_GFX90A:TG_SPLIT: 0
	.section	.text._ZN4vllm3moe22topkGatingSoftplusSqrtILi4ELi4ELi4ELi16ELi64ELb1EjfEEvPKT6_PKbPfiPT5_PiiiibdPKfPKS8_SE_,"axG",@progbits,_ZN4vllm3moe22topkGatingSoftplusSqrtILi4ELi4ELi4ELi16ELi64ELb1EjfEEvPKT6_PKbPfiPT5_PiiiibdPKfPKS8_SE_,comdat
	.protected	_ZN4vllm3moe22topkGatingSoftplusSqrtILi4ELi4ELi4ELi16ELi64ELb1EjfEEvPKT6_PKbPfiPT5_PiiiibdPKfPKS8_SE_ ; -- Begin function _ZN4vllm3moe22topkGatingSoftplusSqrtILi4ELi4ELi4ELi16ELi64ELb1EjfEEvPKT6_PKbPfiPT5_PiiiibdPKfPKS8_SE_
	.globl	_ZN4vllm3moe22topkGatingSoftplusSqrtILi4ELi4ELi4ELi16ELi64ELb1EjfEEvPKT6_PKbPfiPT5_PiiiibdPKfPKS8_SE_
	.p2align	8
	.type	_ZN4vllm3moe22topkGatingSoftplusSqrtILi4ELi4ELi4ELi16ELi64ELb1EjfEEvPKT6_PKbPfiPT5_PiiiibdPKfPKS8_SE_,@function
_ZN4vllm3moe22topkGatingSoftplusSqrtILi4ELi4ELi4ELi16ELi64ELb1EjfEEvPKT6_PKbPfiPT5_PiiiibdPKfPKS8_SE_: ; @_ZN4vllm3moe22topkGatingSoftplusSqrtILi4ELi4ELi4ELi16ELi64ELb1EjfEEvPKT6_PKbPfiPT5_PiiiibdPKfPKS8_SE_
; %bb.0:
	s_load_dword s5, s[2:3], 0x18
	v_bfe_u32 v5, v0, 10, 10
	v_and_b32_e32 v4, 0x3ff, v0
	s_lshl_b32 s4, s4, 8
	v_lshlrev_b32_e32 v1, 6, v5
	v_add3_u32 v2, v1, v4, s4
	s_waitcnt lgkmcnt(0)
	v_cmp_gt_i32_e32 vcc, s5, v2
	s_and_saveexec_b64 s[4:5], vcc
	s_cbranch_execz .LBB68_57
; %bb.1:
	s_load_dwordx2 s[4:5], s[2:3], 0x0
	s_load_dword s16, s[2:3], 0x30
	v_lshlrev_b32_e32 v6, 2, v2
	v_ashrrev_i32_e32 v7, 31, v6
	s_load_dwordx4 s[8:11], s[2:3], 0x50
	s_waitcnt lgkmcnt(0)
	v_lshl_add_u64 v[6:7], v[6:7], 2, s[4:5]
	global_load_dwordx4 v[6:9], v[6:7], off
	v_ashrrev_i32_e32 v3, 31, v2
	s_load_dwordx2 s[0:1], s[0:1], 0x4
	v_mov_b32_e32 v10, s8
	v_mov_b32_e32 v11, s9
	v_lshl_add_u64 v[10:11], v[2:3], 2, v[10:11]
	global_load_dword v3, v[10:11], off
	s_waitcnt lgkmcnt(0)
	s_lshr_b32 s0, s0, 16
	s_mul_i32 s0, s0, s1
	v_mul_lo_u32 v4, s0, v4
	v_mad_u32_u24 v10, v5, s1, v4
	s_mov_b32 s6, 0x800000
	v_bfe_u32 v0, v0, 20, 10
	v_mov_b32_e32 v11, 0x4f800000
	v_add_lshl_u32 v10, v10, v0, 4
	s_mov_b32 s12, 0x3f317217
	s_mov_b32 s13, 0x7f800000
	v_mov_b32_e32 v14, 0x41b17218
	s_mov_b32 s9, 0x41a00000
	s_mov_b32 s14, 0xf800000
	v_mov_b32_e32 v15, 0x260
	v_mov_b32_e32 v1, 0
	s_cmp_gt_i32 s16, 0
	s_mov_b32 s8, 0
	v_mul_lo_u32 v2, v2, s16
	s_waitcnt vmcnt(1)
	v_mul_f32_e32 v4, 0x3fb8aa3b, v6
	v_mul_f32_e32 v5, 0x3fb8aa3b, v7
	v_exp_f32_e32 v4, v4
	v_exp_f32_e32 v5, v5
	v_mul_f32_e32 v12, 0x3fb8aa3b, v8
	v_mul_f32_e32 v13, 0x3fb8aa3b, v9
	v_exp_f32_e32 v12, v12
	v_exp_f32_e32 v13, v13
	v_pk_add_f32 v[4:5], v[4:5], 1.0 op_sel_hi:[1,0]
	s_waitcnt vmcnt(0)
	v_mul_lo_u32 v0, v3, s16
	v_cmp_gt_f32_e32 vcc, s6, v5
	v_pk_add_f32 v[12:13], v[12:13], 1.0 op_sel_hi:[1,0]
	v_cmp_gt_f32_e64 s[0:1], s6, v4
	v_cndmask_b32_e32 v3, 1.0, v11, vcc
	v_cmp_gt_f32_e64 s[4:5], s6, v13
	v_cndmask_b32_e64 v16, 1.0, v11, s[0:1]
	v_mul_f32_e32 v3, v5, v3
	v_cndmask_b32_e64 v17, 1.0, v11, s[4:5]
	v_cmp_gt_f32_e64 s[6:7], s6, v12
	v_mul_f32_e32 v4, v4, v16
	v_log_f32_e32 v3, v3
	v_cndmask_b32_e64 v11, 1.0, v11, s[6:7]
	v_mul_f32_e32 v13, v13, v17
	v_log_f32_e32 v4, v4
	v_mul_f32_e32 v11, v12, v11
	v_log_f32_e32 v12, v13
	v_mul_f32_e32 v13, 0x3f317217, v3
	v_mul_f32_e32 v18, 0x3f317217, v4
	v_fma_f32 v13, v3, s12, -v13
	v_mul_f32_e32 v19, 0x3f317217, v12
	v_fma_f32 v18, v4, s12, -v18
	v_fmac_f32_e32 v13, 0x3377d1cf, v3
	v_cndmask_b32_e32 v5, 0, v14, vcc
	v_fma_f32 v19, v12, s12, -v19
	v_fmac_f32_e32 v18, 0x3377d1cf, v4
	v_fmac_f32_e32 v13, 0x3f317217, v3
	v_cmp_lt_f32_e64 vcc, |v3|, s13
	v_fmac_f32_e32 v19, 0x3377d1cf, v12
	v_fmac_f32_e32 v18, 0x3f317217, v4
	v_cndmask_b32_e32 v3, v3, v13, vcc
	v_cmp_lt_f32_e64 vcc, |v4|, s13
	v_cndmask_b32_e64 v16, 0, v14, s[0:1]
	v_fmac_f32_e32 v19, 0x3f317217, v12
	v_cndmask_b32_e32 v4, v4, v18, vcc
	v_cmp_lt_f32_e64 vcc, |v12|, s13
	v_sub_f32_e32 v4, v4, v16
	v_sub_f32_e32 v3, v3, v5
	v_cndmask_b32_e32 v12, v12, v19, vcc
	v_cmp_lt_f32_e32 vcc, s9, v6
	v_cndmask_b32_e64 v17, 0, v14, s[4:5]
	v_log_f32_e32 v11, v11
	v_cndmask_b32_e32 v4, v4, v6, vcc
	v_cmp_lt_f32_e32 vcc, s9, v7
	v_mul_f32_e32 v6, 0x4f800000, v4
	v_cmp_gt_f32_e64 s[0:1], s14, v4
	v_cndmask_b32_e32 v3, v3, v7, vcc
	v_mul_f32_e32 v5, 0x4f800000, v3
	v_cmp_gt_f32_e32 vcc, s14, v3
	v_cndmask_b32_e64 v4, v4, v6, s[0:1]
	v_sqrt_f32_e32 v6, v4
	v_cndmask_b32_e32 v3, v3, v5, vcc
	v_sqrt_f32_e32 v5, v3
	v_sub_f32_e32 v7, v12, v17
	v_add_u32_e32 v16, -1, v6
	v_fma_f32 v21, -v16, v6, v4
	v_add_u32_e32 v12, -1, v5
	v_fma_f32 v18, -v12, v5, v3
	v_add_u32_e32 v13, 1, v5
	v_cmp_ge_f32_e64 s[4:5], 0, v18
	v_add_u32_e32 v17, 1, v6
	v_fma_f32 v19, -v13, v5, v3
	v_cndmask_b32_e64 v5, v5, v12, s[4:5]
	v_cmp_ge_f32_e64 s[4:5], 0, v21
	v_fma_f32 v22, -v17, v6, v4
	v_mul_f32_e32 v20, 0x3f317217, v11
	v_cndmask_b32_e64 v6, v6, v16, s[4:5]
	v_cmp_lt_f32_e64 s[4:5], 0, v19
	v_fma_f32 v20, v11, s12, -v20
	v_fmac_f32_e32 v20, 0x3377d1cf, v11
	v_cndmask_b32_e64 v5, v5, v13, s[4:5]
	v_cmp_lt_f32_e64 s[4:5], 0, v22
	v_mul_f32_e32 v12, 0x37800000, v5
	v_cndmask_b32_e32 v5, v5, v12, vcc
	v_cndmask_b32_e64 v6, v6, v17, s[4:5]
	v_mul_f32_e32 v13, 0x37800000, v6
	v_cmp_class_f32_e32 vcc, v3, v15
	v_cndmask_b32_e64 v6, v6, v13, s[0:1]
	v_fmac_f32_e32 v20, 0x3f317217, v11
	v_cndmask_b32_e32 v5, v5, v3, vcc
	v_cmp_class_f32_e32 vcc, v4, v15
	v_cmp_lt_f32_e64 s[0:1], s9, v8
	s_nop 0
	v_cndmask_b32_e32 v4, v6, v4, vcc
	v_cmp_lt_f32_e64 vcc, |v11|, s13
	v_cndmask_b32_e64 v6, 0, v14, s[6:7]
	s_nop 0
	v_cndmask_b32_e32 v3, v11, v20, vcc
	v_cmp_lt_f32_e32 vcc, s9, v9
	v_sub_f32_e32 v3, v3, v6
	v_cndmask_b32_e64 v3, v3, v8, s[0:1]
	v_cndmask_b32_e32 v7, v7, v9, vcc
	v_mul_f32_e32 v9, 0x4f800000, v7
	v_cmp_gt_f32_e32 vcc, s14, v7
	s_nop 1
	v_cndmask_b32_e32 v7, v7, v9, vcc
	v_sqrt_f32_e32 v9, v7
	s_nop 0
	v_add_u32_e32 v6, -1, v9
	v_fma_f32 v8, -v6, v9, v7
	v_cmp_ge_f32_e64 s[0:1], 0, v8
	v_add_u32_e32 v8, 1, v9
	s_nop 0
	v_cndmask_b32_e64 v6, v9, v6, s[0:1]
	v_fma_f32 v9, -v8, v9, v7
	v_cmp_lt_f32_e64 s[0:1], 0, v9
	v_mul_f32_e32 v9, 0x4f800000, v3
	s_nop 0
	v_cndmask_b32_e64 v6, v6, v8, s[0:1]
	v_cmp_gt_f32_e64 s[0:1], s14, v3
	v_mul_f32_e32 v8, 0x37800000, v6
	v_cndmask_b32_e32 v6, v6, v8, vcc
	v_cndmask_b32_e64 v3, v3, v9, s[0:1]
	v_sqrt_f32_e32 v9, v3
	v_cmp_class_f32_e32 vcc, v7, v15
	s_nop 1
	v_cndmask_b32_e32 v7, v6, v7, vcc
	v_add_u32_e32 v6, -1, v9
	v_fma_f32 v8, -v6, v9, v3
	v_cmp_ge_f32_e32 vcc, 0, v8
	v_add_u32_e32 v8, 1, v9
	s_nop 0
	v_cndmask_b32_e32 v6, v9, v6, vcc
	v_fma_f32 v9, -v8, v9, v3
	v_cmp_lt_f32_e32 vcc, 0, v9
	s_nop 1
	v_cndmask_b32_e32 v6, v6, v8, vcc
	v_mul_f32_e32 v8, 0x37800000, v6
	v_cndmask_b32_e64 v6, v6, v8, s[0:1]
	v_cmp_class_f32_e32 vcc, v3, v15
	s_cselect_b64 s[0:1], -1, 0
	s_cmp_lt_i32 s16, 1
	v_cndmask_b32_e32 v6, v6, v3, vcc
	ds_write_b128 v10, v[4:7]
	v_lshl_add_u64 v[4:5], v[0:1], 2, s[10:11]
	s_cbranch_scc1 .LBB68_21
; %bb.2:
	s_load_dwordx2 s[4:5], s[2:3], 0x20
	s_cmp_lt_u32 s16, 4
	s_cbranch_scc1 .LBB68_22
; %bb.3:
	s_mov_b32 s7, 0
	s_and_b32 s8, s16, 0x7ffffffc
	v_ashrrev_i32_e32 v3, 31, v2
	v_mov_b32_e32 v11, 0
	s_mov_b32 s6, s7
	s_branch .LBB68_5
.LBB68_4:                               ;   in Loop: Header=BB68_5 Depth=1
	s_or_b64 exec, exec, s[12:13]
	s_add_i32 s6, s6, 4
	s_cmp_eq_u32 s6, s8
	s_cbranch_scc1 .LBB68_23
.LBB68_5:                               ; =>This Loop Header: Depth=1
                                        ;     Child Loop BB68_7 Depth 2
                                        ;     Child Loop BB68_11 Depth 2
	;; [unrolled: 1-line block ×4, first 2 shown]
	v_lshl_add_u64 v[6:7], s[6:7], 2, v[4:5]
	global_load_dword v12, v[6:7], off
	v_add_u32_e32 v8, s6, v2
	v_ashrrev_i32_e32 v9, 31, v8
	s_mov_b64 s[12:13], 0
	s_waitcnt lgkmcnt(0)
	v_lshl_add_u64 v[8:9], v[8:9], 2, s[4:5]
	s_mov_b32 s9, 0
	s_waitcnt vmcnt(0)
	v_min_u32_e32 v14, 3, v12
	v_lshl_add_u32 v13, v12, 2, v10
	v_add_u32_e32 v14, 1, v14
	s_branch .LBB68_7
.LBB68_6:                               ;   in Loop: Header=BB68_7 Depth=2
	s_or_b64 exec, exec, s[14:15]
	s_add_i32 s9, s9, 1
	v_cmp_eq_u32_e32 vcc, s9, v14
	s_or_b64 s[12:13], vcc, s[12:13]
	s_andn2_b64 exec, exec, s[12:13]
	s_cbranch_execz .LBB68_9
.LBB68_7:                               ;   Parent Loop BB68_5 Depth=1
                                        ; =>  This Inner Loop Header: Depth=2
	v_cmp_eq_u32_e32 vcc, s9, v12
	s_and_saveexec_b64 s[14:15], vcc
	s_cbranch_execz .LBB68_6
; %bb.8:                                ;   in Loop: Header=BB68_7 Depth=2
	ds_read_b32 v15, v13
	global_store_dword v[8:9], v12, off
	s_waitcnt lgkmcnt(0)
	v_add_f32_e32 v11, v11, v15
	s_branch .LBB68_6
.LBB68_9:                               ;   in Loop: Header=BB68_5 Depth=1
	s_or_b64 exec, exec, s[12:13]
	global_load_dword v12, v[6:7], off offset:4
	s_ashr_i32 s13, s6, 31
	s_mov_b32 s12, s6
	v_lshl_add_u64 v[8:9], s[12:13], 0, v[2:3]
	s_mov_b32 s9, 0
	v_lshl_add_u64 v[8:9], v[8:9], 2, s[4:5]
	s_mov_b64 s[12:13], 0
	s_waitcnt vmcnt(0)
	v_min_u32_e32 v14, 3, v12
	v_lshl_add_u32 v13, v12, 2, v10
	v_add_u32_e32 v14, 1, v14
	s_branch .LBB68_11
.LBB68_10:                              ;   in Loop: Header=BB68_11 Depth=2
	s_or_b64 exec, exec, s[14:15]
	s_add_i32 s9, s9, 1
	v_cmp_eq_u32_e32 vcc, s9, v14
	s_or_b64 s[12:13], vcc, s[12:13]
	s_andn2_b64 exec, exec, s[12:13]
	s_cbranch_execz .LBB68_13
.LBB68_11:                              ;   Parent Loop BB68_5 Depth=1
                                        ; =>  This Inner Loop Header: Depth=2
	v_cmp_eq_u32_e32 vcc, s9, v12
	s_and_saveexec_b64 s[14:15], vcc
	s_cbranch_execz .LBB68_10
; %bb.12:                               ;   in Loop: Header=BB68_11 Depth=2
	ds_read_b32 v15, v13
	global_store_dword v[8:9], v12, off offset:4
	s_waitcnt lgkmcnt(0)
	v_add_f32_e32 v11, v11, v15
	s_branch .LBB68_10
.LBB68_13:                              ;   in Loop: Header=BB68_5 Depth=1
	s_or_b64 exec, exec, s[12:13]
	global_load_dword v12, v[6:7], off offset:8
	s_mov_b32 s9, 0
	s_mov_b64 s[12:13], 0
	s_waitcnt vmcnt(0)
	v_min_u32_e32 v14, 3, v12
	v_lshl_add_u32 v13, v12, 2, v10
	v_add_u32_e32 v14, 1, v14
	s_branch .LBB68_15
.LBB68_14:                              ;   in Loop: Header=BB68_15 Depth=2
	s_or_b64 exec, exec, s[14:15]
	s_add_i32 s9, s9, 1
	v_cmp_eq_u32_e32 vcc, s9, v14
	s_or_b64 s[12:13], vcc, s[12:13]
	s_andn2_b64 exec, exec, s[12:13]
	s_cbranch_execz .LBB68_17
.LBB68_15:                              ;   Parent Loop BB68_5 Depth=1
                                        ; =>  This Inner Loop Header: Depth=2
	v_cmp_eq_u32_e32 vcc, s9, v12
	s_and_saveexec_b64 s[14:15], vcc
	s_cbranch_execz .LBB68_14
; %bb.16:                               ;   in Loop: Header=BB68_15 Depth=2
	ds_read_b32 v15, v13
	global_store_dword v[8:9], v12, off offset:8
	s_waitcnt lgkmcnt(0)
	v_add_f32_e32 v11, v11, v15
	s_branch .LBB68_14
.LBB68_17:                              ;   in Loop: Header=BB68_5 Depth=1
	s_or_b64 exec, exec, s[12:13]
	global_load_dword v6, v[6:7], off offset:12
	s_mov_b32 s9, 0
	s_mov_b64 s[12:13], 0
	s_waitcnt vmcnt(0)
	v_min_u32_e32 v12, 3, v6
	v_lshl_add_u32 v7, v6, 2, v10
	v_add_u32_e32 v12, 1, v12
	s_branch .LBB68_19
.LBB68_18:                              ;   in Loop: Header=BB68_19 Depth=2
	s_or_b64 exec, exec, s[14:15]
	s_add_i32 s9, s9, 1
	v_cmp_eq_u32_e32 vcc, s9, v12
	s_or_b64 s[12:13], vcc, s[12:13]
	s_andn2_b64 exec, exec, s[12:13]
	s_cbranch_execz .LBB68_4
.LBB68_19:                              ;   Parent Loop BB68_5 Depth=1
                                        ; =>  This Inner Loop Header: Depth=2
	v_cmp_eq_u32_e32 vcc, s9, v6
	s_and_saveexec_b64 s[14:15], vcc
	s_cbranch_execz .LBB68_18
; %bb.20:                               ;   in Loop: Header=BB68_19 Depth=2
	ds_read_b32 v13, v7
	global_store_dword v[8:9], v6, off offset:12
	s_waitcnt lgkmcnt(0)
	v_add_f32_e32 v11, v11, v13
	s_branch .LBB68_18
.LBB68_21:
	v_mov_b32_e32 v11, v1
	s_branch .LBB68_30
.LBB68_22:
	v_mov_b32_e32 v11, v1
.LBB68_23:
	s_and_b32 s14, s16, 3
	s_cmp_eq_u32 s14, 0
	s_mov_b32 s9, 0
	s_cbranch_scc1 .LBB68_30
; %bb.24:
	s_mov_b32 s15, s9
	s_branch .LBB68_26
.LBB68_25:                              ;   in Loop: Header=BB68_26 Depth=1
	s_or_b64 exec, exec, s[6:7]
	s_add_i32 s8, s8, 1
	s_add_i32 s15, s15, 1
	s_cmp_lg_u32 s15, s14
	s_cbranch_scc0 .LBB68_30
.LBB68_26:                              ; =>This Loop Header: Depth=1
                                        ;     Child Loop BB68_28 Depth 2
	v_lshl_add_u64 v[6:7], s[8:9], 2, v[4:5]
	global_load_dword v3, v[6:7], off
	v_add_u32_e32 v6, s8, v2
	v_ashrrev_i32_e32 v7, 31, v6
	s_mov_b32 s17, 0
	s_waitcnt lgkmcnt(0)
	v_lshl_add_u64 v[6:7], v[6:7], 2, s[4:5]
	s_mov_b64 s[6:7], 0
	s_waitcnt vmcnt(0)
	v_min_u32_e32 v9, 3, v3
	v_lshl_add_u32 v8, v3, 2, v10
	v_add_u32_e32 v9, 1, v9
	s_branch .LBB68_28
.LBB68_27:                              ;   in Loop: Header=BB68_28 Depth=2
	s_or_b64 exec, exec, s[12:13]
	s_add_i32 s17, s17, 1
	v_cmp_eq_u32_e32 vcc, s17, v9
	s_or_b64 s[6:7], vcc, s[6:7]
	s_andn2_b64 exec, exec, s[6:7]
	s_cbranch_execz .LBB68_25
.LBB68_28:                              ;   Parent Loop BB68_26 Depth=1
                                        ; =>  This Inner Loop Header: Depth=2
	v_cmp_eq_u32_e32 vcc, s17, v3
	s_and_saveexec_b64 s[12:13], vcc
	s_cbranch_execz .LBB68_27
; %bb.29:                               ;   in Loop: Header=BB68_28 Depth=2
	ds_read_b32 v12, v8
	global_store_dword v[6:7], v3, off
	s_waitcnt lgkmcnt(0)
	v_add_f32_e32 v11, v11, v12
	s_branch .LBB68_27
.LBB68_30:
	s_load_dword s6, s[2:3], 0x3c
	s_waitcnt lgkmcnt(0)
	s_load_dwordx2 s[4:5], s[2:3], 0x40
	s_bitcmp1_b32 s6, 0
	s_cselect_b64 s[6:7], -1, 0
	s_waitcnt lgkmcnt(0)
	v_cvt_f32_f64_e32 v12, s[4:5]
	s_and_b64 vcc, exec, s[6:7]
	s_cbranch_vccz .LBB68_32
; %bb.31:
	v_cmp_lt_f32_e32 vcc, 0, v11
	s_nop 1
	v_cndmask_b32_e32 v3, 1.0, v11, vcc
	v_div_scale_f32 v6, s[4:5], v3, v3, v12
	v_rcp_f32_e32 v7, v6
	s_nop 0
	v_fma_f32 v8, -v6, v7, 1.0
	v_fmac_f32_e32 v7, v8, v7
	v_div_scale_f32 v8, vcc, v12, v3, v12
	v_mul_f32_e32 v9, v8, v7
	v_fma_f32 v11, -v6, v9, v8
	v_fmac_f32_e32 v9, v11, v7
	v_fma_f32 v6, -v6, v9, v8
	v_div_fmas_f32 v6, v6, v7, v9
	v_div_fixup_f32 v12, v6, v3, v12
.LBB68_32:
	s_andn2_b64 vcc, exec, s[0:1]
	s_cbranch_vccnz .LBB68_57
; %bb.33:
	s_load_dwordx2 s[0:1], s[2:3], 0x10
	s_cmp_lt_u32 s16, 8
	s_mov_b32 s2, 0
	s_cbranch_scc1 .LBB68_52
; %bb.34:
	v_ashrrev_i32_e32 v3, 31, v2
	s_and_b32 s2, s16, 0x7ffffff8
	s_waitcnt lgkmcnt(0)
	v_lshl_add_u64 v[6:7], v[2:3], 2, s[0:1]
	s_mov_b32 s3, 0
	s_mov_b64 s[4:5], 0
	s_branch .LBB68_36
.LBB68_35:                              ;   in Loop: Header=BB68_36 Depth=1
	s_or_b64 exec, exec, s[6:7]
	s_add_i32 s3, s3, 8
	s_add_u32 s4, s4, 32
	s_addc_u32 s5, s5, 0
	s_cmp_eq_u32 s2, s3
	s_cbranch_scc1 .LBB68_52
.LBB68_36:                              ; =>This Inner Loop Header: Depth=1
	v_lshl_add_u64 v[8:9], v[4:5], 0, s[4:5]
	global_load_dword v3, v[8:9], off
	s_waitcnt vmcnt(0)
	v_cmp_gt_u32_e32 vcc, 4, v3
	s_and_saveexec_b64 s[6:7], vcc
	s_cbranch_execz .LBB68_38
; %bb.37:                               ;   in Loop: Header=BB68_36 Depth=1
	v_lshl_add_u32 v3, v3, 2, v10
	ds_read_b32 v3, v3
	v_add_u32_e32 v14, s3, v2
	v_ashrrev_i32_e32 v15, 31, v14
	v_lshl_add_u64 v[14:15], v[14:15], 2, s[0:1]
	s_waitcnt lgkmcnt(0)
	v_mul_f32_e32 v3, v12, v3
	global_store_dword v[14:15], v3, off
.LBB68_38:                              ;   in Loop: Header=BB68_36 Depth=1
	s_or_b64 exec, exec, s[6:7]
	global_load_dword v3, v[8:9], off offset:4
	s_waitcnt vmcnt(0)
	v_cmp_gt_u32_e32 vcc, 4, v3
	s_and_saveexec_b64 s[6:7], vcc
	s_cbranch_execz .LBB68_40
; %bb.39:                               ;   in Loop: Header=BB68_36 Depth=1
	v_lshl_add_u32 v3, v3, 2, v10
	ds_read_b32 v3, v3
	v_lshl_add_u64 v[14:15], v[6:7], 0, s[4:5]
	s_waitcnt lgkmcnt(0)
	v_mul_f32_e32 v3, v12, v3
	global_store_dword v[14:15], v3, off offset:4
.LBB68_40:                              ;   in Loop: Header=BB68_36 Depth=1
	s_or_b64 exec, exec, s[6:7]
	global_load_dword v3, v[8:9], off offset:8
	s_waitcnt vmcnt(0)
	v_cmp_gt_u32_e32 vcc, 4, v3
	s_and_saveexec_b64 s[6:7], vcc
	s_cbranch_execz .LBB68_42
; %bb.41:                               ;   in Loop: Header=BB68_36 Depth=1
	v_lshl_add_u32 v3, v3, 2, v10
	ds_read_b32 v3, v3
	v_lshl_add_u64 v[14:15], v[6:7], 0, s[4:5]
	s_waitcnt lgkmcnt(0)
	v_mul_f32_e32 v3, v12, v3
	global_store_dword v[14:15], v3, off offset:8
.LBB68_42:                              ;   in Loop: Header=BB68_36 Depth=1
	;; [unrolled: 14-line block ×6, first 2 shown]
	s_or_b64 exec, exec, s[6:7]
	global_load_dword v3, v[8:9], off offset:28
	s_waitcnt vmcnt(0)
	v_cmp_gt_u32_e32 vcc, 4, v3
	s_and_saveexec_b64 s[6:7], vcc
	s_cbranch_execz .LBB68_35
; %bb.51:                               ;   in Loop: Header=BB68_36 Depth=1
	v_lshl_add_u32 v3, v3, 2, v10
	ds_read_b32 v3, v3
	v_lshl_add_u64 v[8:9], v[6:7], 0, s[4:5]
	s_waitcnt lgkmcnt(0)
	v_mul_f32_e32 v3, v12, v3
	global_store_dword v[8:9], v3, off offset:28
	s_branch .LBB68_35
.LBB68_52:
	s_and_b32 s4, s16, 7
	s_cmp_eq_u32 s4, 0
	s_mov_b32 s3, 0
	s_cbranch_scc1 .LBB68_57
; %bb.53:
	v_add_u32_e32 v2, s2, v2
	s_lshl_b64 s[2:3], s[2:3], 2
	s_add_u32 s2, s10, s2
	s_addc_u32 s3, s11, s3
	v_lshl_add_u64 v[0:1], v[0:1], 2, s[2:3]
	s_branch .LBB68_55
.LBB68_54:                              ;   in Loop: Header=BB68_55 Depth=1
	s_or_b64 exec, exec, s[2:3]
	s_add_i32 s4, s4, -1
	v_add_u32_e32 v2, 1, v2
	s_cmp_eq_u32 s4, 0
	v_lshl_add_u64 v[0:1], v[0:1], 0, 4
	s_cbranch_scc1 .LBB68_57
.LBB68_55:                              ; =>This Inner Loop Header: Depth=1
	global_load_dword v3, v[0:1], off
	s_waitcnt vmcnt(0)
	v_cmp_gt_u32_e32 vcc, 4, v3
	s_and_saveexec_b64 s[2:3], vcc
	s_cbranch_execz .LBB68_54
; %bb.56:                               ;   in Loop: Header=BB68_55 Depth=1
	v_lshl_add_u32 v3, v3, 2, v10
	ds_read_b32 v4, v3
	v_ashrrev_i32_e32 v3, 31, v2
	s_waitcnt lgkmcnt(0)
	v_mul_f32_e32 v6, v12, v4
	v_lshl_add_u64 v[4:5], v[2:3], 2, s[0:1]
	global_store_dword v[4:5], v6, off
	s_branch .LBB68_54
.LBB68_57:
	s_endpgm
	.section	.rodata,"a",@progbits
	.p2align	6, 0x0
	.amdhsa_kernel _ZN4vllm3moe22topkGatingSoftplusSqrtILi4ELi4ELi4ELi16ELi64ELb1EjfEEvPKT6_PKbPfiPT5_PiiiibdPKfPKS8_SE_
		.amdhsa_group_segment_fixed_size 4096
		.amdhsa_private_segment_fixed_size 0
		.amdhsa_kernarg_size 96
		.amdhsa_user_sgpr_count 4
		.amdhsa_user_sgpr_dispatch_ptr 1
		.amdhsa_user_sgpr_queue_ptr 0
		.amdhsa_user_sgpr_kernarg_segment_ptr 1
		.amdhsa_user_sgpr_dispatch_id 0
		.amdhsa_user_sgpr_kernarg_preload_length 0
		.amdhsa_user_sgpr_kernarg_preload_offset 0
		.amdhsa_user_sgpr_private_segment_size 0
		.amdhsa_uses_dynamic_stack 0
		.amdhsa_enable_private_segment 0
		.amdhsa_system_sgpr_workgroup_id_x 1
		.amdhsa_system_sgpr_workgroup_id_y 0
		.amdhsa_system_sgpr_workgroup_id_z 0
		.amdhsa_system_sgpr_workgroup_info 0
		.amdhsa_system_vgpr_workitem_id 2
		.amdhsa_next_free_vgpr 23
		.amdhsa_next_free_sgpr 18
		.amdhsa_accum_offset 24
		.amdhsa_reserve_vcc 1
		.amdhsa_float_round_mode_32 0
		.amdhsa_float_round_mode_16_64 0
		.amdhsa_float_denorm_mode_32 3
		.amdhsa_float_denorm_mode_16_64 3
		.amdhsa_dx10_clamp 1
		.amdhsa_ieee_mode 1
		.amdhsa_fp16_overflow 0
		.amdhsa_tg_split 0
		.amdhsa_exception_fp_ieee_invalid_op 0
		.amdhsa_exception_fp_denorm_src 0
		.amdhsa_exception_fp_ieee_div_zero 0
		.amdhsa_exception_fp_ieee_overflow 0
		.amdhsa_exception_fp_ieee_underflow 0
		.amdhsa_exception_fp_ieee_inexact 0
		.amdhsa_exception_int_div_zero 0
	.end_amdhsa_kernel
	.section	.text._ZN4vllm3moe22topkGatingSoftplusSqrtILi4ELi4ELi4ELi16ELi64ELb1EjfEEvPKT6_PKbPfiPT5_PiiiibdPKfPKS8_SE_,"axG",@progbits,_ZN4vllm3moe22topkGatingSoftplusSqrtILi4ELi4ELi4ELi16ELi64ELb1EjfEEvPKT6_PKbPfiPT5_PiiiibdPKfPKS8_SE_,comdat
.Lfunc_end68:
	.size	_ZN4vllm3moe22topkGatingSoftplusSqrtILi4ELi4ELi4ELi16ELi64ELb1EjfEEvPKT6_PKbPfiPT5_PiiiibdPKfPKS8_SE_, .Lfunc_end68-_ZN4vllm3moe22topkGatingSoftplusSqrtILi4ELi4ELi4ELi16ELi64ELb1EjfEEvPKT6_PKbPfiPT5_PiiiibdPKfPKS8_SE_
                                        ; -- End function
	.section	.AMDGPU.csdata,"",@progbits
; Kernel info:
; codeLenInByte = 2812
; NumSgprs: 24
; NumVgprs: 23
; NumAgprs: 0
; TotalNumVgprs: 23
; ScratchSize: 0
; MemoryBound: 0
; FloatMode: 240
; IeeeMode: 1
; LDSByteSize: 4096 bytes/workgroup (compile time only)
; SGPRBlocks: 2
; VGPRBlocks: 2
; NumSGPRsForWavesPerEU: 24
; NumVGPRsForWavesPerEU: 23
; AccumOffset: 24
; Occupancy: 8
; WaveLimiterHint : 1
; COMPUTE_PGM_RSRC2:SCRATCH_EN: 0
; COMPUTE_PGM_RSRC2:USER_SGPR: 4
; COMPUTE_PGM_RSRC2:TRAP_HANDLER: 0
; COMPUTE_PGM_RSRC2:TGID_X_EN: 1
; COMPUTE_PGM_RSRC2:TGID_Y_EN: 0
; COMPUTE_PGM_RSRC2:TGID_Z_EN: 0
; COMPUTE_PGM_RSRC2:TIDIG_COMP_CNT: 2
; COMPUTE_PGM_RSRC3_GFX90A:ACCUM_OFFSET: 5
; COMPUTE_PGM_RSRC3_GFX90A:TG_SPLIT: 0
	.section	.text._ZN4vllm3moe22topkGatingSoftplusSqrtILi4ELi4ELi4ELi16ELi64ELb0EjfEEvPKT6_PKbPfiPT5_PiiiibdPKfPKS8_SE_,"axG",@progbits,_ZN4vllm3moe22topkGatingSoftplusSqrtILi4ELi4ELi4ELi16ELi64ELb0EjfEEvPKT6_PKbPfiPT5_PiiiibdPKfPKS8_SE_,comdat
	.protected	_ZN4vllm3moe22topkGatingSoftplusSqrtILi4ELi4ELi4ELi16ELi64ELb0EjfEEvPKT6_PKbPfiPT5_PiiiibdPKfPKS8_SE_ ; -- Begin function _ZN4vllm3moe22topkGatingSoftplusSqrtILi4ELi4ELi4ELi16ELi64ELb0EjfEEvPKT6_PKbPfiPT5_PiiiibdPKfPKS8_SE_
	.globl	_ZN4vllm3moe22topkGatingSoftplusSqrtILi4ELi4ELi4ELi16ELi64ELb0EjfEEvPKT6_PKbPfiPT5_PiiiibdPKfPKS8_SE_
	.p2align	8
	.type	_ZN4vllm3moe22topkGatingSoftplusSqrtILi4ELi4ELi4ELi16ELi64ELb0EjfEEvPKT6_PKbPfiPT5_PiiiibdPKfPKS8_SE_,@function
_ZN4vllm3moe22topkGatingSoftplusSqrtILi4ELi4ELi4ELi16ELi64ELb0EjfEEvPKT6_PKbPfiPT5_PiiiibdPKfPKS8_SE_: ; @_ZN4vllm3moe22topkGatingSoftplusSqrtILi4ELi4ELi4ELi16ELi64ELb0EjfEEvPKT6_PKbPfiPT5_PiiiibdPKfPKS8_SE_
; %bb.0:
	s_load_dword s24, s[2:3], 0x18
	v_bfe_u32 v4, v0, 10, 10
	v_and_b32_e32 v1, 0x3ff, v0
	s_lshl_b32 s4, s4, 8
	v_lshlrev_b32_e32 v2, 6, v4
	v_add3_u32 v2, v2, v1, s4
	s_waitcnt lgkmcnt(0)
	v_cmp_gt_i32_e32 vcc, s24, v2
	s_and_saveexec_b64 s[4:5], vcc
	s_cbranch_execz .LBB69_32
; %bb.1:
	s_load_dwordx4 s[4:7], s[2:3], 0x0
	s_load_dwordx2 s[20:21], s[2:3], 0x10
	s_waitcnt lgkmcnt(0)
	s_cmp_eq_u64 s[6:7], 0
	s_cbranch_scc1 .LBB69_3
; %bb.2:
	v_ashrrev_i32_e32 v3, 31, v2
	v_lshl_add_u64 v[6:7], s[6:7], 0, v[2:3]
	global_load_ubyte v3, v[6:7], off
	s_waitcnt vmcnt(0)
	v_and_b32_e32 v3, 1, v3
	v_cmp_eq_u32_e32 vcc, 1, v3
	s_xor_b64 s[6:7], vcc, -1
	s_orn2_b64 s[22:23], s[6:7], exec
	s_branch .LBB69_4
.LBB69_3:
	s_mov_b64 s[22:23], -1
.LBB69_4:
	v_lshlrev_b32_e32 v8, 2, v2
	v_mov_b32_e32 v6, s4
	v_mov_b32_e32 v7, s5
	v_ashrrev_i32_e32 v9, 31, v8
	v_lshl_add_u64 v[6:7], v[8:9], 2, v[6:7]
	global_load_dwordx4 v[6:9], v[6:7], off
	s_load_dwordx2 s[0:1], s[0:1], 0x4
	v_bfe_u32 v0, v0, 20, 10
	s_mov_b32 s15, 0x800000
	v_mov_b32_e32 v3, 0x4f800000
	s_mov_b32 s13, 0x3f317217
	s_waitcnt lgkmcnt(0)
	s_lshr_b32 s0, s0, 16
	s_mul_i32 s0, s0, s1
	v_mul_lo_u32 v1, s0, v1
	v_mad_u32_u24 v1, v4, s1, v1
	v_add_lshl_u32 v1, v1, v0, 4
	s_mov_b32 s14, 0x7f800000
	v_mov_b32_e32 v4, 0x41b17218
	s_mov_b32 s12, 0x41a00000
	s_mov_b32 s16, 0xf800000
	s_load_dwordx4 s[8:11], s[2:3], 0x40
	s_waitcnt lgkmcnt(0)
	s_cmp_lg_u64 s[10:11], 0
	s_cselect_b64 s[6:7], -1, 0
	s_and_b64 s[0:1], exec, s[6:7]
	s_waitcnt vmcnt(0)
	ds_write_b128 v1, v[6:9]
	ds_read_b32 v5, v1
	s_waitcnt lgkmcnt(0)
	v_mul_f32_e32 v0, 0x3fb8aa3b, v5
	v_exp_f32_e32 v0, v0
	s_nop 0
	v_add_f32_e32 v0, 1.0, v0
	v_cmp_gt_f32_e32 vcc, s15, v0
	s_nop 1
	v_cndmask_b32_e32 v6, 1.0, v3, vcc
	v_mul_f32_e32 v0, v0, v6
	v_log_f32_e32 v6, v0
	v_cndmask_b32_e32 v7, 0, v4, vcc
	v_mov_b32_e32 v0, 0x260
	v_mul_f32_e32 v8, 0x3f317217, v6
	v_fma_f32 v8, v6, s13, -v8
	v_fmac_f32_e32 v8, 0x3377d1cf, v6
	v_fmac_f32_e32 v8, 0x3f317217, v6
	v_cmp_lt_f32_e64 vcc, |v6|, s14
	s_nop 1
	v_cndmask_b32_e32 v6, v6, v8, vcc
	v_sub_f32_e32 v6, v6, v7
	v_cmp_lt_f32_e32 vcc, s12, v5
	s_nop 1
	v_cndmask_b32_e32 v5, v6, v5, vcc
	v_mul_f32_e32 v6, 0x4f800000, v5
	v_cmp_gt_f32_e32 vcc, s16, v5
	s_nop 1
	v_cndmask_b32_e32 v5, v5, v6, vcc
	v_sqrt_f32_e32 v6, v5
	s_nop 0
	v_add_u32_e32 v7, -1, v6
	v_add_u32_e32 v8, 1, v6
	v_fma_f32 v9, -v7, v6, v5
	v_fma_f32 v10, -v8, v6, v5
	v_cmp_ge_f32_e64 s[4:5], 0, v9
	s_nop 1
	v_cndmask_b32_e64 v6, v6, v7, s[4:5]
	v_cmp_lt_f32_e64 s[4:5], 0, v10
	s_nop 1
	v_cndmask_b32_e64 v6, v6, v8, s[4:5]
	v_mul_f32_e32 v7, 0x37800000, v6
	v_cndmask_b32_e32 v6, v6, v7, vcc
	v_cmp_class_f32_e32 vcc, v5, v0
	s_nop 1
	v_cndmask_b32_e32 v5, v6, v5, vcc
	s_mov_b64 vcc, s[0:1]
	s_cbranch_vccz .LBB69_6
; %bb.5:
	s_load_dword s0, s[10:11], 0x0
	s_waitcnt lgkmcnt(0)
	v_add_f32_e32 v5, s0, v5
.LBB69_6:
	ds_read_b32 v6, v1 offset:4
	ds_write_b32 v1, v5
	s_waitcnt lgkmcnt(1)
	v_mul_f32_e32 v7, 0x3fb8aa3b, v6
	v_exp_f32_e32 v7, v7
	s_nop 0
	v_add_f32_e32 v7, 1.0, v7
	v_cmp_gt_f32_e32 vcc, s15, v7
	s_nop 1
	v_cndmask_b32_e32 v3, 1.0, v3, vcc
	v_mul_f32_e32 v3, v7, v3
	v_log_f32_e32 v3, v3
	v_cndmask_b32_e32 v4, 0, v4, vcc
	v_mul_f32_e32 v5, 0x3f317217, v3
	v_fma_f32 v5, v3, s13, -v5
	v_fmac_f32_e32 v5, 0x3377d1cf, v3
	v_fmac_f32_e32 v5, 0x3f317217, v3
	v_cmp_lt_f32_e64 vcc, |v3|, s14
	s_nop 1
	v_cndmask_b32_e32 v3, v3, v5, vcc
	v_sub_f32_e32 v3, v3, v4
	v_cmp_lt_f32_e32 vcc, s12, v6
	v_cndmask_b32_e64 v5, 0, 1, s[6:7]
	v_cmp_ne_u32_e64 s[0:1], 1, v5
	v_cndmask_b32_e32 v3, v3, v6, vcc
	v_mul_f32_e32 v4, 0x4f800000, v3
	v_cmp_gt_f32_e64 s[4:5], s16, v3
	s_andn2_b64 vcc, exec, s[6:7]
	s_nop 0
	v_cndmask_b32_e64 v3, v3, v4, s[4:5]
	v_sqrt_f32_e32 v4, v3
	s_nop 0
	v_add_u32_e32 v5, -1, v4
	v_add_u32_e32 v6, 1, v4
	v_fma_f32 v7, -v5, v4, v3
	v_fma_f32 v8, -v6, v4, v3
	v_cmp_ge_f32_e64 s[6:7], 0, v7
	s_nop 1
	v_cndmask_b32_e64 v4, v4, v5, s[6:7]
	v_cmp_lt_f32_e64 s[6:7], 0, v8
	s_nop 1
	v_cndmask_b32_e64 v4, v4, v6, s[6:7]
	v_mul_f32_e32 v5, 0x37800000, v4
	v_cndmask_b32_e64 v4, v4, v5, s[4:5]
	v_cmp_class_f32_e64 s[4:5], v3, v0
	s_nop 1
	v_cndmask_b32_e64 v0, v4, v3, s[4:5]
	s_cbranch_vccnz .LBB69_8
; %bb.7:
	s_load_dword s4, s[10:11], 0x4
	s_waitcnt lgkmcnt(0)
	v_add_f32_e32 v0, s4, v0
.LBB69_8:
	ds_read_b32 v5, v1 offset:8
	s_mov_b32 s12, 0x800000
	s_mov_b32 s7, 0x3f317217
	;; [unrolled: 1-line block ×4, first 2 shown]
	s_waitcnt lgkmcnt(0)
	v_mul_f32_e32 v3, 0x3fb8aa3b, v5
	v_exp_f32_e32 v4, v3
	v_mov_b32_e32 v3, 0x4f800000
	s_mov_b32 s14, 0xf800000
	ds_write_b32 v1, v0 offset:4
	v_add_f32_e32 v4, 1.0, v4
	v_cmp_gt_f32_e32 vcc, s12, v4
	s_nop 1
	v_cndmask_b32_e32 v6, 1.0, v3, vcc
	v_mul_f32_e32 v4, v4, v6
	v_log_f32_e32 v6, v4
	v_mov_b32_e32 v4, 0x41b17218
	v_cndmask_b32_e32 v7, 0, v4, vcc
	v_mul_f32_e32 v8, 0x3f317217, v6
	v_fma_f32 v8, v6, s7, -v8
	v_fmac_f32_e32 v8, 0x3377d1cf, v6
	v_fmac_f32_e32 v8, 0x3f317217, v6
	v_cmp_lt_f32_e64 vcc, |v6|, s13
	s_nop 1
	v_cndmask_b32_e32 v6, v6, v8, vcc
	v_sub_f32_e32 v6, v6, v7
	v_cmp_lt_f32_e32 vcc, s6, v5
	s_nop 1
	v_cndmask_b32_e32 v5, v6, v5, vcc
	v_mul_f32_e32 v6, 0x4f800000, v5
	v_cmp_gt_f32_e32 vcc, s14, v5
	s_nop 1
	v_cndmask_b32_e32 v5, v5, v6, vcc
	v_sqrt_f32_e32 v6, v5
	s_nop 0
	v_add_u32_e32 v0, -1, v6
	v_fma_f32 v7, -v0, v6, v5
	v_cmp_ge_f32_e64 s[4:5], 0, v7
	v_add_u32_e32 v7, 1, v6
	s_nop 0
	v_cndmask_b32_e64 v0, v6, v0, s[4:5]
	v_fma_f32 v6, -v7, v6, v5
	v_cmp_lt_f32_e64 s[4:5], 0, v6
	s_nop 1
	v_cndmask_b32_e64 v0, v0, v7, s[4:5]
	v_mul_f32_e32 v6, 0x37800000, v0
	v_cndmask_b32_e32 v6, v0, v6, vcc
	v_mov_b32_e32 v0, 0x260
	v_cmp_class_f32_e64 s[4:5], v5, v0
	s_and_b64 vcc, exec, s[0:1]
	s_nop 0
	v_cndmask_b32_e64 v5, v6, v5, s[4:5]
	s_cbranch_vccnz .LBB69_10
; %bb.9:
	s_load_dword s4, s[10:11], 0x8
	s_waitcnt lgkmcnt(0)
	v_add_f32_e32 v5, s4, v5
.LBB69_10:
	ds_read_b32 v6, v1 offset:12
	ds_write_b32 v1, v5 offset:8
	s_waitcnt lgkmcnt(1)
	v_mul_f32_e32 v7, 0x3fb8aa3b, v6
	v_exp_f32_e32 v7, v7
	s_nop 0
	v_add_f32_e32 v7, 1.0, v7
	v_cmp_gt_f32_e32 vcc, s12, v7
	s_nop 1
	v_cndmask_b32_e32 v3, 1.0, v3, vcc
	v_mul_f32_e32 v3, v7, v3
	v_log_f32_e32 v3, v3
	v_cndmask_b32_e32 v4, 0, v4, vcc
	v_mul_f32_e32 v7, 0x3f317217, v3
	v_fma_f32 v7, v3, s7, -v7
	v_fmac_f32_e32 v7, 0x3377d1cf, v3
	v_fmac_f32_e32 v7, 0x3f317217, v3
	v_cmp_lt_f32_e64 vcc, |v3|, s13
	s_nop 1
	v_cndmask_b32_e32 v3, v3, v7, vcc
	v_sub_f32_e32 v3, v3, v4
	v_cmp_lt_f32_e32 vcc, s6, v6
	s_nop 1
	v_cndmask_b32_e32 v3, v3, v6, vcc
	v_mul_f32_e32 v4, 0x4f800000, v3
	v_cmp_gt_f32_e64 s[4:5], s14, v3
	s_and_b64 vcc, exec, s[0:1]
	s_nop 0
	v_cndmask_b32_e64 v3, v3, v4, s[4:5]
	v_sqrt_f32_e32 v4, v3
	s_nop 0
	v_add_u32_e32 v5, -1, v4
	v_add_u32_e32 v6, 1, v4
	v_fma_f32 v7, -v5, v4, v3
	v_fma_f32 v8, -v6, v4, v3
	v_cmp_ge_f32_e64 s[6:7], 0, v7
	s_nop 1
	v_cndmask_b32_e64 v4, v4, v5, s[6:7]
	v_cmp_lt_f32_e64 s[6:7], 0, v8
	s_nop 1
	v_cndmask_b32_e64 v4, v4, v6, s[6:7]
	v_mul_f32_e32 v5, 0x37800000, v4
	v_cndmask_b32_e64 v4, v4, v5, s[4:5]
	v_cmp_class_f32_e64 s[4:5], v3, v0
	s_nop 1
	v_cndmask_b32_e64 v0, v4, v3, s[4:5]
	s_cbranch_vccnz .LBB69_12
; %bb.11:
	s_load_dword s4, s[10:11], 0xc
	s_waitcnt lgkmcnt(0)
	v_add_f32_e32 v0, s4, v0
.LBB69_12:
	s_load_dwordx4 s[12:15], s[2:3], 0x30
	ds_write_b32 v1, v0 offset:12
	s_mov_b32 s25, 0
	s_waitcnt lgkmcnt(0)
	s_bitcmp1_b32 s15, 0
	s_cselect_b64 s[4:5], -1, 0
	s_cmp_gt_i32 s12, 0
	s_cselect_b64 s[6:7], -1, 0
	s_and_b64 vcc, exec, s[6:7]
	v_mul_lo_u32 v0, v2, s12
	s_cbranch_vccz .LBB69_19
; %bb.13:
	s_load_dwordx4 s[16:19], s[2:3], 0x20
	v_mov_b32_e32 v3, 0
	v_mov_b32_e32 v4, 0xc61c4000
	s_branch .LBB69_15
.LBB69_14:                              ;   in Loop: Header=BB69_15 Depth=1
	v_add_f32_e32 v5, v3, v6
	v_cndmask_b32_e64 v3, v3, v5, s[4:5]
	s_cmp_lg_u32 s12, s25
	v_add_u32_e32 v2, s24, v2
	s_cbranch_scc0 .LBB69_20
.LBB69_15:                              ; =>This Inner Loop Header: Depth=1
	ds_read_b128 v[6:9], v1
	s_waitcnt lgkmcnt(0)
	v_cmp_gt_f32_e32 vcc, v7, v6
	s_nop 1
	v_cndmask_b32_e32 v6, v6, v7, vcc
	v_cndmask_b32_e64 v5, 0, 1, vcc
	v_cmp_gt_f32_e32 vcc, v8, v6
	s_nop 1
	v_cndmask_b32_e32 v6, v6, v8, vcc
	v_cndmask_b32_e64 v5, v5, 2, vcc
	v_cmp_gt_f32_e64 s[2:3], v9, v6
	s_and_b64 vcc, exec, s[0:1]
	s_nop 0
	v_cndmask_b32_e64 v5, v5, 3, s[2:3]
	v_cndmask_b32_e64 v6, v6, v9, s[2:3]
	s_cbranch_vccnz .LBB69_17
; %bb.16:                               ;   in Loop: Header=BB69_15 Depth=1
	v_lshlrev_b32_e32 v7, 2, v5
	global_load_dword v7, v7, s[10:11]
	s_waitcnt vmcnt(0)
	v_sub_f32_e32 v6, v6, v7
.LBB69_17:                              ;   in Loop: Header=BB69_15 Depth=1
	v_add_u32_e32 v8, s25, v0
	v_cmp_le_i32_e32 vcc, s13, v5
	v_cmp_gt_i32_e64 s[2:3], s14, v5
	v_ashrrev_i32_e32 v9, 31, v8
	s_and_b64 s[2:3], vcc, s[2:3]
	v_lshlrev_b64 v[8:9], 2, v[8:9]
	v_lshl_add_u64 v[10:11], s[20:21], 0, v[8:9]
	v_subrev_u32_e32 v7, s13, v5
	s_and_b64 vcc, s[22:23], s[2:3]
	s_add_i32 s25, s25, 1
	global_store_dword v[10:11], v6, off
	v_cndmask_b32_e32 v7, 4, v7, vcc
	v_lshl_add_u64 v[10:11], s[16:17], 0, v[8:9]
	v_lshl_add_u64 v[8:9], s[18:19], 0, v[8:9]
	s_cmp_ge_i32 s25, s12
	global_store_dword v[10:11], v7, off
	global_store_dword v[8:9], v2, off
	s_cbranch_scc1 .LBB69_14
; %bb.18:                               ;   in Loop: Header=BB69_15 Depth=1
	v_lshl_add_u32 v5, v5, 2, v1
	ds_write_b32 v5, v4
	s_branch .LBB69_14
.LBB69_19:
	v_mov_b32_e32 v3, 0
.LBB69_20:
	s_andn2_b64 vcc, exec, s[4:5]
	v_cvt_f32_f64_e32 v2, s[8:9]
	s_cbranch_vccnz .LBB69_22
; %bb.21:
	v_cmp_lt_f32_e32 vcc, 0, v3
	s_nop 1
	v_cndmask_b32_e32 v1, 1.0, v3, vcc
	v_div_scale_f32 v3, s[0:1], v1, v1, v2
	v_rcp_f32_e32 v4, v3
	s_nop 0
	v_fma_f32 v5, -v3, v4, 1.0
	v_fmac_f32_e32 v4, v5, v4
	v_div_scale_f32 v5, vcc, v2, v1, v2
	v_mul_f32_e32 v6, v5, v4
	v_fma_f32 v7, -v3, v6, v5
	v_fmac_f32_e32 v6, v7, v4
	v_fma_f32 v3, -v3, v6, v5
	v_div_fmas_f32 v3, v3, v4, v6
	v_div_fixup_f32 v2, v3, v1, v2
.LBB69_22:
	s_andn2_b64 vcc, exec, s[6:7]
	s_cbranch_vccnz .LBB69_32
; %bb.23:
	s_cmp_gt_u32 s12, 3
	v_ashrrev_i32_e32 v1, 31, v0
	s_cbranch_scc0 .LBB69_27
; %bb.24:
	s_and_b32 s0, s12, 0x7ffffffc
	v_lshl_add_u64 v[4:5], v[0:1], 2, s[20:21]
	v_mov_b32_e32 v3, v2
	v_lshl_add_u64 v[4:5], v[4:5], 0, 8
	s_mov_b32 s1, s0
.LBB69_25:                              ; =>This Inner Loop Header: Depth=1
	global_load_dwordx4 v[6:9], v[4:5], off offset:-8
	s_add_i32 s1, s1, -4
	s_cmp_lg_u32 s1, 0
	s_waitcnt vmcnt(0)
	v_pk_mul_f32 v[6:7], v[2:3], v[6:7]
	v_pk_mul_f32 v[8:9], v[2:3], v[8:9]
	global_store_dwordx4 v[4:5], v[6:9], off offset:-8
	v_lshl_add_u64 v[4:5], v[4:5], 0, 16
	s_cbranch_scc1 .LBB69_25
; %bb.26:
	s_cmp_lg_u32 s0, s12
	s_cselect_b64 s[2:3], -1, 0
	s_branch .LBB69_29
.LBB69_27:
	s_mov_b64 s[2:3], 0
                                        ; implicit-def: $sgpr0
	s_cbranch_execz .LBB69_29
; %bb.28:
	s_mov_b64 s[2:3], -1
	s_mov_b32 s0, 0
.LBB69_29:
	s_andn2_b64 vcc, exec, s[2:3]
	s_cbranch_vccnz .LBB69_32
; %bb.30:
	s_mov_b32 s1, 0
	v_lshl_add_u64 v[0:1], v[0:1], 0, s[0:1]
	s_sub_i32 s2, s12, s0
	v_lshl_add_u64 v[0:1], v[0:1], 2, s[20:21]
.LBB69_31:                              ; =>This Inner Loop Header: Depth=1
	global_load_dword v3, v[0:1], off
	s_add_i32 s2, s2, -1
	s_cmp_lg_u32 s2, 0
	s_waitcnt vmcnt(0)
	v_mul_f32_e32 v3, v2, v3
	global_store_dword v[0:1], v3, off
	v_lshl_add_u64 v[0:1], v[0:1], 0, 4
	s_cbranch_scc1 .LBB69_31
.LBB69_32:
	s_endpgm
	.section	.rodata,"a",@progbits
	.p2align	6, 0x0
	.amdhsa_kernel _ZN4vllm3moe22topkGatingSoftplusSqrtILi4ELi4ELi4ELi16ELi64ELb0EjfEEvPKT6_PKbPfiPT5_PiiiibdPKfPKS8_SE_
		.amdhsa_group_segment_fixed_size 4096
		.amdhsa_private_segment_fixed_size 0
		.amdhsa_kernarg_size 96
		.amdhsa_user_sgpr_count 4
		.amdhsa_user_sgpr_dispatch_ptr 1
		.amdhsa_user_sgpr_queue_ptr 0
		.amdhsa_user_sgpr_kernarg_segment_ptr 1
		.amdhsa_user_sgpr_dispatch_id 0
		.amdhsa_user_sgpr_kernarg_preload_length 0
		.amdhsa_user_sgpr_kernarg_preload_offset 0
		.amdhsa_user_sgpr_private_segment_size 0
		.amdhsa_uses_dynamic_stack 0
		.amdhsa_enable_private_segment 0
		.amdhsa_system_sgpr_workgroup_id_x 1
		.amdhsa_system_sgpr_workgroup_id_y 0
		.amdhsa_system_sgpr_workgroup_id_z 0
		.amdhsa_system_sgpr_workgroup_info 0
		.amdhsa_system_vgpr_workitem_id 2
		.amdhsa_next_free_vgpr 12
		.amdhsa_next_free_sgpr 26
		.amdhsa_accum_offset 12
		.amdhsa_reserve_vcc 1
		.amdhsa_float_round_mode_32 0
		.amdhsa_float_round_mode_16_64 0
		.amdhsa_float_denorm_mode_32 3
		.amdhsa_float_denorm_mode_16_64 3
		.amdhsa_dx10_clamp 1
		.amdhsa_ieee_mode 1
		.amdhsa_fp16_overflow 0
		.amdhsa_tg_split 0
		.amdhsa_exception_fp_ieee_invalid_op 0
		.amdhsa_exception_fp_denorm_src 0
		.amdhsa_exception_fp_ieee_div_zero 0
		.amdhsa_exception_fp_ieee_overflow 0
		.amdhsa_exception_fp_ieee_underflow 0
		.amdhsa_exception_fp_ieee_inexact 0
		.amdhsa_exception_int_div_zero 0
	.end_amdhsa_kernel
	.section	.text._ZN4vllm3moe22topkGatingSoftplusSqrtILi4ELi4ELi4ELi16ELi64ELb0EjfEEvPKT6_PKbPfiPT5_PiiiibdPKfPKS8_SE_,"axG",@progbits,_ZN4vllm3moe22topkGatingSoftplusSqrtILi4ELi4ELi4ELi16ELi64ELb0EjfEEvPKT6_PKbPfiPT5_PiiiibdPKfPKS8_SE_,comdat
.Lfunc_end69:
	.size	_ZN4vllm3moe22topkGatingSoftplusSqrtILi4ELi4ELi4ELi16ELi64ELb0EjfEEvPKT6_PKbPfiPT5_PiiiibdPKfPKS8_SE_, .Lfunc_end69-_ZN4vllm3moe22topkGatingSoftplusSqrtILi4ELi4ELi4ELi16ELi64ELb0EjfEEvPKT6_PKbPfiPT5_PiiiibdPKfPKS8_SE_
                                        ; -- End function
	.section	.AMDGPU.csdata,"",@progbits
; Kernel info:
; codeLenInByte = 2156
; NumSgprs: 32
; NumVgprs: 12
; NumAgprs: 0
; TotalNumVgprs: 12
; ScratchSize: 0
; MemoryBound: 0
; FloatMode: 240
; IeeeMode: 1
; LDSByteSize: 4096 bytes/workgroup (compile time only)
; SGPRBlocks: 3
; VGPRBlocks: 1
; NumSGPRsForWavesPerEU: 32
; NumVGPRsForWavesPerEU: 12
; AccumOffset: 12
; Occupancy: 8
; WaveLimiterHint : 0
; COMPUTE_PGM_RSRC2:SCRATCH_EN: 0
; COMPUTE_PGM_RSRC2:USER_SGPR: 4
; COMPUTE_PGM_RSRC2:TRAP_HANDLER: 0
; COMPUTE_PGM_RSRC2:TGID_X_EN: 1
; COMPUTE_PGM_RSRC2:TGID_Y_EN: 0
; COMPUTE_PGM_RSRC2:TGID_Z_EN: 0
; COMPUTE_PGM_RSRC2:TIDIG_COMP_CNT: 2
; COMPUTE_PGM_RSRC3_GFX90A:ACCUM_OFFSET: 2
; COMPUTE_PGM_RSRC3_GFX90A:TG_SPLIT: 0
	.section	.text._ZN4vllm3moe22topkGatingSoftplusSqrtILi4ELi4ELi4ELi16ELi32ELb1EjfEEvPKT6_PKbPfiPT5_PiiiibdPKfPKS8_SE_,"axG",@progbits,_ZN4vllm3moe22topkGatingSoftplusSqrtILi4ELi4ELi4ELi16ELi32ELb1EjfEEvPKT6_PKbPfiPT5_PiiiibdPKfPKS8_SE_,comdat
	.protected	_ZN4vllm3moe22topkGatingSoftplusSqrtILi4ELi4ELi4ELi16ELi32ELb1EjfEEvPKT6_PKbPfiPT5_PiiiibdPKfPKS8_SE_ ; -- Begin function _ZN4vllm3moe22topkGatingSoftplusSqrtILi4ELi4ELi4ELi16ELi32ELb1EjfEEvPKT6_PKbPfiPT5_PiiiibdPKfPKS8_SE_
	.globl	_ZN4vllm3moe22topkGatingSoftplusSqrtILi4ELi4ELi4ELi16ELi32ELb1EjfEEvPKT6_PKbPfiPT5_PiiiibdPKfPKS8_SE_
	.p2align	8
	.type	_ZN4vllm3moe22topkGatingSoftplusSqrtILi4ELi4ELi4ELi16ELi32ELb1EjfEEvPKT6_PKbPfiPT5_PiiiibdPKfPKS8_SE_,@function
_ZN4vllm3moe22topkGatingSoftplusSqrtILi4ELi4ELi4ELi16ELi32ELb1EjfEEvPKT6_PKbPfiPT5_PiiiibdPKfPKS8_SE_: ; @_ZN4vllm3moe22topkGatingSoftplusSqrtILi4ELi4ELi4ELi16ELi32ELb1EjfEEvPKT6_PKbPfiPT5_PiiiibdPKfPKS8_SE_
; %bb.0:
	s_load_dword s5, s[2:3], 0x18
	v_bfe_u32 v5, v0, 10, 10
	v_and_b32_e32 v4, 0x3ff, v0
	s_lshl_b32 s4, s4, 7
	v_lshlrev_b32_e32 v1, 5, v5
	v_add3_u32 v2, v1, v4, s4
	s_waitcnt lgkmcnt(0)
	v_cmp_gt_i32_e32 vcc, s5, v2
	s_and_saveexec_b64 s[4:5], vcc
	s_cbranch_execz .LBB70_57
; %bb.1:
	s_load_dwordx2 s[4:5], s[2:3], 0x0
	s_load_dword s16, s[2:3], 0x30
	v_lshlrev_b32_e32 v6, 2, v2
	v_ashrrev_i32_e32 v7, 31, v6
	s_load_dwordx4 s[8:11], s[2:3], 0x50
	s_waitcnt lgkmcnt(0)
	v_lshl_add_u64 v[6:7], v[6:7], 2, s[4:5]
	global_load_dwordx4 v[6:9], v[6:7], off
	v_ashrrev_i32_e32 v3, 31, v2
	s_load_dwordx2 s[0:1], s[0:1], 0x4
	v_mov_b32_e32 v10, s8
	v_mov_b32_e32 v11, s9
	v_lshl_add_u64 v[10:11], v[2:3], 2, v[10:11]
	global_load_dword v3, v[10:11], off
	s_waitcnt lgkmcnt(0)
	s_lshr_b32 s0, s0, 16
	v_mul_u32_u24_e32 v5, s1, v5
	s_mul_i32 s0, s0, s1
	v_mad_u32_u24 v10, s0, v4, v5
	s_mov_b32 s6, 0x800000
	v_bfe_u32 v0, v0, 20, 10
	v_mov_b32_e32 v11, 0x4f800000
	v_add_lshl_u32 v10, v10, v0, 4
	s_mov_b32 s12, 0x3f317217
	s_mov_b32 s13, 0x7f800000
	v_mov_b32_e32 v14, 0x41b17218
	s_mov_b32 s9, 0x41a00000
	s_mov_b32 s14, 0xf800000
	v_mov_b32_e32 v15, 0x260
	v_mov_b32_e32 v1, 0
	s_cmp_gt_i32 s16, 0
	s_mov_b32 s8, 0
	v_mul_lo_u32 v2, v2, s16
	s_waitcnt vmcnt(1)
	v_mul_f32_e32 v4, 0x3fb8aa3b, v6
	v_mul_f32_e32 v5, 0x3fb8aa3b, v7
	v_exp_f32_e32 v4, v4
	v_exp_f32_e32 v5, v5
	v_mul_f32_e32 v12, 0x3fb8aa3b, v8
	v_mul_f32_e32 v13, 0x3fb8aa3b, v9
	v_exp_f32_e32 v12, v12
	v_exp_f32_e32 v13, v13
	v_pk_add_f32 v[4:5], v[4:5], 1.0 op_sel_hi:[1,0]
	s_waitcnt vmcnt(0)
	v_mul_lo_u32 v0, v3, s16
	v_cmp_gt_f32_e32 vcc, s6, v5
	v_pk_add_f32 v[12:13], v[12:13], 1.0 op_sel_hi:[1,0]
	v_cmp_gt_f32_e64 s[0:1], s6, v4
	v_cndmask_b32_e32 v3, 1.0, v11, vcc
	v_cmp_gt_f32_e64 s[4:5], s6, v13
	v_cndmask_b32_e64 v16, 1.0, v11, s[0:1]
	v_mul_f32_e32 v3, v5, v3
	v_cndmask_b32_e64 v17, 1.0, v11, s[4:5]
	v_cmp_gt_f32_e64 s[6:7], s6, v12
	v_mul_f32_e32 v4, v4, v16
	v_log_f32_e32 v3, v3
	v_cndmask_b32_e64 v11, 1.0, v11, s[6:7]
	v_mul_f32_e32 v13, v13, v17
	v_log_f32_e32 v4, v4
	v_mul_f32_e32 v11, v12, v11
	v_log_f32_e32 v12, v13
	v_mul_f32_e32 v13, 0x3f317217, v3
	v_mul_f32_e32 v18, 0x3f317217, v4
	v_fma_f32 v13, v3, s12, -v13
	v_mul_f32_e32 v19, 0x3f317217, v12
	v_fma_f32 v18, v4, s12, -v18
	v_fmac_f32_e32 v13, 0x3377d1cf, v3
	v_cndmask_b32_e32 v5, 0, v14, vcc
	v_fma_f32 v19, v12, s12, -v19
	v_fmac_f32_e32 v18, 0x3377d1cf, v4
	v_fmac_f32_e32 v13, 0x3f317217, v3
	v_cmp_lt_f32_e64 vcc, |v3|, s13
	v_fmac_f32_e32 v19, 0x3377d1cf, v12
	v_fmac_f32_e32 v18, 0x3f317217, v4
	v_cndmask_b32_e32 v3, v3, v13, vcc
	v_cmp_lt_f32_e64 vcc, |v4|, s13
	v_cndmask_b32_e64 v16, 0, v14, s[0:1]
	v_fmac_f32_e32 v19, 0x3f317217, v12
	v_cndmask_b32_e32 v4, v4, v18, vcc
	v_cmp_lt_f32_e64 vcc, |v12|, s13
	v_sub_f32_e32 v4, v4, v16
	v_sub_f32_e32 v3, v3, v5
	v_cndmask_b32_e32 v12, v12, v19, vcc
	v_cmp_lt_f32_e32 vcc, s9, v6
	v_cndmask_b32_e64 v17, 0, v14, s[4:5]
	v_log_f32_e32 v11, v11
	v_cndmask_b32_e32 v4, v4, v6, vcc
	v_cmp_lt_f32_e32 vcc, s9, v7
	v_mul_f32_e32 v6, 0x4f800000, v4
	v_cmp_gt_f32_e64 s[0:1], s14, v4
	v_cndmask_b32_e32 v3, v3, v7, vcc
	v_mul_f32_e32 v5, 0x4f800000, v3
	v_cmp_gt_f32_e32 vcc, s14, v3
	v_cndmask_b32_e64 v4, v4, v6, s[0:1]
	v_sqrt_f32_e32 v6, v4
	v_cndmask_b32_e32 v3, v3, v5, vcc
	v_sqrt_f32_e32 v5, v3
	v_sub_f32_e32 v7, v12, v17
	v_add_u32_e32 v16, -1, v6
	v_fma_f32 v21, -v16, v6, v4
	v_add_u32_e32 v12, -1, v5
	v_fma_f32 v18, -v12, v5, v3
	v_add_u32_e32 v13, 1, v5
	v_cmp_ge_f32_e64 s[4:5], 0, v18
	v_add_u32_e32 v17, 1, v6
	v_fma_f32 v19, -v13, v5, v3
	v_cndmask_b32_e64 v5, v5, v12, s[4:5]
	v_cmp_ge_f32_e64 s[4:5], 0, v21
	v_fma_f32 v22, -v17, v6, v4
	v_mul_f32_e32 v20, 0x3f317217, v11
	v_cndmask_b32_e64 v6, v6, v16, s[4:5]
	v_cmp_lt_f32_e64 s[4:5], 0, v19
	v_fma_f32 v20, v11, s12, -v20
	v_fmac_f32_e32 v20, 0x3377d1cf, v11
	v_cndmask_b32_e64 v5, v5, v13, s[4:5]
	v_cmp_lt_f32_e64 s[4:5], 0, v22
	v_mul_f32_e32 v12, 0x37800000, v5
	v_cndmask_b32_e32 v5, v5, v12, vcc
	v_cndmask_b32_e64 v6, v6, v17, s[4:5]
	v_mul_f32_e32 v13, 0x37800000, v6
	v_cmp_class_f32_e32 vcc, v3, v15
	v_cndmask_b32_e64 v6, v6, v13, s[0:1]
	v_fmac_f32_e32 v20, 0x3f317217, v11
	v_cndmask_b32_e32 v5, v5, v3, vcc
	v_cmp_class_f32_e32 vcc, v4, v15
	v_cmp_lt_f32_e64 s[0:1], s9, v8
	s_nop 0
	v_cndmask_b32_e32 v4, v6, v4, vcc
	v_cmp_lt_f32_e64 vcc, |v11|, s13
	v_cndmask_b32_e64 v6, 0, v14, s[6:7]
	s_nop 0
	v_cndmask_b32_e32 v3, v11, v20, vcc
	v_cmp_lt_f32_e32 vcc, s9, v9
	v_sub_f32_e32 v3, v3, v6
	v_cndmask_b32_e64 v3, v3, v8, s[0:1]
	v_cndmask_b32_e32 v7, v7, v9, vcc
	v_mul_f32_e32 v9, 0x4f800000, v7
	v_cmp_gt_f32_e32 vcc, s14, v7
	s_nop 1
	v_cndmask_b32_e32 v7, v7, v9, vcc
	v_sqrt_f32_e32 v9, v7
	s_nop 0
	v_add_u32_e32 v6, -1, v9
	v_fma_f32 v8, -v6, v9, v7
	v_cmp_ge_f32_e64 s[0:1], 0, v8
	v_add_u32_e32 v8, 1, v9
	s_nop 0
	v_cndmask_b32_e64 v6, v9, v6, s[0:1]
	v_fma_f32 v9, -v8, v9, v7
	v_cmp_lt_f32_e64 s[0:1], 0, v9
	v_mul_f32_e32 v9, 0x4f800000, v3
	s_nop 0
	v_cndmask_b32_e64 v6, v6, v8, s[0:1]
	v_cmp_gt_f32_e64 s[0:1], s14, v3
	v_mul_f32_e32 v8, 0x37800000, v6
	v_cndmask_b32_e32 v6, v6, v8, vcc
	v_cndmask_b32_e64 v3, v3, v9, s[0:1]
	v_sqrt_f32_e32 v9, v3
	v_cmp_class_f32_e32 vcc, v7, v15
	s_nop 1
	v_cndmask_b32_e32 v7, v6, v7, vcc
	v_add_u32_e32 v6, -1, v9
	v_fma_f32 v8, -v6, v9, v3
	v_cmp_ge_f32_e32 vcc, 0, v8
	v_add_u32_e32 v8, 1, v9
	s_nop 0
	v_cndmask_b32_e32 v6, v9, v6, vcc
	v_fma_f32 v9, -v8, v9, v3
	v_cmp_lt_f32_e32 vcc, 0, v9
	s_nop 1
	v_cndmask_b32_e32 v6, v6, v8, vcc
	v_mul_f32_e32 v8, 0x37800000, v6
	v_cndmask_b32_e64 v6, v6, v8, s[0:1]
	v_cmp_class_f32_e32 vcc, v3, v15
	s_cselect_b64 s[0:1], -1, 0
	s_cmp_lt_i32 s16, 1
	v_cndmask_b32_e32 v6, v6, v3, vcc
	ds_write_b128 v10, v[4:7]
	v_lshl_add_u64 v[4:5], v[0:1], 2, s[10:11]
	s_cbranch_scc1 .LBB70_21
; %bb.2:
	s_load_dwordx2 s[4:5], s[2:3], 0x20
	s_cmp_lt_u32 s16, 4
	s_cbranch_scc1 .LBB70_22
; %bb.3:
	s_mov_b32 s7, 0
	s_and_b32 s8, s16, 0x7ffffffc
	v_ashrrev_i32_e32 v3, 31, v2
	v_mov_b32_e32 v11, 0
	s_mov_b32 s6, s7
	s_branch .LBB70_5
.LBB70_4:                               ;   in Loop: Header=BB70_5 Depth=1
	s_or_b64 exec, exec, s[12:13]
	s_add_i32 s6, s6, 4
	s_cmp_eq_u32 s6, s8
	s_cbranch_scc1 .LBB70_23
.LBB70_5:                               ; =>This Loop Header: Depth=1
                                        ;     Child Loop BB70_7 Depth 2
                                        ;     Child Loop BB70_11 Depth 2
	;; [unrolled: 1-line block ×4, first 2 shown]
	v_lshl_add_u64 v[6:7], s[6:7], 2, v[4:5]
	global_load_dword v12, v[6:7], off
	v_add_u32_e32 v8, s6, v2
	v_ashrrev_i32_e32 v9, 31, v8
	s_mov_b64 s[12:13], 0
	s_waitcnt lgkmcnt(0)
	v_lshl_add_u64 v[8:9], v[8:9], 2, s[4:5]
	s_mov_b32 s9, 0
	s_waitcnt vmcnt(0)
	v_min_u32_e32 v14, 3, v12
	v_lshl_add_u32 v13, v12, 2, v10
	v_add_u32_e32 v14, 1, v14
	s_branch .LBB70_7
.LBB70_6:                               ;   in Loop: Header=BB70_7 Depth=2
	s_or_b64 exec, exec, s[14:15]
	s_add_i32 s9, s9, 1
	v_cmp_eq_u32_e32 vcc, s9, v14
	s_or_b64 s[12:13], vcc, s[12:13]
	s_andn2_b64 exec, exec, s[12:13]
	s_cbranch_execz .LBB70_9
.LBB70_7:                               ;   Parent Loop BB70_5 Depth=1
                                        ; =>  This Inner Loop Header: Depth=2
	v_cmp_eq_u32_e32 vcc, s9, v12
	s_and_saveexec_b64 s[14:15], vcc
	s_cbranch_execz .LBB70_6
; %bb.8:                                ;   in Loop: Header=BB70_7 Depth=2
	ds_read_b32 v15, v13
	global_store_dword v[8:9], v12, off
	s_waitcnt lgkmcnt(0)
	v_add_f32_e32 v11, v11, v15
	s_branch .LBB70_6
.LBB70_9:                               ;   in Loop: Header=BB70_5 Depth=1
	s_or_b64 exec, exec, s[12:13]
	global_load_dword v12, v[6:7], off offset:4
	s_ashr_i32 s13, s6, 31
	s_mov_b32 s12, s6
	v_lshl_add_u64 v[8:9], s[12:13], 0, v[2:3]
	s_mov_b32 s9, 0
	v_lshl_add_u64 v[8:9], v[8:9], 2, s[4:5]
	s_mov_b64 s[12:13], 0
	s_waitcnt vmcnt(0)
	v_min_u32_e32 v14, 3, v12
	v_lshl_add_u32 v13, v12, 2, v10
	v_add_u32_e32 v14, 1, v14
	s_branch .LBB70_11
.LBB70_10:                              ;   in Loop: Header=BB70_11 Depth=2
	s_or_b64 exec, exec, s[14:15]
	s_add_i32 s9, s9, 1
	v_cmp_eq_u32_e32 vcc, s9, v14
	s_or_b64 s[12:13], vcc, s[12:13]
	s_andn2_b64 exec, exec, s[12:13]
	s_cbranch_execz .LBB70_13
.LBB70_11:                              ;   Parent Loop BB70_5 Depth=1
                                        ; =>  This Inner Loop Header: Depth=2
	v_cmp_eq_u32_e32 vcc, s9, v12
	s_and_saveexec_b64 s[14:15], vcc
	s_cbranch_execz .LBB70_10
; %bb.12:                               ;   in Loop: Header=BB70_11 Depth=2
	ds_read_b32 v15, v13
	global_store_dword v[8:9], v12, off offset:4
	s_waitcnt lgkmcnt(0)
	v_add_f32_e32 v11, v11, v15
	s_branch .LBB70_10
.LBB70_13:                              ;   in Loop: Header=BB70_5 Depth=1
	s_or_b64 exec, exec, s[12:13]
	global_load_dword v12, v[6:7], off offset:8
	s_mov_b32 s9, 0
	s_mov_b64 s[12:13], 0
	s_waitcnt vmcnt(0)
	v_min_u32_e32 v14, 3, v12
	v_lshl_add_u32 v13, v12, 2, v10
	v_add_u32_e32 v14, 1, v14
	s_branch .LBB70_15
.LBB70_14:                              ;   in Loop: Header=BB70_15 Depth=2
	s_or_b64 exec, exec, s[14:15]
	s_add_i32 s9, s9, 1
	v_cmp_eq_u32_e32 vcc, s9, v14
	s_or_b64 s[12:13], vcc, s[12:13]
	s_andn2_b64 exec, exec, s[12:13]
	s_cbranch_execz .LBB70_17
.LBB70_15:                              ;   Parent Loop BB70_5 Depth=1
                                        ; =>  This Inner Loop Header: Depth=2
	v_cmp_eq_u32_e32 vcc, s9, v12
	s_and_saveexec_b64 s[14:15], vcc
	s_cbranch_execz .LBB70_14
; %bb.16:                               ;   in Loop: Header=BB70_15 Depth=2
	ds_read_b32 v15, v13
	global_store_dword v[8:9], v12, off offset:8
	s_waitcnt lgkmcnt(0)
	v_add_f32_e32 v11, v11, v15
	s_branch .LBB70_14
.LBB70_17:                              ;   in Loop: Header=BB70_5 Depth=1
	s_or_b64 exec, exec, s[12:13]
	global_load_dword v6, v[6:7], off offset:12
	s_mov_b32 s9, 0
	s_mov_b64 s[12:13], 0
	s_waitcnt vmcnt(0)
	v_min_u32_e32 v12, 3, v6
	v_lshl_add_u32 v7, v6, 2, v10
	v_add_u32_e32 v12, 1, v12
	s_branch .LBB70_19
.LBB70_18:                              ;   in Loop: Header=BB70_19 Depth=2
	s_or_b64 exec, exec, s[14:15]
	s_add_i32 s9, s9, 1
	v_cmp_eq_u32_e32 vcc, s9, v12
	s_or_b64 s[12:13], vcc, s[12:13]
	s_andn2_b64 exec, exec, s[12:13]
	s_cbranch_execz .LBB70_4
.LBB70_19:                              ;   Parent Loop BB70_5 Depth=1
                                        ; =>  This Inner Loop Header: Depth=2
	v_cmp_eq_u32_e32 vcc, s9, v6
	s_and_saveexec_b64 s[14:15], vcc
	s_cbranch_execz .LBB70_18
; %bb.20:                               ;   in Loop: Header=BB70_19 Depth=2
	ds_read_b32 v13, v7
	global_store_dword v[8:9], v6, off offset:12
	s_waitcnt lgkmcnt(0)
	v_add_f32_e32 v11, v11, v13
	s_branch .LBB70_18
.LBB70_21:
	v_mov_b32_e32 v11, v1
	s_branch .LBB70_30
.LBB70_22:
	v_mov_b32_e32 v11, v1
.LBB70_23:
	s_and_b32 s14, s16, 3
	s_cmp_eq_u32 s14, 0
	s_mov_b32 s9, 0
	s_cbranch_scc1 .LBB70_30
; %bb.24:
	s_mov_b32 s15, s9
	s_branch .LBB70_26
.LBB70_25:                              ;   in Loop: Header=BB70_26 Depth=1
	s_or_b64 exec, exec, s[6:7]
	s_add_i32 s8, s8, 1
	s_add_i32 s15, s15, 1
	s_cmp_lg_u32 s15, s14
	s_cbranch_scc0 .LBB70_30
.LBB70_26:                              ; =>This Loop Header: Depth=1
                                        ;     Child Loop BB70_28 Depth 2
	v_lshl_add_u64 v[6:7], s[8:9], 2, v[4:5]
	global_load_dword v3, v[6:7], off
	v_add_u32_e32 v6, s8, v2
	v_ashrrev_i32_e32 v7, 31, v6
	s_mov_b32 s17, 0
	s_waitcnt lgkmcnt(0)
	v_lshl_add_u64 v[6:7], v[6:7], 2, s[4:5]
	s_mov_b64 s[6:7], 0
	s_waitcnt vmcnt(0)
	v_min_u32_e32 v9, 3, v3
	v_lshl_add_u32 v8, v3, 2, v10
	v_add_u32_e32 v9, 1, v9
	s_branch .LBB70_28
.LBB70_27:                              ;   in Loop: Header=BB70_28 Depth=2
	s_or_b64 exec, exec, s[12:13]
	s_add_i32 s17, s17, 1
	v_cmp_eq_u32_e32 vcc, s17, v9
	s_or_b64 s[6:7], vcc, s[6:7]
	s_andn2_b64 exec, exec, s[6:7]
	s_cbranch_execz .LBB70_25
.LBB70_28:                              ;   Parent Loop BB70_26 Depth=1
                                        ; =>  This Inner Loop Header: Depth=2
	v_cmp_eq_u32_e32 vcc, s17, v3
	s_and_saveexec_b64 s[12:13], vcc
	s_cbranch_execz .LBB70_27
; %bb.29:                               ;   in Loop: Header=BB70_28 Depth=2
	ds_read_b32 v12, v8
	global_store_dword v[6:7], v3, off
	s_waitcnt lgkmcnt(0)
	v_add_f32_e32 v11, v11, v12
	s_branch .LBB70_27
.LBB70_30:
	s_load_dword s6, s[2:3], 0x3c
	s_waitcnt lgkmcnt(0)
	s_load_dwordx2 s[4:5], s[2:3], 0x40
	s_bitcmp1_b32 s6, 0
	s_cselect_b64 s[6:7], -1, 0
	s_waitcnt lgkmcnt(0)
	v_cvt_f32_f64_e32 v12, s[4:5]
	s_and_b64 vcc, exec, s[6:7]
	s_cbranch_vccz .LBB70_32
; %bb.31:
	v_cmp_lt_f32_e32 vcc, 0, v11
	s_nop 1
	v_cndmask_b32_e32 v3, 1.0, v11, vcc
	v_div_scale_f32 v6, s[4:5], v3, v3, v12
	v_rcp_f32_e32 v7, v6
	s_nop 0
	v_fma_f32 v8, -v6, v7, 1.0
	v_fmac_f32_e32 v7, v8, v7
	v_div_scale_f32 v8, vcc, v12, v3, v12
	v_mul_f32_e32 v9, v8, v7
	v_fma_f32 v11, -v6, v9, v8
	v_fmac_f32_e32 v9, v11, v7
	v_fma_f32 v6, -v6, v9, v8
	v_div_fmas_f32 v6, v6, v7, v9
	v_div_fixup_f32 v12, v6, v3, v12
.LBB70_32:
	s_andn2_b64 vcc, exec, s[0:1]
	s_cbranch_vccnz .LBB70_57
; %bb.33:
	s_load_dwordx2 s[0:1], s[2:3], 0x10
	s_cmp_lt_u32 s16, 8
	s_mov_b32 s2, 0
	s_cbranch_scc1 .LBB70_52
; %bb.34:
	v_ashrrev_i32_e32 v3, 31, v2
	s_and_b32 s2, s16, 0x7ffffff8
	s_waitcnt lgkmcnt(0)
	v_lshl_add_u64 v[6:7], v[2:3], 2, s[0:1]
	s_mov_b32 s3, 0
	s_mov_b64 s[4:5], 0
	s_branch .LBB70_36
.LBB70_35:                              ;   in Loop: Header=BB70_36 Depth=1
	s_or_b64 exec, exec, s[6:7]
	s_add_i32 s3, s3, 8
	s_add_u32 s4, s4, 32
	s_addc_u32 s5, s5, 0
	s_cmp_eq_u32 s2, s3
	s_cbranch_scc1 .LBB70_52
.LBB70_36:                              ; =>This Inner Loop Header: Depth=1
	v_lshl_add_u64 v[8:9], v[4:5], 0, s[4:5]
	global_load_dword v3, v[8:9], off
	s_waitcnt vmcnt(0)
	v_cmp_gt_u32_e32 vcc, 4, v3
	s_and_saveexec_b64 s[6:7], vcc
	s_cbranch_execz .LBB70_38
; %bb.37:                               ;   in Loop: Header=BB70_36 Depth=1
	v_lshl_add_u32 v3, v3, 2, v10
	ds_read_b32 v3, v3
	v_add_u32_e32 v14, s3, v2
	v_ashrrev_i32_e32 v15, 31, v14
	v_lshl_add_u64 v[14:15], v[14:15], 2, s[0:1]
	s_waitcnt lgkmcnt(0)
	v_mul_f32_e32 v3, v12, v3
	global_store_dword v[14:15], v3, off
.LBB70_38:                              ;   in Loop: Header=BB70_36 Depth=1
	s_or_b64 exec, exec, s[6:7]
	global_load_dword v3, v[8:9], off offset:4
	s_waitcnt vmcnt(0)
	v_cmp_gt_u32_e32 vcc, 4, v3
	s_and_saveexec_b64 s[6:7], vcc
	s_cbranch_execz .LBB70_40
; %bb.39:                               ;   in Loop: Header=BB70_36 Depth=1
	v_lshl_add_u32 v3, v3, 2, v10
	ds_read_b32 v3, v3
	v_lshl_add_u64 v[14:15], v[6:7], 0, s[4:5]
	s_waitcnt lgkmcnt(0)
	v_mul_f32_e32 v3, v12, v3
	global_store_dword v[14:15], v3, off offset:4
.LBB70_40:                              ;   in Loop: Header=BB70_36 Depth=1
	s_or_b64 exec, exec, s[6:7]
	global_load_dword v3, v[8:9], off offset:8
	s_waitcnt vmcnt(0)
	v_cmp_gt_u32_e32 vcc, 4, v3
	s_and_saveexec_b64 s[6:7], vcc
	s_cbranch_execz .LBB70_42
; %bb.41:                               ;   in Loop: Header=BB70_36 Depth=1
	v_lshl_add_u32 v3, v3, 2, v10
	ds_read_b32 v3, v3
	v_lshl_add_u64 v[14:15], v[6:7], 0, s[4:5]
	s_waitcnt lgkmcnt(0)
	v_mul_f32_e32 v3, v12, v3
	global_store_dword v[14:15], v3, off offset:8
.LBB70_42:                              ;   in Loop: Header=BB70_36 Depth=1
	s_or_b64 exec, exec, s[6:7]
	global_load_dword v3, v[8:9], off offset:12
	s_waitcnt vmcnt(0)
	v_cmp_gt_u32_e32 vcc, 4, v3
	s_and_saveexec_b64 s[6:7], vcc
	s_cbranch_execz .LBB70_44
; %bb.43:                               ;   in Loop: Header=BB70_36 Depth=1
	v_lshl_add_u32 v3, v3, 2, v10
	ds_read_b32 v3, v3
	v_lshl_add_u64 v[14:15], v[6:7], 0, s[4:5]
	s_waitcnt lgkmcnt(0)
	v_mul_f32_e32 v3, v12, v3
	global_store_dword v[14:15], v3, off offset:12
.LBB70_44:                              ;   in Loop: Header=BB70_36 Depth=1
	s_or_b64 exec, exec, s[6:7]
	global_load_dword v3, v[8:9], off offset:16
	s_waitcnt vmcnt(0)
	v_cmp_gt_u32_e32 vcc, 4, v3
	s_and_saveexec_b64 s[6:7], vcc
	s_cbranch_execz .LBB70_46
; %bb.45:                               ;   in Loop: Header=BB70_36 Depth=1
	v_lshl_add_u32 v3, v3, 2, v10
	ds_read_b32 v3, v3
	v_lshl_add_u64 v[14:15], v[6:7], 0, s[4:5]
	s_waitcnt lgkmcnt(0)
	v_mul_f32_e32 v3, v12, v3
	global_store_dword v[14:15], v3, off offset:16
.LBB70_46:                              ;   in Loop: Header=BB70_36 Depth=1
	s_or_b64 exec, exec, s[6:7]
	global_load_dword v3, v[8:9], off offset:20
	s_waitcnt vmcnt(0)
	v_cmp_gt_u32_e32 vcc, 4, v3
	s_and_saveexec_b64 s[6:7], vcc
	s_cbranch_execz .LBB70_48
; %bb.47:                               ;   in Loop: Header=BB70_36 Depth=1
	v_lshl_add_u32 v3, v3, 2, v10
	ds_read_b32 v3, v3
	v_lshl_add_u64 v[14:15], v[6:7], 0, s[4:5]
	s_waitcnt lgkmcnt(0)
	v_mul_f32_e32 v3, v12, v3
	global_store_dword v[14:15], v3, off offset:20
.LBB70_48:                              ;   in Loop: Header=BB70_36 Depth=1
	s_or_b64 exec, exec, s[6:7]
	global_load_dword v3, v[8:9], off offset:24
	s_waitcnt vmcnt(0)
	v_cmp_gt_u32_e32 vcc, 4, v3
	s_and_saveexec_b64 s[6:7], vcc
	s_cbranch_execz .LBB70_50
; %bb.49:                               ;   in Loop: Header=BB70_36 Depth=1
	v_lshl_add_u32 v3, v3, 2, v10
	ds_read_b32 v3, v3
	v_lshl_add_u64 v[14:15], v[6:7], 0, s[4:5]
	s_waitcnt lgkmcnt(0)
	v_mul_f32_e32 v3, v12, v3
	global_store_dword v[14:15], v3, off offset:24
.LBB70_50:                              ;   in Loop: Header=BB70_36 Depth=1
	s_or_b64 exec, exec, s[6:7]
	global_load_dword v3, v[8:9], off offset:28
	s_waitcnt vmcnt(0)
	v_cmp_gt_u32_e32 vcc, 4, v3
	s_and_saveexec_b64 s[6:7], vcc
	s_cbranch_execz .LBB70_35
; %bb.51:                               ;   in Loop: Header=BB70_36 Depth=1
	v_lshl_add_u32 v3, v3, 2, v10
	ds_read_b32 v3, v3
	v_lshl_add_u64 v[8:9], v[6:7], 0, s[4:5]
	s_waitcnt lgkmcnt(0)
	v_mul_f32_e32 v3, v12, v3
	global_store_dword v[8:9], v3, off offset:28
	s_branch .LBB70_35
.LBB70_52:
	s_and_b32 s4, s16, 7
	s_cmp_eq_u32 s4, 0
	s_mov_b32 s3, 0
	s_cbranch_scc1 .LBB70_57
; %bb.53:
	v_add_u32_e32 v2, s2, v2
	s_lshl_b64 s[2:3], s[2:3], 2
	s_add_u32 s2, s10, s2
	s_addc_u32 s3, s11, s3
	v_lshl_add_u64 v[0:1], v[0:1], 2, s[2:3]
	s_branch .LBB70_55
.LBB70_54:                              ;   in Loop: Header=BB70_55 Depth=1
	s_or_b64 exec, exec, s[2:3]
	s_add_i32 s4, s4, -1
	v_add_u32_e32 v2, 1, v2
	s_cmp_eq_u32 s4, 0
	v_lshl_add_u64 v[0:1], v[0:1], 0, 4
	s_cbranch_scc1 .LBB70_57
.LBB70_55:                              ; =>This Inner Loop Header: Depth=1
	global_load_dword v3, v[0:1], off
	s_waitcnt vmcnt(0)
	v_cmp_gt_u32_e32 vcc, 4, v3
	s_and_saveexec_b64 s[2:3], vcc
	s_cbranch_execz .LBB70_54
; %bb.56:                               ;   in Loop: Header=BB70_55 Depth=1
	v_lshl_add_u32 v3, v3, 2, v10
	ds_read_b32 v4, v3
	v_ashrrev_i32_e32 v3, 31, v2
	s_waitcnt lgkmcnt(0)
	v_mul_f32_e32 v6, v12, v4
	v_lshl_add_u64 v[4:5], v[2:3], 2, s[0:1]
	global_store_dword v[4:5], v6, off
	s_branch .LBB70_54
.LBB70_57:
	s_endpgm
	.section	.rodata,"a",@progbits
	.p2align	6, 0x0
	.amdhsa_kernel _ZN4vllm3moe22topkGatingSoftplusSqrtILi4ELi4ELi4ELi16ELi32ELb1EjfEEvPKT6_PKbPfiPT5_PiiiibdPKfPKS8_SE_
		.amdhsa_group_segment_fixed_size 2048
		.amdhsa_private_segment_fixed_size 0
		.amdhsa_kernarg_size 96
		.amdhsa_user_sgpr_count 4
		.amdhsa_user_sgpr_dispatch_ptr 1
		.amdhsa_user_sgpr_queue_ptr 0
		.amdhsa_user_sgpr_kernarg_segment_ptr 1
		.amdhsa_user_sgpr_dispatch_id 0
		.amdhsa_user_sgpr_kernarg_preload_length 0
		.amdhsa_user_sgpr_kernarg_preload_offset 0
		.amdhsa_user_sgpr_private_segment_size 0
		.amdhsa_uses_dynamic_stack 0
		.amdhsa_enable_private_segment 0
		.amdhsa_system_sgpr_workgroup_id_x 1
		.amdhsa_system_sgpr_workgroup_id_y 0
		.amdhsa_system_sgpr_workgroup_id_z 0
		.amdhsa_system_sgpr_workgroup_info 0
		.amdhsa_system_vgpr_workitem_id 2
		.amdhsa_next_free_vgpr 23
		.amdhsa_next_free_sgpr 18
		.amdhsa_accum_offset 24
		.amdhsa_reserve_vcc 1
		.amdhsa_float_round_mode_32 0
		.amdhsa_float_round_mode_16_64 0
		.amdhsa_float_denorm_mode_32 3
		.amdhsa_float_denorm_mode_16_64 3
		.amdhsa_dx10_clamp 1
		.amdhsa_ieee_mode 1
		.amdhsa_fp16_overflow 0
		.amdhsa_tg_split 0
		.amdhsa_exception_fp_ieee_invalid_op 0
		.amdhsa_exception_fp_denorm_src 0
		.amdhsa_exception_fp_ieee_div_zero 0
		.amdhsa_exception_fp_ieee_overflow 0
		.amdhsa_exception_fp_ieee_underflow 0
		.amdhsa_exception_fp_ieee_inexact 0
		.amdhsa_exception_int_div_zero 0
	.end_amdhsa_kernel
	.section	.text._ZN4vllm3moe22topkGatingSoftplusSqrtILi4ELi4ELi4ELi16ELi32ELb1EjfEEvPKT6_PKbPfiPT5_PiiiibdPKfPKS8_SE_,"axG",@progbits,_ZN4vllm3moe22topkGatingSoftplusSqrtILi4ELi4ELi4ELi16ELi32ELb1EjfEEvPKT6_PKbPfiPT5_PiiiibdPKfPKS8_SE_,comdat
.Lfunc_end70:
	.size	_ZN4vllm3moe22topkGatingSoftplusSqrtILi4ELi4ELi4ELi16ELi32ELb1EjfEEvPKT6_PKbPfiPT5_PiiiibdPKfPKS8_SE_, .Lfunc_end70-_ZN4vllm3moe22topkGatingSoftplusSqrtILi4ELi4ELi4ELi16ELi32ELb1EjfEEvPKT6_PKbPfiPT5_PiiiibdPKfPKS8_SE_
                                        ; -- End function
	.section	.AMDGPU.csdata,"",@progbits
; Kernel info:
; codeLenInByte = 2808
; NumSgprs: 24
; NumVgprs: 23
; NumAgprs: 0
; TotalNumVgprs: 23
; ScratchSize: 0
; MemoryBound: 0
; FloatMode: 240
; IeeeMode: 1
; LDSByteSize: 2048 bytes/workgroup (compile time only)
; SGPRBlocks: 2
; VGPRBlocks: 2
; NumSGPRsForWavesPerEU: 24
; NumVGPRsForWavesPerEU: 23
; AccumOffset: 24
; Occupancy: 8
; WaveLimiterHint : 1
; COMPUTE_PGM_RSRC2:SCRATCH_EN: 0
; COMPUTE_PGM_RSRC2:USER_SGPR: 4
; COMPUTE_PGM_RSRC2:TRAP_HANDLER: 0
; COMPUTE_PGM_RSRC2:TGID_X_EN: 1
; COMPUTE_PGM_RSRC2:TGID_Y_EN: 0
; COMPUTE_PGM_RSRC2:TGID_Z_EN: 0
; COMPUTE_PGM_RSRC2:TIDIG_COMP_CNT: 2
; COMPUTE_PGM_RSRC3_GFX90A:ACCUM_OFFSET: 5
; COMPUTE_PGM_RSRC3_GFX90A:TG_SPLIT: 0
	.section	.text._ZN4vllm3moe22topkGatingSoftplusSqrtILi4ELi4ELi4ELi16ELi32ELb0EjfEEvPKT6_PKbPfiPT5_PiiiibdPKfPKS8_SE_,"axG",@progbits,_ZN4vllm3moe22topkGatingSoftplusSqrtILi4ELi4ELi4ELi16ELi32ELb0EjfEEvPKT6_PKbPfiPT5_PiiiibdPKfPKS8_SE_,comdat
	.protected	_ZN4vllm3moe22topkGatingSoftplusSqrtILi4ELi4ELi4ELi16ELi32ELb0EjfEEvPKT6_PKbPfiPT5_PiiiibdPKfPKS8_SE_ ; -- Begin function _ZN4vllm3moe22topkGatingSoftplusSqrtILi4ELi4ELi4ELi16ELi32ELb0EjfEEvPKT6_PKbPfiPT5_PiiiibdPKfPKS8_SE_
	.globl	_ZN4vllm3moe22topkGatingSoftplusSqrtILi4ELi4ELi4ELi16ELi32ELb0EjfEEvPKT6_PKbPfiPT5_PiiiibdPKfPKS8_SE_
	.p2align	8
	.type	_ZN4vllm3moe22topkGatingSoftplusSqrtILi4ELi4ELi4ELi16ELi32ELb0EjfEEvPKT6_PKbPfiPT5_PiiiibdPKfPKS8_SE_,@function
_ZN4vllm3moe22topkGatingSoftplusSqrtILi4ELi4ELi4ELi16ELi32ELb0EjfEEvPKT6_PKbPfiPT5_PiiiibdPKfPKS8_SE_: ; @_ZN4vllm3moe22topkGatingSoftplusSqrtILi4ELi4ELi4ELi16ELi32ELb0EjfEEvPKT6_PKbPfiPT5_PiiiibdPKfPKS8_SE_
; %bb.0:
	s_load_dword s24, s[2:3], 0x18
	v_bfe_u32 v4, v0, 10, 10
	v_and_b32_e32 v1, 0x3ff, v0
	s_lshl_b32 s4, s4, 7
	v_lshlrev_b32_e32 v2, 5, v4
	v_add3_u32 v2, v2, v1, s4
	s_waitcnt lgkmcnt(0)
	v_cmp_gt_i32_e32 vcc, s24, v2
	s_and_saveexec_b64 s[4:5], vcc
	s_cbranch_execz .LBB71_32
; %bb.1:
	s_load_dwordx4 s[4:7], s[2:3], 0x0
	s_load_dwordx2 s[20:21], s[2:3], 0x10
	s_waitcnt lgkmcnt(0)
	s_cmp_eq_u64 s[6:7], 0
	s_cbranch_scc1 .LBB71_3
; %bb.2:
	v_ashrrev_i32_e32 v3, 31, v2
	v_lshl_add_u64 v[6:7], s[6:7], 0, v[2:3]
	global_load_ubyte v3, v[6:7], off
	s_waitcnt vmcnt(0)
	v_and_b32_e32 v3, 1, v3
	v_cmp_eq_u32_e32 vcc, 1, v3
	s_xor_b64 s[6:7], vcc, -1
	s_orn2_b64 s[22:23], s[6:7], exec
	s_branch .LBB71_4
.LBB71_3:
	s_mov_b64 s[22:23], -1
.LBB71_4:
	v_lshlrev_b32_e32 v8, 2, v2
	v_mov_b32_e32 v6, s4
	v_mov_b32_e32 v7, s5
	v_ashrrev_i32_e32 v9, 31, v8
	v_lshl_add_u64 v[6:7], v[8:9], 2, v[6:7]
	global_load_dwordx4 v[6:9], v[6:7], off
	s_load_dwordx2 s[0:1], s[0:1], 0x4
	v_bfe_u32 v0, v0, 20, 10
	s_mov_b32 s15, 0x800000
	s_mov_b32 s13, 0x3f317217
	;; [unrolled: 1-line block ×3, first 2 shown]
	s_waitcnt lgkmcnt(0)
	s_lshr_b32 s0, s0, 16
	v_mul_u32_u24_e32 v3, s1, v4
	s_mul_i32 s0, s0, s1
	v_mad_u32_u24 v1, s0, v1, v3
	v_add_lshl_u32 v1, v1, v0, 4
	v_mov_b32_e32 v3, 0x4f800000
	v_mov_b32_e32 v4, 0x41b17218
	s_mov_b32 s12, 0x41a00000
	s_mov_b32 s16, 0xf800000
	s_load_dwordx4 s[8:11], s[2:3], 0x40
	s_waitcnt lgkmcnt(0)
	s_cmp_lg_u64 s[10:11], 0
	s_cselect_b64 s[6:7], -1, 0
	s_and_b64 s[0:1], exec, s[6:7]
	s_waitcnt vmcnt(0)
	ds_write_b128 v1, v[6:9]
	ds_read_b32 v5, v1
	s_waitcnt lgkmcnt(0)
	v_mul_f32_e32 v0, 0x3fb8aa3b, v5
	v_exp_f32_e32 v0, v0
	s_nop 0
	v_add_f32_e32 v0, 1.0, v0
	v_cmp_gt_f32_e32 vcc, s15, v0
	s_nop 1
	v_cndmask_b32_e32 v6, 1.0, v3, vcc
	v_mul_f32_e32 v0, v0, v6
	v_log_f32_e32 v6, v0
	v_cndmask_b32_e32 v7, 0, v4, vcc
	v_mov_b32_e32 v0, 0x260
	v_mul_f32_e32 v8, 0x3f317217, v6
	v_fma_f32 v8, v6, s13, -v8
	v_fmac_f32_e32 v8, 0x3377d1cf, v6
	v_fmac_f32_e32 v8, 0x3f317217, v6
	v_cmp_lt_f32_e64 vcc, |v6|, s14
	s_nop 1
	v_cndmask_b32_e32 v6, v6, v8, vcc
	v_sub_f32_e32 v6, v6, v7
	v_cmp_lt_f32_e32 vcc, s12, v5
	s_nop 1
	v_cndmask_b32_e32 v5, v6, v5, vcc
	v_mul_f32_e32 v6, 0x4f800000, v5
	v_cmp_gt_f32_e32 vcc, s16, v5
	s_nop 1
	v_cndmask_b32_e32 v5, v5, v6, vcc
	v_sqrt_f32_e32 v6, v5
	s_nop 0
	v_add_u32_e32 v7, -1, v6
	v_add_u32_e32 v8, 1, v6
	v_fma_f32 v9, -v7, v6, v5
	v_fma_f32 v10, -v8, v6, v5
	v_cmp_ge_f32_e64 s[4:5], 0, v9
	s_nop 1
	v_cndmask_b32_e64 v6, v6, v7, s[4:5]
	v_cmp_lt_f32_e64 s[4:5], 0, v10
	s_nop 1
	v_cndmask_b32_e64 v6, v6, v8, s[4:5]
	v_mul_f32_e32 v7, 0x37800000, v6
	v_cndmask_b32_e32 v6, v6, v7, vcc
	v_cmp_class_f32_e32 vcc, v5, v0
	s_nop 1
	v_cndmask_b32_e32 v5, v6, v5, vcc
	s_mov_b64 vcc, s[0:1]
	s_cbranch_vccz .LBB71_6
; %bb.5:
	s_load_dword s0, s[10:11], 0x0
	s_waitcnt lgkmcnt(0)
	v_add_f32_e32 v5, s0, v5
.LBB71_6:
	ds_read_b32 v6, v1 offset:4
	ds_write_b32 v1, v5
	s_waitcnt lgkmcnt(1)
	v_mul_f32_e32 v7, 0x3fb8aa3b, v6
	v_exp_f32_e32 v7, v7
	s_nop 0
	v_add_f32_e32 v7, 1.0, v7
	v_cmp_gt_f32_e32 vcc, s15, v7
	s_nop 1
	v_cndmask_b32_e32 v3, 1.0, v3, vcc
	v_mul_f32_e32 v3, v7, v3
	v_log_f32_e32 v3, v3
	v_cndmask_b32_e32 v4, 0, v4, vcc
	v_mul_f32_e32 v5, 0x3f317217, v3
	v_fma_f32 v5, v3, s13, -v5
	v_fmac_f32_e32 v5, 0x3377d1cf, v3
	v_fmac_f32_e32 v5, 0x3f317217, v3
	v_cmp_lt_f32_e64 vcc, |v3|, s14
	s_nop 1
	v_cndmask_b32_e32 v3, v3, v5, vcc
	v_sub_f32_e32 v3, v3, v4
	v_cmp_lt_f32_e32 vcc, s12, v6
	v_cndmask_b32_e64 v5, 0, 1, s[6:7]
	v_cmp_ne_u32_e64 s[0:1], 1, v5
	v_cndmask_b32_e32 v3, v3, v6, vcc
	v_mul_f32_e32 v4, 0x4f800000, v3
	v_cmp_gt_f32_e64 s[4:5], s16, v3
	s_andn2_b64 vcc, exec, s[6:7]
	s_nop 0
	v_cndmask_b32_e64 v3, v3, v4, s[4:5]
	v_sqrt_f32_e32 v4, v3
	s_nop 0
	v_add_u32_e32 v5, -1, v4
	v_add_u32_e32 v6, 1, v4
	v_fma_f32 v7, -v5, v4, v3
	v_fma_f32 v8, -v6, v4, v3
	v_cmp_ge_f32_e64 s[6:7], 0, v7
	s_nop 1
	v_cndmask_b32_e64 v4, v4, v5, s[6:7]
	v_cmp_lt_f32_e64 s[6:7], 0, v8
	s_nop 1
	v_cndmask_b32_e64 v4, v4, v6, s[6:7]
	v_mul_f32_e32 v5, 0x37800000, v4
	v_cndmask_b32_e64 v4, v4, v5, s[4:5]
	v_cmp_class_f32_e64 s[4:5], v3, v0
	s_nop 1
	v_cndmask_b32_e64 v0, v4, v3, s[4:5]
	s_cbranch_vccnz .LBB71_8
; %bb.7:
	s_load_dword s4, s[10:11], 0x4
	s_waitcnt lgkmcnt(0)
	v_add_f32_e32 v0, s4, v0
.LBB71_8:
	ds_read_b32 v5, v1 offset:8
	s_mov_b32 s12, 0x800000
	s_mov_b32 s7, 0x3f317217
	;; [unrolled: 1-line block ×4, first 2 shown]
	s_waitcnt lgkmcnt(0)
	v_mul_f32_e32 v3, 0x3fb8aa3b, v5
	v_exp_f32_e32 v4, v3
	v_mov_b32_e32 v3, 0x4f800000
	s_mov_b32 s14, 0xf800000
	ds_write_b32 v1, v0 offset:4
	v_add_f32_e32 v4, 1.0, v4
	v_cmp_gt_f32_e32 vcc, s12, v4
	s_nop 1
	v_cndmask_b32_e32 v6, 1.0, v3, vcc
	v_mul_f32_e32 v4, v4, v6
	v_log_f32_e32 v6, v4
	v_mov_b32_e32 v4, 0x41b17218
	v_cndmask_b32_e32 v7, 0, v4, vcc
	v_mul_f32_e32 v8, 0x3f317217, v6
	v_fma_f32 v8, v6, s7, -v8
	v_fmac_f32_e32 v8, 0x3377d1cf, v6
	v_fmac_f32_e32 v8, 0x3f317217, v6
	v_cmp_lt_f32_e64 vcc, |v6|, s13
	s_nop 1
	v_cndmask_b32_e32 v6, v6, v8, vcc
	v_sub_f32_e32 v6, v6, v7
	v_cmp_lt_f32_e32 vcc, s6, v5
	s_nop 1
	v_cndmask_b32_e32 v5, v6, v5, vcc
	v_mul_f32_e32 v6, 0x4f800000, v5
	v_cmp_gt_f32_e32 vcc, s14, v5
	s_nop 1
	v_cndmask_b32_e32 v5, v5, v6, vcc
	v_sqrt_f32_e32 v6, v5
	s_nop 0
	v_add_u32_e32 v0, -1, v6
	v_fma_f32 v7, -v0, v6, v5
	v_cmp_ge_f32_e64 s[4:5], 0, v7
	v_add_u32_e32 v7, 1, v6
	s_nop 0
	v_cndmask_b32_e64 v0, v6, v0, s[4:5]
	v_fma_f32 v6, -v7, v6, v5
	v_cmp_lt_f32_e64 s[4:5], 0, v6
	s_nop 1
	v_cndmask_b32_e64 v0, v0, v7, s[4:5]
	v_mul_f32_e32 v6, 0x37800000, v0
	v_cndmask_b32_e32 v6, v0, v6, vcc
	v_mov_b32_e32 v0, 0x260
	v_cmp_class_f32_e64 s[4:5], v5, v0
	s_and_b64 vcc, exec, s[0:1]
	s_nop 0
	v_cndmask_b32_e64 v5, v6, v5, s[4:5]
	s_cbranch_vccnz .LBB71_10
; %bb.9:
	s_load_dword s4, s[10:11], 0x8
	s_waitcnt lgkmcnt(0)
	v_add_f32_e32 v5, s4, v5
.LBB71_10:
	ds_read_b32 v6, v1 offset:12
	ds_write_b32 v1, v5 offset:8
	s_waitcnt lgkmcnt(1)
	v_mul_f32_e32 v7, 0x3fb8aa3b, v6
	v_exp_f32_e32 v7, v7
	s_nop 0
	v_add_f32_e32 v7, 1.0, v7
	v_cmp_gt_f32_e32 vcc, s12, v7
	s_nop 1
	v_cndmask_b32_e32 v3, 1.0, v3, vcc
	v_mul_f32_e32 v3, v7, v3
	v_log_f32_e32 v3, v3
	v_cndmask_b32_e32 v4, 0, v4, vcc
	v_mul_f32_e32 v7, 0x3f317217, v3
	v_fma_f32 v7, v3, s7, -v7
	v_fmac_f32_e32 v7, 0x3377d1cf, v3
	v_fmac_f32_e32 v7, 0x3f317217, v3
	v_cmp_lt_f32_e64 vcc, |v3|, s13
	s_nop 1
	v_cndmask_b32_e32 v3, v3, v7, vcc
	v_sub_f32_e32 v3, v3, v4
	v_cmp_lt_f32_e32 vcc, s6, v6
	s_nop 1
	v_cndmask_b32_e32 v3, v3, v6, vcc
	v_mul_f32_e32 v4, 0x4f800000, v3
	v_cmp_gt_f32_e64 s[4:5], s14, v3
	s_and_b64 vcc, exec, s[0:1]
	s_nop 0
	v_cndmask_b32_e64 v3, v3, v4, s[4:5]
	v_sqrt_f32_e32 v4, v3
	s_nop 0
	v_add_u32_e32 v5, -1, v4
	v_add_u32_e32 v6, 1, v4
	v_fma_f32 v7, -v5, v4, v3
	v_fma_f32 v8, -v6, v4, v3
	v_cmp_ge_f32_e64 s[6:7], 0, v7
	s_nop 1
	v_cndmask_b32_e64 v4, v4, v5, s[6:7]
	v_cmp_lt_f32_e64 s[6:7], 0, v8
	s_nop 1
	v_cndmask_b32_e64 v4, v4, v6, s[6:7]
	v_mul_f32_e32 v5, 0x37800000, v4
	v_cndmask_b32_e64 v4, v4, v5, s[4:5]
	v_cmp_class_f32_e64 s[4:5], v3, v0
	s_nop 1
	v_cndmask_b32_e64 v0, v4, v3, s[4:5]
	s_cbranch_vccnz .LBB71_12
; %bb.11:
	s_load_dword s4, s[10:11], 0xc
	s_waitcnt lgkmcnt(0)
	v_add_f32_e32 v0, s4, v0
.LBB71_12:
	s_load_dwordx4 s[12:15], s[2:3], 0x30
	ds_write_b32 v1, v0 offset:12
	s_mov_b32 s25, 0
	s_waitcnt lgkmcnt(0)
	s_bitcmp1_b32 s15, 0
	s_cselect_b64 s[4:5], -1, 0
	s_cmp_gt_i32 s12, 0
	s_cselect_b64 s[6:7], -1, 0
	s_and_b64 vcc, exec, s[6:7]
	v_mul_lo_u32 v0, v2, s12
	s_cbranch_vccz .LBB71_19
; %bb.13:
	s_load_dwordx4 s[16:19], s[2:3], 0x20
	v_mov_b32_e32 v3, 0
	v_mov_b32_e32 v4, 0xc61c4000
	s_branch .LBB71_15
.LBB71_14:                              ;   in Loop: Header=BB71_15 Depth=1
	v_add_f32_e32 v5, v3, v6
	v_cndmask_b32_e64 v3, v3, v5, s[4:5]
	s_cmp_lg_u32 s12, s25
	v_add_u32_e32 v2, s24, v2
	s_cbranch_scc0 .LBB71_20
.LBB71_15:                              ; =>This Inner Loop Header: Depth=1
	ds_read_b128 v[6:9], v1
	s_waitcnt lgkmcnt(0)
	v_cmp_gt_f32_e32 vcc, v7, v6
	s_nop 1
	v_cndmask_b32_e32 v6, v6, v7, vcc
	v_cndmask_b32_e64 v5, 0, 1, vcc
	v_cmp_gt_f32_e32 vcc, v8, v6
	s_nop 1
	v_cndmask_b32_e32 v6, v6, v8, vcc
	v_cndmask_b32_e64 v5, v5, 2, vcc
	v_cmp_gt_f32_e64 s[2:3], v9, v6
	s_and_b64 vcc, exec, s[0:1]
	s_nop 0
	v_cndmask_b32_e64 v5, v5, 3, s[2:3]
	v_cndmask_b32_e64 v6, v6, v9, s[2:3]
	s_cbranch_vccnz .LBB71_17
; %bb.16:                               ;   in Loop: Header=BB71_15 Depth=1
	v_lshlrev_b32_e32 v7, 2, v5
	global_load_dword v7, v7, s[10:11]
	s_waitcnt vmcnt(0)
	v_sub_f32_e32 v6, v6, v7
.LBB71_17:                              ;   in Loop: Header=BB71_15 Depth=1
	v_add_u32_e32 v8, s25, v0
	v_cmp_le_i32_e32 vcc, s13, v5
	v_cmp_gt_i32_e64 s[2:3], s14, v5
	v_ashrrev_i32_e32 v9, 31, v8
	s_and_b64 s[2:3], vcc, s[2:3]
	v_lshlrev_b64 v[8:9], 2, v[8:9]
	v_lshl_add_u64 v[10:11], s[20:21], 0, v[8:9]
	v_subrev_u32_e32 v7, s13, v5
	s_and_b64 vcc, s[22:23], s[2:3]
	s_add_i32 s25, s25, 1
	global_store_dword v[10:11], v6, off
	v_cndmask_b32_e32 v7, 4, v7, vcc
	v_lshl_add_u64 v[10:11], s[16:17], 0, v[8:9]
	v_lshl_add_u64 v[8:9], s[18:19], 0, v[8:9]
	s_cmp_ge_i32 s25, s12
	global_store_dword v[10:11], v7, off
	global_store_dword v[8:9], v2, off
	s_cbranch_scc1 .LBB71_14
; %bb.18:                               ;   in Loop: Header=BB71_15 Depth=1
	v_lshl_add_u32 v5, v5, 2, v1
	ds_write_b32 v5, v4
	s_branch .LBB71_14
.LBB71_19:
	v_mov_b32_e32 v3, 0
.LBB71_20:
	s_andn2_b64 vcc, exec, s[4:5]
	v_cvt_f32_f64_e32 v2, s[8:9]
	s_cbranch_vccnz .LBB71_22
; %bb.21:
	v_cmp_lt_f32_e32 vcc, 0, v3
	s_nop 1
	v_cndmask_b32_e32 v1, 1.0, v3, vcc
	v_div_scale_f32 v3, s[0:1], v1, v1, v2
	v_rcp_f32_e32 v4, v3
	s_nop 0
	v_fma_f32 v5, -v3, v4, 1.0
	v_fmac_f32_e32 v4, v5, v4
	v_div_scale_f32 v5, vcc, v2, v1, v2
	v_mul_f32_e32 v6, v5, v4
	v_fma_f32 v7, -v3, v6, v5
	v_fmac_f32_e32 v6, v7, v4
	v_fma_f32 v3, -v3, v6, v5
	v_div_fmas_f32 v3, v3, v4, v6
	v_div_fixup_f32 v2, v3, v1, v2
.LBB71_22:
	s_andn2_b64 vcc, exec, s[6:7]
	s_cbranch_vccnz .LBB71_32
; %bb.23:
	s_cmp_gt_u32 s12, 3
	v_ashrrev_i32_e32 v1, 31, v0
	s_cbranch_scc0 .LBB71_27
; %bb.24:
	s_and_b32 s0, s12, 0x7ffffffc
	v_lshl_add_u64 v[4:5], v[0:1], 2, s[20:21]
	v_mov_b32_e32 v3, v2
	v_lshl_add_u64 v[4:5], v[4:5], 0, 8
	s_mov_b32 s1, s0
.LBB71_25:                              ; =>This Inner Loop Header: Depth=1
	global_load_dwordx4 v[6:9], v[4:5], off offset:-8
	s_add_i32 s1, s1, -4
	s_cmp_lg_u32 s1, 0
	s_waitcnt vmcnt(0)
	v_pk_mul_f32 v[6:7], v[2:3], v[6:7]
	v_pk_mul_f32 v[8:9], v[2:3], v[8:9]
	global_store_dwordx4 v[4:5], v[6:9], off offset:-8
	v_lshl_add_u64 v[4:5], v[4:5], 0, 16
	s_cbranch_scc1 .LBB71_25
; %bb.26:
	s_cmp_lg_u32 s0, s12
	s_cselect_b64 s[2:3], -1, 0
	s_branch .LBB71_29
.LBB71_27:
	s_mov_b64 s[2:3], 0
                                        ; implicit-def: $sgpr0
	s_cbranch_execz .LBB71_29
; %bb.28:
	s_mov_b64 s[2:3], -1
	s_mov_b32 s0, 0
.LBB71_29:
	s_andn2_b64 vcc, exec, s[2:3]
	s_cbranch_vccnz .LBB71_32
; %bb.30:
	s_mov_b32 s1, 0
	v_lshl_add_u64 v[0:1], v[0:1], 0, s[0:1]
	s_sub_i32 s2, s12, s0
	v_lshl_add_u64 v[0:1], v[0:1], 2, s[20:21]
.LBB71_31:                              ; =>This Inner Loop Header: Depth=1
	global_load_dword v3, v[0:1], off
	s_add_i32 s2, s2, -1
	s_cmp_lg_u32 s2, 0
	s_waitcnt vmcnt(0)
	v_mul_f32_e32 v3, v2, v3
	global_store_dword v[0:1], v3, off
	v_lshl_add_u64 v[0:1], v[0:1], 0, 4
	s_cbranch_scc1 .LBB71_31
.LBB71_32:
	s_endpgm
	.section	.rodata,"a",@progbits
	.p2align	6, 0x0
	.amdhsa_kernel _ZN4vllm3moe22topkGatingSoftplusSqrtILi4ELi4ELi4ELi16ELi32ELb0EjfEEvPKT6_PKbPfiPT5_PiiiibdPKfPKS8_SE_
		.amdhsa_group_segment_fixed_size 2048
		.amdhsa_private_segment_fixed_size 0
		.amdhsa_kernarg_size 96
		.amdhsa_user_sgpr_count 4
		.amdhsa_user_sgpr_dispatch_ptr 1
		.amdhsa_user_sgpr_queue_ptr 0
		.amdhsa_user_sgpr_kernarg_segment_ptr 1
		.amdhsa_user_sgpr_dispatch_id 0
		.amdhsa_user_sgpr_kernarg_preload_length 0
		.amdhsa_user_sgpr_kernarg_preload_offset 0
		.amdhsa_user_sgpr_private_segment_size 0
		.amdhsa_uses_dynamic_stack 0
		.amdhsa_enable_private_segment 0
		.amdhsa_system_sgpr_workgroup_id_x 1
		.amdhsa_system_sgpr_workgroup_id_y 0
		.amdhsa_system_sgpr_workgroup_id_z 0
		.amdhsa_system_sgpr_workgroup_info 0
		.amdhsa_system_vgpr_workitem_id 2
		.amdhsa_next_free_vgpr 12
		.amdhsa_next_free_sgpr 26
		.amdhsa_accum_offset 12
		.amdhsa_reserve_vcc 1
		.amdhsa_float_round_mode_32 0
		.amdhsa_float_round_mode_16_64 0
		.amdhsa_float_denorm_mode_32 3
		.amdhsa_float_denorm_mode_16_64 3
		.amdhsa_dx10_clamp 1
		.amdhsa_ieee_mode 1
		.amdhsa_fp16_overflow 0
		.amdhsa_tg_split 0
		.amdhsa_exception_fp_ieee_invalid_op 0
		.amdhsa_exception_fp_denorm_src 0
		.amdhsa_exception_fp_ieee_div_zero 0
		.amdhsa_exception_fp_ieee_overflow 0
		.amdhsa_exception_fp_ieee_underflow 0
		.amdhsa_exception_fp_ieee_inexact 0
		.amdhsa_exception_int_div_zero 0
	.end_amdhsa_kernel
	.section	.text._ZN4vllm3moe22topkGatingSoftplusSqrtILi4ELi4ELi4ELi16ELi32ELb0EjfEEvPKT6_PKbPfiPT5_PiiiibdPKfPKS8_SE_,"axG",@progbits,_ZN4vllm3moe22topkGatingSoftplusSqrtILi4ELi4ELi4ELi16ELi32ELb0EjfEEvPKT6_PKbPfiPT5_PiiiibdPKfPKS8_SE_,comdat
.Lfunc_end71:
	.size	_ZN4vllm3moe22topkGatingSoftplusSqrtILi4ELi4ELi4ELi16ELi32ELb0EjfEEvPKT6_PKbPfiPT5_PiiiibdPKfPKS8_SE_, .Lfunc_end71-_ZN4vllm3moe22topkGatingSoftplusSqrtILi4ELi4ELi4ELi16ELi32ELb0EjfEEvPKT6_PKbPfiPT5_PiiiibdPKfPKS8_SE_
                                        ; -- End function
	.section	.AMDGPU.csdata,"",@progbits
; Kernel info:
; codeLenInByte = 2152
; NumSgprs: 32
; NumVgprs: 12
; NumAgprs: 0
; TotalNumVgprs: 12
; ScratchSize: 0
; MemoryBound: 0
; FloatMode: 240
; IeeeMode: 1
; LDSByteSize: 2048 bytes/workgroup (compile time only)
; SGPRBlocks: 3
; VGPRBlocks: 1
; NumSGPRsForWavesPerEU: 32
; NumVGPRsForWavesPerEU: 12
; AccumOffset: 12
; Occupancy: 8
; WaveLimiterHint : 0
; COMPUTE_PGM_RSRC2:SCRATCH_EN: 0
; COMPUTE_PGM_RSRC2:USER_SGPR: 4
; COMPUTE_PGM_RSRC2:TRAP_HANDLER: 0
; COMPUTE_PGM_RSRC2:TGID_X_EN: 1
; COMPUTE_PGM_RSRC2:TGID_Y_EN: 0
; COMPUTE_PGM_RSRC2:TGID_Z_EN: 0
; COMPUTE_PGM_RSRC2:TIDIG_COMP_CNT: 2
; COMPUTE_PGM_RSRC3_GFX90A:ACCUM_OFFSET: 2
; COMPUTE_PGM_RSRC3_GFX90A:TG_SPLIT: 0
	.section	.text._ZN4vllm3moe22topkGatingSoftplusSqrtILi4ELi8ELi4ELi16ELi64ELb1EjfEEvPKT6_PKbPfiPT5_PiiiibdPKfPKS8_SE_,"axG",@progbits,_ZN4vllm3moe22topkGatingSoftplusSqrtILi4ELi8ELi4ELi16ELi64ELb1EjfEEvPKT6_PKbPfiPT5_PiiiibdPKfPKS8_SE_,comdat
	.protected	_ZN4vllm3moe22topkGatingSoftplusSqrtILi4ELi8ELi4ELi16ELi64ELb1EjfEEvPKT6_PKbPfiPT5_PiiiibdPKfPKS8_SE_ ; -- Begin function _ZN4vllm3moe22topkGatingSoftplusSqrtILi4ELi8ELi4ELi16ELi64ELb1EjfEEvPKT6_PKbPfiPT5_PiiiibdPKfPKS8_SE_
	.globl	_ZN4vllm3moe22topkGatingSoftplusSqrtILi4ELi8ELi4ELi16ELi64ELb1EjfEEvPKT6_PKbPfiPT5_PiiiibdPKfPKS8_SE_
	.p2align	8
	.type	_ZN4vllm3moe22topkGatingSoftplusSqrtILi4ELi8ELi4ELi16ELi64ELb1EjfEEvPKT6_PKbPfiPT5_PiiiibdPKfPKS8_SE_,@function
_ZN4vllm3moe22topkGatingSoftplusSqrtILi4ELi8ELi4ELi16ELi64ELb1EjfEEvPKT6_PKbPfiPT5_PiiiibdPKfPKS8_SE_: ; @_ZN4vllm3moe22topkGatingSoftplusSqrtILi4ELi8ELi4ELi16ELi64ELb1EjfEEvPKT6_PKbPfiPT5_PiiiibdPKfPKS8_SE_
; %bb.0:
	s_load_dword s3, s[0:1], 0x18
	v_bfe_u32 v1, v0, 10, 10
	v_and_b32_e32 v6, 0x3ff, v0
	s_lshl_b32 s2, s2, 7
	v_lshlrev_b32_e32 v1, 5, v1
	v_lshrrev_b32_e32 v0, 1, v6
	v_add3_u32 v2, s2, v1, v0
	s_waitcnt lgkmcnt(0)
	v_cmp_gt_i32_e32 vcc, s3, v2
	s_and_saveexec_b64 s[2:3], vcc
	s_cbranch_execz .LBB72_80
; %bb.1:
	s_load_dwordx2 s[2:3], s[0:1], 0x0
	s_load_dword s20, s[0:1], 0x30
	v_lshlrev_b32_e32 v0, 3, v2
	v_lshlrev_b32_e32 v3, 2, v6
	v_ashrrev_i32_e32 v1, 31, v0
	v_and_b32_e32 v10, 4, v3
	s_waitcnt lgkmcnt(0)
	v_lshl_add_u64 v[4:5], v[0:1], 2, s[2:3]
	v_lshlrev_b32_e32 v0, 2, v10
	v_mov_b32_e32 v1, 0
	v_lshl_add_u64 v[4:5], v[4:5], 0, v[0:1]
	global_load_dwordx4 v[12:15], v[4:5], off
	s_load_dwordx4 s[8:11], s[0:1], 0x50
	v_ashrrev_i32_e32 v3, 31, v2
	s_mov_b32 s6, 0x800000
	s_mov_b32 s12, 0x3f317217
	;; [unrolled: 1-line block ×3, first 2 shown]
	s_waitcnt lgkmcnt(0)
	v_mov_b32_e32 v4, s8
	v_mov_b32_e32 v5, s9
	v_lshl_add_u64 v[4:5], v[2:3], 2, v[4:5]
	global_load_dword v0, v[4:5], off
	v_mov_b32_e32 v3, 0x4f800000
	v_mov_b32_e32 v7, 0x41b17218
	s_mov_b32 s9, 0x41a00000
	s_mov_b32 s14, 0xf800000
	v_mov_b32_e32 v11, 0x260
	s_cmp_gt_i32 s20, 0
	s_mov_b32 s8, 0
	v_mul_lo_u32 v2, v2, s20
	s_waitcnt vmcnt(1)
	v_mul_f32_e32 v4, 0x3fb8aa3b, v12
	v_mul_f32_e32 v5, 0x3fb8aa3b, v13
	v_exp_f32_e32 v4, v4
	v_exp_f32_e32 v5, v5
	v_mul_f32_e32 v8, 0x3fb8aa3b, v14
	v_mul_f32_e32 v9, 0x3fb8aa3b, v15
	v_exp_f32_e32 v8, v8
	v_exp_f32_e32 v9, v9
	v_pk_add_f32 v[4:5], v[4:5], 1.0 op_sel_hi:[1,0]
	s_waitcnt vmcnt(0)
	v_mul_lo_u32 v0, v0, s20
	v_cmp_gt_f32_e32 vcc, s6, v5
	v_pk_add_f32 v[8:9], v[8:9], 1.0 op_sel_hi:[1,0]
	v_cmp_gt_f32_e64 s[2:3], s6, v4
	v_cndmask_b32_e32 v16, 1.0, v3, vcc
	v_cmp_gt_f32_e64 s[4:5], s6, v9
	v_cndmask_b32_e64 v17, 1.0, v3, s[2:3]
	v_mul_f32_e32 v5, v5, v16
	v_cndmask_b32_e64 v18, 1.0, v3, s[4:5]
	v_cmp_gt_f32_e64 s[6:7], s6, v8
	v_mul_f32_e32 v4, v4, v17
	v_log_f32_e32 v5, v5
	v_cndmask_b32_e64 v3, 1.0, v3, s[6:7]
	v_mul_f32_e32 v9, v9, v18
	v_log_f32_e32 v4, v4
	v_mul_f32_e32 v3, v8, v3
	v_log_f32_e32 v8, v9
	v_log_f32_e32 v3, v3
	v_mul_f32_e32 v9, 0x3f317217, v5
	v_mul_f32_e32 v19, 0x3f317217, v4
	v_fma_f32 v9, v5, s12, -v9
	v_mul_f32_e32 v20, 0x3f317217, v8
	v_fma_f32 v19, v4, s12, -v19
	v_fmac_f32_e32 v9, 0x3377d1cf, v5
	v_cndmask_b32_e32 v16, 0, v7, vcc
	v_mul_f32_e32 v21, 0x3f317217, v3
	v_fma_f32 v20, v8, s12, -v20
	v_fmac_f32_e32 v19, 0x3377d1cf, v4
	v_fmac_f32_e32 v9, 0x3f317217, v5
	v_cmp_lt_f32_e64 vcc, |v5|, s13
	v_fma_f32 v21, v3, s12, -v21
	v_fmac_f32_e32 v20, 0x3377d1cf, v8
	v_fmac_f32_e32 v19, 0x3f317217, v4
	v_cndmask_b32_e32 v5, v5, v9, vcc
	v_cmp_lt_f32_e64 vcc, |v4|, s13
	v_fmac_f32_e32 v21, 0x3377d1cf, v3
	v_fmac_f32_e32 v20, 0x3f317217, v8
	v_cndmask_b32_e32 v4, v4, v19, vcc
	v_cmp_lt_f32_e64 vcc, |v8|, s13
	v_cndmask_b32_e64 v17, 0, v7, s[2:3]
	v_fmac_f32_e32 v21, 0x3f317217, v3
	v_cndmask_b32_e32 v8, v8, v20, vcc
	v_cmp_lt_f32_e64 vcc, |v3|, s13
	v_sub_f32_e32 v4, v4, v17
	v_sub_f32_e32 v5, v5, v16
	v_cndmask_b32_e32 v3, v3, v21, vcc
	v_cmp_lt_f32_e32 vcc, s9, v12
	v_cndmask_b32_e64 v18, 0, v7, s[4:5]
	v_sub_f32_e32 v8, v8, v18
	v_cndmask_b32_e32 v4, v4, v12, vcc
	v_cmp_lt_f32_e32 vcc, s9, v13
	v_mul_f32_e32 v12, 0x4f800000, v4
	v_cmp_gt_f32_e64 s[2:3], s14, v4
	v_cndmask_b32_e32 v5, v5, v13, vcc
	v_mul_f32_e32 v9, 0x4f800000, v5
	v_cmp_gt_f32_e32 vcc, s14, v5
	v_cndmask_b32_e64 v4, v4, v12, s[2:3]
	v_sqrt_f32_e32 v12, v4
	v_cndmask_b32_e32 v5, v5, v9, vcc
	v_sqrt_f32_e32 v9, v5
	v_add_u32_e32 v17, -1, v12
	v_fma_f32 v21, -v17, v12, v4
	v_add_u32_e32 v13, -1, v9
	v_fma_f32 v19, -v13, v9, v5
	v_add_u32_e32 v16, 1, v9
	v_cmp_ge_f32_e64 s[4:5], 0, v19
	v_add_u32_e32 v18, 1, v12
	v_fma_f32 v20, -v16, v9, v5
	v_cndmask_b32_e64 v9, v9, v13, s[4:5]
	v_cmp_ge_f32_e64 s[4:5], 0, v21
	v_fma_f32 v22, -v18, v12, v4
	s_nop 0
	v_cndmask_b32_e64 v12, v12, v17, s[4:5]
	v_cmp_lt_f32_e64 s[4:5], 0, v20
	s_nop 1
	v_cndmask_b32_e64 v9, v9, v16, s[4:5]
	v_cmp_lt_f32_e64 s[4:5], 0, v22
	v_mul_f32_e32 v13, 0x37800000, v9
	v_cndmask_b32_e32 v9, v9, v13, vcc
	v_cndmask_b32_e64 v12, v12, v18, s[4:5]
	v_mul_f32_e32 v16, 0x37800000, v12
	v_cmp_class_f32_e32 vcc, v5, v11
	v_cndmask_b32_e64 v12, v12, v16, s[2:3]
	v_cmp_lt_f32_e64 s[2:3], s9, v14
	v_cndmask_b32_e32 v13, v9, v5, vcc
	v_cmp_class_f32_e32 vcc, v4, v11
	s_cselect_b64 s[4:5], -1, 0
	s_cmp_lt_i32 s20, 1
	v_cndmask_b32_e32 v12, v12, v4, vcc
	v_cmp_lt_f32_e32 vcc, s9, v15
	v_cndmask_b32_e64 v4, 0, v7, s[6:7]
	v_sub_f32_e32 v3, v3, v4
	v_cndmask_b32_e32 v5, v8, v15, vcc
	v_mul_f32_e32 v7, 0x4f800000, v5
	v_cmp_gt_f32_e32 vcc, s14, v5
	v_cndmask_b32_e64 v3, v3, v14, s[2:3]
	s_nop 0
	v_cndmask_b32_e32 v5, v5, v7, vcc
	v_sqrt_f32_e32 v7, v5
	s_nop 0
	v_add_u32_e32 v4, -1, v7
	v_fma_f32 v8, -v4, v7, v5
	v_cmp_ge_f32_e64 s[2:3], 0, v8
	v_add_u32_e32 v8, 1, v7
	s_nop 0
	v_cndmask_b32_e64 v4, v7, v4, s[2:3]
	v_fma_f32 v7, -v8, v7, v5
	v_cmp_lt_f32_e64 s[2:3], 0, v7
	s_nop 1
	v_cndmask_b32_e64 v4, v4, v8, s[2:3]
	v_mul_f32_e32 v8, 0x4f800000, v3
	v_cmp_gt_f32_e64 s[2:3], s14, v3
	v_mul_f32_e32 v7, 0x37800000, v4
	v_cndmask_b32_e32 v4, v4, v7, vcc
	v_cndmask_b32_e64 v3, v3, v8, s[2:3]
	v_sqrt_f32_e32 v8, v3
	v_cmp_class_f32_e32 vcc, v5, v11
	s_nop 1
	v_cndmask_b32_e32 v15, v4, v5, vcc
	v_add_u32_e32 v4, -1, v8
	v_fma_f32 v5, -v4, v8, v3
	v_cmp_ge_f32_e32 vcc, 0, v5
	v_add_u32_e32 v5, 1, v8
	v_fma_f32 v7, -v5, v8, v3
	v_cndmask_b32_e32 v4, v8, v4, vcc
	v_cmp_lt_f32_e32 vcc, 0, v7
	s_nop 1
	v_cndmask_b32_e32 v4, v4, v5, vcc
	v_mul_f32_e32 v5, 0x37800000, v4
	v_cndmask_b32_e64 v4, v4, v5, s[2:3]
	v_cmp_class_f32_e32 vcc, v3, v11
	s_nop 1
	v_cndmask_b32_e32 v14, v4, v3, vcc
	scratch_store_dwordx4 off, v[12:15], off
	v_lshl_add_u64 v[4:5], v[0:1], 2, s[10:11]
	s_nop 0
	v_mov_b32_e32 v12, v1
	s_cbranch_scc1 .LBB72_29
; %bb.2:
	s_load_dwordx2 s[6:7], s[0:1], 0x20
	s_cmp_lt_u32 s20, 4
	v_and_b32_e32 v11, 1, v6
	s_cbranch_scc1 .LBB72_21
; %bb.3:
	v_lshlrev_b32_e32 v6, 2, v11
	s_mov_b32 s13, 0
	s_and_b32 s8, s20, 0x7ffffffc
	v_ashrrev_i32_e32 v3, 31, v2
	v_sub_u32_e32 v13, 0, v6
	v_mov_b32_e32 v12, 0
	s_mov_b32 s12, s13
	s_branch .LBB72_5
.LBB72_4:                               ;   in Loop: Header=BB72_5 Depth=1
	s_or_b64 exec, exec, s[14:15]
	s_add_i32 s12, s12, 4
	s_cmp_eq_u32 s12, s8
	s_cbranch_scc1 .LBB72_22
.LBB72_5:                               ; =>This Loop Header: Depth=1
                                        ;     Child Loop BB72_7 Depth 2
                                        ;     Child Loop BB72_11 Depth 2
	;; [unrolled: 1-line block ×4, first 2 shown]
	v_lshl_add_u64 v[6:7], s[12:13], 2, v[4:5]
	global_load_dword v14, v[6:7], off
	v_add_u32_e32 v8, s12, v2
	v_ashrrev_i32_e32 v9, 31, v8
	v_mov_b32_e32 v15, 0
	s_mov_b64 s[14:15], 0
	s_waitcnt lgkmcnt(0)
	v_lshl_add_u64 v[8:9], v[8:9], 2, s[6:7]
	s_mov_b32 s9, 0
	s_waitcnt vmcnt(0)
	v_add_u32_e32 v16, v13, v14
	s_branch .LBB72_7
.LBB72_6:                               ;   in Loop: Header=BB72_7 Depth=2
	s_or_b64 exec, exec, s[16:17]
	s_add_i32 s18, s9, 1
	s_cmp_gt_u32 s9, 2
	s_cselect_b64 s[2:3], -1, 0
	s_xor_b64 s[16:17], vcc, -1
	s_or_b64 s[2:3], s[16:17], s[2:3]
	s_and_b64 s[2:3], exec, s[2:3]
	v_add_u32_e32 v15, 4, v15
	s_or_b64 s[14:15], s[2:3], s[14:15]
	s_mov_b32 s9, s18
	s_andn2_b64 exec, exec, s[14:15]
	s_cbranch_execz .LBB72_9
.LBB72_7:                               ;   Parent Loop BB72_5 Depth=1
                                        ; =>  This Inner Loop Header: Depth=2
	v_cmp_ne_u32_e32 vcc, s9, v16
	v_cmp_eq_u32_e64 s[2:3], s9, v16
	s_and_saveexec_b64 s[16:17], s[2:3]
	s_cbranch_execz .LBB72_6
; %bb.8:                                ;   in Loop: Header=BB72_7 Depth=2
	scratch_load_dword v17, v15, off
	s_waitcnt vmcnt(0)
	v_add_f32_e32 v12, v12, v17
	global_store_dword v[8:9], v14, off
	s_branch .LBB72_6
.LBB72_9:                               ;   in Loop: Header=BB72_5 Depth=1
	s_or_b64 exec, exec, s[14:15]
	global_load_dword v14, v[6:7], off offset:4
	s_ashr_i32 s3, s12, 31
	s_mov_b32 s2, s12
	v_lshl_add_u64 v[8:9], s[2:3], 0, v[2:3]
	v_mov_b32_e32 v15, 0
	s_mov_b32 s9, 0
	v_lshl_add_u64 v[8:9], v[8:9], 2, s[6:7]
	s_mov_b64 s[14:15], 0
	s_waitcnt vmcnt(0)
	v_add_u32_e32 v16, v13, v14
	s_branch .LBB72_11
.LBB72_10:                              ;   in Loop: Header=BB72_11 Depth=2
	s_or_b64 exec, exec, s[16:17]
	s_add_i32 s18, s9, 1
	s_cmp_gt_u32 s9, 2
	s_cselect_b64 s[2:3], -1, 0
	s_xor_b64 s[16:17], vcc, -1
	s_or_b64 s[2:3], s[16:17], s[2:3]
	s_and_b64 s[2:3], exec, s[2:3]
	v_add_u32_e32 v15, 4, v15
	s_or_b64 s[14:15], s[2:3], s[14:15]
	s_mov_b32 s9, s18
	s_andn2_b64 exec, exec, s[14:15]
	s_cbranch_execz .LBB72_13
.LBB72_11:                              ;   Parent Loop BB72_5 Depth=1
                                        ; =>  This Inner Loop Header: Depth=2
	v_cmp_ne_u32_e32 vcc, s9, v16
	v_cmp_eq_u32_e64 s[2:3], s9, v16
	s_and_saveexec_b64 s[16:17], s[2:3]
	s_cbranch_execz .LBB72_10
; %bb.12:                               ;   in Loop: Header=BB72_11 Depth=2
	scratch_load_dword v17, v15, off
	s_waitcnt vmcnt(0)
	v_add_f32_e32 v12, v12, v17
	global_store_dword v[8:9], v14, off offset:4
	s_branch .LBB72_10
.LBB72_13:                              ;   in Loop: Header=BB72_5 Depth=1
	s_or_b64 exec, exec, s[14:15]
	global_load_dword v14, v[6:7], off offset:8
	v_mov_b32_e32 v15, 0
	s_mov_b32 s9, 0
	s_mov_b64 s[14:15], 0
	s_waitcnt vmcnt(0)
	v_add_u32_e32 v16, v13, v14
	s_branch .LBB72_15
.LBB72_14:                              ;   in Loop: Header=BB72_15 Depth=2
	s_or_b64 exec, exec, s[16:17]
	s_add_i32 s18, s9, 1
	s_cmp_gt_u32 s9, 2
	s_cselect_b64 s[2:3], -1, 0
	s_xor_b64 s[16:17], vcc, -1
	s_or_b64 s[2:3], s[16:17], s[2:3]
	s_and_b64 s[2:3], exec, s[2:3]
	v_add_u32_e32 v15, 4, v15
	s_or_b64 s[14:15], s[2:3], s[14:15]
	s_mov_b32 s9, s18
	s_andn2_b64 exec, exec, s[14:15]
	s_cbranch_execz .LBB72_17
.LBB72_15:                              ;   Parent Loop BB72_5 Depth=1
                                        ; =>  This Inner Loop Header: Depth=2
	v_cmp_ne_u32_e32 vcc, s9, v16
	v_cmp_eq_u32_e64 s[2:3], s9, v16
	s_and_saveexec_b64 s[16:17], s[2:3]
	s_cbranch_execz .LBB72_14
; %bb.16:                               ;   in Loop: Header=BB72_15 Depth=2
	scratch_load_dword v17, v15, off
	s_waitcnt vmcnt(0)
	v_add_f32_e32 v12, v12, v17
	global_store_dword v[8:9], v14, off offset:8
	s_branch .LBB72_14
.LBB72_17:                              ;   in Loop: Header=BB72_5 Depth=1
	s_or_b64 exec, exec, s[14:15]
	global_load_dword v6, v[6:7], off offset:12
	v_mov_b32_e32 v7, 0
	s_mov_b32 s9, 0
	s_mov_b64 s[14:15], 0
	s_waitcnt vmcnt(0)
	v_add_u32_e32 v14, v13, v6
	s_branch .LBB72_19
.LBB72_18:                              ;   in Loop: Header=BB72_19 Depth=2
	s_or_b64 exec, exec, s[16:17]
	s_add_i32 s18, s9, 1
	s_cmp_gt_u32 s9, 2
	s_cselect_b64 s[2:3], -1, 0
	s_xor_b64 s[16:17], vcc, -1
	s_or_b64 s[2:3], s[16:17], s[2:3]
	s_and_b64 s[2:3], exec, s[2:3]
	v_add_u32_e32 v7, 4, v7
	s_or_b64 s[14:15], s[2:3], s[14:15]
	s_mov_b32 s9, s18
	s_andn2_b64 exec, exec, s[14:15]
	s_cbranch_execz .LBB72_4
.LBB72_19:                              ;   Parent Loop BB72_5 Depth=1
                                        ; =>  This Inner Loop Header: Depth=2
	v_cmp_ne_u32_e32 vcc, s9, v14
	v_cmp_eq_u32_e64 s[2:3], s9, v14
	s_and_saveexec_b64 s[16:17], s[2:3]
	s_cbranch_execz .LBB72_18
; %bb.20:                               ;   in Loop: Header=BB72_19 Depth=2
	scratch_load_dword v15, v7, off
	s_waitcnt vmcnt(0)
	v_add_f32_e32 v12, v12, v15
	global_store_dword v[8:9], v6, off offset:12
	s_branch .LBB72_18
.LBB72_21:
	v_mov_b32_e32 v12, 0
.LBB72_22:
	s_and_b32 s16, s20, 3
	s_cmp_eq_u32 s16, 0
	s_mov_b32 s9, 0
	s_cbranch_scc1 .LBB72_29
; %bb.23:
	v_lshlrev_b32_e32 v3, 2, v11
	v_sub_u32_e32 v3, 0, v3
	s_mov_b32 s17, s9
	s_branch .LBB72_25
.LBB72_24:                              ;   in Loop: Header=BB72_25 Depth=1
	s_or_b64 exec, exec, s[12:13]
	s_add_i32 s8, s8, 1
	s_add_i32 s17, s17, 1
	s_cmp_lg_u32 s17, s16
	s_cbranch_scc0 .LBB72_29
.LBB72_25:                              ; =>This Loop Header: Depth=1
                                        ;     Child Loop BB72_27 Depth 2
	v_lshl_add_u64 v[6:7], s[8:9], 2, v[4:5]
	global_load_dword v8, v[6:7], off
	v_add_u32_e32 v6, s8, v2
	v_ashrrev_i32_e32 v7, 31, v6
	v_mov_b32_e32 v9, 0
	s_mov_b32 s18, 0
	s_waitcnt lgkmcnt(0)
	v_lshl_add_u64 v[6:7], v[6:7], 2, s[6:7]
	s_mov_b64 s[12:13], 0
	s_waitcnt vmcnt(0)
	v_add_u32_e32 v11, v3, v8
	s_branch .LBB72_27
.LBB72_26:                              ;   in Loop: Header=BB72_27 Depth=2
	s_or_b64 exec, exec, s[14:15]
	s_add_i32 s19, s18, 1
	s_cmp_gt_u32 s18, 2
	s_cselect_b64 s[2:3], -1, 0
	s_xor_b64 s[14:15], vcc, -1
	s_or_b64 s[2:3], s[14:15], s[2:3]
	s_and_b64 s[2:3], exec, s[2:3]
	v_add_u32_e32 v9, 4, v9
	s_or_b64 s[12:13], s[2:3], s[12:13]
	s_mov_b32 s18, s19
	s_andn2_b64 exec, exec, s[12:13]
	s_cbranch_execz .LBB72_24
.LBB72_27:                              ;   Parent Loop BB72_25 Depth=1
                                        ; =>  This Inner Loop Header: Depth=2
	v_cmp_ne_u32_e32 vcc, s18, v11
	v_cmp_eq_u32_e64 s[2:3], s18, v11
	s_and_saveexec_b64 s[14:15], s[2:3]
	s_cbranch_execz .LBB72_26
; %bb.28:                               ;   in Loop: Header=BB72_27 Depth=2
	scratch_load_dword v13, v9, off
	s_waitcnt vmcnt(0)
	v_add_f32_e32 v12, v12, v13
	global_store_dword v[6:7], v8, off
	s_branch .LBB72_26
.LBB72_29:
	s_waitcnt lgkmcnt(0)
	s_load_dword s6, s[0:1], 0x3c
	s_waitcnt lgkmcnt(0)
	s_bitcmp1_b32 s6, 0
	s_cselect_b64 s[2:3], -1, 0
	s_bitcmp0_b32 s6, 0
	s_cbranch_scc0 .LBB72_32
; %bb.30:
	s_load_dwordx2 s[6:7], s[0:1], 0x40
	s_andn2_b64 vcc, exec, s[2:3]
	s_waitcnt lgkmcnt(0)
	v_cvt_f32_f64_e32 v11, s[6:7]
	s_cbranch_vccz .LBB72_33
.LBB72_31:
	s_andn2_b64 vcc, exec, s[4:5]
	s_cbranch_vccz .LBB72_34
	s_branch .LBB72_80
.LBB72_32:
	v_mbcnt_lo_u32_b32 v3, -1, 0
	v_mbcnt_hi_u32_b32 v3, -1, v3
	v_and_b32_e32 v7, 0x7e, v3
	v_xor_b32_e32 v6, 1, v3
	v_add_u32_e32 v7, 2, v7
	v_cmp_lt_i32_e32 vcc, v6, v7
	s_nop 1
	v_cndmask_b32_e32 v3, v3, v6, vcc
	v_lshlrev_b32_e32 v3, 2, v3
	ds_bpermute_b32 v3, v3, v12
	s_waitcnt lgkmcnt(0)
	v_add_f32_e32 v12, v12, v3
	s_load_dwordx2 s[6:7], s[0:1], 0x40
	s_andn2_b64 vcc, exec, s[2:3]
	s_waitcnt lgkmcnt(0)
	v_cvt_f32_f64_e32 v11, s[6:7]
	s_cbranch_vccnz .LBB72_31
.LBB72_33:
	v_cmp_lt_f32_e32 vcc, 0, v12
	s_nop 1
	v_cndmask_b32_e32 v3, 1.0, v12, vcc
	v_div_scale_f32 v6, s[2:3], v3, v3, v11
	v_rcp_f32_e32 v7, v6
	s_nop 0
	v_fma_f32 v8, -v6, v7, 1.0
	v_fmac_f32_e32 v7, v8, v7
	v_div_scale_f32 v8, vcc, v11, v3, v11
	v_mul_f32_e32 v9, v8, v7
	v_fma_f32 v12, -v6, v9, v8
	v_fmac_f32_e32 v9, v12, v7
	v_fma_f32 v6, -v6, v9, v8
	v_div_fmas_f32 v6, v6, v7, v9
	v_div_fixup_f32 v11, v6, v3, v11
	s_andn2_b64 vcc, exec, s[4:5]
	s_cbranch_vccnz .LBB72_80
.LBB72_34:
	s_load_dwordx2 s[4:5], s[0:1], 0x10
	v_mov_b32_e32 v3, 0
	v_or_b32_e32 v12, 4, v3
	v_or_b32_e32 v13, 8, v3
	;; [unrolled: 1-line block ×6, first 2 shown]
	s_cmp_lt_u32 s20, 4
	s_mov_b32 s6, 0
	s_cbranch_scc1 .LBB72_69
; %bb.35:
	v_ashrrev_i32_e32 v3, 31, v2
	s_and_b32 s6, s20, 0x7ffffffc
	s_waitcnt lgkmcnt(0)
	v_lshl_add_u64 v[6:7], v[2:3], 2, s[4:5]
	s_mov_b32 s7, 0
	s_mov_b64 s[8:9], 0
	s_branch .LBB72_37
.LBB72_36:                              ;   in Loop: Header=BB72_37 Depth=1
	s_or_b64 exec, exec, s[2:3]
	s_add_i32 s7, s7, 4
	s_add_u32 s8, s8, 16
	s_addc_u32 s9, s9, 0
	s_cmp_eq_u32 s6, s7
	s_cbranch_scc1 .LBB72_69
.LBB72_37:                              ; =>This Inner Loop Header: Depth=1
	v_lshl_add_u64 v[8:9], v[4:5], 0, s[8:9]
	global_load_dword v18, v[8:9], off
	v_mov_b32_e32 v3, 0
	s_waitcnt vmcnt(0)
	v_cmp_eq_u32_e32 vcc, v18, v10
	v_cmp_ne_u32_e64 s[0:1], v18, v10
	s_and_saveexec_b64 s[12:13], s[0:1]
	s_cbranch_execz .LBB72_43
; %bb.38:                               ;   in Loop: Header=BB72_37 Depth=1
	v_cmp_eq_u32_e64 s[0:1], v18, v15
	v_cmp_ne_u32_e64 s[2:3], v18, v15
	v_mov_b32_e32 v3, v12
	s_and_saveexec_b64 s[14:15], s[2:3]
	s_cbranch_execz .LBB72_42
; %bb.39:                               ;   in Loop: Header=BB72_37 Depth=1
	v_cmp_eq_u32_e64 s[16:17], v18, v16
	v_cmp_ne_u32_e64 s[2:3], v18, v16
	v_mov_b32_e32 v3, v13
	s_and_saveexec_b64 s[18:19], s[2:3]
	s_xor_b64 s[18:19], exec, s[18:19]
; %bb.40:                               ;   in Loop: Header=BB72_37 Depth=1
	v_cmp_eq_u32_e64 s[2:3], v18, v17
	s_andn2_b64 s[16:17], s[16:17], exec
	s_and_b64 s[2:3], s[2:3], exec
	s_or_b64 s[16:17], s[16:17], s[2:3]
	v_mov_b32_e32 v3, v14
; %bb.41:                               ;   in Loop: Header=BB72_37 Depth=1
	s_or_b64 exec, exec, s[18:19]
	s_andn2_b64 s[0:1], s[0:1], exec
	s_and_b64 s[2:3], s[16:17], exec
	s_or_b64 s[0:1], s[0:1], s[2:3]
.LBB72_42:                              ;   in Loop: Header=BB72_37 Depth=1
	s_or_b64 exec, exec, s[14:15]
	s_andn2_b64 s[2:3], vcc, exec
	s_and_b64 s[0:1], s[0:1], exec
	s_or_b64 vcc, s[2:3], s[0:1]
.LBB72_43:                              ;   in Loop: Header=BB72_37 Depth=1
	s_or_b64 exec, exec, s[12:13]
	s_and_saveexec_b64 s[0:1], vcc
	s_cbranch_execz .LBB72_45
; %bb.44:                               ;   in Loop: Header=BB72_37 Depth=1
	scratch_load_dword v3, v3, off
	v_add_u32_e32 v18, s7, v2
	v_ashrrev_i32_e32 v19, 31, v18
	v_lshl_add_u64 v[18:19], v[18:19], 2, s[4:5]
	s_waitcnt vmcnt(0)
	v_mul_f32_e32 v3, v11, v3
	global_store_dword v[18:19], v3, off
.LBB72_45:                              ;   in Loop: Header=BB72_37 Depth=1
	s_or_b64 exec, exec, s[0:1]
	global_load_dword v18, v[8:9], off offset:4
	v_mov_b32_e32 v3, 0
	s_waitcnt vmcnt(0)
	v_cmp_eq_u32_e64 s[0:1], v18, v10
	v_cmp_ne_u32_e32 vcc, v18, v10
	s_and_saveexec_b64 s[2:3], vcc
	s_cbranch_execz .LBB72_51
; %bb.46:                               ;   in Loop: Header=BB72_37 Depth=1
	v_cmp_eq_u32_e64 s[12:13], v18, v15
	v_cmp_ne_u32_e32 vcc, v18, v15
	v_mov_b32_e32 v3, v12
	s_and_saveexec_b64 s[14:15], vcc
	s_cbranch_execz .LBB72_50
; %bb.47:                               ;   in Loop: Header=BB72_37 Depth=1
	v_cmp_eq_u32_e64 s[16:17], v18, v16
	v_cmp_ne_u32_e32 vcc, v18, v16
	v_mov_b32_e32 v3, v13
	s_and_saveexec_b64 s[18:19], vcc
; %bb.48:                               ;   in Loop: Header=BB72_37 Depth=1
	v_cmp_eq_u32_e32 vcc, v18, v17
	s_andn2_b64 s[16:17], s[16:17], exec
	s_and_b64 s[22:23], vcc, exec
	s_or_b64 s[16:17], s[16:17], s[22:23]
	v_mov_b32_e32 v3, v14
; %bb.49:                               ;   in Loop: Header=BB72_37 Depth=1
	s_or_b64 exec, exec, s[18:19]
	s_andn2_b64 s[12:13], s[12:13], exec
	s_and_b64 s[16:17], s[16:17], exec
	s_or_b64 s[12:13], s[12:13], s[16:17]
.LBB72_50:                              ;   in Loop: Header=BB72_37 Depth=1
	s_or_b64 exec, exec, s[14:15]
	s_andn2_b64 s[0:1], s[0:1], exec
	s_and_b64 s[12:13], s[12:13], exec
	s_or_b64 s[0:1], s[0:1], s[12:13]
.LBB72_51:                              ;   in Loop: Header=BB72_37 Depth=1
	s_or_b64 exec, exec, s[2:3]
	s_and_saveexec_b64 s[2:3], s[0:1]
	s_cbranch_execz .LBB72_53
; %bb.52:                               ;   in Loop: Header=BB72_37 Depth=1
	scratch_load_dword v3, v3, off
	v_lshl_add_u64 v[18:19], v[6:7], 0, s[8:9]
	s_waitcnt vmcnt(0)
	v_mul_f32_e32 v3, v11, v3
	global_store_dword v[18:19], v3, off offset:4
.LBB72_53:                              ;   in Loop: Header=BB72_37 Depth=1
	s_or_b64 exec, exec, s[2:3]
	global_load_dword v18, v[8:9], off offset:8
	v_mov_b32_e32 v3, 0
	s_waitcnt vmcnt(0)
	v_cmp_eq_u32_e64 s[0:1], v18, v10
	v_cmp_ne_u32_e32 vcc, v18, v10
	s_and_saveexec_b64 s[2:3], vcc
	s_cbranch_execz .LBB72_59
; %bb.54:                               ;   in Loop: Header=BB72_37 Depth=1
	v_cmp_eq_u32_e64 s[12:13], v18, v15
	v_cmp_ne_u32_e32 vcc, v18, v15
	v_mov_b32_e32 v3, v12
	s_and_saveexec_b64 s[14:15], vcc
	s_cbranch_execz .LBB72_58
; %bb.55:                               ;   in Loop: Header=BB72_37 Depth=1
	v_cmp_eq_u32_e64 s[16:17], v18, v16
	v_cmp_ne_u32_e32 vcc, v18, v16
	v_mov_b32_e32 v3, v13
	s_and_saveexec_b64 s[18:19], vcc
; %bb.56:                               ;   in Loop: Header=BB72_37 Depth=1
	v_cmp_eq_u32_e32 vcc, v18, v17
	s_andn2_b64 s[16:17], s[16:17], exec
	s_and_b64 s[22:23], vcc, exec
	s_or_b64 s[16:17], s[16:17], s[22:23]
	v_mov_b32_e32 v3, v14
; %bb.57:                               ;   in Loop: Header=BB72_37 Depth=1
	s_or_b64 exec, exec, s[18:19]
	s_andn2_b64 s[12:13], s[12:13], exec
	s_and_b64 s[16:17], s[16:17], exec
	s_or_b64 s[12:13], s[12:13], s[16:17]
.LBB72_58:                              ;   in Loop: Header=BB72_37 Depth=1
	s_or_b64 exec, exec, s[14:15]
	s_andn2_b64 s[0:1], s[0:1], exec
	s_and_b64 s[12:13], s[12:13], exec
	s_or_b64 s[0:1], s[0:1], s[12:13]
.LBB72_59:                              ;   in Loop: Header=BB72_37 Depth=1
	s_or_b64 exec, exec, s[2:3]
	s_and_saveexec_b64 s[2:3], s[0:1]
	s_cbranch_execz .LBB72_61
; %bb.60:                               ;   in Loop: Header=BB72_37 Depth=1
	scratch_load_dword v3, v3, off
	v_lshl_add_u64 v[18:19], v[6:7], 0, s[8:9]
	s_waitcnt vmcnt(0)
	v_mul_f32_e32 v3, v11, v3
	global_store_dword v[18:19], v3, off offset:8
.LBB72_61:                              ;   in Loop: Header=BB72_37 Depth=1
	s_or_b64 exec, exec, s[2:3]
	global_load_dword v8, v[8:9], off offset:12
	v_mov_b32_e32 v3, 0
	s_waitcnt vmcnt(0)
	v_cmp_eq_u32_e64 s[0:1], v8, v10
	v_cmp_ne_u32_e32 vcc, v8, v10
	s_and_saveexec_b64 s[2:3], vcc
	s_cbranch_execz .LBB72_67
; %bb.62:                               ;   in Loop: Header=BB72_37 Depth=1
	v_cmp_eq_u32_e64 s[12:13], v8, v15
	v_cmp_ne_u32_e32 vcc, v8, v15
	v_mov_b32_e32 v3, v12
	s_and_saveexec_b64 s[14:15], vcc
	s_cbranch_execz .LBB72_66
; %bb.63:                               ;   in Loop: Header=BB72_37 Depth=1
	v_cmp_eq_u32_e64 s[16:17], v8, v16
	v_cmp_ne_u32_e32 vcc, v8, v16
	v_mov_b32_e32 v3, v13
	s_and_saveexec_b64 s[18:19], vcc
; %bb.64:                               ;   in Loop: Header=BB72_37 Depth=1
	v_cmp_eq_u32_e32 vcc, v8, v17
	s_andn2_b64 s[16:17], s[16:17], exec
	s_and_b64 s[22:23], vcc, exec
	s_or_b64 s[16:17], s[16:17], s[22:23]
	v_mov_b32_e32 v3, v14
; %bb.65:                               ;   in Loop: Header=BB72_37 Depth=1
	s_or_b64 exec, exec, s[18:19]
	s_andn2_b64 s[12:13], s[12:13], exec
	s_and_b64 s[16:17], s[16:17], exec
	s_or_b64 s[12:13], s[12:13], s[16:17]
.LBB72_66:                              ;   in Loop: Header=BB72_37 Depth=1
	s_or_b64 exec, exec, s[14:15]
	s_andn2_b64 s[0:1], s[0:1], exec
	s_and_b64 s[12:13], s[12:13], exec
	s_or_b64 s[0:1], s[0:1], s[12:13]
.LBB72_67:                              ;   in Loop: Header=BB72_37 Depth=1
	s_or_b64 exec, exec, s[2:3]
	s_and_saveexec_b64 s[2:3], s[0:1]
	s_cbranch_execz .LBB72_36
; %bb.68:                               ;   in Loop: Header=BB72_37 Depth=1
	scratch_load_dword v3, v3, off
	v_lshl_add_u64 v[8:9], v[6:7], 0, s[8:9]
	s_waitcnt vmcnt(0)
	v_mul_f32_e32 v3, v11, v3
	global_store_dword v[8:9], v3, off offset:12
	s_branch .LBB72_36
.LBB72_69:
	s_and_b32 s14, s20, 3
	s_cmp_eq_u32 s14, 0
	s_mov_b32 s7, 0
	s_cbranch_scc1 .LBB72_80
; %bb.70:
	s_lshl_b64 s[0:1], s[6:7], 2
	s_add_u32 s0, s10, s0
	s_addc_u32 s1, s11, s1
	v_add_u32_e32 v2, s6, v2
	v_lshl_add_u64 v[0:1], v[0:1], 2, s[0:1]
	s_branch .LBB72_72
.LBB72_71:                              ;   in Loop: Header=BB72_72 Depth=1
	s_or_b64 exec, exec, s[2:3]
	s_add_i32 s14, s14, -1
	v_add_u32_e32 v2, 1, v2
	s_cmp_lg_u32 s14, 0
	v_lshl_add_u64 v[0:1], v[0:1], 0, 4
	s_cbranch_scc0 .LBB72_80
.LBB72_72:                              ; =>This Inner Loop Header: Depth=1
	global_load_dword v4, v[0:1], off
	v_mov_b32_e32 v3, 0
	s_waitcnt vmcnt(0)
	v_cmp_eq_u32_e64 s[0:1], v4, v10
	v_cmp_ne_u32_e32 vcc, v4, v10
	s_and_saveexec_b64 s[2:3], vcc
	s_cbranch_execz .LBB72_78
; %bb.73:                               ;   in Loop: Header=BB72_72 Depth=1
	v_cmp_eq_u32_e64 s[6:7], v4, v15
	v_cmp_ne_u32_e32 vcc, v4, v15
	v_mov_b32_e32 v3, v12
	s_and_saveexec_b64 s[8:9], vcc
	s_cbranch_execz .LBB72_77
; %bb.74:                               ;   in Loop: Header=BB72_72 Depth=1
	v_cmp_eq_u32_e64 s[10:11], v4, v16
	v_cmp_ne_u32_e32 vcc, v4, v16
	v_mov_b32_e32 v3, v13
	s_and_saveexec_b64 s[12:13], vcc
; %bb.75:                               ;   in Loop: Header=BB72_72 Depth=1
	v_cmp_eq_u32_e32 vcc, v4, v17
	s_andn2_b64 s[10:11], s[10:11], exec
	s_and_b64 s[16:17], vcc, exec
	s_or_b64 s[10:11], s[10:11], s[16:17]
	v_mov_b32_e32 v3, v14
; %bb.76:                               ;   in Loop: Header=BB72_72 Depth=1
	s_or_b64 exec, exec, s[12:13]
	s_andn2_b64 s[6:7], s[6:7], exec
	s_and_b64 s[10:11], s[10:11], exec
	s_or_b64 s[6:7], s[6:7], s[10:11]
.LBB72_77:                              ;   in Loop: Header=BB72_72 Depth=1
	s_or_b64 exec, exec, s[8:9]
	s_andn2_b64 s[0:1], s[0:1], exec
	s_and_b64 s[6:7], s[6:7], exec
	s_or_b64 s[0:1], s[0:1], s[6:7]
.LBB72_78:                              ;   in Loop: Header=BB72_72 Depth=1
	s_or_b64 exec, exec, s[2:3]
	s_and_saveexec_b64 s[2:3], s[0:1]
	s_cbranch_execz .LBB72_71
; %bb.79:                               ;   in Loop: Header=BB72_72 Depth=1
	scratch_load_dword v4, v3, off
	v_ashrrev_i32_e32 v3, 31, v2
	s_waitcnt vmcnt(0)
	v_mul_f32_e32 v6, v11, v4
	s_waitcnt lgkmcnt(0)
	v_lshl_add_u64 v[4:5], v[2:3], 2, s[4:5]
	global_store_dword v[4:5], v6, off
	s_branch .LBB72_71
.LBB72_80:
	s_endpgm
	.section	.rodata,"a",@progbits
	.p2align	6, 0x0
	.amdhsa_kernel _ZN4vllm3moe22topkGatingSoftplusSqrtILi4ELi8ELi4ELi16ELi64ELb1EjfEEvPKT6_PKbPfiPT5_PiiiibdPKfPKS8_SE_
		.amdhsa_group_segment_fixed_size 0
		.amdhsa_private_segment_fixed_size 32
		.amdhsa_kernarg_size 96
		.amdhsa_user_sgpr_count 2
		.amdhsa_user_sgpr_dispatch_ptr 0
		.amdhsa_user_sgpr_queue_ptr 0
		.amdhsa_user_sgpr_kernarg_segment_ptr 1
		.amdhsa_user_sgpr_dispatch_id 0
		.amdhsa_user_sgpr_kernarg_preload_length 0
		.amdhsa_user_sgpr_kernarg_preload_offset 0
		.amdhsa_user_sgpr_private_segment_size 0
		.amdhsa_uses_dynamic_stack 0
		.amdhsa_enable_private_segment 1
		.amdhsa_system_sgpr_workgroup_id_x 1
		.amdhsa_system_sgpr_workgroup_id_y 0
		.amdhsa_system_sgpr_workgroup_id_z 0
		.amdhsa_system_sgpr_workgroup_info 0
		.amdhsa_system_vgpr_workitem_id 1
		.amdhsa_next_free_vgpr 23
		.amdhsa_next_free_sgpr 24
		.amdhsa_accum_offset 24
		.amdhsa_reserve_vcc 1
		.amdhsa_float_round_mode_32 0
		.amdhsa_float_round_mode_16_64 0
		.amdhsa_float_denorm_mode_32 3
		.amdhsa_float_denorm_mode_16_64 3
		.amdhsa_dx10_clamp 1
		.amdhsa_ieee_mode 1
		.amdhsa_fp16_overflow 0
		.amdhsa_tg_split 0
		.amdhsa_exception_fp_ieee_invalid_op 0
		.amdhsa_exception_fp_denorm_src 0
		.amdhsa_exception_fp_ieee_div_zero 0
		.amdhsa_exception_fp_ieee_overflow 0
		.amdhsa_exception_fp_ieee_underflow 0
		.amdhsa_exception_fp_ieee_inexact 0
		.amdhsa_exception_int_div_zero 0
	.end_amdhsa_kernel
	.section	.text._ZN4vllm3moe22topkGatingSoftplusSqrtILi4ELi8ELi4ELi16ELi64ELb1EjfEEvPKT6_PKbPfiPT5_PiiiibdPKfPKS8_SE_,"axG",@progbits,_ZN4vllm3moe22topkGatingSoftplusSqrtILi4ELi8ELi4ELi16ELi64ELb1EjfEEvPKT6_PKbPfiPT5_PiiiibdPKfPKS8_SE_,comdat
.Lfunc_end72:
	.size	_ZN4vllm3moe22topkGatingSoftplusSqrtILi4ELi8ELi4ELi16ELi64ELb1EjfEEvPKT6_PKbPfiPT5_PiiiibdPKfPKS8_SE_, .Lfunc_end72-_ZN4vllm3moe22topkGatingSoftplusSqrtILi4ELi8ELi4ELi16ELi64ELb1EjfEEvPKT6_PKbPfiPT5_PiiiibdPKfPKS8_SE_
                                        ; -- End function
	.section	.AMDGPU.csdata,"",@progbits
; Kernel info:
; codeLenInByte = 3376
; NumSgprs: 30
; NumVgprs: 23
; NumAgprs: 0
; TotalNumVgprs: 23
; ScratchSize: 32
; MemoryBound: 0
; FloatMode: 240
; IeeeMode: 1
; LDSByteSize: 0 bytes/workgroup (compile time only)
; SGPRBlocks: 3
; VGPRBlocks: 2
; NumSGPRsForWavesPerEU: 30
; NumVGPRsForWavesPerEU: 23
; AccumOffset: 24
; Occupancy: 8
; WaveLimiterHint : 1
; COMPUTE_PGM_RSRC2:SCRATCH_EN: 1
; COMPUTE_PGM_RSRC2:USER_SGPR: 2
; COMPUTE_PGM_RSRC2:TRAP_HANDLER: 0
; COMPUTE_PGM_RSRC2:TGID_X_EN: 1
; COMPUTE_PGM_RSRC2:TGID_Y_EN: 0
; COMPUTE_PGM_RSRC2:TGID_Z_EN: 0
; COMPUTE_PGM_RSRC2:TIDIG_COMP_CNT: 1
; COMPUTE_PGM_RSRC3_GFX90A:ACCUM_OFFSET: 5
; COMPUTE_PGM_RSRC3_GFX90A:TG_SPLIT: 0
	.section	.text._ZN4vllm3moe22topkGatingSoftplusSqrtILi4ELi8ELi4ELi16ELi64ELb0EjfEEvPKT6_PKbPfiPT5_PiiiibdPKfPKS8_SE_,"axG",@progbits,_ZN4vllm3moe22topkGatingSoftplusSqrtILi4ELi8ELi4ELi16ELi64ELb0EjfEEvPKT6_PKbPfiPT5_PiiiibdPKfPKS8_SE_,comdat
	.protected	_ZN4vllm3moe22topkGatingSoftplusSqrtILi4ELi8ELi4ELi16ELi64ELb0EjfEEvPKT6_PKbPfiPT5_PiiiibdPKfPKS8_SE_ ; -- Begin function _ZN4vllm3moe22topkGatingSoftplusSqrtILi4ELi8ELi4ELi16ELi64ELb0EjfEEvPKT6_PKbPfiPT5_PiiiibdPKfPKS8_SE_
	.globl	_ZN4vllm3moe22topkGatingSoftplusSqrtILi4ELi8ELi4ELi16ELi64ELb0EjfEEvPKT6_PKbPfiPT5_PiiiibdPKfPKS8_SE_
	.p2align	8
	.type	_ZN4vllm3moe22topkGatingSoftplusSqrtILi4ELi8ELi4ELi16ELi64ELb0EjfEEvPKT6_PKbPfiPT5_PiiiibdPKfPKS8_SE_,@function
_ZN4vllm3moe22topkGatingSoftplusSqrtILi4ELi8ELi4ELi16ELi64ELb0EjfEEvPKT6_PKbPfiPT5_PiiiibdPKfPKS8_SE_: ; @_ZN4vllm3moe22topkGatingSoftplusSqrtILi4ELi8ELi4ELi16ELi64ELb0EjfEEvPKT6_PKbPfiPT5_PiiiibdPKfPKS8_SE_
; %bb.0:
	s_load_dword s30, s[2:3], 0x18
	v_and_b32_e32 v1, 0x3ff, v0
	v_bfe_u32 v4, v0, 10, 10
	s_lshl_b32 s4, s4, 7
	v_lshlrev_b32_e32 v2, 5, v4
	v_lshrrev_b32_e32 v3, 1, v1
	v_add3_u32 v2, s4, v2, v3
	s_waitcnt lgkmcnt(0)
	v_cmp_gt_i32_e32 vcc, s30, v2
	s_and_saveexec_b64 s[4:5], vcc
	s_cbranch_execz .LBB73_39
; %bb.1:
	s_load_dwordx4 s[4:7], s[2:3], 0x0
	s_load_dwordx2 s[20:21], s[2:3], 0x10
	s_waitcnt lgkmcnt(0)
	s_cmp_eq_u64 s[6:7], 0
	s_cbranch_scc1 .LBB73_3
; %bb.2:
	v_ashrrev_i32_e32 v3, 31, v2
	v_lshl_add_u64 v[6:7], s[6:7], 0, v[2:3]
	global_load_ubyte v3, v[6:7], off
	s_waitcnt vmcnt(0)
	v_and_b32_e32 v3, 1, v3
	v_cmp_eq_u32_e32 vcc, 1, v3
	s_xor_b64 s[6:7], vcc, -1
	s_orn2_b64 s[22:23], s[6:7], exec
	s_branch .LBB73_4
.LBB73_3:
	s_mov_b64 s[22:23], -1
.LBB73_4:
	v_lshlrev_b32_e32 v8, 3, v2
	v_mov_b32_e32 v6, s4
	v_mov_b32_e32 v7, s5
	v_ashrrev_i32_e32 v9, 31, v8
	v_and_b32_e32 v3, 1, v1
	v_lshl_add_u64 v[6:7], v[8:9], 2, v[6:7]
	v_mov_b32_e32 v9, 0
	v_lshlrev_b32_e32 v8, 4, v3
	v_lshl_add_u64 v[6:7], v[6:7], 0, v[8:9]
	global_load_dwordx4 v[6:9], v[6:7], off
	s_load_dwordx2 s[4:5], s[0:1], 0x4
	s_load_dwordx4 s[8:11], s[2:3], 0x40
	v_bfe_u32 v0, v0, 20, 10
	s_mov_b32 s16, 0x800000
	s_mov_b32 s13, 0x3f317217
	s_waitcnt lgkmcnt(0)
	s_lshr_b32 s0, s4, 16
	s_mul_i32 s0, s0, s5
	v_mul_lo_u32 v1, s0, v1
	v_mad_u32_u24 v1, v4, s5, v1
	v_add_lshl_u32 v4, v1, v0, 4
	s_mov_b32 s14, 0x7f800000
	s_mov_b32 s12, 0x41a00000
	;; [unrolled: 1-line block ×3, first 2 shown]
	s_cmp_lg_u64 s[10:11], 0
	v_mov_b32_e32 v1, 0x260
	s_cselect_b64 s[6:7], -1, 0
	s_and_b64 s[0:1], exec, s[6:7]
	s_waitcnt vmcnt(0)
	ds_write_b128 v4, v[6:9]
	ds_read_b32 v8, v4
	v_mov_b32_e32 v6, 0x4f800000
	v_mov_b32_e32 v7, 0x41b17218
	s_waitcnt lgkmcnt(0)
	v_mul_f32_e32 v0, 0x3fb8aa3b, v8
	v_exp_f32_e32 v0, v0
	s_nop 0
	v_add_f32_e32 v0, 1.0, v0
	v_cmp_gt_f32_e32 vcc, s16, v0
	s_nop 1
	v_cndmask_b32_e32 v5, 1.0, v6, vcc
	v_mul_f32_e32 v0, v0, v5
	v_log_f32_e32 v9, v0
	v_cndmask_b32_e32 v10, 0, v7, vcc
	v_lshlrev_b32_e32 v5, 2, v3
	v_lshlrev_b32_e32 v0, 2, v5
	v_mul_f32_e32 v11, 0x3f317217, v9
	v_fma_f32 v11, v9, s13, -v11
	v_fmac_f32_e32 v11, 0x3377d1cf, v9
	v_fmac_f32_e32 v11, 0x3f317217, v9
	v_cmp_lt_f32_e64 vcc, |v9|, s14
	s_nop 1
	v_cndmask_b32_e32 v9, v9, v11, vcc
	v_sub_f32_e32 v9, v9, v10
	v_cmp_lt_f32_e32 vcc, s12, v8
	s_nop 1
	v_cndmask_b32_e32 v8, v9, v8, vcc
	v_mul_f32_e32 v9, 0x4f800000, v8
	v_cmp_gt_f32_e32 vcc, s15, v8
	s_nop 1
	v_cndmask_b32_e32 v8, v8, v9, vcc
	v_sqrt_f32_e32 v9, v8
	s_nop 0
	v_add_u32_e32 v10, -1, v9
	v_add_u32_e32 v11, 1, v9
	v_fma_f32 v12, -v10, v9, v8
	v_fma_f32 v13, -v11, v9, v8
	v_cmp_ge_f32_e64 s[4:5], 0, v12
	s_nop 1
	v_cndmask_b32_e64 v9, v9, v10, s[4:5]
	v_cmp_lt_f32_e64 s[4:5], 0, v13
	s_nop 1
	v_cndmask_b32_e64 v9, v9, v11, s[4:5]
	v_mul_f32_e32 v10, 0x37800000, v9
	v_cndmask_b32_e32 v9, v9, v10, vcc
	v_cmp_class_f32_e32 vcc, v8, v1
	s_nop 1
	v_cndmask_b32_e32 v8, v9, v8, vcc
	s_mov_b64 vcc, s[0:1]
	s_cbranch_vccz .LBB73_6
; %bb.5:
	global_load_dword v9, v0, s[10:11]
	s_waitcnt vmcnt(0)
	v_add_f32_e32 v8, v8, v9
.LBB73_6:
	ds_read_b32 v9, v4 offset:4
	ds_write_b32 v4, v8
	s_waitcnt lgkmcnt(1)
	v_mul_f32_e32 v10, 0x3fb8aa3b, v9
	v_exp_f32_e32 v10, v10
	s_nop 0
	v_add_f32_e32 v10, 1.0, v10
	v_cmp_gt_f32_e32 vcc, s16, v10
	s_nop 1
	v_cndmask_b32_e32 v6, 1.0, v6, vcc
	v_mul_f32_e32 v6, v10, v6
	v_log_f32_e32 v6, v6
	v_cndmask_b32_e32 v7, 0, v7, vcc
	v_mul_f32_e32 v8, 0x3f317217, v6
	v_fma_f32 v8, v6, s13, -v8
	v_fmac_f32_e32 v8, 0x3377d1cf, v6
	v_fmac_f32_e32 v8, 0x3f317217, v6
	v_cmp_lt_f32_e64 vcc, |v6|, s14
	s_nop 1
	v_cndmask_b32_e32 v6, v6, v8, vcc
	v_sub_f32_e32 v6, v6, v7
	v_cmp_lt_f32_e32 vcc, s12, v9
	v_cndmask_b32_e64 v8, 0, 1, s[6:7]
	v_cmp_ne_u32_e64 s[0:1], 1, v8
	v_cndmask_b32_e32 v6, v6, v9, vcc
	v_mul_f32_e32 v7, 0x4f800000, v6
	v_cmp_gt_f32_e64 s[4:5], s15, v6
	s_andn2_b64 vcc, exec, s[6:7]
	s_nop 0
	v_cndmask_b32_e64 v6, v6, v7, s[4:5]
	v_sqrt_f32_e32 v7, v6
	s_nop 0
	v_add_u32_e32 v8, -1, v7
	v_add_u32_e32 v9, 1, v7
	v_fma_f32 v10, -v8, v7, v6
	v_fma_f32 v11, -v9, v7, v6
	v_cmp_ge_f32_e64 s[6:7], 0, v10
	s_nop 1
	v_cndmask_b32_e64 v7, v7, v8, s[6:7]
	v_cmp_lt_f32_e64 s[6:7], 0, v11
	s_nop 1
	v_cndmask_b32_e64 v7, v7, v9, s[6:7]
	v_mul_f32_e32 v8, 0x37800000, v7
	v_cndmask_b32_e64 v7, v7, v8, s[4:5]
	v_cmp_class_f32_e64 s[4:5], v6, v1
	s_nop 1
	v_cndmask_b32_e64 v1, v7, v6, s[4:5]
	s_cbranch_vccnz .LBB73_8
; %bb.7:
	global_load_dword v6, v0, s[10:11] offset:4
	s_waitcnt vmcnt(0)
	v_add_f32_e32 v1, v1, v6
.LBB73_8:
	ds_read_b32 v8, v4 offset:8
	s_mov_b32 s12, 0x800000
	s_mov_b32 s7, 0x3f317217
	;; [unrolled: 1-line block ×4, first 2 shown]
	s_waitcnt lgkmcnt(0)
	v_mul_f32_e32 v6, 0x3fb8aa3b, v8
	v_exp_f32_e32 v7, v6
	v_mov_b32_e32 v6, 0x4f800000
	s_mov_b32 s14, 0xf800000
	ds_write_b32 v4, v1 offset:4
	v_add_f32_e32 v7, 1.0, v7
	v_cmp_gt_f32_e32 vcc, s12, v7
	s_nop 1
	v_cndmask_b32_e32 v9, 1.0, v6, vcc
	v_mul_f32_e32 v7, v7, v9
	v_log_f32_e32 v9, v7
	v_mov_b32_e32 v7, 0x41b17218
	v_cndmask_b32_e32 v10, 0, v7, vcc
	v_mul_f32_e32 v11, 0x3f317217, v9
	v_fma_f32 v11, v9, s7, -v11
	v_fmac_f32_e32 v11, 0x3377d1cf, v9
	v_fmac_f32_e32 v11, 0x3f317217, v9
	v_cmp_lt_f32_e64 vcc, |v9|, s13
	s_nop 1
	v_cndmask_b32_e32 v9, v9, v11, vcc
	v_sub_f32_e32 v9, v9, v10
	v_cmp_lt_f32_e32 vcc, s6, v8
	s_nop 1
	v_cndmask_b32_e32 v8, v9, v8, vcc
	v_mul_f32_e32 v9, 0x4f800000, v8
	v_cmp_gt_f32_e32 vcc, s14, v8
	s_nop 1
	v_cndmask_b32_e32 v8, v8, v9, vcc
	v_sqrt_f32_e32 v9, v8
	s_nop 0
	v_add_u32_e32 v1, -1, v9
	v_fma_f32 v10, -v1, v9, v8
	v_cmp_ge_f32_e64 s[4:5], 0, v10
	v_add_u32_e32 v10, 1, v9
	s_nop 0
	v_cndmask_b32_e64 v1, v9, v1, s[4:5]
	v_fma_f32 v9, -v10, v9, v8
	v_cmp_lt_f32_e64 s[4:5], 0, v9
	s_nop 1
	v_cndmask_b32_e64 v1, v1, v10, s[4:5]
	v_mul_f32_e32 v9, 0x37800000, v1
	v_cndmask_b32_e32 v9, v1, v9, vcc
	v_mov_b32_e32 v1, 0x260
	v_cmp_class_f32_e64 s[4:5], v8, v1
	s_and_b64 vcc, exec, s[0:1]
	s_nop 0
	v_cndmask_b32_e64 v8, v9, v8, s[4:5]
	s_cbranch_vccnz .LBB73_10
; %bb.9:
	global_load_dword v9, v0, s[10:11] offset:8
	s_waitcnt vmcnt(0)
	v_add_f32_e32 v8, v8, v9
.LBB73_10:
	ds_read_b32 v9, v4 offset:12
	ds_write_b32 v4, v8 offset:8
	s_waitcnt lgkmcnt(1)
	v_mul_f32_e32 v10, 0x3fb8aa3b, v9
	v_exp_f32_e32 v10, v10
	s_nop 0
	v_add_f32_e32 v10, 1.0, v10
	v_cmp_gt_f32_e32 vcc, s12, v10
	s_nop 1
	v_cndmask_b32_e32 v6, 1.0, v6, vcc
	v_mul_f32_e32 v6, v10, v6
	v_log_f32_e32 v6, v6
	v_cndmask_b32_e32 v7, 0, v7, vcc
	v_mul_f32_e32 v10, 0x3f317217, v6
	v_fma_f32 v10, v6, s7, -v10
	v_fmac_f32_e32 v10, 0x3377d1cf, v6
	v_fmac_f32_e32 v10, 0x3f317217, v6
	v_cmp_lt_f32_e64 vcc, |v6|, s13
	s_nop 1
	v_cndmask_b32_e32 v6, v6, v10, vcc
	v_sub_f32_e32 v6, v6, v7
	v_cmp_lt_f32_e32 vcc, s6, v9
	s_nop 1
	v_cndmask_b32_e32 v6, v6, v9, vcc
	v_mul_f32_e32 v7, 0x4f800000, v6
	v_cmp_gt_f32_e64 s[4:5], s14, v6
	s_and_b64 vcc, exec, s[0:1]
	s_nop 0
	v_cndmask_b32_e64 v6, v6, v7, s[4:5]
	v_sqrt_f32_e32 v7, v6
	s_nop 0
	v_add_u32_e32 v8, -1, v7
	v_add_u32_e32 v9, 1, v7
	v_fma_f32 v10, -v8, v7, v6
	v_fma_f32 v11, -v9, v7, v6
	v_cmp_ge_f32_e64 s[6:7], 0, v10
	s_nop 1
	v_cndmask_b32_e64 v7, v7, v8, s[6:7]
	v_cmp_lt_f32_e64 s[6:7], 0, v11
	s_nop 1
	v_cndmask_b32_e64 v7, v7, v9, s[6:7]
	v_mul_f32_e32 v8, 0x37800000, v7
	v_cndmask_b32_e64 v7, v7, v8, s[4:5]
	v_cmp_class_f32_e64 s[4:5], v6, v1
	s_nop 1
	v_cndmask_b32_e64 v1, v7, v6, s[4:5]
	s_cbranch_vccnz .LBB73_12
; %bb.11:
	global_load_dword v0, v0, s[10:11] offset:12
	s_waitcnt vmcnt(0)
	v_add_f32_e32 v1, v1, v0
.LBB73_12:
	s_load_dwordx4 s[12:15], s[2:3], 0x30
	s_mov_b32 s31, 0
	v_cmp_eq_u32_e64 s[6:7], 0, v3
	ds_write_b32 v4, v1 offset:12
	s_waitcnt lgkmcnt(0)
	s_bitcmp1_b32 s15, 0
	s_cselect_b64 s[4:5], -1, 0
	s_cmp_gt_i32 s12, 0
	s_cselect_b64 s[24:25], -1, 0
	s_and_b64 vcc, exec, s[24:25]
	s_cbranch_vccz .LBB73_25
; %bb.13:
	v_mbcnt_lo_u32_b32 v0, -1, 0
	v_mbcnt_hi_u32_b32 v0, -1, v0
	s_load_dwordx4 s[16:19], s[2:3], 0x20
	v_and_b32_e32 v6, 0x7e, v0
	v_xor_b32_e32 v1, 1, v0
	v_add_u32_e32 v6, 2, v6
	v_cmp_lt_i32_e32 vcc, v1, v6
	v_mul_lo_u32 v8, v2, s12
	v_mov_b32_e32 v6, 0
	v_cndmask_b32_e32 v0, v0, v1, vcc
	v_lshlrev_b32_e32 v7, 2, v0
	v_mov_b32_e32 v9, 0xc61c4000
	v_mov_b32_e32 v10, v2
	s_branch .LBB73_15
.LBB73_14:                              ;   in Loop: Header=BB73_15 Depth=1
	s_or_b64 exec, exec, s[2:3]
	s_cmp_eq_u32 s12, s31
	v_add_u32_e32 v10, s30, v10
	s_cbranch_scc1 .LBB73_26
.LBB73_15:                              ; =>This Inner Loop Header: Depth=1
	ds_read_b128 v[12:15], v4
	s_waitcnt lgkmcnt(0)
	v_cmp_gt_f32_e32 vcc, v13, v12
	s_nop 1
	v_cndmask_b32_e32 v1, v12, v13, vcc
	v_cndmask_b32_e64 v0, 0, 1, vcc
	v_cmp_gt_f32_e32 vcc, v14, v1
	s_nop 1
	v_cndmask_b32_e32 v1, v1, v14, vcc
	v_cndmask_b32_e64 v0, v0, 2, vcc
	v_cmp_gt_f32_e32 vcc, v15, v1
	s_nop 1
	v_cndmask_b32_e64 v0, v0, 3, vcc
	v_cndmask_b32_e32 v11, v1, v15, vcc
	ds_bpermute_b32 v1, v7, v11
	v_or_b32_e32 v0, v5, v0
	ds_bpermute_b32 v12, v7, v0
	s_waitcnt lgkmcnt(1)
	v_cmp_lt_f32_e64 s[26:27], v11, v1
	v_cmp_nlt_f32_e32 vcc, v11, v1
	s_and_saveexec_b64 s[28:29], vcc
	s_cbranch_execnz .LBB73_18
; %bb.16:                               ;   in Loop: Header=BB73_15 Depth=1
	s_or_b64 exec, exec, s[28:29]
	s_and_saveexec_b64 s[2:3], s[26:27]
	s_cbranch_execnz .LBB73_19
.LBB73_17:                              ;   in Loop: Header=BB73_15 Depth=1
	s_or_b64 exec, exec, s[2:3]
	s_and_saveexec_b64 s[26:27], s[6:7]
	s_cbranch_execnz .LBB73_20
	s_branch .LBB73_23
.LBB73_18:                              ;   in Loop: Header=BB73_15 Depth=1
	v_cmp_eq_f32_e32 vcc, v11, v1
	s_waitcnt lgkmcnt(0)
	v_cmp_lt_i32_e64 s[2:3], v12, v0
	s_and_b64 s[2:3], vcc, s[2:3]
	s_andn2_b64 s[26:27], s[26:27], exec
	s_and_b64 s[2:3], s[2:3], exec
	s_or_b64 s[26:27], s[26:27], s[2:3]
	s_or_b64 exec, exec, s[28:29]
	s_and_saveexec_b64 s[2:3], s[26:27]
	s_cbranch_execz .LBB73_17
.LBB73_19:                              ;   in Loop: Header=BB73_15 Depth=1
	s_waitcnt lgkmcnt(0)
	v_mov_b32_e32 v0, v12
	v_mov_b32_e32 v11, v1
	s_or_b64 exec, exec, s[2:3]
	s_and_saveexec_b64 s[26:27], s[6:7]
	s_cbranch_execz .LBB73_23
.LBB73_20:                              ;   in Loop: Header=BB73_15 Depth=1
	s_and_b64 vcc, exec, s[0:1]
	s_cbranch_vccnz .LBB73_22
; %bb.21:                               ;   in Loop: Header=BB73_15 Depth=1
	v_ashrrev_i32_e32 v1, 31, v0
	s_waitcnt lgkmcnt(0)
	v_lshl_add_u64 v[12:13], v[0:1], 2, s[10:11]
	global_load_dword v1, v[12:13], off
	s_waitcnt vmcnt(0)
	v_sub_f32_e32 v11, v11, v1
.LBB73_22:                              ;   in Loop: Header=BB73_15 Depth=1
	s_waitcnt lgkmcnt(0)
	v_add_u32_e32 v12, s31, v8
	v_cmp_le_i32_e32 vcc, s13, v0
	v_cmp_gt_i32_e64 s[2:3], s14, v0
	v_ashrrev_i32_e32 v13, 31, v12
	s_and_b64 s[2:3], vcc, s[2:3]
	v_lshlrev_b64 v[12:13], 2, v[12:13]
	v_lshl_add_u64 v[14:15], s[20:21], 0, v[12:13]
	v_subrev_u32_e32 v1, s13, v0
	s_and_b64 vcc, s[22:23], s[2:3]
	global_store_dword v[14:15], v11, off
	v_cndmask_b32_e32 v1, 8, v1, vcc
	v_lshl_add_u64 v[14:15], s[16:17], 0, v[12:13]
	global_store_dword v[14:15], v1, off
	v_add_f32_e32 v1, v6, v11
	v_lshl_add_u64 v[12:13], s[18:19], 0, v[12:13]
	v_cndmask_b32_e64 v6, v6, v1, s[4:5]
	global_store_dword v[12:13], v10, off
.LBB73_23:                              ;   in Loop: Header=BB73_15 Depth=1
	s_or_b64 exec, exec, s[26:27]
	v_ashrrev_i32_e32 v1, 31, v0
	v_lshrrev_b32_e32 v11, 30, v1
	s_waitcnt lgkmcnt(0)
	v_add_u32_e32 v12, v0, v11
	v_ashrrev_i32_e32 v11, 2, v12
	v_lshrrev_b32_e32 v12, 31, v12
	v_add_u32_e32 v12, v11, v12
	s_add_i32 s31, s31, 1
	v_and_b32_e32 v12, -2, v12
	s_cmp_lt_i32 s31, s12
	v_sub_u32_e32 v12, v11, v12
	s_cselect_b64 s[2:3], -1, 0
	v_cmp_eq_u32_e32 vcc, v3, v12
	s_and_b64 s[26:27], s[2:3], vcc
	s_and_saveexec_b64 s[2:3], s[26:27]
	s_cbranch_execz .LBB73_14
; %bb.24:                               ;   in Loop: Header=BB73_15 Depth=1
	v_lshrrev_b32_e32 v1, 29, v1
	v_add_u32_e32 v1, v0, v1
	v_lshlrev_b32_e32 v11, 2, v11
	v_lshrrev_b32_e32 v1, 1, v1
	v_sub_u32_e32 v0, v0, v11
	v_and_b32_e32 v1, 0x7ffffffc, v1
	v_add_u32_e32 v0, v1, v0
	v_lshl_add_u32 v0, v0, 2, v4
	ds_write_b32 v0, v9
	s_branch .LBB73_14
.LBB73_25:
	v_mov_b32_e32 v6, 0
.LBB73_26:
	v_cmp_eq_u32_e32 vcc, 0, v3
	s_and_b64 exec, exec, vcc
	s_cbranch_execz .LBB73_39
; %bb.27:
	s_andn2_b64 vcc, exec, s[4:5]
	v_cvt_f32_f64_e32 v0, s[8:9]
	s_cbranch_vccnz .LBB73_29
; %bb.28:
	v_cmp_lt_f32_e32 vcc, 0, v6
	s_nop 1
	v_cndmask_b32_e32 v1, 1.0, v6, vcc
	v_div_scale_f32 v3, s[0:1], v1, v1, v0
	v_rcp_f32_e32 v4, v3
	s_nop 0
	v_fma_f32 v5, -v3, v4, 1.0
	v_fmac_f32_e32 v4, v5, v4
	v_div_scale_f32 v5, vcc, v0, v1, v0
	v_mul_f32_e32 v6, v5, v4
	v_fma_f32 v7, -v3, v6, v5
	v_fmac_f32_e32 v6, v7, v4
	v_fma_f32 v3, -v3, v6, v5
	v_div_fmas_f32 v3, v3, v4, v6
	v_div_fixup_f32 v0, v3, v1, v0
.LBB73_29:
	s_andn2_b64 vcc, exec, s[24:25]
	s_cbranch_vccnz .LBB73_39
; %bb.30:
	v_mul_lo_u32 v2, v2, s12
	s_cmp_gt_u32 s12, 3
	v_ashrrev_i32_e32 v3, 31, v2
	s_cbranch_scc0 .LBB73_34
; %bb.31:
	s_and_b32 s0, s12, 0x7ffffffc
	v_lshl_add_u64 v[4:5], v[2:3], 2, s[20:21]
	v_mov_b32_e32 v1, v0
	v_lshl_add_u64 v[4:5], v[4:5], 0, 8
	s_mov_b32 s1, s0
.LBB73_32:                              ; =>This Inner Loop Header: Depth=1
	global_load_dwordx4 v[6:9], v[4:5], off offset:-8
	s_add_i32 s1, s1, -4
	s_cmp_lg_u32 s1, 0
	s_waitcnt vmcnt(0)
	v_pk_mul_f32 v[6:7], v[0:1], v[6:7]
	v_pk_mul_f32 v[8:9], v[0:1], v[8:9]
	global_store_dwordx4 v[4:5], v[6:9], off offset:-8
	v_lshl_add_u64 v[4:5], v[4:5], 0, 16
	s_cbranch_scc1 .LBB73_32
; %bb.33:
	s_cmp_lg_u32 s0, s12
	s_cselect_b64 s[2:3], -1, 0
	s_branch .LBB73_36
.LBB73_34:
	s_mov_b64 s[2:3], 0
                                        ; implicit-def: $sgpr0
	s_cbranch_execz .LBB73_36
; %bb.35:
	s_mov_b64 s[2:3], -1
	s_mov_b32 s0, 0
.LBB73_36:
	s_andn2_b64 vcc, exec, s[2:3]
	s_cbranch_vccnz .LBB73_39
; %bb.37:
	s_mov_b32 s1, 0
	v_lshl_add_u64 v[2:3], v[2:3], 0, s[0:1]
	s_sub_i32 s2, s12, s0
	v_lshl_add_u64 v[2:3], v[2:3], 2, s[20:21]
.LBB73_38:                              ; =>This Inner Loop Header: Depth=1
	global_load_dword v1, v[2:3], off
	s_add_i32 s2, s2, -1
	s_cmp_lg_u32 s2, 0
	s_waitcnt vmcnt(0)
	v_mul_f32_e32 v1, v0, v1
	global_store_dword v[2:3], v1, off
	v_lshl_add_u64 v[2:3], v[2:3], 0, 4
	s_cbranch_scc1 .LBB73_38
.LBB73_39:
	s_endpgm
	.section	.rodata,"a",@progbits
	.p2align	6, 0x0
	.amdhsa_kernel _ZN4vllm3moe22topkGatingSoftplusSqrtILi4ELi8ELi4ELi16ELi64ELb0EjfEEvPKT6_PKbPfiPT5_PiiiibdPKfPKS8_SE_
		.amdhsa_group_segment_fixed_size 4096
		.amdhsa_private_segment_fixed_size 0
		.amdhsa_kernarg_size 96
		.amdhsa_user_sgpr_count 4
		.amdhsa_user_sgpr_dispatch_ptr 1
		.amdhsa_user_sgpr_queue_ptr 0
		.amdhsa_user_sgpr_kernarg_segment_ptr 1
		.amdhsa_user_sgpr_dispatch_id 0
		.amdhsa_user_sgpr_kernarg_preload_length 0
		.amdhsa_user_sgpr_kernarg_preload_offset 0
		.amdhsa_user_sgpr_private_segment_size 0
		.amdhsa_uses_dynamic_stack 0
		.amdhsa_enable_private_segment 0
		.amdhsa_system_sgpr_workgroup_id_x 1
		.amdhsa_system_sgpr_workgroup_id_y 0
		.amdhsa_system_sgpr_workgroup_id_z 0
		.amdhsa_system_sgpr_workgroup_info 0
		.amdhsa_system_vgpr_workitem_id 2
		.amdhsa_next_free_vgpr 16
		.amdhsa_next_free_sgpr 32
		.amdhsa_accum_offset 16
		.amdhsa_reserve_vcc 1
		.amdhsa_float_round_mode_32 0
		.amdhsa_float_round_mode_16_64 0
		.amdhsa_float_denorm_mode_32 3
		.amdhsa_float_denorm_mode_16_64 3
		.amdhsa_dx10_clamp 1
		.amdhsa_ieee_mode 1
		.amdhsa_fp16_overflow 0
		.amdhsa_tg_split 0
		.amdhsa_exception_fp_ieee_invalid_op 0
		.amdhsa_exception_fp_denorm_src 0
		.amdhsa_exception_fp_ieee_div_zero 0
		.amdhsa_exception_fp_ieee_overflow 0
		.amdhsa_exception_fp_ieee_underflow 0
		.amdhsa_exception_fp_ieee_inexact 0
		.amdhsa_exception_int_div_zero 0
	.end_amdhsa_kernel
	.section	.text._ZN4vllm3moe22topkGatingSoftplusSqrtILi4ELi8ELi4ELi16ELi64ELb0EjfEEvPKT6_PKbPfiPT5_PiiiibdPKfPKS8_SE_,"axG",@progbits,_ZN4vllm3moe22topkGatingSoftplusSqrtILi4ELi8ELi4ELi16ELi64ELb0EjfEEvPKT6_PKbPfiPT5_PiiiibdPKfPKS8_SE_,comdat
.Lfunc_end73:
	.size	_ZN4vllm3moe22topkGatingSoftplusSqrtILi4ELi8ELi4ELi16ELi64ELb0EjfEEvPKT6_PKbPfiPT5_PiiiibdPKfPKS8_SE_, .Lfunc_end73-_ZN4vllm3moe22topkGatingSoftplusSqrtILi4ELi8ELi4ELi16ELi64ELb0EjfEEvPKT6_PKbPfiPT5_PiiiibdPKfPKS8_SE_
                                        ; -- End function
	.section	.AMDGPU.csdata,"",@progbits
; Kernel info:
; codeLenInByte = 2500
; NumSgprs: 38
; NumVgprs: 16
; NumAgprs: 0
; TotalNumVgprs: 16
; ScratchSize: 0
; MemoryBound: 0
; FloatMode: 240
; IeeeMode: 1
; LDSByteSize: 4096 bytes/workgroup (compile time only)
; SGPRBlocks: 4
; VGPRBlocks: 1
; NumSGPRsForWavesPerEU: 38
; NumVGPRsForWavesPerEU: 16
; AccumOffset: 16
; Occupancy: 8
; WaveLimiterHint : 0
; COMPUTE_PGM_RSRC2:SCRATCH_EN: 0
; COMPUTE_PGM_RSRC2:USER_SGPR: 4
; COMPUTE_PGM_RSRC2:TRAP_HANDLER: 0
; COMPUTE_PGM_RSRC2:TGID_X_EN: 1
; COMPUTE_PGM_RSRC2:TGID_Y_EN: 0
; COMPUTE_PGM_RSRC2:TGID_Z_EN: 0
; COMPUTE_PGM_RSRC2:TIDIG_COMP_CNT: 2
; COMPUTE_PGM_RSRC3_GFX90A:ACCUM_OFFSET: 3
; COMPUTE_PGM_RSRC3_GFX90A:TG_SPLIT: 0
	.section	.text._ZN4vllm3moe22topkGatingSoftplusSqrtILi4ELi8ELi4ELi16ELi32ELb1EjfEEvPKT6_PKbPfiPT5_PiiiibdPKfPKS8_SE_,"axG",@progbits,_ZN4vllm3moe22topkGatingSoftplusSqrtILi4ELi8ELi4ELi16ELi32ELb1EjfEEvPKT6_PKbPfiPT5_PiiiibdPKfPKS8_SE_,comdat
	.protected	_ZN4vllm3moe22topkGatingSoftplusSqrtILi4ELi8ELi4ELi16ELi32ELb1EjfEEvPKT6_PKbPfiPT5_PiiiibdPKfPKS8_SE_ ; -- Begin function _ZN4vllm3moe22topkGatingSoftplusSqrtILi4ELi8ELi4ELi16ELi32ELb1EjfEEvPKT6_PKbPfiPT5_PiiiibdPKfPKS8_SE_
	.globl	_ZN4vllm3moe22topkGatingSoftplusSqrtILi4ELi8ELi4ELi16ELi32ELb1EjfEEvPKT6_PKbPfiPT5_PiiiibdPKfPKS8_SE_
	.p2align	8
	.type	_ZN4vllm3moe22topkGatingSoftplusSqrtILi4ELi8ELi4ELi16ELi32ELb1EjfEEvPKT6_PKbPfiPT5_PiiiibdPKfPKS8_SE_,@function
_ZN4vllm3moe22topkGatingSoftplusSqrtILi4ELi8ELi4ELi16ELi32ELb1EjfEEvPKT6_PKbPfiPT5_PiiiibdPKfPKS8_SE_: ; @_ZN4vllm3moe22topkGatingSoftplusSqrtILi4ELi8ELi4ELi16ELi32ELb1EjfEEvPKT6_PKbPfiPT5_PiiiibdPKfPKS8_SE_
; %bb.0:
	s_load_dword s3, s[0:1], 0x18
	v_bfe_u32 v1, v0, 10, 10
	v_and_b32_e32 v6, 0x3ff, v0
	s_lshl_b32 s2, s2, 6
	v_lshlrev_b32_e32 v1, 4, v1
	v_lshrrev_b32_e32 v0, 1, v6
	v_add3_u32 v2, s2, v1, v0
	s_waitcnt lgkmcnt(0)
	v_cmp_gt_i32_e32 vcc, s3, v2
	s_and_saveexec_b64 s[2:3], vcc
	s_cbranch_execz .LBB74_80
; %bb.1:
	s_load_dwordx2 s[2:3], s[0:1], 0x0
	s_load_dword s20, s[0:1], 0x30
	v_lshlrev_b32_e32 v0, 3, v2
	v_lshlrev_b32_e32 v3, 2, v6
	v_ashrrev_i32_e32 v1, 31, v0
	v_and_b32_e32 v10, 4, v3
	s_waitcnt lgkmcnt(0)
	v_lshl_add_u64 v[4:5], v[0:1], 2, s[2:3]
	v_lshlrev_b32_e32 v0, 2, v10
	v_mov_b32_e32 v1, 0
	v_lshl_add_u64 v[4:5], v[4:5], 0, v[0:1]
	global_load_dwordx4 v[12:15], v[4:5], off
	s_load_dwordx4 s[8:11], s[0:1], 0x50
	v_ashrrev_i32_e32 v3, 31, v2
	s_mov_b32 s6, 0x800000
	s_mov_b32 s12, 0x3f317217
	;; [unrolled: 1-line block ×3, first 2 shown]
	s_waitcnt lgkmcnt(0)
	v_mov_b32_e32 v4, s8
	v_mov_b32_e32 v5, s9
	v_lshl_add_u64 v[4:5], v[2:3], 2, v[4:5]
	global_load_dword v0, v[4:5], off
	v_mov_b32_e32 v3, 0x4f800000
	v_mov_b32_e32 v7, 0x41b17218
	s_mov_b32 s9, 0x41a00000
	s_mov_b32 s14, 0xf800000
	v_mov_b32_e32 v11, 0x260
	s_cmp_gt_i32 s20, 0
	s_mov_b32 s8, 0
	v_mul_lo_u32 v2, v2, s20
	s_waitcnt vmcnt(1)
	v_mul_f32_e32 v4, 0x3fb8aa3b, v12
	v_mul_f32_e32 v5, 0x3fb8aa3b, v13
	v_exp_f32_e32 v4, v4
	v_exp_f32_e32 v5, v5
	v_mul_f32_e32 v8, 0x3fb8aa3b, v14
	v_mul_f32_e32 v9, 0x3fb8aa3b, v15
	v_exp_f32_e32 v8, v8
	v_exp_f32_e32 v9, v9
	v_pk_add_f32 v[4:5], v[4:5], 1.0 op_sel_hi:[1,0]
	s_waitcnt vmcnt(0)
	v_mul_lo_u32 v0, v0, s20
	v_cmp_gt_f32_e32 vcc, s6, v5
	v_pk_add_f32 v[8:9], v[8:9], 1.0 op_sel_hi:[1,0]
	v_cmp_gt_f32_e64 s[2:3], s6, v4
	v_cndmask_b32_e32 v16, 1.0, v3, vcc
	v_cmp_gt_f32_e64 s[4:5], s6, v9
	v_cndmask_b32_e64 v17, 1.0, v3, s[2:3]
	v_mul_f32_e32 v5, v5, v16
	v_cndmask_b32_e64 v18, 1.0, v3, s[4:5]
	v_cmp_gt_f32_e64 s[6:7], s6, v8
	v_mul_f32_e32 v4, v4, v17
	v_log_f32_e32 v5, v5
	v_cndmask_b32_e64 v3, 1.0, v3, s[6:7]
	v_mul_f32_e32 v9, v9, v18
	v_log_f32_e32 v4, v4
	v_mul_f32_e32 v3, v8, v3
	v_log_f32_e32 v8, v9
	v_log_f32_e32 v3, v3
	v_mul_f32_e32 v9, 0x3f317217, v5
	v_mul_f32_e32 v19, 0x3f317217, v4
	v_fma_f32 v9, v5, s12, -v9
	v_mul_f32_e32 v20, 0x3f317217, v8
	v_fma_f32 v19, v4, s12, -v19
	v_fmac_f32_e32 v9, 0x3377d1cf, v5
	v_cndmask_b32_e32 v16, 0, v7, vcc
	v_mul_f32_e32 v21, 0x3f317217, v3
	v_fma_f32 v20, v8, s12, -v20
	v_fmac_f32_e32 v19, 0x3377d1cf, v4
	v_fmac_f32_e32 v9, 0x3f317217, v5
	v_cmp_lt_f32_e64 vcc, |v5|, s13
	v_fma_f32 v21, v3, s12, -v21
	v_fmac_f32_e32 v20, 0x3377d1cf, v8
	v_fmac_f32_e32 v19, 0x3f317217, v4
	v_cndmask_b32_e32 v5, v5, v9, vcc
	v_cmp_lt_f32_e64 vcc, |v4|, s13
	v_fmac_f32_e32 v21, 0x3377d1cf, v3
	v_fmac_f32_e32 v20, 0x3f317217, v8
	v_cndmask_b32_e32 v4, v4, v19, vcc
	v_cmp_lt_f32_e64 vcc, |v8|, s13
	v_cndmask_b32_e64 v17, 0, v7, s[2:3]
	v_fmac_f32_e32 v21, 0x3f317217, v3
	v_cndmask_b32_e32 v8, v8, v20, vcc
	v_cmp_lt_f32_e64 vcc, |v3|, s13
	v_sub_f32_e32 v4, v4, v17
	v_sub_f32_e32 v5, v5, v16
	v_cndmask_b32_e32 v3, v3, v21, vcc
	v_cmp_lt_f32_e32 vcc, s9, v12
	v_cndmask_b32_e64 v18, 0, v7, s[4:5]
	v_sub_f32_e32 v8, v8, v18
	v_cndmask_b32_e32 v4, v4, v12, vcc
	v_cmp_lt_f32_e32 vcc, s9, v13
	v_mul_f32_e32 v12, 0x4f800000, v4
	v_cmp_gt_f32_e64 s[2:3], s14, v4
	v_cndmask_b32_e32 v5, v5, v13, vcc
	v_mul_f32_e32 v9, 0x4f800000, v5
	v_cmp_gt_f32_e32 vcc, s14, v5
	v_cndmask_b32_e64 v4, v4, v12, s[2:3]
	v_sqrt_f32_e32 v12, v4
	v_cndmask_b32_e32 v5, v5, v9, vcc
	v_sqrt_f32_e32 v9, v5
	v_add_u32_e32 v17, -1, v12
	v_fma_f32 v21, -v17, v12, v4
	v_add_u32_e32 v13, -1, v9
	v_fma_f32 v19, -v13, v9, v5
	v_add_u32_e32 v16, 1, v9
	v_cmp_ge_f32_e64 s[4:5], 0, v19
	v_add_u32_e32 v18, 1, v12
	v_fma_f32 v20, -v16, v9, v5
	v_cndmask_b32_e64 v9, v9, v13, s[4:5]
	v_cmp_ge_f32_e64 s[4:5], 0, v21
	v_fma_f32 v22, -v18, v12, v4
	s_nop 0
	v_cndmask_b32_e64 v12, v12, v17, s[4:5]
	v_cmp_lt_f32_e64 s[4:5], 0, v20
	s_nop 1
	v_cndmask_b32_e64 v9, v9, v16, s[4:5]
	v_cmp_lt_f32_e64 s[4:5], 0, v22
	v_mul_f32_e32 v13, 0x37800000, v9
	v_cndmask_b32_e32 v9, v9, v13, vcc
	v_cndmask_b32_e64 v12, v12, v18, s[4:5]
	v_mul_f32_e32 v16, 0x37800000, v12
	v_cmp_class_f32_e32 vcc, v5, v11
	v_cndmask_b32_e64 v12, v12, v16, s[2:3]
	v_cmp_lt_f32_e64 s[2:3], s9, v14
	v_cndmask_b32_e32 v13, v9, v5, vcc
	v_cmp_class_f32_e32 vcc, v4, v11
	s_cselect_b64 s[4:5], -1, 0
	s_cmp_lt_i32 s20, 1
	v_cndmask_b32_e32 v12, v12, v4, vcc
	v_cmp_lt_f32_e32 vcc, s9, v15
	v_cndmask_b32_e64 v4, 0, v7, s[6:7]
	v_sub_f32_e32 v3, v3, v4
	v_cndmask_b32_e32 v5, v8, v15, vcc
	v_mul_f32_e32 v7, 0x4f800000, v5
	v_cmp_gt_f32_e32 vcc, s14, v5
	v_cndmask_b32_e64 v3, v3, v14, s[2:3]
	s_nop 0
	v_cndmask_b32_e32 v5, v5, v7, vcc
	v_sqrt_f32_e32 v7, v5
	s_nop 0
	v_add_u32_e32 v4, -1, v7
	v_fma_f32 v8, -v4, v7, v5
	v_cmp_ge_f32_e64 s[2:3], 0, v8
	v_add_u32_e32 v8, 1, v7
	s_nop 0
	v_cndmask_b32_e64 v4, v7, v4, s[2:3]
	v_fma_f32 v7, -v8, v7, v5
	v_cmp_lt_f32_e64 s[2:3], 0, v7
	s_nop 1
	v_cndmask_b32_e64 v4, v4, v8, s[2:3]
	v_mul_f32_e32 v8, 0x4f800000, v3
	v_cmp_gt_f32_e64 s[2:3], s14, v3
	v_mul_f32_e32 v7, 0x37800000, v4
	v_cndmask_b32_e32 v4, v4, v7, vcc
	v_cndmask_b32_e64 v3, v3, v8, s[2:3]
	v_sqrt_f32_e32 v8, v3
	v_cmp_class_f32_e32 vcc, v5, v11
	s_nop 1
	v_cndmask_b32_e32 v15, v4, v5, vcc
	v_add_u32_e32 v4, -1, v8
	v_fma_f32 v5, -v4, v8, v3
	v_cmp_ge_f32_e32 vcc, 0, v5
	v_add_u32_e32 v5, 1, v8
	v_fma_f32 v7, -v5, v8, v3
	v_cndmask_b32_e32 v4, v8, v4, vcc
	v_cmp_lt_f32_e32 vcc, 0, v7
	s_nop 1
	v_cndmask_b32_e32 v4, v4, v5, vcc
	v_mul_f32_e32 v5, 0x37800000, v4
	v_cndmask_b32_e64 v4, v4, v5, s[2:3]
	v_cmp_class_f32_e32 vcc, v3, v11
	s_nop 1
	v_cndmask_b32_e32 v14, v4, v3, vcc
	scratch_store_dwordx4 off, v[12:15], off
	v_lshl_add_u64 v[4:5], v[0:1], 2, s[10:11]
	s_nop 0
	v_mov_b32_e32 v12, v1
	s_cbranch_scc1 .LBB74_29
; %bb.2:
	s_load_dwordx2 s[6:7], s[0:1], 0x20
	s_cmp_lt_u32 s20, 4
	v_and_b32_e32 v11, 1, v6
	s_cbranch_scc1 .LBB74_21
; %bb.3:
	v_lshlrev_b32_e32 v6, 2, v11
	s_mov_b32 s13, 0
	s_and_b32 s8, s20, 0x7ffffffc
	v_ashrrev_i32_e32 v3, 31, v2
	v_sub_u32_e32 v13, 0, v6
	v_mov_b32_e32 v12, 0
	s_mov_b32 s12, s13
	s_branch .LBB74_5
.LBB74_4:                               ;   in Loop: Header=BB74_5 Depth=1
	s_or_b64 exec, exec, s[14:15]
	s_add_i32 s12, s12, 4
	s_cmp_eq_u32 s12, s8
	s_cbranch_scc1 .LBB74_22
.LBB74_5:                               ; =>This Loop Header: Depth=1
                                        ;     Child Loop BB74_7 Depth 2
                                        ;     Child Loop BB74_11 Depth 2
	;; [unrolled: 1-line block ×4, first 2 shown]
	v_lshl_add_u64 v[6:7], s[12:13], 2, v[4:5]
	global_load_dword v14, v[6:7], off
	v_add_u32_e32 v8, s12, v2
	v_ashrrev_i32_e32 v9, 31, v8
	v_mov_b32_e32 v15, 0
	s_mov_b64 s[14:15], 0
	s_waitcnt lgkmcnt(0)
	v_lshl_add_u64 v[8:9], v[8:9], 2, s[6:7]
	s_mov_b32 s9, 0
	s_waitcnt vmcnt(0)
	v_add_u32_e32 v16, v13, v14
	s_branch .LBB74_7
.LBB74_6:                               ;   in Loop: Header=BB74_7 Depth=2
	s_or_b64 exec, exec, s[16:17]
	s_add_i32 s18, s9, 1
	s_cmp_gt_u32 s9, 2
	s_cselect_b64 s[2:3], -1, 0
	s_xor_b64 s[16:17], vcc, -1
	s_or_b64 s[2:3], s[16:17], s[2:3]
	s_and_b64 s[2:3], exec, s[2:3]
	v_add_u32_e32 v15, 4, v15
	s_or_b64 s[14:15], s[2:3], s[14:15]
	s_mov_b32 s9, s18
	s_andn2_b64 exec, exec, s[14:15]
	s_cbranch_execz .LBB74_9
.LBB74_7:                               ;   Parent Loop BB74_5 Depth=1
                                        ; =>  This Inner Loop Header: Depth=2
	v_cmp_ne_u32_e32 vcc, s9, v16
	v_cmp_eq_u32_e64 s[2:3], s9, v16
	s_and_saveexec_b64 s[16:17], s[2:3]
	s_cbranch_execz .LBB74_6
; %bb.8:                                ;   in Loop: Header=BB74_7 Depth=2
	scratch_load_dword v17, v15, off
	s_waitcnt vmcnt(0)
	v_add_f32_e32 v12, v12, v17
	global_store_dword v[8:9], v14, off
	s_branch .LBB74_6
.LBB74_9:                               ;   in Loop: Header=BB74_5 Depth=1
	s_or_b64 exec, exec, s[14:15]
	global_load_dword v14, v[6:7], off offset:4
	s_ashr_i32 s3, s12, 31
	s_mov_b32 s2, s12
	v_lshl_add_u64 v[8:9], s[2:3], 0, v[2:3]
	v_mov_b32_e32 v15, 0
	s_mov_b32 s9, 0
	v_lshl_add_u64 v[8:9], v[8:9], 2, s[6:7]
	s_mov_b64 s[14:15], 0
	s_waitcnt vmcnt(0)
	v_add_u32_e32 v16, v13, v14
	s_branch .LBB74_11
.LBB74_10:                              ;   in Loop: Header=BB74_11 Depth=2
	s_or_b64 exec, exec, s[16:17]
	s_add_i32 s18, s9, 1
	s_cmp_gt_u32 s9, 2
	s_cselect_b64 s[2:3], -1, 0
	s_xor_b64 s[16:17], vcc, -1
	s_or_b64 s[2:3], s[16:17], s[2:3]
	s_and_b64 s[2:3], exec, s[2:3]
	v_add_u32_e32 v15, 4, v15
	s_or_b64 s[14:15], s[2:3], s[14:15]
	s_mov_b32 s9, s18
	s_andn2_b64 exec, exec, s[14:15]
	s_cbranch_execz .LBB74_13
.LBB74_11:                              ;   Parent Loop BB74_5 Depth=1
                                        ; =>  This Inner Loop Header: Depth=2
	v_cmp_ne_u32_e32 vcc, s9, v16
	v_cmp_eq_u32_e64 s[2:3], s9, v16
	s_and_saveexec_b64 s[16:17], s[2:3]
	s_cbranch_execz .LBB74_10
; %bb.12:                               ;   in Loop: Header=BB74_11 Depth=2
	scratch_load_dword v17, v15, off
	s_waitcnt vmcnt(0)
	v_add_f32_e32 v12, v12, v17
	global_store_dword v[8:9], v14, off offset:4
	s_branch .LBB74_10
.LBB74_13:                              ;   in Loop: Header=BB74_5 Depth=1
	s_or_b64 exec, exec, s[14:15]
	global_load_dword v14, v[6:7], off offset:8
	v_mov_b32_e32 v15, 0
	s_mov_b32 s9, 0
	s_mov_b64 s[14:15], 0
	s_waitcnt vmcnt(0)
	v_add_u32_e32 v16, v13, v14
	s_branch .LBB74_15
.LBB74_14:                              ;   in Loop: Header=BB74_15 Depth=2
	s_or_b64 exec, exec, s[16:17]
	s_add_i32 s18, s9, 1
	s_cmp_gt_u32 s9, 2
	s_cselect_b64 s[2:3], -1, 0
	s_xor_b64 s[16:17], vcc, -1
	s_or_b64 s[2:3], s[16:17], s[2:3]
	s_and_b64 s[2:3], exec, s[2:3]
	v_add_u32_e32 v15, 4, v15
	s_or_b64 s[14:15], s[2:3], s[14:15]
	s_mov_b32 s9, s18
	s_andn2_b64 exec, exec, s[14:15]
	s_cbranch_execz .LBB74_17
.LBB74_15:                              ;   Parent Loop BB74_5 Depth=1
                                        ; =>  This Inner Loop Header: Depth=2
	v_cmp_ne_u32_e32 vcc, s9, v16
	v_cmp_eq_u32_e64 s[2:3], s9, v16
	s_and_saveexec_b64 s[16:17], s[2:3]
	s_cbranch_execz .LBB74_14
; %bb.16:                               ;   in Loop: Header=BB74_15 Depth=2
	scratch_load_dword v17, v15, off
	s_waitcnt vmcnt(0)
	v_add_f32_e32 v12, v12, v17
	global_store_dword v[8:9], v14, off offset:8
	s_branch .LBB74_14
.LBB74_17:                              ;   in Loop: Header=BB74_5 Depth=1
	s_or_b64 exec, exec, s[14:15]
	global_load_dword v6, v[6:7], off offset:12
	v_mov_b32_e32 v7, 0
	s_mov_b32 s9, 0
	s_mov_b64 s[14:15], 0
	s_waitcnt vmcnt(0)
	v_add_u32_e32 v14, v13, v6
	s_branch .LBB74_19
.LBB74_18:                              ;   in Loop: Header=BB74_19 Depth=2
	s_or_b64 exec, exec, s[16:17]
	s_add_i32 s18, s9, 1
	s_cmp_gt_u32 s9, 2
	s_cselect_b64 s[2:3], -1, 0
	s_xor_b64 s[16:17], vcc, -1
	s_or_b64 s[2:3], s[16:17], s[2:3]
	s_and_b64 s[2:3], exec, s[2:3]
	v_add_u32_e32 v7, 4, v7
	s_or_b64 s[14:15], s[2:3], s[14:15]
	s_mov_b32 s9, s18
	s_andn2_b64 exec, exec, s[14:15]
	s_cbranch_execz .LBB74_4
.LBB74_19:                              ;   Parent Loop BB74_5 Depth=1
                                        ; =>  This Inner Loop Header: Depth=2
	v_cmp_ne_u32_e32 vcc, s9, v14
	v_cmp_eq_u32_e64 s[2:3], s9, v14
	s_and_saveexec_b64 s[16:17], s[2:3]
	s_cbranch_execz .LBB74_18
; %bb.20:                               ;   in Loop: Header=BB74_19 Depth=2
	scratch_load_dword v15, v7, off
	s_waitcnt vmcnt(0)
	v_add_f32_e32 v12, v12, v15
	global_store_dword v[8:9], v6, off offset:12
	s_branch .LBB74_18
.LBB74_21:
	v_mov_b32_e32 v12, 0
.LBB74_22:
	s_and_b32 s16, s20, 3
	s_cmp_eq_u32 s16, 0
	s_mov_b32 s9, 0
	s_cbranch_scc1 .LBB74_29
; %bb.23:
	v_lshlrev_b32_e32 v3, 2, v11
	v_sub_u32_e32 v3, 0, v3
	s_mov_b32 s17, s9
	s_branch .LBB74_25
.LBB74_24:                              ;   in Loop: Header=BB74_25 Depth=1
	s_or_b64 exec, exec, s[12:13]
	s_add_i32 s8, s8, 1
	s_add_i32 s17, s17, 1
	s_cmp_lg_u32 s17, s16
	s_cbranch_scc0 .LBB74_29
.LBB74_25:                              ; =>This Loop Header: Depth=1
                                        ;     Child Loop BB74_27 Depth 2
	v_lshl_add_u64 v[6:7], s[8:9], 2, v[4:5]
	global_load_dword v8, v[6:7], off
	v_add_u32_e32 v6, s8, v2
	v_ashrrev_i32_e32 v7, 31, v6
	v_mov_b32_e32 v9, 0
	s_mov_b32 s18, 0
	s_waitcnt lgkmcnt(0)
	v_lshl_add_u64 v[6:7], v[6:7], 2, s[6:7]
	s_mov_b64 s[12:13], 0
	s_waitcnt vmcnt(0)
	v_add_u32_e32 v11, v3, v8
	s_branch .LBB74_27
.LBB74_26:                              ;   in Loop: Header=BB74_27 Depth=2
	s_or_b64 exec, exec, s[14:15]
	s_add_i32 s19, s18, 1
	s_cmp_gt_u32 s18, 2
	s_cselect_b64 s[2:3], -1, 0
	s_xor_b64 s[14:15], vcc, -1
	s_or_b64 s[2:3], s[14:15], s[2:3]
	s_and_b64 s[2:3], exec, s[2:3]
	v_add_u32_e32 v9, 4, v9
	s_or_b64 s[12:13], s[2:3], s[12:13]
	s_mov_b32 s18, s19
	s_andn2_b64 exec, exec, s[12:13]
	s_cbranch_execz .LBB74_24
.LBB74_27:                              ;   Parent Loop BB74_25 Depth=1
                                        ; =>  This Inner Loop Header: Depth=2
	v_cmp_ne_u32_e32 vcc, s18, v11
	v_cmp_eq_u32_e64 s[2:3], s18, v11
	s_and_saveexec_b64 s[14:15], s[2:3]
	s_cbranch_execz .LBB74_26
; %bb.28:                               ;   in Loop: Header=BB74_27 Depth=2
	scratch_load_dword v13, v9, off
	s_waitcnt vmcnt(0)
	v_add_f32_e32 v12, v12, v13
	global_store_dword v[6:7], v8, off
	s_branch .LBB74_26
.LBB74_29:
	s_waitcnt lgkmcnt(0)
	s_load_dword s6, s[0:1], 0x3c
	s_waitcnt lgkmcnt(0)
	s_bitcmp1_b32 s6, 0
	s_cselect_b64 s[2:3], -1, 0
	s_bitcmp0_b32 s6, 0
	s_cbranch_scc0 .LBB74_32
; %bb.30:
	s_load_dwordx2 s[6:7], s[0:1], 0x40
	s_andn2_b64 vcc, exec, s[2:3]
	s_waitcnt lgkmcnt(0)
	v_cvt_f32_f64_e32 v11, s[6:7]
	s_cbranch_vccz .LBB74_33
.LBB74_31:
	s_andn2_b64 vcc, exec, s[4:5]
	s_cbranch_vccz .LBB74_34
	s_branch .LBB74_80
.LBB74_32:
	v_mbcnt_lo_u32_b32 v3, -1, 0
	v_mbcnt_hi_u32_b32 v3, -1, v3
	v_and_b32_e32 v7, 0x7e, v3
	v_xor_b32_e32 v6, 1, v3
	v_add_u32_e32 v7, 2, v7
	v_cmp_lt_i32_e32 vcc, v6, v7
	s_nop 1
	v_cndmask_b32_e32 v3, v3, v6, vcc
	v_lshlrev_b32_e32 v3, 2, v3
	ds_bpermute_b32 v3, v3, v12
	s_waitcnt lgkmcnt(0)
	v_add_f32_e32 v12, v12, v3
	s_load_dwordx2 s[6:7], s[0:1], 0x40
	s_andn2_b64 vcc, exec, s[2:3]
	s_waitcnt lgkmcnt(0)
	v_cvt_f32_f64_e32 v11, s[6:7]
	s_cbranch_vccnz .LBB74_31
.LBB74_33:
	v_cmp_lt_f32_e32 vcc, 0, v12
	s_nop 1
	v_cndmask_b32_e32 v3, 1.0, v12, vcc
	v_div_scale_f32 v6, s[2:3], v3, v3, v11
	v_rcp_f32_e32 v7, v6
	s_nop 0
	v_fma_f32 v8, -v6, v7, 1.0
	v_fmac_f32_e32 v7, v8, v7
	v_div_scale_f32 v8, vcc, v11, v3, v11
	v_mul_f32_e32 v9, v8, v7
	v_fma_f32 v12, -v6, v9, v8
	v_fmac_f32_e32 v9, v12, v7
	v_fma_f32 v6, -v6, v9, v8
	v_div_fmas_f32 v6, v6, v7, v9
	v_div_fixup_f32 v11, v6, v3, v11
	s_andn2_b64 vcc, exec, s[4:5]
	s_cbranch_vccnz .LBB74_80
.LBB74_34:
	s_load_dwordx2 s[4:5], s[0:1], 0x10
	v_mov_b32_e32 v3, 0
	v_or_b32_e32 v12, 4, v3
	v_or_b32_e32 v13, 8, v3
	;; [unrolled: 1-line block ×6, first 2 shown]
	s_cmp_lt_u32 s20, 4
	s_mov_b32 s6, 0
	s_cbranch_scc1 .LBB74_69
; %bb.35:
	v_ashrrev_i32_e32 v3, 31, v2
	s_and_b32 s6, s20, 0x7ffffffc
	s_waitcnt lgkmcnt(0)
	v_lshl_add_u64 v[6:7], v[2:3], 2, s[4:5]
	s_mov_b32 s7, 0
	s_mov_b64 s[8:9], 0
	s_branch .LBB74_37
.LBB74_36:                              ;   in Loop: Header=BB74_37 Depth=1
	s_or_b64 exec, exec, s[2:3]
	s_add_i32 s7, s7, 4
	s_add_u32 s8, s8, 16
	s_addc_u32 s9, s9, 0
	s_cmp_eq_u32 s6, s7
	s_cbranch_scc1 .LBB74_69
.LBB74_37:                              ; =>This Inner Loop Header: Depth=1
	v_lshl_add_u64 v[8:9], v[4:5], 0, s[8:9]
	global_load_dword v18, v[8:9], off
	v_mov_b32_e32 v3, 0
	s_waitcnt vmcnt(0)
	v_cmp_eq_u32_e32 vcc, v18, v10
	v_cmp_ne_u32_e64 s[0:1], v18, v10
	s_and_saveexec_b64 s[12:13], s[0:1]
	s_cbranch_execz .LBB74_43
; %bb.38:                               ;   in Loop: Header=BB74_37 Depth=1
	v_cmp_eq_u32_e64 s[0:1], v18, v15
	v_cmp_ne_u32_e64 s[2:3], v18, v15
	v_mov_b32_e32 v3, v12
	s_and_saveexec_b64 s[14:15], s[2:3]
	s_cbranch_execz .LBB74_42
; %bb.39:                               ;   in Loop: Header=BB74_37 Depth=1
	v_cmp_eq_u32_e64 s[16:17], v18, v16
	v_cmp_ne_u32_e64 s[2:3], v18, v16
	v_mov_b32_e32 v3, v13
	s_and_saveexec_b64 s[18:19], s[2:3]
	s_xor_b64 s[18:19], exec, s[18:19]
; %bb.40:                               ;   in Loop: Header=BB74_37 Depth=1
	v_cmp_eq_u32_e64 s[2:3], v18, v17
	s_andn2_b64 s[16:17], s[16:17], exec
	s_and_b64 s[2:3], s[2:3], exec
	s_or_b64 s[16:17], s[16:17], s[2:3]
	v_mov_b32_e32 v3, v14
; %bb.41:                               ;   in Loop: Header=BB74_37 Depth=1
	s_or_b64 exec, exec, s[18:19]
	s_andn2_b64 s[0:1], s[0:1], exec
	s_and_b64 s[2:3], s[16:17], exec
	s_or_b64 s[0:1], s[0:1], s[2:3]
.LBB74_42:                              ;   in Loop: Header=BB74_37 Depth=1
	s_or_b64 exec, exec, s[14:15]
	s_andn2_b64 s[2:3], vcc, exec
	s_and_b64 s[0:1], s[0:1], exec
	s_or_b64 vcc, s[2:3], s[0:1]
.LBB74_43:                              ;   in Loop: Header=BB74_37 Depth=1
	s_or_b64 exec, exec, s[12:13]
	s_and_saveexec_b64 s[0:1], vcc
	s_cbranch_execz .LBB74_45
; %bb.44:                               ;   in Loop: Header=BB74_37 Depth=1
	scratch_load_dword v3, v3, off
	v_add_u32_e32 v18, s7, v2
	v_ashrrev_i32_e32 v19, 31, v18
	v_lshl_add_u64 v[18:19], v[18:19], 2, s[4:5]
	s_waitcnt vmcnt(0)
	v_mul_f32_e32 v3, v11, v3
	global_store_dword v[18:19], v3, off
.LBB74_45:                              ;   in Loop: Header=BB74_37 Depth=1
	s_or_b64 exec, exec, s[0:1]
	global_load_dword v18, v[8:9], off offset:4
	v_mov_b32_e32 v3, 0
	s_waitcnt vmcnt(0)
	v_cmp_eq_u32_e64 s[0:1], v18, v10
	v_cmp_ne_u32_e32 vcc, v18, v10
	s_and_saveexec_b64 s[2:3], vcc
	s_cbranch_execz .LBB74_51
; %bb.46:                               ;   in Loop: Header=BB74_37 Depth=1
	v_cmp_eq_u32_e64 s[12:13], v18, v15
	v_cmp_ne_u32_e32 vcc, v18, v15
	v_mov_b32_e32 v3, v12
	s_and_saveexec_b64 s[14:15], vcc
	s_cbranch_execz .LBB74_50
; %bb.47:                               ;   in Loop: Header=BB74_37 Depth=1
	v_cmp_eq_u32_e64 s[16:17], v18, v16
	v_cmp_ne_u32_e32 vcc, v18, v16
	v_mov_b32_e32 v3, v13
	s_and_saveexec_b64 s[18:19], vcc
; %bb.48:                               ;   in Loop: Header=BB74_37 Depth=1
	v_cmp_eq_u32_e32 vcc, v18, v17
	s_andn2_b64 s[16:17], s[16:17], exec
	s_and_b64 s[22:23], vcc, exec
	s_or_b64 s[16:17], s[16:17], s[22:23]
	v_mov_b32_e32 v3, v14
; %bb.49:                               ;   in Loop: Header=BB74_37 Depth=1
	s_or_b64 exec, exec, s[18:19]
	s_andn2_b64 s[12:13], s[12:13], exec
	s_and_b64 s[16:17], s[16:17], exec
	s_or_b64 s[12:13], s[12:13], s[16:17]
.LBB74_50:                              ;   in Loop: Header=BB74_37 Depth=1
	s_or_b64 exec, exec, s[14:15]
	s_andn2_b64 s[0:1], s[0:1], exec
	s_and_b64 s[12:13], s[12:13], exec
	s_or_b64 s[0:1], s[0:1], s[12:13]
.LBB74_51:                              ;   in Loop: Header=BB74_37 Depth=1
	s_or_b64 exec, exec, s[2:3]
	s_and_saveexec_b64 s[2:3], s[0:1]
	s_cbranch_execz .LBB74_53
; %bb.52:                               ;   in Loop: Header=BB74_37 Depth=1
	scratch_load_dword v3, v3, off
	v_lshl_add_u64 v[18:19], v[6:7], 0, s[8:9]
	s_waitcnt vmcnt(0)
	v_mul_f32_e32 v3, v11, v3
	global_store_dword v[18:19], v3, off offset:4
.LBB74_53:                              ;   in Loop: Header=BB74_37 Depth=1
	s_or_b64 exec, exec, s[2:3]
	global_load_dword v18, v[8:9], off offset:8
	v_mov_b32_e32 v3, 0
	s_waitcnt vmcnt(0)
	v_cmp_eq_u32_e64 s[0:1], v18, v10
	v_cmp_ne_u32_e32 vcc, v18, v10
	s_and_saveexec_b64 s[2:3], vcc
	s_cbranch_execz .LBB74_59
; %bb.54:                               ;   in Loop: Header=BB74_37 Depth=1
	v_cmp_eq_u32_e64 s[12:13], v18, v15
	v_cmp_ne_u32_e32 vcc, v18, v15
	v_mov_b32_e32 v3, v12
	s_and_saveexec_b64 s[14:15], vcc
	s_cbranch_execz .LBB74_58
; %bb.55:                               ;   in Loop: Header=BB74_37 Depth=1
	v_cmp_eq_u32_e64 s[16:17], v18, v16
	v_cmp_ne_u32_e32 vcc, v18, v16
	v_mov_b32_e32 v3, v13
	s_and_saveexec_b64 s[18:19], vcc
; %bb.56:                               ;   in Loop: Header=BB74_37 Depth=1
	v_cmp_eq_u32_e32 vcc, v18, v17
	s_andn2_b64 s[16:17], s[16:17], exec
	s_and_b64 s[22:23], vcc, exec
	s_or_b64 s[16:17], s[16:17], s[22:23]
	v_mov_b32_e32 v3, v14
; %bb.57:                               ;   in Loop: Header=BB74_37 Depth=1
	s_or_b64 exec, exec, s[18:19]
	s_andn2_b64 s[12:13], s[12:13], exec
	s_and_b64 s[16:17], s[16:17], exec
	s_or_b64 s[12:13], s[12:13], s[16:17]
.LBB74_58:                              ;   in Loop: Header=BB74_37 Depth=1
	s_or_b64 exec, exec, s[14:15]
	s_andn2_b64 s[0:1], s[0:1], exec
	s_and_b64 s[12:13], s[12:13], exec
	s_or_b64 s[0:1], s[0:1], s[12:13]
.LBB74_59:                              ;   in Loop: Header=BB74_37 Depth=1
	s_or_b64 exec, exec, s[2:3]
	s_and_saveexec_b64 s[2:3], s[0:1]
	s_cbranch_execz .LBB74_61
; %bb.60:                               ;   in Loop: Header=BB74_37 Depth=1
	scratch_load_dword v3, v3, off
	v_lshl_add_u64 v[18:19], v[6:7], 0, s[8:9]
	s_waitcnt vmcnt(0)
	v_mul_f32_e32 v3, v11, v3
	global_store_dword v[18:19], v3, off offset:8
.LBB74_61:                              ;   in Loop: Header=BB74_37 Depth=1
	s_or_b64 exec, exec, s[2:3]
	global_load_dword v8, v[8:9], off offset:12
	v_mov_b32_e32 v3, 0
	s_waitcnt vmcnt(0)
	v_cmp_eq_u32_e64 s[0:1], v8, v10
	v_cmp_ne_u32_e32 vcc, v8, v10
	s_and_saveexec_b64 s[2:3], vcc
	s_cbranch_execz .LBB74_67
; %bb.62:                               ;   in Loop: Header=BB74_37 Depth=1
	v_cmp_eq_u32_e64 s[12:13], v8, v15
	v_cmp_ne_u32_e32 vcc, v8, v15
	v_mov_b32_e32 v3, v12
	s_and_saveexec_b64 s[14:15], vcc
	s_cbranch_execz .LBB74_66
; %bb.63:                               ;   in Loop: Header=BB74_37 Depth=1
	v_cmp_eq_u32_e64 s[16:17], v8, v16
	v_cmp_ne_u32_e32 vcc, v8, v16
	v_mov_b32_e32 v3, v13
	s_and_saveexec_b64 s[18:19], vcc
; %bb.64:                               ;   in Loop: Header=BB74_37 Depth=1
	v_cmp_eq_u32_e32 vcc, v8, v17
	s_andn2_b64 s[16:17], s[16:17], exec
	s_and_b64 s[22:23], vcc, exec
	s_or_b64 s[16:17], s[16:17], s[22:23]
	v_mov_b32_e32 v3, v14
; %bb.65:                               ;   in Loop: Header=BB74_37 Depth=1
	s_or_b64 exec, exec, s[18:19]
	s_andn2_b64 s[12:13], s[12:13], exec
	s_and_b64 s[16:17], s[16:17], exec
	s_or_b64 s[12:13], s[12:13], s[16:17]
.LBB74_66:                              ;   in Loop: Header=BB74_37 Depth=1
	s_or_b64 exec, exec, s[14:15]
	s_andn2_b64 s[0:1], s[0:1], exec
	s_and_b64 s[12:13], s[12:13], exec
	s_or_b64 s[0:1], s[0:1], s[12:13]
.LBB74_67:                              ;   in Loop: Header=BB74_37 Depth=1
	s_or_b64 exec, exec, s[2:3]
	s_and_saveexec_b64 s[2:3], s[0:1]
	s_cbranch_execz .LBB74_36
; %bb.68:                               ;   in Loop: Header=BB74_37 Depth=1
	scratch_load_dword v3, v3, off
	v_lshl_add_u64 v[8:9], v[6:7], 0, s[8:9]
	s_waitcnt vmcnt(0)
	v_mul_f32_e32 v3, v11, v3
	global_store_dword v[8:9], v3, off offset:12
	s_branch .LBB74_36
.LBB74_69:
	s_and_b32 s14, s20, 3
	s_cmp_eq_u32 s14, 0
	s_mov_b32 s7, 0
	s_cbranch_scc1 .LBB74_80
; %bb.70:
	s_lshl_b64 s[0:1], s[6:7], 2
	s_add_u32 s0, s10, s0
	s_addc_u32 s1, s11, s1
	v_add_u32_e32 v2, s6, v2
	v_lshl_add_u64 v[0:1], v[0:1], 2, s[0:1]
	s_branch .LBB74_72
.LBB74_71:                              ;   in Loop: Header=BB74_72 Depth=1
	s_or_b64 exec, exec, s[2:3]
	s_add_i32 s14, s14, -1
	v_add_u32_e32 v2, 1, v2
	s_cmp_lg_u32 s14, 0
	v_lshl_add_u64 v[0:1], v[0:1], 0, 4
	s_cbranch_scc0 .LBB74_80
.LBB74_72:                              ; =>This Inner Loop Header: Depth=1
	global_load_dword v4, v[0:1], off
	v_mov_b32_e32 v3, 0
	s_waitcnt vmcnt(0)
	v_cmp_eq_u32_e64 s[0:1], v4, v10
	v_cmp_ne_u32_e32 vcc, v4, v10
	s_and_saveexec_b64 s[2:3], vcc
	s_cbranch_execz .LBB74_78
; %bb.73:                               ;   in Loop: Header=BB74_72 Depth=1
	v_cmp_eq_u32_e64 s[6:7], v4, v15
	v_cmp_ne_u32_e32 vcc, v4, v15
	v_mov_b32_e32 v3, v12
	s_and_saveexec_b64 s[8:9], vcc
	s_cbranch_execz .LBB74_77
; %bb.74:                               ;   in Loop: Header=BB74_72 Depth=1
	v_cmp_eq_u32_e64 s[10:11], v4, v16
	v_cmp_ne_u32_e32 vcc, v4, v16
	v_mov_b32_e32 v3, v13
	s_and_saveexec_b64 s[12:13], vcc
; %bb.75:                               ;   in Loop: Header=BB74_72 Depth=1
	v_cmp_eq_u32_e32 vcc, v4, v17
	s_andn2_b64 s[10:11], s[10:11], exec
	s_and_b64 s[16:17], vcc, exec
	s_or_b64 s[10:11], s[10:11], s[16:17]
	v_mov_b32_e32 v3, v14
; %bb.76:                               ;   in Loop: Header=BB74_72 Depth=1
	s_or_b64 exec, exec, s[12:13]
	s_andn2_b64 s[6:7], s[6:7], exec
	s_and_b64 s[10:11], s[10:11], exec
	s_or_b64 s[6:7], s[6:7], s[10:11]
.LBB74_77:                              ;   in Loop: Header=BB74_72 Depth=1
	s_or_b64 exec, exec, s[8:9]
	s_andn2_b64 s[0:1], s[0:1], exec
	s_and_b64 s[6:7], s[6:7], exec
	s_or_b64 s[0:1], s[0:1], s[6:7]
.LBB74_78:                              ;   in Loop: Header=BB74_72 Depth=1
	s_or_b64 exec, exec, s[2:3]
	s_and_saveexec_b64 s[2:3], s[0:1]
	s_cbranch_execz .LBB74_71
; %bb.79:                               ;   in Loop: Header=BB74_72 Depth=1
	scratch_load_dword v4, v3, off
	v_ashrrev_i32_e32 v3, 31, v2
	s_waitcnt vmcnt(0)
	v_mul_f32_e32 v6, v11, v4
	s_waitcnt lgkmcnt(0)
	v_lshl_add_u64 v[4:5], v[2:3], 2, s[4:5]
	global_store_dword v[4:5], v6, off
	s_branch .LBB74_71
.LBB74_80:
	s_endpgm
	.section	.rodata,"a",@progbits
	.p2align	6, 0x0
	.amdhsa_kernel _ZN4vllm3moe22topkGatingSoftplusSqrtILi4ELi8ELi4ELi16ELi32ELb1EjfEEvPKT6_PKbPfiPT5_PiiiibdPKfPKS8_SE_
		.amdhsa_group_segment_fixed_size 0
		.amdhsa_private_segment_fixed_size 32
		.amdhsa_kernarg_size 96
		.amdhsa_user_sgpr_count 2
		.amdhsa_user_sgpr_dispatch_ptr 0
		.amdhsa_user_sgpr_queue_ptr 0
		.amdhsa_user_sgpr_kernarg_segment_ptr 1
		.amdhsa_user_sgpr_dispatch_id 0
		.amdhsa_user_sgpr_kernarg_preload_length 0
		.amdhsa_user_sgpr_kernarg_preload_offset 0
		.amdhsa_user_sgpr_private_segment_size 0
		.amdhsa_uses_dynamic_stack 0
		.amdhsa_enable_private_segment 1
		.amdhsa_system_sgpr_workgroup_id_x 1
		.amdhsa_system_sgpr_workgroup_id_y 0
		.amdhsa_system_sgpr_workgroup_id_z 0
		.amdhsa_system_sgpr_workgroup_info 0
		.amdhsa_system_vgpr_workitem_id 1
		.amdhsa_next_free_vgpr 23
		.amdhsa_next_free_sgpr 24
		.amdhsa_accum_offset 24
		.amdhsa_reserve_vcc 1
		.amdhsa_float_round_mode_32 0
		.amdhsa_float_round_mode_16_64 0
		.amdhsa_float_denorm_mode_32 3
		.amdhsa_float_denorm_mode_16_64 3
		.amdhsa_dx10_clamp 1
		.amdhsa_ieee_mode 1
		.amdhsa_fp16_overflow 0
		.amdhsa_tg_split 0
		.amdhsa_exception_fp_ieee_invalid_op 0
		.amdhsa_exception_fp_denorm_src 0
		.amdhsa_exception_fp_ieee_div_zero 0
		.amdhsa_exception_fp_ieee_overflow 0
		.amdhsa_exception_fp_ieee_underflow 0
		.amdhsa_exception_fp_ieee_inexact 0
		.amdhsa_exception_int_div_zero 0
	.end_amdhsa_kernel
	.section	.text._ZN4vllm3moe22topkGatingSoftplusSqrtILi4ELi8ELi4ELi16ELi32ELb1EjfEEvPKT6_PKbPfiPT5_PiiiibdPKfPKS8_SE_,"axG",@progbits,_ZN4vllm3moe22topkGatingSoftplusSqrtILi4ELi8ELi4ELi16ELi32ELb1EjfEEvPKT6_PKbPfiPT5_PiiiibdPKfPKS8_SE_,comdat
.Lfunc_end74:
	.size	_ZN4vllm3moe22topkGatingSoftplusSqrtILi4ELi8ELi4ELi16ELi32ELb1EjfEEvPKT6_PKbPfiPT5_PiiiibdPKfPKS8_SE_, .Lfunc_end74-_ZN4vllm3moe22topkGatingSoftplusSqrtILi4ELi8ELi4ELi16ELi32ELb1EjfEEvPKT6_PKbPfiPT5_PiiiibdPKfPKS8_SE_
                                        ; -- End function
	.section	.AMDGPU.csdata,"",@progbits
; Kernel info:
; codeLenInByte = 3376
; NumSgprs: 30
; NumVgprs: 23
; NumAgprs: 0
; TotalNumVgprs: 23
; ScratchSize: 32
; MemoryBound: 0
; FloatMode: 240
; IeeeMode: 1
; LDSByteSize: 0 bytes/workgroup (compile time only)
; SGPRBlocks: 3
; VGPRBlocks: 2
; NumSGPRsForWavesPerEU: 30
; NumVGPRsForWavesPerEU: 23
; AccumOffset: 24
; Occupancy: 8
; WaveLimiterHint : 1
; COMPUTE_PGM_RSRC2:SCRATCH_EN: 1
; COMPUTE_PGM_RSRC2:USER_SGPR: 2
; COMPUTE_PGM_RSRC2:TRAP_HANDLER: 0
; COMPUTE_PGM_RSRC2:TGID_X_EN: 1
; COMPUTE_PGM_RSRC2:TGID_Y_EN: 0
; COMPUTE_PGM_RSRC2:TGID_Z_EN: 0
; COMPUTE_PGM_RSRC2:TIDIG_COMP_CNT: 1
; COMPUTE_PGM_RSRC3_GFX90A:ACCUM_OFFSET: 5
; COMPUTE_PGM_RSRC3_GFX90A:TG_SPLIT: 0
	.section	.text._ZN4vllm3moe22topkGatingSoftplusSqrtILi4ELi8ELi4ELi16ELi32ELb0EjfEEvPKT6_PKbPfiPT5_PiiiibdPKfPKS8_SE_,"axG",@progbits,_ZN4vllm3moe22topkGatingSoftplusSqrtILi4ELi8ELi4ELi16ELi32ELb0EjfEEvPKT6_PKbPfiPT5_PiiiibdPKfPKS8_SE_,comdat
	.protected	_ZN4vllm3moe22topkGatingSoftplusSqrtILi4ELi8ELi4ELi16ELi32ELb0EjfEEvPKT6_PKbPfiPT5_PiiiibdPKfPKS8_SE_ ; -- Begin function _ZN4vllm3moe22topkGatingSoftplusSqrtILi4ELi8ELi4ELi16ELi32ELb0EjfEEvPKT6_PKbPfiPT5_PiiiibdPKfPKS8_SE_
	.globl	_ZN4vllm3moe22topkGatingSoftplusSqrtILi4ELi8ELi4ELi16ELi32ELb0EjfEEvPKT6_PKbPfiPT5_PiiiibdPKfPKS8_SE_
	.p2align	8
	.type	_ZN4vllm3moe22topkGatingSoftplusSqrtILi4ELi8ELi4ELi16ELi32ELb0EjfEEvPKT6_PKbPfiPT5_PiiiibdPKfPKS8_SE_,@function
_ZN4vllm3moe22topkGatingSoftplusSqrtILi4ELi8ELi4ELi16ELi32ELb0EjfEEvPKT6_PKbPfiPT5_PiiiibdPKfPKS8_SE_: ; @_ZN4vllm3moe22topkGatingSoftplusSqrtILi4ELi8ELi4ELi16ELi32ELb0EjfEEvPKT6_PKbPfiPT5_PiiiibdPKfPKS8_SE_
; %bb.0:
	s_load_dword s30, s[2:3], 0x18
	v_and_b32_e32 v1, 0x3ff, v0
	v_bfe_u32 v4, v0, 10, 10
	s_lshl_b32 s4, s4, 6
	v_lshlrev_b32_e32 v2, 4, v4
	v_lshrrev_b32_e32 v3, 1, v1
	v_add3_u32 v2, s4, v2, v3
	s_waitcnt lgkmcnt(0)
	v_cmp_gt_i32_e32 vcc, s30, v2
	s_and_saveexec_b64 s[4:5], vcc
	s_cbranch_execz .LBB75_39
; %bb.1:
	s_load_dwordx4 s[4:7], s[2:3], 0x0
	s_load_dwordx2 s[20:21], s[2:3], 0x10
	s_waitcnt lgkmcnt(0)
	s_cmp_eq_u64 s[6:7], 0
	s_cbranch_scc1 .LBB75_3
; %bb.2:
	v_ashrrev_i32_e32 v3, 31, v2
	v_lshl_add_u64 v[6:7], s[6:7], 0, v[2:3]
	global_load_ubyte v3, v[6:7], off
	s_waitcnt vmcnt(0)
	v_and_b32_e32 v3, 1, v3
	v_cmp_eq_u32_e32 vcc, 1, v3
	s_xor_b64 s[6:7], vcc, -1
	s_orn2_b64 s[22:23], s[6:7], exec
	s_branch .LBB75_4
.LBB75_3:
	s_mov_b64 s[22:23], -1
.LBB75_4:
	v_lshlrev_b32_e32 v8, 3, v2
	v_mov_b32_e32 v6, s4
	v_mov_b32_e32 v7, s5
	v_ashrrev_i32_e32 v9, 31, v8
	v_and_b32_e32 v3, 1, v1
	v_lshl_add_u64 v[6:7], v[8:9], 2, v[6:7]
	v_mov_b32_e32 v9, 0
	v_lshlrev_b32_e32 v8, 4, v3
	v_lshl_add_u64 v[6:7], v[6:7], 0, v[8:9]
	global_load_dwordx4 v[6:9], v[6:7], off
	s_load_dwordx2 s[4:5], s[0:1], 0x4
	s_load_dwordx4 s[8:11], s[2:3], 0x40
	v_bfe_u32 v0, v0, 20, 10
	s_mov_b32 s16, 0x800000
	s_mov_b32 s13, 0x3f317217
	s_waitcnt lgkmcnt(0)
	s_lshr_b32 s0, s4, 16
	v_mul_u32_u24_e32 v4, s5, v4
	s_mul_i32 s0, s0, s5
	v_mad_u32_u24 v1, s0, v1, v4
	v_add_lshl_u32 v4, v1, v0, 4
	s_mov_b32 s14, 0x7f800000
	s_mov_b32 s12, 0x41a00000
	;; [unrolled: 1-line block ×3, first 2 shown]
	s_cmp_lg_u64 s[10:11], 0
	v_mov_b32_e32 v1, 0x260
	s_cselect_b64 s[6:7], -1, 0
	s_and_b64 s[0:1], exec, s[6:7]
	s_waitcnt vmcnt(0)
	ds_write_b128 v4, v[6:9]
	ds_read_b32 v8, v4
	v_mov_b32_e32 v6, 0x4f800000
	v_mov_b32_e32 v7, 0x41b17218
	s_waitcnt lgkmcnt(0)
	v_mul_f32_e32 v0, 0x3fb8aa3b, v8
	v_exp_f32_e32 v0, v0
	s_nop 0
	v_add_f32_e32 v0, 1.0, v0
	v_cmp_gt_f32_e32 vcc, s16, v0
	s_nop 1
	v_cndmask_b32_e32 v5, 1.0, v6, vcc
	v_mul_f32_e32 v0, v0, v5
	v_log_f32_e32 v9, v0
	v_cndmask_b32_e32 v10, 0, v7, vcc
	v_lshlrev_b32_e32 v5, 2, v3
	v_lshlrev_b32_e32 v0, 2, v5
	v_mul_f32_e32 v11, 0x3f317217, v9
	v_fma_f32 v11, v9, s13, -v11
	v_fmac_f32_e32 v11, 0x3377d1cf, v9
	v_fmac_f32_e32 v11, 0x3f317217, v9
	v_cmp_lt_f32_e64 vcc, |v9|, s14
	s_nop 1
	v_cndmask_b32_e32 v9, v9, v11, vcc
	v_sub_f32_e32 v9, v9, v10
	v_cmp_lt_f32_e32 vcc, s12, v8
	s_nop 1
	v_cndmask_b32_e32 v8, v9, v8, vcc
	v_mul_f32_e32 v9, 0x4f800000, v8
	v_cmp_gt_f32_e32 vcc, s15, v8
	s_nop 1
	v_cndmask_b32_e32 v8, v8, v9, vcc
	v_sqrt_f32_e32 v9, v8
	s_nop 0
	v_add_u32_e32 v10, -1, v9
	v_add_u32_e32 v11, 1, v9
	v_fma_f32 v12, -v10, v9, v8
	v_fma_f32 v13, -v11, v9, v8
	v_cmp_ge_f32_e64 s[4:5], 0, v12
	s_nop 1
	v_cndmask_b32_e64 v9, v9, v10, s[4:5]
	v_cmp_lt_f32_e64 s[4:5], 0, v13
	s_nop 1
	v_cndmask_b32_e64 v9, v9, v11, s[4:5]
	v_mul_f32_e32 v10, 0x37800000, v9
	v_cndmask_b32_e32 v9, v9, v10, vcc
	v_cmp_class_f32_e32 vcc, v8, v1
	s_nop 1
	v_cndmask_b32_e32 v8, v9, v8, vcc
	s_mov_b64 vcc, s[0:1]
	s_cbranch_vccz .LBB75_6
; %bb.5:
	global_load_dword v9, v0, s[10:11]
	s_waitcnt vmcnt(0)
	v_add_f32_e32 v8, v8, v9
.LBB75_6:
	ds_read_b32 v9, v4 offset:4
	ds_write_b32 v4, v8
	s_waitcnt lgkmcnt(1)
	v_mul_f32_e32 v10, 0x3fb8aa3b, v9
	v_exp_f32_e32 v10, v10
	s_nop 0
	v_add_f32_e32 v10, 1.0, v10
	v_cmp_gt_f32_e32 vcc, s16, v10
	s_nop 1
	v_cndmask_b32_e32 v6, 1.0, v6, vcc
	v_mul_f32_e32 v6, v10, v6
	v_log_f32_e32 v6, v6
	v_cndmask_b32_e32 v7, 0, v7, vcc
	v_mul_f32_e32 v8, 0x3f317217, v6
	v_fma_f32 v8, v6, s13, -v8
	v_fmac_f32_e32 v8, 0x3377d1cf, v6
	v_fmac_f32_e32 v8, 0x3f317217, v6
	v_cmp_lt_f32_e64 vcc, |v6|, s14
	s_nop 1
	v_cndmask_b32_e32 v6, v6, v8, vcc
	v_sub_f32_e32 v6, v6, v7
	v_cmp_lt_f32_e32 vcc, s12, v9
	v_cndmask_b32_e64 v8, 0, 1, s[6:7]
	v_cmp_ne_u32_e64 s[0:1], 1, v8
	v_cndmask_b32_e32 v6, v6, v9, vcc
	v_mul_f32_e32 v7, 0x4f800000, v6
	v_cmp_gt_f32_e64 s[4:5], s15, v6
	s_andn2_b64 vcc, exec, s[6:7]
	s_nop 0
	v_cndmask_b32_e64 v6, v6, v7, s[4:5]
	v_sqrt_f32_e32 v7, v6
	s_nop 0
	v_add_u32_e32 v8, -1, v7
	v_add_u32_e32 v9, 1, v7
	v_fma_f32 v10, -v8, v7, v6
	v_fma_f32 v11, -v9, v7, v6
	v_cmp_ge_f32_e64 s[6:7], 0, v10
	s_nop 1
	v_cndmask_b32_e64 v7, v7, v8, s[6:7]
	v_cmp_lt_f32_e64 s[6:7], 0, v11
	s_nop 1
	v_cndmask_b32_e64 v7, v7, v9, s[6:7]
	v_mul_f32_e32 v8, 0x37800000, v7
	v_cndmask_b32_e64 v7, v7, v8, s[4:5]
	v_cmp_class_f32_e64 s[4:5], v6, v1
	s_nop 1
	v_cndmask_b32_e64 v1, v7, v6, s[4:5]
	s_cbranch_vccnz .LBB75_8
; %bb.7:
	global_load_dword v6, v0, s[10:11] offset:4
	s_waitcnt vmcnt(0)
	v_add_f32_e32 v1, v1, v6
.LBB75_8:
	ds_read_b32 v8, v4 offset:8
	s_mov_b32 s12, 0x800000
	s_mov_b32 s7, 0x3f317217
	;; [unrolled: 1-line block ×4, first 2 shown]
	s_waitcnt lgkmcnt(0)
	v_mul_f32_e32 v6, 0x3fb8aa3b, v8
	v_exp_f32_e32 v7, v6
	v_mov_b32_e32 v6, 0x4f800000
	s_mov_b32 s14, 0xf800000
	ds_write_b32 v4, v1 offset:4
	v_add_f32_e32 v7, 1.0, v7
	v_cmp_gt_f32_e32 vcc, s12, v7
	s_nop 1
	v_cndmask_b32_e32 v9, 1.0, v6, vcc
	v_mul_f32_e32 v7, v7, v9
	v_log_f32_e32 v9, v7
	v_mov_b32_e32 v7, 0x41b17218
	v_cndmask_b32_e32 v10, 0, v7, vcc
	v_mul_f32_e32 v11, 0x3f317217, v9
	v_fma_f32 v11, v9, s7, -v11
	v_fmac_f32_e32 v11, 0x3377d1cf, v9
	v_fmac_f32_e32 v11, 0x3f317217, v9
	v_cmp_lt_f32_e64 vcc, |v9|, s13
	s_nop 1
	v_cndmask_b32_e32 v9, v9, v11, vcc
	v_sub_f32_e32 v9, v9, v10
	v_cmp_lt_f32_e32 vcc, s6, v8
	s_nop 1
	v_cndmask_b32_e32 v8, v9, v8, vcc
	v_mul_f32_e32 v9, 0x4f800000, v8
	v_cmp_gt_f32_e32 vcc, s14, v8
	s_nop 1
	v_cndmask_b32_e32 v8, v8, v9, vcc
	v_sqrt_f32_e32 v9, v8
	s_nop 0
	v_add_u32_e32 v1, -1, v9
	v_fma_f32 v10, -v1, v9, v8
	v_cmp_ge_f32_e64 s[4:5], 0, v10
	v_add_u32_e32 v10, 1, v9
	s_nop 0
	v_cndmask_b32_e64 v1, v9, v1, s[4:5]
	v_fma_f32 v9, -v10, v9, v8
	v_cmp_lt_f32_e64 s[4:5], 0, v9
	s_nop 1
	v_cndmask_b32_e64 v1, v1, v10, s[4:5]
	v_mul_f32_e32 v9, 0x37800000, v1
	v_cndmask_b32_e32 v9, v1, v9, vcc
	v_mov_b32_e32 v1, 0x260
	v_cmp_class_f32_e64 s[4:5], v8, v1
	s_and_b64 vcc, exec, s[0:1]
	s_nop 0
	v_cndmask_b32_e64 v8, v9, v8, s[4:5]
	s_cbranch_vccnz .LBB75_10
; %bb.9:
	global_load_dword v9, v0, s[10:11] offset:8
	s_waitcnt vmcnt(0)
	v_add_f32_e32 v8, v8, v9
.LBB75_10:
	ds_read_b32 v9, v4 offset:12
	ds_write_b32 v4, v8 offset:8
	s_waitcnt lgkmcnt(1)
	v_mul_f32_e32 v10, 0x3fb8aa3b, v9
	v_exp_f32_e32 v10, v10
	s_nop 0
	v_add_f32_e32 v10, 1.0, v10
	v_cmp_gt_f32_e32 vcc, s12, v10
	s_nop 1
	v_cndmask_b32_e32 v6, 1.0, v6, vcc
	v_mul_f32_e32 v6, v10, v6
	v_log_f32_e32 v6, v6
	v_cndmask_b32_e32 v7, 0, v7, vcc
	v_mul_f32_e32 v10, 0x3f317217, v6
	v_fma_f32 v10, v6, s7, -v10
	v_fmac_f32_e32 v10, 0x3377d1cf, v6
	v_fmac_f32_e32 v10, 0x3f317217, v6
	v_cmp_lt_f32_e64 vcc, |v6|, s13
	s_nop 1
	v_cndmask_b32_e32 v6, v6, v10, vcc
	v_sub_f32_e32 v6, v6, v7
	v_cmp_lt_f32_e32 vcc, s6, v9
	s_nop 1
	v_cndmask_b32_e32 v6, v6, v9, vcc
	v_mul_f32_e32 v7, 0x4f800000, v6
	v_cmp_gt_f32_e64 s[4:5], s14, v6
	s_and_b64 vcc, exec, s[0:1]
	s_nop 0
	v_cndmask_b32_e64 v6, v6, v7, s[4:5]
	v_sqrt_f32_e32 v7, v6
	s_nop 0
	v_add_u32_e32 v8, -1, v7
	v_add_u32_e32 v9, 1, v7
	v_fma_f32 v10, -v8, v7, v6
	v_fma_f32 v11, -v9, v7, v6
	v_cmp_ge_f32_e64 s[6:7], 0, v10
	s_nop 1
	v_cndmask_b32_e64 v7, v7, v8, s[6:7]
	v_cmp_lt_f32_e64 s[6:7], 0, v11
	s_nop 1
	v_cndmask_b32_e64 v7, v7, v9, s[6:7]
	v_mul_f32_e32 v8, 0x37800000, v7
	v_cndmask_b32_e64 v7, v7, v8, s[4:5]
	v_cmp_class_f32_e64 s[4:5], v6, v1
	s_nop 1
	v_cndmask_b32_e64 v1, v7, v6, s[4:5]
	s_cbranch_vccnz .LBB75_12
; %bb.11:
	global_load_dword v0, v0, s[10:11] offset:12
	s_waitcnt vmcnt(0)
	v_add_f32_e32 v1, v1, v0
.LBB75_12:
	s_load_dwordx4 s[12:15], s[2:3], 0x30
	s_mov_b32 s31, 0
	v_cmp_eq_u32_e64 s[6:7], 0, v3
	ds_write_b32 v4, v1 offset:12
	s_waitcnt lgkmcnt(0)
	s_bitcmp1_b32 s15, 0
	s_cselect_b64 s[4:5], -1, 0
	s_cmp_gt_i32 s12, 0
	s_cselect_b64 s[24:25], -1, 0
	s_and_b64 vcc, exec, s[24:25]
	s_cbranch_vccz .LBB75_25
; %bb.13:
	v_mbcnt_lo_u32_b32 v0, -1, 0
	v_mbcnt_hi_u32_b32 v0, -1, v0
	s_load_dwordx4 s[16:19], s[2:3], 0x20
	v_and_b32_e32 v6, 0x7e, v0
	v_xor_b32_e32 v1, 1, v0
	v_add_u32_e32 v6, 2, v6
	v_cmp_lt_i32_e32 vcc, v1, v6
	v_mul_lo_u32 v8, v2, s12
	v_mov_b32_e32 v6, 0
	v_cndmask_b32_e32 v0, v0, v1, vcc
	v_lshlrev_b32_e32 v7, 2, v0
	v_mov_b32_e32 v9, 0xc61c4000
	v_mov_b32_e32 v10, v2
	s_branch .LBB75_15
.LBB75_14:                              ;   in Loop: Header=BB75_15 Depth=1
	s_or_b64 exec, exec, s[2:3]
	s_cmp_eq_u32 s12, s31
	v_add_u32_e32 v10, s30, v10
	s_cbranch_scc1 .LBB75_26
.LBB75_15:                              ; =>This Inner Loop Header: Depth=1
	ds_read_b128 v[12:15], v4
	s_waitcnt lgkmcnt(0)
	v_cmp_gt_f32_e32 vcc, v13, v12
	s_nop 1
	v_cndmask_b32_e32 v1, v12, v13, vcc
	v_cndmask_b32_e64 v0, 0, 1, vcc
	v_cmp_gt_f32_e32 vcc, v14, v1
	s_nop 1
	v_cndmask_b32_e32 v1, v1, v14, vcc
	v_cndmask_b32_e64 v0, v0, 2, vcc
	v_cmp_gt_f32_e32 vcc, v15, v1
	s_nop 1
	v_cndmask_b32_e64 v0, v0, 3, vcc
	v_cndmask_b32_e32 v11, v1, v15, vcc
	ds_bpermute_b32 v1, v7, v11
	v_or_b32_e32 v0, v5, v0
	ds_bpermute_b32 v12, v7, v0
	s_waitcnt lgkmcnt(1)
	v_cmp_lt_f32_e64 s[26:27], v11, v1
	v_cmp_nlt_f32_e32 vcc, v11, v1
	s_and_saveexec_b64 s[28:29], vcc
	s_cbranch_execnz .LBB75_18
; %bb.16:                               ;   in Loop: Header=BB75_15 Depth=1
	s_or_b64 exec, exec, s[28:29]
	s_and_saveexec_b64 s[2:3], s[26:27]
	s_cbranch_execnz .LBB75_19
.LBB75_17:                              ;   in Loop: Header=BB75_15 Depth=1
	s_or_b64 exec, exec, s[2:3]
	s_and_saveexec_b64 s[26:27], s[6:7]
	s_cbranch_execnz .LBB75_20
	s_branch .LBB75_23
.LBB75_18:                              ;   in Loop: Header=BB75_15 Depth=1
	v_cmp_eq_f32_e32 vcc, v11, v1
	s_waitcnt lgkmcnt(0)
	v_cmp_lt_i32_e64 s[2:3], v12, v0
	s_and_b64 s[2:3], vcc, s[2:3]
	s_andn2_b64 s[26:27], s[26:27], exec
	s_and_b64 s[2:3], s[2:3], exec
	s_or_b64 s[26:27], s[26:27], s[2:3]
	s_or_b64 exec, exec, s[28:29]
	s_and_saveexec_b64 s[2:3], s[26:27]
	s_cbranch_execz .LBB75_17
.LBB75_19:                              ;   in Loop: Header=BB75_15 Depth=1
	s_waitcnt lgkmcnt(0)
	v_mov_b32_e32 v0, v12
	v_mov_b32_e32 v11, v1
	s_or_b64 exec, exec, s[2:3]
	s_and_saveexec_b64 s[26:27], s[6:7]
	s_cbranch_execz .LBB75_23
.LBB75_20:                              ;   in Loop: Header=BB75_15 Depth=1
	s_and_b64 vcc, exec, s[0:1]
	s_cbranch_vccnz .LBB75_22
; %bb.21:                               ;   in Loop: Header=BB75_15 Depth=1
	v_ashrrev_i32_e32 v1, 31, v0
	s_waitcnt lgkmcnt(0)
	v_lshl_add_u64 v[12:13], v[0:1], 2, s[10:11]
	global_load_dword v1, v[12:13], off
	s_waitcnt vmcnt(0)
	v_sub_f32_e32 v11, v11, v1
.LBB75_22:                              ;   in Loop: Header=BB75_15 Depth=1
	s_waitcnt lgkmcnt(0)
	v_add_u32_e32 v12, s31, v8
	v_cmp_le_i32_e32 vcc, s13, v0
	v_cmp_gt_i32_e64 s[2:3], s14, v0
	v_ashrrev_i32_e32 v13, 31, v12
	s_and_b64 s[2:3], vcc, s[2:3]
	v_lshlrev_b64 v[12:13], 2, v[12:13]
	v_lshl_add_u64 v[14:15], s[20:21], 0, v[12:13]
	v_subrev_u32_e32 v1, s13, v0
	s_and_b64 vcc, s[22:23], s[2:3]
	global_store_dword v[14:15], v11, off
	v_cndmask_b32_e32 v1, 8, v1, vcc
	v_lshl_add_u64 v[14:15], s[16:17], 0, v[12:13]
	global_store_dword v[14:15], v1, off
	v_add_f32_e32 v1, v6, v11
	v_lshl_add_u64 v[12:13], s[18:19], 0, v[12:13]
	v_cndmask_b32_e64 v6, v6, v1, s[4:5]
	global_store_dword v[12:13], v10, off
.LBB75_23:                              ;   in Loop: Header=BB75_15 Depth=1
	s_or_b64 exec, exec, s[26:27]
	v_ashrrev_i32_e32 v1, 31, v0
	v_lshrrev_b32_e32 v11, 30, v1
	s_waitcnt lgkmcnt(0)
	v_add_u32_e32 v12, v0, v11
	v_ashrrev_i32_e32 v11, 2, v12
	v_lshrrev_b32_e32 v12, 31, v12
	v_add_u32_e32 v12, v11, v12
	s_add_i32 s31, s31, 1
	v_and_b32_e32 v12, -2, v12
	s_cmp_lt_i32 s31, s12
	v_sub_u32_e32 v12, v11, v12
	s_cselect_b64 s[2:3], -1, 0
	v_cmp_eq_u32_e32 vcc, v3, v12
	s_and_b64 s[26:27], s[2:3], vcc
	s_and_saveexec_b64 s[2:3], s[26:27]
	s_cbranch_execz .LBB75_14
; %bb.24:                               ;   in Loop: Header=BB75_15 Depth=1
	v_lshrrev_b32_e32 v1, 29, v1
	v_add_u32_e32 v1, v0, v1
	v_lshlrev_b32_e32 v11, 2, v11
	v_lshrrev_b32_e32 v1, 1, v1
	v_sub_u32_e32 v0, v0, v11
	v_and_b32_e32 v1, 0x7ffffffc, v1
	v_add_u32_e32 v0, v1, v0
	v_lshl_add_u32 v0, v0, 2, v4
	ds_write_b32 v0, v9
	s_branch .LBB75_14
.LBB75_25:
	v_mov_b32_e32 v6, 0
.LBB75_26:
	v_cmp_eq_u32_e32 vcc, 0, v3
	s_and_b64 exec, exec, vcc
	s_cbranch_execz .LBB75_39
; %bb.27:
	s_andn2_b64 vcc, exec, s[4:5]
	v_cvt_f32_f64_e32 v0, s[8:9]
	s_cbranch_vccnz .LBB75_29
; %bb.28:
	v_cmp_lt_f32_e32 vcc, 0, v6
	s_nop 1
	v_cndmask_b32_e32 v1, 1.0, v6, vcc
	v_div_scale_f32 v3, s[0:1], v1, v1, v0
	v_rcp_f32_e32 v4, v3
	s_nop 0
	v_fma_f32 v5, -v3, v4, 1.0
	v_fmac_f32_e32 v4, v5, v4
	v_div_scale_f32 v5, vcc, v0, v1, v0
	v_mul_f32_e32 v6, v5, v4
	v_fma_f32 v7, -v3, v6, v5
	v_fmac_f32_e32 v6, v7, v4
	v_fma_f32 v3, -v3, v6, v5
	v_div_fmas_f32 v3, v3, v4, v6
	v_div_fixup_f32 v0, v3, v1, v0
.LBB75_29:
	s_andn2_b64 vcc, exec, s[24:25]
	s_cbranch_vccnz .LBB75_39
; %bb.30:
	v_mul_lo_u32 v2, v2, s12
	s_cmp_gt_u32 s12, 3
	v_ashrrev_i32_e32 v3, 31, v2
	s_cbranch_scc0 .LBB75_34
; %bb.31:
	s_and_b32 s0, s12, 0x7ffffffc
	v_lshl_add_u64 v[4:5], v[2:3], 2, s[20:21]
	v_mov_b32_e32 v1, v0
	v_lshl_add_u64 v[4:5], v[4:5], 0, 8
	s_mov_b32 s1, s0
.LBB75_32:                              ; =>This Inner Loop Header: Depth=1
	global_load_dwordx4 v[6:9], v[4:5], off offset:-8
	s_add_i32 s1, s1, -4
	s_cmp_lg_u32 s1, 0
	s_waitcnt vmcnt(0)
	v_pk_mul_f32 v[6:7], v[0:1], v[6:7]
	v_pk_mul_f32 v[8:9], v[0:1], v[8:9]
	global_store_dwordx4 v[4:5], v[6:9], off offset:-8
	v_lshl_add_u64 v[4:5], v[4:5], 0, 16
	s_cbranch_scc1 .LBB75_32
; %bb.33:
	s_cmp_lg_u32 s0, s12
	s_cselect_b64 s[2:3], -1, 0
	s_branch .LBB75_36
.LBB75_34:
	s_mov_b64 s[2:3], 0
                                        ; implicit-def: $sgpr0
	s_cbranch_execz .LBB75_36
; %bb.35:
	s_mov_b64 s[2:3], -1
	s_mov_b32 s0, 0
.LBB75_36:
	s_andn2_b64 vcc, exec, s[2:3]
	s_cbranch_vccnz .LBB75_39
; %bb.37:
	s_mov_b32 s1, 0
	v_lshl_add_u64 v[2:3], v[2:3], 0, s[0:1]
	s_sub_i32 s2, s12, s0
	v_lshl_add_u64 v[2:3], v[2:3], 2, s[20:21]
.LBB75_38:                              ; =>This Inner Loop Header: Depth=1
	global_load_dword v1, v[2:3], off
	s_add_i32 s2, s2, -1
	s_cmp_lg_u32 s2, 0
	s_waitcnt vmcnt(0)
	v_mul_f32_e32 v1, v0, v1
	global_store_dword v[2:3], v1, off
	v_lshl_add_u64 v[2:3], v[2:3], 0, 4
	s_cbranch_scc1 .LBB75_38
.LBB75_39:
	s_endpgm
	.section	.rodata,"a",@progbits
	.p2align	6, 0x0
	.amdhsa_kernel _ZN4vllm3moe22topkGatingSoftplusSqrtILi4ELi8ELi4ELi16ELi32ELb0EjfEEvPKT6_PKbPfiPT5_PiiiibdPKfPKS8_SE_
		.amdhsa_group_segment_fixed_size 2048
		.amdhsa_private_segment_fixed_size 0
		.amdhsa_kernarg_size 96
		.amdhsa_user_sgpr_count 4
		.amdhsa_user_sgpr_dispatch_ptr 1
		.amdhsa_user_sgpr_queue_ptr 0
		.amdhsa_user_sgpr_kernarg_segment_ptr 1
		.amdhsa_user_sgpr_dispatch_id 0
		.amdhsa_user_sgpr_kernarg_preload_length 0
		.amdhsa_user_sgpr_kernarg_preload_offset 0
		.amdhsa_user_sgpr_private_segment_size 0
		.amdhsa_uses_dynamic_stack 0
		.amdhsa_enable_private_segment 0
		.amdhsa_system_sgpr_workgroup_id_x 1
		.amdhsa_system_sgpr_workgroup_id_y 0
		.amdhsa_system_sgpr_workgroup_id_z 0
		.amdhsa_system_sgpr_workgroup_info 0
		.amdhsa_system_vgpr_workitem_id 2
		.amdhsa_next_free_vgpr 16
		.amdhsa_next_free_sgpr 32
		.amdhsa_accum_offset 16
		.amdhsa_reserve_vcc 1
		.amdhsa_float_round_mode_32 0
		.amdhsa_float_round_mode_16_64 0
		.amdhsa_float_denorm_mode_32 3
		.amdhsa_float_denorm_mode_16_64 3
		.amdhsa_dx10_clamp 1
		.amdhsa_ieee_mode 1
		.amdhsa_fp16_overflow 0
		.amdhsa_tg_split 0
		.amdhsa_exception_fp_ieee_invalid_op 0
		.amdhsa_exception_fp_denorm_src 0
		.amdhsa_exception_fp_ieee_div_zero 0
		.amdhsa_exception_fp_ieee_overflow 0
		.amdhsa_exception_fp_ieee_underflow 0
		.amdhsa_exception_fp_ieee_inexact 0
		.amdhsa_exception_int_div_zero 0
	.end_amdhsa_kernel
	.section	.text._ZN4vllm3moe22topkGatingSoftplusSqrtILi4ELi8ELi4ELi16ELi32ELb0EjfEEvPKT6_PKbPfiPT5_PiiiibdPKfPKS8_SE_,"axG",@progbits,_ZN4vllm3moe22topkGatingSoftplusSqrtILi4ELi8ELi4ELi16ELi32ELb0EjfEEvPKT6_PKbPfiPT5_PiiiibdPKfPKS8_SE_,comdat
.Lfunc_end75:
	.size	_ZN4vllm3moe22topkGatingSoftplusSqrtILi4ELi8ELi4ELi16ELi32ELb0EjfEEvPKT6_PKbPfiPT5_PiiiibdPKfPKS8_SE_, .Lfunc_end75-_ZN4vllm3moe22topkGatingSoftplusSqrtILi4ELi8ELi4ELi16ELi32ELb0EjfEEvPKT6_PKbPfiPT5_PiiiibdPKfPKS8_SE_
                                        ; -- End function
	.section	.AMDGPU.csdata,"",@progbits
; Kernel info:
; codeLenInByte = 2496
; NumSgprs: 38
; NumVgprs: 16
; NumAgprs: 0
; TotalNumVgprs: 16
; ScratchSize: 0
; MemoryBound: 0
; FloatMode: 240
; IeeeMode: 1
; LDSByteSize: 2048 bytes/workgroup (compile time only)
; SGPRBlocks: 4
; VGPRBlocks: 1
; NumSGPRsForWavesPerEU: 38
; NumVGPRsForWavesPerEU: 16
; AccumOffset: 16
; Occupancy: 8
; WaveLimiterHint : 0
; COMPUTE_PGM_RSRC2:SCRATCH_EN: 0
; COMPUTE_PGM_RSRC2:USER_SGPR: 4
; COMPUTE_PGM_RSRC2:TRAP_HANDLER: 0
; COMPUTE_PGM_RSRC2:TGID_X_EN: 1
; COMPUTE_PGM_RSRC2:TGID_Y_EN: 0
; COMPUTE_PGM_RSRC2:TGID_Z_EN: 0
; COMPUTE_PGM_RSRC2:TIDIG_COMP_CNT: 2
; COMPUTE_PGM_RSRC3_GFX90A:ACCUM_OFFSET: 3
; COMPUTE_PGM_RSRC3_GFX90A:TG_SPLIT: 0
	.section	.text._ZN4vllm3moe22topkGatingSoftplusSqrtILi4ELi16ELi4ELi16ELi64ELb1EjfEEvPKT6_PKbPfiPT5_PiiiibdPKfPKS8_SE_,"axG",@progbits,_ZN4vllm3moe22topkGatingSoftplusSqrtILi4ELi16ELi4ELi16ELi64ELb1EjfEEvPKT6_PKbPfiPT5_PiiiibdPKfPKS8_SE_,comdat
	.protected	_ZN4vllm3moe22topkGatingSoftplusSqrtILi4ELi16ELi4ELi16ELi64ELb1EjfEEvPKT6_PKbPfiPT5_PiiiibdPKfPKS8_SE_ ; -- Begin function _ZN4vllm3moe22topkGatingSoftplusSqrtILi4ELi16ELi4ELi16ELi64ELb1EjfEEvPKT6_PKbPfiPT5_PiiiibdPKfPKS8_SE_
	.globl	_ZN4vllm3moe22topkGatingSoftplusSqrtILi4ELi16ELi4ELi16ELi64ELb1EjfEEvPKT6_PKbPfiPT5_PiiiibdPKfPKS8_SE_
	.p2align	8
	.type	_ZN4vllm3moe22topkGatingSoftplusSqrtILi4ELi16ELi4ELi16ELi64ELb1EjfEEvPKT6_PKbPfiPT5_PiiiibdPKfPKS8_SE_,@function
_ZN4vllm3moe22topkGatingSoftplusSqrtILi4ELi16ELi4ELi16ELi64ELb1EjfEEvPKT6_PKbPfiPT5_PiiiibdPKfPKS8_SE_: ; @_ZN4vllm3moe22topkGatingSoftplusSqrtILi4ELi16ELi4ELi16ELi64ELb1EjfEEvPKT6_PKbPfiPT5_PiiiibdPKfPKS8_SE_
; %bb.0:
	s_load_dword s3, s[0:1], 0x18
	v_bfe_u32 v1, v0, 10, 10
	v_and_b32_e32 v6, 0x3ff, v0
	s_lshl_b32 s2, s2, 6
	v_lshlrev_b32_e32 v1, 4, v1
	v_lshrrev_b32_e32 v0, 2, v6
	v_add3_u32 v2, s2, v1, v0
	s_waitcnt lgkmcnt(0)
	v_cmp_gt_i32_e32 vcc, s3, v2
	s_and_saveexec_b64 s[2:3], vcc
	s_cbranch_execz .LBB76_80
; %bb.1:
	s_load_dwordx2 s[2:3], s[0:1], 0x0
	s_load_dword s20, s[0:1], 0x30
	v_lshlrev_b32_e32 v0, 4, v2
	v_lshlrev_b32_e32 v3, 2, v6
	v_ashrrev_i32_e32 v1, 31, v0
	v_and_b32_e32 v10, 12, v3
	s_waitcnt lgkmcnt(0)
	v_lshl_add_u64 v[4:5], v[0:1], 2, s[2:3]
	v_lshlrev_b32_e32 v0, 2, v10
	v_mov_b32_e32 v1, 0
	v_lshl_add_u64 v[4:5], v[4:5], 0, v[0:1]
	global_load_dwordx4 v[12:15], v[4:5], off
	s_load_dwordx4 s[8:11], s[0:1], 0x50
	v_ashrrev_i32_e32 v3, 31, v2
	s_mov_b32 s6, 0x800000
	s_mov_b32 s12, 0x3f317217
	;; [unrolled: 1-line block ×3, first 2 shown]
	s_waitcnt lgkmcnt(0)
	v_mov_b32_e32 v4, s8
	v_mov_b32_e32 v5, s9
	v_lshl_add_u64 v[4:5], v[2:3], 2, v[4:5]
	global_load_dword v0, v[4:5], off
	v_mov_b32_e32 v3, 0x4f800000
	v_mov_b32_e32 v7, 0x41b17218
	s_mov_b32 s9, 0x41a00000
	s_mov_b32 s14, 0xf800000
	v_mov_b32_e32 v11, 0x260
	s_cmp_gt_i32 s20, 0
	s_mov_b32 s8, 0
	v_mul_lo_u32 v2, v2, s20
	s_waitcnt vmcnt(1)
	v_mul_f32_e32 v4, 0x3fb8aa3b, v12
	v_mul_f32_e32 v5, 0x3fb8aa3b, v13
	v_exp_f32_e32 v4, v4
	v_exp_f32_e32 v5, v5
	v_mul_f32_e32 v8, 0x3fb8aa3b, v14
	v_mul_f32_e32 v9, 0x3fb8aa3b, v15
	v_exp_f32_e32 v8, v8
	v_exp_f32_e32 v9, v9
	v_pk_add_f32 v[4:5], v[4:5], 1.0 op_sel_hi:[1,0]
	s_waitcnt vmcnt(0)
	v_mul_lo_u32 v0, v0, s20
	v_cmp_gt_f32_e32 vcc, s6, v5
	v_pk_add_f32 v[8:9], v[8:9], 1.0 op_sel_hi:[1,0]
	v_cmp_gt_f32_e64 s[2:3], s6, v4
	v_cndmask_b32_e32 v16, 1.0, v3, vcc
	v_cmp_gt_f32_e64 s[4:5], s6, v9
	v_cndmask_b32_e64 v17, 1.0, v3, s[2:3]
	v_mul_f32_e32 v5, v5, v16
	v_cndmask_b32_e64 v18, 1.0, v3, s[4:5]
	v_cmp_gt_f32_e64 s[6:7], s6, v8
	v_mul_f32_e32 v4, v4, v17
	v_log_f32_e32 v5, v5
	v_cndmask_b32_e64 v3, 1.0, v3, s[6:7]
	v_mul_f32_e32 v9, v9, v18
	v_log_f32_e32 v4, v4
	v_mul_f32_e32 v3, v8, v3
	v_log_f32_e32 v8, v9
	v_log_f32_e32 v3, v3
	v_mul_f32_e32 v9, 0x3f317217, v5
	v_mul_f32_e32 v19, 0x3f317217, v4
	v_fma_f32 v9, v5, s12, -v9
	v_mul_f32_e32 v20, 0x3f317217, v8
	v_fma_f32 v19, v4, s12, -v19
	v_fmac_f32_e32 v9, 0x3377d1cf, v5
	v_cndmask_b32_e32 v16, 0, v7, vcc
	v_mul_f32_e32 v21, 0x3f317217, v3
	v_fma_f32 v20, v8, s12, -v20
	v_fmac_f32_e32 v19, 0x3377d1cf, v4
	v_fmac_f32_e32 v9, 0x3f317217, v5
	v_cmp_lt_f32_e64 vcc, |v5|, s13
	v_fma_f32 v21, v3, s12, -v21
	v_fmac_f32_e32 v20, 0x3377d1cf, v8
	v_fmac_f32_e32 v19, 0x3f317217, v4
	v_cndmask_b32_e32 v5, v5, v9, vcc
	v_cmp_lt_f32_e64 vcc, |v4|, s13
	v_fmac_f32_e32 v21, 0x3377d1cf, v3
	v_fmac_f32_e32 v20, 0x3f317217, v8
	v_cndmask_b32_e32 v4, v4, v19, vcc
	v_cmp_lt_f32_e64 vcc, |v8|, s13
	v_cndmask_b32_e64 v17, 0, v7, s[2:3]
	v_fmac_f32_e32 v21, 0x3f317217, v3
	v_cndmask_b32_e32 v8, v8, v20, vcc
	v_cmp_lt_f32_e64 vcc, |v3|, s13
	v_sub_f32_e32 v4, v4, v17
	v_sub_f32_e32 v5, v5, v16
	v_cndmask_b32_e32 v3, v3, v21, vcc
	v_cmp_lt_f32_e32 vcc, s9, v12
	v_cndmask_b32_e64 v18, 0, v7, s[4:5]
	v_sub_f32_e32 v8, v8, v18
	v_cndmask_b32_e32 v4, v4, v12, vcc
	v_cmp_lt_f32_e32 vcc, s9, v13
	v_mul_f32_e32 v12, 0x4f800000, v4
	v_cmp_gt_f32_e64 s[2:3], s14, v4
	v_cndmask_b32_e32 v5, v5, v13, vcc
	v_mul_f32_e32 v9, 0x4f800000, v5
	v_cmp_gt_f32_e32 vcc, s14, v5
	v_cndmask_b32_e64 v4, v4, v12, s[2:3]
	v_sqrt_f32_e32 v12, v4
	v_cndmask_b32_e32 v5, v5, v9, vcc
	v_sqrt_f32_e32 v9, v5
	v_add_u32_e32 v17, -1, v12
	v_fma_f32 v21, -v17, v12, v4
	v_add_u32_e32 v13, -1, v9
	v_fma_f32 v19, -v13, v9, v5
	v_add_u32_e32 v16, 1, v9
	v_cmp_ge_f32_e64 s[4:5], 0, v19
	v_add_u32_e32 v18, 1, v12
	v_fma_f32 v20, -v16, v9, v5
	v_cndmask_b32_e64 v9, v9, v13, s[4:5]
	v_cmp_ge_f32_e64 s[4:5], 0, v21
	v_fma_f32 v22, -v18, v12, v4
	s_nop 0
	v_cndmask_b32_e64 v12, v12, v17, s[4:5]
	v_cmp_lt_f32_e64 s[4:5], 0, v20
	s_nop 1
	v_cndmask_b32_e64 v9, v9, v16, s[4:5]
	v_cmp_lt_f32_e64 s[4:5], 0, v22
	v_mul_f32_e32 v13, 0x37800000, v9
	v_cndmask_b32_e32 v9, v9, v13, vcc
	v_cndmask_b32_e64 v12, v12, v18, s[4:5]
	v_mul_f32_e32 v16, 0x37800000, v12
	v_cmp_class_f32_e32 vcc, v5, v11
	v_cndmask_b32_e64 v12, v12, v16, s[2:3]
	v_cmp_lt_f32_e64 s[2:3], s9, v14
	v_cndmask_b32_e32 v13, v9, v5, vcc
	v_cmp_class_f32_e32 vcc, v4, v11
	s_cselect_b64 s[4:5], -1, 0
	s_cmp_lt_i32 s20, 1
	v_cndmask_b32_e32 v12, v12, v4, vcc
	v_cmp_lt_f32_e32 vcc, s9, v15
	v_cndmask_b32_e64 v4, 0, v7, s[6:7]
	v_sub_f32_e32 v3, v3, v4
	v_cndmask_b32_e32 v5, v8, v15, vcc
	v_mul_f32_e32 v7, 0x4f800000, v5
	v_cmp_gt_f32_e32 vcc, s14, v5
	v_cndmask_b32_e64 v3, v3, v14, s[2:3]
	s_nop 0
	v_cndmask_b32_e32 v5, v5, v7, vcc
	v_sqrt_f32_e32 v7, v5
	s_nop 0
	v_add_u32_e32 v4, -1, v7
	v_fma_f32 v8, -v4, v7, v5
	v_cmp_ge_f32_e64 s[2:3], 0, v8
	v_add_u32_e32 v8, 1, v7
	s_nop 0
	v_cndmask_b32_e64 v4, v7, v4, s[2:3]
	v_fma_f32 v7, -v8, v7, v5
	v_cmp_lt_f32_e64 s[2:3], 0, v7
	s_nop 1
	v_cndmask_b32_e64 v4, v4, v8, s[2:3]
	v_mul_f32_e32 v8, 0x4f800000, v3
	v_cmp_gt_f32_e64 s[2:3], s14, v3
	v_mul_f32_e32 v7, 0x37800000, v4
	v_cndmask_b32_e32 v4, v4, v7, vcc
	v_cndmask_b32_e64 v3, v3, v8, s[2:3]
	v_sqrt_f32_e32 v8, v3
	v_cmp_class_f32_e32 vcc, v5, v11
	s_nop 1
	v_cndmask_b32_e32 v15, v4, v5, vcc
	v_add_u32_e32 v4, -1, v8
	v_fma_f32 v5, -v4, v8, v3
	v_cmp_ge_f32_e32 vcc, 0, v5
	v_add_u32_e32 v5, 1, v8
	v_fma_f32 v7, -v5, v8, v3
	v_cndmask_b32_e32 v4, v8, v4, vcc
	v_cmp_lt_f32_e32 vcc, 0, v7
	s_nop 1
	v_cndmask_b32_e32 v4, v4, v5, vcc
	v_mul_f32_e32 v5, 0x37800000, v4
	v_cndmask_b32_e64 v4, v4, v5, s[2:3]
	v_cmp_class_f32_e32 vcc, v3, v11
	s_nop 1
	v_cndmask_b32_e32 v14, v4, v3, vcc
	scratch_store_dwordx4 off, v[12:15], off
	v_lshl_add_u64 v[4:5], v[0:1], 2, s[10:11]
	s_nop 0
	v_mov_b32_e32 v12, v1
	s_cbranch_scc1 .LBB76_29
; %bb.2:
	s_load_dwordx2 s[6:7], s[0:1], 0x20
	s_cmp_lt_u32 s20, 4
	v_and_b32_e32 v11, 3, v6
	s_cbranch_scc1 .LBB76_21
; %bb.3:
	v_lshlrev_b32_e32 v6, 2, v11
	s_mov_b32 s13, 0
	s_and_b32 s8, s20, 0x7ffffffc
	v_ashrrev_i32_e32 v3, 31, v2
	v_sub_u32_e32 v13, 0, v6
	v_mov_b32_e32 v12, 0
	s_mov_b32 s12, s13
	s_branch .LBB76_5
.LBB76_4:                               ;   in Loop: Header=BB76_5 Depth=1
	s_or_b64 exec, exec, s[14:15]
	s_add_i32 s12, s12, 4
	s_cmp_eq_u32 s12, s8
	s_cbranch_scc1 .LBB76_22
.LBB76_5:                               ; =>This Loop Header: Depth=1
                                        ;     Child Loop BB76_7 Depth 2
                                        ;     Child Loop BB76_11 Depth 2
	;; [unrolled: 1-line block ×4, first 2 shown]
	v_lshl_add_u64 v[6:7], s[12:13], 2, v[4:5]
	global_load_dword v14, v[6:7], off
	v_add_u32_e32 v8, s12, v2
	v_ashrrev_i32_e32 v9, 31, v8
	v_mov_b32_e32 v15, 0
	s_mov_b64 s[14:15], 0
	s_waitcnt lgkmcnt(0)
	v_lshl_add_u64 v[8:9], v[8:9], 2, s[6:7]
	s_mov_b32 s9, 0
	s_waitcnt vmcnt(0)
	v_add_u32_e32 v16, v13, v14
	s_branch .LBB76_7
.LBB76_6:                               ;   in Loop: Header=BB76_7 Depth=2
	s_or_b64 exec, exec, s[16:17]
	s_add_i32 s18, s9, 1
	s_cmp_gt_u32 s9, 2
	s_cselect_b64 s[2:3], -1, 0
	s_xor_b64 s[16:17], vcc, -1
	s_or_b64 s[2:3], s[16:17], s[2:3]
	s_and_b64 s[2:3], exec, s[2:3]
	v_add_u32_e32 v15, 4, v15
	s_or_b64 s[14:15], s[2:3], s[14:15]
	s_mov_b32 s9, s18
	s_andn2_b64 exec, exec, s[14:15]
	s_cbranch_execz .LBB76_9
.LBB76_7:                               ;   Parent Loop BB76_5 Depth=1
                                        ; =>  This Inner Loop Header: Depth=2
	v_cmp_ne_u32_e32 vcc, s9, v16
	v_cmp_eq_u32_e64 s[2:3], s9, v16
	s_and_saveexec_b64 s[16:17], s[2:3]
	s_cbranch_execz .LBB76_6
; %bb.8:                                ;   in Loop: Header=BB76_7 Depth=2
	scratch_load_dword v17, v15, off
	s_waitcnt vmcnt(0)
	v_add_f32_e32 v12, v12, v17
	global_store_dword v[8:9], v14, off
	s_branch .LBB76_6
.LBB76_9:                               ;   in Loop: Header=BB76_5 Depth=1
	s_or_b64 exec, exec, s[14:15]
	global_load_dword v14, v[6:7], off offset:4
	s_ashr_i32 s3, s12, 31
	s_mov_b32 s2, s12
	v_lshl_add_u64 v[8:9], s[2:3], 0, v[2:3]
	v_mov_b32_e32 v15, 0
	s_mov_b32 s9, 0
	v_lshl_add_u64 v[8:9], v[8:9], 2, s[6:7]
	s_mov_b64 s[14:15], 0
	s_waitcnt vmcnt(0)
	v_add_u32_e32 v16, v13, v14
	s_branch .LBB76_11
.LBB76_10:                              ;   in Loop: Header=BB76_11 Depth=2
	s_or_b64 exec, exec, s[16:17]
	s_add_i32 s18, s9, 1
	s_cmp_gt_u32 s9, 2
	s_cselect_b64 s[2:3], -1, 0
	s_xor_b64 s[16:17], vcc, -1
	s_or_b64 s[2:3], s[16:17], s[2:3]
	s_and_b64 s[2:3], exec, s[2:3]
	v_add_u32_e32 v15, 4, v15
	s_or_b64 s[14:15], s[2:3], s[14:15]
	s_mov_b32 s9, s18
	s_andn2_b64 exec, exec, s[14:15]
	s_cbranch_execz .LBB76_13
.LBB76_11:                              ;   Parent Loop BB76_5 Depth=1
                                        ; =>  This Inner Loop Header: Depth=2
	v_cmp_ne_u32_e32 vcc, s9, v16
	v_cmp_eq_u32_e64 s[2:3], s9, v16
	s_and_saveexec_b64 s[16:17], s[2:3]
	s_cbranch_execz .LBB76_10
; %bb.12:                               ;   in Loop: Header=BB76_11 Depth=2
	scratch_load_dword v17, v15, off
	s_waitcnt vmcnt(0)
	v_add_f32_e32 v12, v12, v17
	global_store_dword v[8:9], v14, off offset:4
	s_branch .LBB76_10
.LBB76_13:                              ;   in Loop: Header=BB76_5 Depth=1
	s_or_b64 exec, exec, s[14:15]
	global_load_dword v14, v[6:7], off offset:8
	v_mov_b32_e32 v15, 0
	s_mov_b32 s9, 0
	s_mov_b64 s[14:15], 0
	s_waitcnt vmcnt(0)
	v_add_u32_e32 v16, v13, v14
	s_branch .LBB76_15
.LBB76_14:                              ;   in Loop: Header=BB76_15 Depth=2
	s_or_b64 exec, exec, s[16:17]
	s_add_i32 s18, s9, 1
	s_cmp_gt_u32 s9, 2
	s_cselect_b64 s[2:3], -1, 0
	s_xor_b64 s[16:17], vcc, -1
	s_or_b64 s[2:3], s[16:17], s[2:3]
	s_and_b64 s[2:3], exec, s[2:3]
	v_add_u32_e32 v15, 4, v15
	s_or_b64 s[14:15], s[2:3], s[14:15]
	s_mov_b32 s9, s18
	s_andn2_b64 exec, exec, s[14:15]
	s_cbranch_execz .LBB76_17
.LBB76_15:                              ;   Parent Loop BB76_5 Depth=1
                                        ; =>  This Inner Loop Header: Depth=2
	v_cmp_ne_u32_e32 vcc, s9, v16
	v_cmp_eq_u32_e64 s[2:3], s9, v16
	s_and_saveexec_b64 s[16:17], s[2:3]
	s_cbranch_execz .LBB76_14
; %bb.16:                               ;   in Loop: Header=BB76_15 Depth=2
	scratch_load_dword v17, v15, off
	s_waitcnt vmcnt(0)
	v_add_f32_e32 v12, v12, v17
	global_store_dword v[8:9], v14, off offset:8
	s_branch .LBB76_14
.LBB76_17:                              ;   in Loop: Header=BB76_5 Depth=1
	s_or_b64 exec, exec, s[14:15]
	global_load_dword v6, v[6:7], off offset:12
	v_mov_b32_e32 v7, 0
	s_mov_b32 s9, 0
	s_mov_b64 s[14:15], 0
	s_waitcnt vmcnt(0)
	v_add_u32_e32 v14, v13, v6
	s_branch .LBB76_19
.LBB76_18:                              ;   in Loop: Header=BB76_19 Depth=2
	s_or_b64 exec, exec, s[16:17]
	s_add_i32 s18, s9, 1
	s_cmp_gt_u32 s9, 2
	s_cselect_b64 s[2:3], -1, 0
	s_xor_b64 s[16:17], vcc, -1
	s_or_b64 s[2:3], s[16:17], s[2:3]
	s_and_b64 s[2:3], exec, s[2:3]
	v_add_u32_e32 v7, 4, v7
	s_or_b64 s[14:15], s[2:3], s[14:15]
	s_mov_b32 s9, s18
	s_andn2_b64 exec, exec, s[14:15]
	s_cbranch_execz .LBB76_4
.LBB76_19:                              ;   Parent Loop BB76_5 Depth=1
                                        ; =>  This Inner Loop Header: Depth=2
	v_cmp_ne_u32_e32 vcc, s9, v14
	v_cmp_eq_u32_e64 s[2:3], s9, v14
	s_and_saveexec_b64 s[16:17], s[2:3]
	s_cbranch_execz .LBB76_18
; %bb.20:                               ;   in Loop: Header=BB76_19 Depth=2
	scratch_load_dword v15, v7, off
	s_waitcnt vmcnt(0)
	v_add_f32_e32 v12, v12, v15
	global_store_dword v[8:9], v6, off offset:12
	s_branch .LBB76_18
.LBB76_21:
	v_mov_b32_e32 v12, 0
.LBB76_22:
	s_and_b32 s16, s20, 3
	s_cmp_eq_u32 s16, 0
	s_mov_b32 s9, 0
	s_cbranch_scc1 .LBB76_29
; %bb.23:
	v_lshlrev_b32_e32 v3, 2, v11
	v_sub_u32_e32 v3, 0, v3
	s_mov_b32 s17, s9
	s_branch .LBB76_25
.LBB76_24:                              ;   in Loop: Header=BB76_25 Depth=1
	s_or_b64 exec, exec, s[12:13]
	s_add_i32 s8, s8, 1
	s_add_i32 s17, s17, 1
	s_cmp_lg_u32 s17, s16
	s_cbranch_scc0 .LBB76_29
.LBB76_25:                              ; =>This Loop Header: Depth=1
                                        ;     Child Loop BB76_27 Depth 2
	v_lshl_add_u64 v[6:7], s[8:9], 2, v[4:5]
	global_load_dword v8, v[6:7], off
	v_add_u32_e32 v6, s8, v2
	v_ashrrev_i32_e32 v7, 31, v6
	v_mov_b32_e32 v9, 0
	s_mov_b32 s18, 0
	s_waitcnt lgkmcnt(0)
	v_lshl_add_u64 v[6:7], v[6:7], 2, s[6:7]
	s_mov_b64 s[12:13], 0
	s_waitcnt vmcnt(0)
	v_add_u32_e32 v11, v3, v8
	s_branch .LBB76_27
.LBB76_26:                              ;   in Loop: Header=BB76_27 Depth=2
	s_or_b64 exec, exec, s[14:15]
	s_add_i32 s19, s18, 1
	s_cmp_gt_u32 s18, 2
	s_cselect_b64 s[2:3], -1, 0
	s_xor_b64 s[14:15], vcc, -1
	s_or_b64 s[2:3], s[14:15], s[2:3]
	s_and_b64 s[2:3], exec, s[2:3]
	v_add_u32_e32 v9, 4, v9
	s_or_b64 s[12:13], s[2:3], s[12:13]
	s_mov_b32 s18, s19
	s_andn2_b64 exec, exec, s[12:13]
	s_cbranch_execz .LBB76_24
.LBB76_27:                              ;   Parent Loop BB76_25 Depth=1
                                        ; =>  This Inner Loop Header: Depth=2
	v_cmp_ne_u32_e32 vcc, s18, v11
	v_cmp_eq_u32_e64 s[2:3], s18, v11
	s_and_saveexec_b64 s[14:15], s[2:3]
	s_cbranch_execz .LBB76_26
; %bb.28:                               ;   in Loop: Header=BB76_27 Depth=2
	scratch_load_dword v13, v9, off
	s_waitcnt vmcnt(0)
	v_add_f32_e32 v12, v12, v13
	global_store_dword v[6:7], v8, off
	s_branch .LBB76_26
.LBB76_29:
	s_waitcnt lgkmcnt(0)
	s_load_dword s6, s[0:1], 0x3c
	s_waitcnt lgkmcnt(0)
	s_bitcmp1_b32 s6, 0
	s_cselect_b64 s[2:3], -1, 0
	s_bitcmp0_b32 s6, 0
	s_cbranch_scc0 .LBB76_32
; %bb.30:
	s_load_dwordx2 s[6:7], s[0:1], 0x40
	s_andn2_b64 vcc, exec, s[2:3]
	s_waitcnt lgkmcnt(0)
	v_cvt_f32_f64_e32 v11, s[6:7]
	s_cbranch_vccz .LBB76_33
.LBB76_31:
	s_andn2_b64 vcc, exec, s[4:5]
	s_cbranch_vccz .LBB76_34
	s_branch .LBB76_80
.LBB76_32:
	v_mbcnt_lo_u32_b32 v3, -1, 0
	v_mbcnt_hi_u32_b32 v3, -1, v3
	v_and_b32_e32 v6, 0x7c, v3
	v_add_u32_e32 v6, 4, v6
	v_xor_b32_e32 v7, 2, v3
	v_cmp_lt_i32_e32 vcc, v7, v6
	v_xor_b32_e32 v8, 1, v3
	s_nop 0
	v_cndmask_b32_e32 v7, v3, v7, vcc
	v_lshlrev_b32_e32 v7, 2, v7
	ds_bpermute_b32 v7, v7, v12
	v_cmp_lt_i32_e32 vcc, v8, v6
	s_waitcnt lgkmcnt(0)
	v_add_f32_e32 v7, v12, v7
	v_cndmask_b32_e32 v3, v3, v8, vcc
	v_lshlrev_b32_e32 v3, 2, v3
	ds_bpermute_b32 v3, v3, v7
	s_waitcnt lgkmcnt(0)
	v_add_f32_e32 v12, v7, v3
	s_load_dwordx2 s[6:7], s[0:1], 0x40
	s_andn2_b64 vcc, exec, s[2:3]
	s_waitcnt lgkmcnt(0)
	v_cvt_f32_f64_e32 v11, s[6:7]
	s_cbranch_vccnz .LBB76_31
.LBB76_33:
	v_cmp_lt_f32_e32 vcc, 0, v12
	s_nop 1
	v_cndmask_b32_e32 v3, 1.0, v12, vcc
	v_div_scale_f32 v6, s[2:3], v3, v3, v11
	v_rcp_f32_e32 v7, v6
	s_nop 0
	v_fma_f32 v8, -v6, v7, 1.0
	v_fmac_f32_e32 v7, v8, v7
	v_div_scale_f32 v8, vcc, v11, v3, v11
	v_mul_f32_e32 v9, v8, v7
	v_fma_f32 v12, -v6, v9, v8
	v_fmac_f32_e32 v9, v12, v7
	v_fma_f32 v6, -v6, v9, v8
	v_div_fmas_f32 v6, v6, v7, v9
	v_div_fixup_f32 v11, v6, v3, v11
	s_andn2_b64 vcc, exec, s[4:5]
	s_cbranch_vccnz .LBB76_80
.LBB76_34:
	s_load_dwordx2 s[4:5], s[0:1], 0x10
	v_mov_b32_e32 v3, 0
	v_or_b32_e32 v12, 4, v3
	v_or_b32_e32 v13, 8, v3
	v_or_b32_e32 v14, 12, v3
	v_or_b32_e32 v15, 1, v10
	v_or_b32_e32 v16, 2, v10
	v_or_b32_e32 v17, 3, v10
	s_cmp_lt_u32 s20, 4
	s_mov_b32 s6, 0
	s_cbranch_scc1 .LBB76_69
; %bb.35:
	v_ashrrev_i32_e32 v3, 31, v2
	s_and_b32 s6, s20, 0x7ffffffc
	s_waitcnt lgkmcnt(0)
	v_lshl_add_u64 v[6:7], v[2:3], 2, s[4:5]
	s_mov_b32 s7, 0
	s_mov_b64 s[8:9], 0
	s_branch .LBB76_37
.LBB76_36:                              ;   in Loop: Header=BB76_37 Depth=1
	s_or_b64 exec, exec, s[2:3]
	s_add_i32 s7, s7, 4
	s_add_u32 s8, s8, 16
	s_addc_u32 s9, s9, 0
	s_cmp_eq_u32 s6, s7
	s_cbranch_scc1 .LBB76_69
.LBB76_37:                              ; =>This Inner Loop Header: Depth=1
	v_lshl_add_u64 v[8:9], v[4:5], 0, s[8:9]
	global_load_dword v18, v[8:9], off
	v_mov_b32_e32 v3, 0
	s_waitcnt vmcnt(0)
	v_cmp_eq_u32_e32 vcc, v18, v10
	v_cmp_ne_u32_e64 s[0:1], v18, v10
	s_and_saveexec_b64 s[12:13], s[0:1]
	s_cbranch_execz .LBB76_43
; %bb.38:                               ;   in Loop: Header=BB76_37 Depth=1
	v_cmp_eq_u32_e64 s[0:1], v18, v15
	v_cmp_ne_u32_e64 s[2:3], v18, v15
	v_mov_b32_e32 v3, v12
	s_and_saveexec_b64 s[14:15], s[2:3]
	s_cbranch_execz .LBB76_42
; %bb.39:                               ;   in Loop: Header=BB76_37 Depth=1
	v_cmp_eq_u32_e64 s[16:17], v18, v16
	v_cmp_ne_u32_e64 s[2:3], v18, v16
	v_mov_b32_e32 v3, v13
	s_and_saveexec_b64 s[18:19], s[2:3]
	s_xor_b64 s[18:19], exec, s[18:19]
; %bb.40:                               ;   in Loop: Header=BB76_37 Depth=1
	v_cmp_eq_u32_e64 s[2:3], v18, v17
	s_andn2_b64 s[16:17], s[16:17], exec
	s_and_b64 s[2:3], s[2:3], exec
	s_or_b64 s[16:17], s[16:17], s[2:3]
	v_mov_b32_e32 v3, v14
; %bb.41:                               ;   in Loop: Header=BB76_37 Depth=1
	s_or_b64 exec, exec, s[18:19]
	s_andn2_b64 s[0:1], s[0:1], exec
	s_and_b64 s[2:3], s[16:17], exec
	s_or_b64 s[0:1], s[0:1], s[2:3]
.LBB76_42:                              ;   in Loop: Header=BB76_37 Depth=1
	s_or_b64 exec, exec, s[14:15]
	s_andn2_b64 s[2:3], vcc, exec
	s_and_b64 s[0:1], s[0:1], exec
	s_or_b64 vcc, s[2:3], s[0:1]
.LBB76_43:                              ;   in Loop: Header=BB76_37 Depth=1
	s_or_b64 exec, exec, s[12:13]
	s_and_saveexec_b64 s[0:1], vcc
	s_cbranch_execz .LBB76_45
; %bb.44:                               ;   in Loop: Header=BB76_37 Depth=1
	scratch_load_dword v3, v3, off
	v_add_u32_e32 v18, s7, v2
	v_ashrrev_i32_e32 v19, 31, v18
	v_lshl_add_u64 v[18:19], v[18:19], 2, s[4:5]
	s_waitcnt vmcnt(0)
	v_mul_f32_e32 v3, v11, v3
	global_store_dword v[18:19], v3, off
.LBB76_45:                              ;   in Loop: Header=BB76_37 Depth=1
	s_or_b64 exec, exec, s[0:1]
	global_load_dword v18, v[8:9], off offset:4
	v_mov_b32_e32 v3, 0
	s_waitcnt vmcnt(0)
	v_cmp_eq_u32_e64 s[0:1], v18, v10
	v_cmp_ne_u32_e32 vcc, v18, v10
	s_and_saveexec_b64 s[2:3], vcc
	s_cbranch_execz .LBB76_51
; %bb.46:                               ;   in Loop: Header=BB76_37 Depth=1
	v_cmp_eq_u32_e64 s[12:13], v18, v15
	v_cmp_ne_u32_e32 vcc, v18, v15
	v_mov_b32_e32 v3, v12
	s_and_saveexec_b64 s[14:15], vcc
	s_cbranch_execz .LBB76_50
; %bb.47:                               ;   in Loop: Header=BB76_37 Depth=1
	v_cmp_eq_u32_e64 s[16:17], v18, v16
	v_cmp_ne_u32_e32 vcc, v18, v16
	v_mov_b32_e32 v3, v13
	s_and_saveexec_b64 s[18:19], vcc
; %bb.48:                               ;   in Loop: Header=BB76_37 Depth=1
	v_cmp_eq_u32_e32 vcc, v18, v17
	s_andn2_b64 s[16:17], s[16:17], exec
	s_and_b64 s[22:23], vcc, exec
	s_or_b64 s[16:17], s[16:17], s[22:23]
	v_mov_b32_e32 v3, v14
; %bb.49:                               ;   in Loop: Header=BB76_37 Depth=1
	s_or_b64 exec, exec, s[18:19]
	s_andn2_b64 s[12:13], s[12:13], exec
	s_and_b64 s[16:17], s[16:17], exec
	s_or_b64 s[12:13], s[12:13], s[16:17]
.LBB76_50:                              ;   in Loop: Header=BB76_37 Depth=1
	s_or_b64 exec, exec, s[14:15]
	s_andn2_b64 s[0:1], s[0:1], exec
	s_and_b64 s[12:13], s[12:13], exec
	s_or_b64 s[0:1], s[0:1], s[12:13]
.LBB76_51:                              ;   in Loop: Header=BB76_37 Depth=1
	s_or_b64 exec, exec, s[2:3]
	s_and_saveexec_b64 s[2:3], s[0:1]
	s_cbranch_execz .LBB76_53
; %bb.52:                               ;   in Loop: Header=BB76_37 Depth=1
	scratch_load_dword v3, v3, off
	v_lshl_add_u64 v[18:19], v[6:7], 0, s[8:9]
	s_waitcnt vmcnt(0)
	v_mul_f32_e32 v3, v11, v3
	global_store_dword v[18:19], v3, off offset:4
.LBB76_53:                              ;   in Loop: Header=BB76_37 Depth=1
	s_or_b64 exec, exec, s[2:3]
	global_load_dword v18, v[8:9], off offset:8
	v_mov_b32_e32 v3, 0
	s_waitcnt vmcnt(0)
	v_cmp_eq_u32_e64 s[0:1], v18, v10
	v_cmp_ne_u32_e32 vcc, v18, v10
	s_and_saveexec_b64 s[2:3], vcc
	s_cbranch_execz .LBB76_59
; %bb.54:                               ;   in Loop: Header=BB76_37 Depth=1
	v_cmp_eq_u32_e64 s[12:13], v18, v15
	v_cmp_ne_u32_e32 vcc, v18, v15
	v_mov_b32_e32 v3, v12
	s_and_saveexec_b64 s[14:15], vcc
	s_cbranch_execz .LBB76_58
; %bb.55:                               ;   in Loop: Header=BB76_37 Depth=1
	v_cmp_eq_u32_e64 s[16:17], v18, v16
	v_cmp_ne_u32_e32 vcc, v18, v16
	v_mov_b32_e32 v3, v13
	s_and_saveexec_b64 s[18:19], vcc
; %bb.56:                               ;   in Loop: Header=BB76_37 Depth=1
	v_cmp_eq_u32_e32 vcc, v18, v17
	s_andn2_b64 s[16:17], s[16:17], exec
	s_and_b64 s[22:23], vcc, exec
	s_or_b64 s[16:17], s[16:17], s[22:23]
	v_mov_b32_e32 v3, v14
; %bb.57:                               ;   in Loop: Header=BB76_37 Depth=1
	s_or_b64 exec, exec, s[18:19]
	s_andn2_b64 s[12:13], s[12:13], exec
	s_and_b64 s[16:17], s[16:17], exec
	s_or_b64 s[12:13], s[12:13], s[16:17]
.LBB76_58:                              ;   in Loop: Header=BB76_37 Depth=1
	s_or_b64 exec, exec, s[14:15]
	s_andn2_b64 s[0:1], s[0:1], exec
	s_and_b64 s[12:13], s[12:13], exec
	s_or_b64 s[0:1], s[0:1], s[12:13]
.LBB76_59:                              ;   in Loop: Header=BB76_37 Depth=1
	s_or_b64 exec, exec, s[2:3]
	s_and_saveexec_b64 s[2:3], s[0:1]
	s_cbranch_execz .LBB76_61
; %bb.60:                               ;   in Loop: Header=BB76_37 Depth=1
	scratch_load_dword v3, v3, off
	v_lshl_add_u64 v[18:19], v[6:7], 0, s[8:9]
	s_waitcnt vmcnt(0)
	v_mul_f32_e32 v3, v11, v3
	global_store_dword v[18:19], v3, off offset:8
.LBB76_61:                              ;   in Loop: Header=BB76_37 Depth=1
	s_or_b64 exec, exec, s[2:3]
	global_load_dword v8, v[8:9], off offset:12
	v_mov_b32_e32 v3, 0
	s_waitcnt vmcnt(0)
	v_cmp_eq_u32_e64 s[0:1], v8, v10
	v_cmp_ne_u32_e32 vcc, v8, v10
	s_and_saveexec_b64 s[2:3], vcc
	s_cbranch_execz .LBB76_67
; %bb.62:                               ;   in Loop: Header=BB76_37 Depth=1
	v_cmp_eq_u32_e64 s[12:13], v8, v15
	v_cmp_ne_u32_e32 vcc, v8, v15
	v_mov_b32_e32 v3, v12
	s_and_saveexec_b64 s[14:15], vcc
	s_cbranch_execz .LBB76_66
; %bb.63:                               ;   in Loop: Header=BB76_37 Depth=1
	v_cmp_eq_u32_e64 s[16:17], v8, v16
	v_cmp_ne_u32_e32 vcc, v8, v16
	v_mov_b32_e32 v3, v13
	s_and_saveexec_b64 s[18:19], vcc
; %bb.64:                               ;   in Loop: Header=BB76_37 Depth=1
	v_cmp_eq_u32_e32 vcc, v8, v17
	s_andn2_b64 s[16:17], s[16:17], exec
	s_and_b64 s[22:23], vcc, exec
	s_or_b64 s[16:17], s[16:17], s[22:23]
	v_mov_b32_e32 v3, v14
; %bb.65:                               ;   in Loop: Header=BB76_37 Depth=1
	s_or_b64 exec, exec, s[18:19]
	s_andn2_b64 s[12:13], s[12:13], exec
	s_and_b64 s[16:17], s[16:17], exec
	s_or_b64 s[12:13], s[12:13], s[16:17]
.LBB76_66:                              ;   in Loop: Header=BB76_37 Depth=1
	s_or_b64 exec, exec, s[14:15]
	s_andn2_b64 s[0:1], s[0:1], exec
	s_and_b64 s[12:13], s[12:13], exec
	s_or_b64 s[0:1], s[0:1], s[12:13]
.LBB76_67:                              ;   in Loop: Header=BB76_37 Depth=1
	s_or_b64 exec, exec, s[2:3]
	s_and_saveexec_b64 s[2:3], s[0:1]
	s_cbranch_execz .LBB76_36
; %bb.68:                               ;   in Loop: Header=BB76_37 Depth=1
	scratch_load_dword v3, v3, off
	v_lshl_add_u64 v[8:9], v[6:7], 0, s[8:9]
	s_waitcnt vmcnt(0)
	v_mul_f32_e32 v3, v11, v3
	global_store_dword v[8:9], v3, off offset:12
	s_branch .LBB76_36
.LBB76_69:
	s_and_b32 s14, s20, 3
	s_cmp_eq_u32 s14, 0
	s_mov_b32 s7, 0
	s_cbranch_scc1 .LBB76_80
; %bb.70:
	s_lshl_b64 s[0:1], s[6:7], 2
	s_add_u32 s0, s10, s0
	s_addc_u32 s1, s11, s1
	v_add_u32_e32 v2, s6, v2
	v_lshl_add_u64 v[0:1], v[0:1], 2, s[0:1]
	s_branch .LBB76_72
.LBB76_71:                              ;   in Loop: Header=BB76_72 Depth=1
	s_or_b64 exec, exec, s[2:3]
	s_add_i32 s14, s14, -1
	v_add_u32_e32 v2, 1, v2
	s_cmp_lg_u32 s14, 0
	v_lshl_add_u64 v[0:1], v[0:1], 0, 4
	s_cbranch_scc0 .LBB76_80
.LBB76_72:                              ; =>This Inner Loop Header: Depth=1
	global_load_dword v4, v[0:1], off
	v_mov_b32_e32 v3, 0
	s_waitcnt vmcnt(0)
	v_cmp_eq_u32_e64 s[0:1], v4, v10
	v_cmp_ne_u32_e32 vcc, v4, v10
	s_and_saveexec_b64 s[2:3], vcc
	s_cbranch_execz .LBB76_78
; %bb.73:                               ;   in Loop: Header=BB76_72 Depth=1
	v_cmp_eq_u32_e64 s[6:7], v4, v15
	v_cmp_ne_u32_e32 vcc, v4, v15
	v_mov_b32_e32 v3, v12
	s_and_saveexec_b64 s[8:9], vcc
	s_cbranch_execz .LBB76_77
; %bb.74:                               ;   in Loop: Header=BB76_72 Depth=1
	v_cmp_eq_u32_e64 s[10:11], v4, v16
	v_cmp_ne_u32_e32 vcc, v4, v16
	v_mov_b32_e32 v3, v13
	s_and_saveexec_b64 s[12:13], vcc
; %bb.75:                               ;   in Loop: Header=BB76_72 Depth=1
	v_cmp_eq_u32_e32 vcc, v4, v17
	s_andn2_b64 s[10:11], s[10:11], exec
	s_and_b64 s[16:17], vcc, exec
	s_or_b64 s[10:11], s[10:11], s[16:17]
	v_mov_b32_e32 v3, v14
; %bb.76:                               ;   in Loop: Header=BB76_72 Depth=1
	s_or_b64 exec, exec, s[12:13]
	s_andn2_b64 s[6:7], s[6:7], exec
	s_and_b64 s[10:11], s[10:11], exec
	s_or_b64 s[6:7], s[6:7], s[10:11]
.LBB76_77:                              ;   in Loop: Header=BB76_72 Depth=1
	s_or_b64 exec, exec, s[8:9]
	s_andn2_b64 s[0:1], s[0:1], exec
	s_and_b64 s[6:7], s[6:7], exec
	s_or_b64 s[0:1], s[0:1], s[6:7]
.LBB76_78:                              ;   in Loop: Header=BB76_72 Depth=1
	s_or_b64 exec, exec, s[2:3]
	s_and_saveexec_b64 s[2:3], s[0:1]
	s_cbranch_execz .LBB76_71
; %bb.79:                               ;   in Loop: Header=BB76_72 Depth=1
	scratch_load_dword v4, v3, off
	v_ashrrev_i32_e32 v3, 31, v2
	s_waitcnt vmcnt(0)
	v_mul_f32_e32 v6, v11, v4
	s_waitcnt lgkmcnt(0)
	v_lshl_add_u64 v[4:5], v[2:3], 2, s[4:5]
	global_store_dword v[4:5], v6, off
	s_branch .LBB76_71
.LBB76_80:
	s_endpgm
	.section	.rodata,"a",@progbits
	.p2align	6, 0x0
	.amdhsa_kernel _ZN4vllm3moe22topkGatingSoftplusSqrtILi4ELi16ELi4ELi16ELi64ELb1EjfEEvPKT6_PKbPfiPT5_PiiiibdPKfPKS8_SE_
		.amdhsa_group_segment_fixed_size 0
		.amdhsa_private_segment_fixed_size 32
		.amdhsa_kernarg_size 96
		.amdhsa_user_sgpr_count 2
		.amdhsa_user_sgpr_dispatch_ptr 0
		.amdhsa_user_sgpr_queue_ptr 0
		.amdhsa_user_sgpr_kernarg_segment_ptr 1
		.amdhsa_user_sgpr_dispatch_id 0
		.amdhsa_user_sgpr_kernarg_preload_length 0
		.amdhsa_user_sgpr_kernarg_preload_offset 0
		.amdhsa_user_sgpr_private_segment_size 0
		.amdhsa_uses_dynamic_stack 0
		.amdhsa_enable_private_segment 1
		.amdhsa_system_sgpr_workgroup_id_x 1
		.amdhsa_system_sgpr_workgroup_id_y 0
		.amdhsa_system_sgpr_workgroup_id_z 0
		.amdhsa_system_sgpr_workgroup_info 0
		.amdhsa_system_vgpr_workitem_id 1
		.amdhsa_next_free_vgpr 23
		.amdhsa_next_free_sgpr 24
		.amdhsa_accum_offset 24
		.amdhsa_reserve_vcc 1
		.amdhsa_float_round_mode_32 0
		.amdhsa_float_round_mode_16_64 0
		.amdhsa_float_denorm_mode_32 3
		.amdhsa_float_denorm_mode_16_64 3
		.amdhsa_dx10_clamp 1
		.amdhsa_ieee_mode 1
		.amdhsa_fp16_overflow 0
		.amdhsa_tg_split 0
		.amdhsa_exception_fp_ieee_invalid_op 0
		.amdhsa_exception_fp_denorm_src 0
		.amdhsa_exception_fp_ieee_div_zero 0
		.amdhsa_exception_fp_ieee_overflow 0
		.amdhsa_exception_fp_ieee_underflow 0
		.amdhsa_exception_fp_ieee_inexact 0
		.amdhsa_exception_int_div_zero 0
	.end_amdhsa_kernel
	.section	.text._ZN4vllm3moe22topkGatingSoftplusSqrtILi4ELi16ELi4ELi16ELi64ELb1EjfEEvPKT6_PKbPfiPT5_PiiiibdPKfPKS8_SE_,"axG",@progbits,_ZN4vllm3moe22topkGatingSoftplusSqrtILi4ELi16ELi4ELi16ELi64ELb1EjfEEvPKT6_PKbPfiPT5_PiiiibdPKfPKS8_SE_,comdat
.Lfunc_end76:
	.size	_ZN4vllm3moe22topkGatingSoftplusSqrtILi4ELi16ELi4ELi16ELi64ELb1EjfEEvPKT6_PKbPfiPT5_PiiiibdPKfPKS8_SE_, .Lfunc_end76-_ZN4vllm3moe22topkGatingSoftplusSqrtILi4ELi16ELi4ELi16ELi64ELb1EjfEEvPKT6_PKbPfiPT5_PiiiibdPKfPKS8_SE_
                                        ; -- End function
	.section	.AMDGPU.csdata,"",@progbits
; Kernel info:
; codeLenInByte = 3408
; NumSgprs: 30
; NumVgprs: 23
; NumAgprs: 0
; TotalNumVgprs: 23
; ScratchSize: 32
; MemoryBound: 0
; FloatMode: 240
; IeeeMode: 1
; LDSByteSize: 0 bytes/workgroup (compile time only)
; SGPRBlocks: 3
; VGPRBlocks: 2
; NumSGPRsForWavesPerEU: 30
; NumVGPRsForWavesPerEU: 23
; AccumOffset: 24
; Occupancy: 8
; WaveLimiterHint : 1
; COMPUTE_PGM_RSRC2:SCRATCH_EN: 1
; COMPUTE_PGM_RSRC2:USER_SGPR: 2
; COMPUTE_PGM_RSRC2:TRAP_HANDLER: 0
; COMPUTE_PGM_RSRC2:TGID_X_EN: 1
; COMPUTE_PGM_RSRC2:TGID_Y_EN: 0
; COMPUTE_PGM_RSRC2:TGID_Z_EN: 0
; COMPUTE_PGM_RSRC2:TIDIG_COMP_CNT: 1
; COMPUTE_PGM_RSRC3_GFX90A:ACCUM_OFFSET: 5
; COMPUTE_PGM_RSRC3_GFX90A:TG_SPLIT: 0
	.section	.text._ZN4vllm3moe22topkGatingSoftplusSqrtILi4ELi16ELi4ELi16ELi64ELb0EjfEEvPKT6_PKbPfiPT5_PiiiibdPKfPKS8_SE_,"axG",@progbits,_ZN4vllm3moe22topkGatingSoftplusSqrtILi4ELi16ELi4ELi16ELi64ELb0EjfEEvPKT6_PKbPfiPT5_PiiiibdPKfPKS8_SE_,comdat
	.protected	_ZN4vllm3moe22topkGatingSoftplusSqrtILi4ELi16ELi4ELi16ELi64ELb0EjfEEvPKT6_PKbPfiPT5_PiiiibdPKfPKS8_SE_ ; -- Begin function _ZN4vllm3moe22topkGatingSoftplusSqrtILi4ELi16ELi4ELi16ELi64ELb0EjfEEvPKT6_PKbPfiPT5_PiiiibdPKfPKS8_SE_
	.globl	_ZN4vllm3moe22topkGatingSoftplusSqrtILi4ELi16ELi4ELi16ELi64ELb0EjfEEvPKT6_PKbPfiPT5_PiiiibdPKfPKS8_SE_
	.p2align	8
	.type	_ZN4vllm3moe22topkGatingSoftplusSqrtILi4ELi16ELi4ELi16ELi64ELb0EjfEEvPKT6_PKbPfiPT5_PiiiibdPKfPKS8_SE_,@function
_ZN4vllm3moe22topkGatingSoftplusSqrtILi4ELi16ELi4ELi16ELi64ELb0EjfEEvPKT6_PKbPfiPT5_PiiiibdPKfPKS8_SE_: ; @_ZN4vllm3moe22topkGatingSoftplusSqrtILi4ELi16ELi4ELi16ELi64ELb0EjfEEvPKT6_PKbPfiPT5_PiiiibdPKfPKS8_SE_
; %bb.0:
	s_load_dword s30, s[2:3], 0x18
	v_and_b32_e32 v1, 0x3ff, v0
	v_bfe_u32 v4, v0, 10, 10
	s_lshl_b32 s4, s4, 6
	v_lshlrev_b32_e32 v2, 4, v4
	v_lshrrev_b32_e32 v3, 2, v1
	v_add3_u32 v2, s4, v2, v3
	s_waitcnt lgkmcnt(0)
	v_cmp_gt_i32_e32 vcc, s30, v2
	s_and_saveexec_b64 s[4:5], vcc
	s_cbranch_execz .LBB77_43
; %bb.1:
	s_load_dwordx4 s[4:7], s[2:3], 0x0
	s_load_dwordx2 s[20:21], s[2:3], 0x10
	s_waitcnt lgkmcnt(0)
	s_cmp_eq_u64 s[6:7], 0
	s_cbranch_scc1 .LBB77_3
; %bb.2:
	v_ashrrev_i32_e32 v3, 31, v2
	v_lshl_add_u64 v[6:7], s[6:7], 0, v[2:3]
	global_load_ubyte v3, v[6:7], off
	s_waitcnt vmcnt(0)
	v_and_b32_e32 v3, 1, v3
	v_cmp_eq_u32_e32 vcc, 1, v3
	s_xor_b64 s[6:7], vcc, -1
	s_orn2_b64 s[22:23], s[6:7], exec
	s_branch .LBB77_4
.LBB77_3:
	s_mov_b64 s[22:23], -1
.LBB77_4:
	v_lshlrev_b32_e32 v8, 4, v2
	v_mov_b32_e32 v6, s4
	v_mov_b32_e32 v7, s5
	v_ashrrev_i32_e32 v9, 31, v8
	v_and_b32_e32 v3, 3, v1
	v_lshl_add_u64 v[6:7], v[8:9], 2, v[6:7]
	v_mov_b32_e32 v9, 0
	v_lshlrev_b32_e32 v8, 4, v3
	v_lshl_add_u64 v[6:7], v[6:7], 0, v[8:9]
	global_load_dwordx4 v[6:9], v[6:7], off
	s_load_dwordx2 s[4:5], s[0:1], 0x4
	s_load_dwordx4 s[8:11], s[2:3], 0x40
	v_bfe_u32 v0, v0, 20, 10
	s_mov_b32 s16, 0x800000
	s_mov_b32 s13, 0x3f317217
	s_waitcnt lgkmcnt(0)
	s_lshr_b32 s0, s4, 16
	s_mul_i32 s0, s0, s5
	v_mul_lo_u32 v1, s0, v1
	v_mad_u32_u24 v1, v4, s5, v1
	v_add_lshl_u32 v4, v1, v0, 4
	s_mov_b32 s14, 0x7f800000
	s_mov_b32 s12, 0x41a00000
	;; [unrolled: 1-line block ×3, first 2 shown]
	s_cmp_lg_u64 s[10:11], 0
	v_mov_b32_e32 v1, 0x260
	s_cselect_b64 s[6:7], -1, 0
	s_and_b64 s[0:1], exec, s[6:7]
	s_waitcnt vmcnt(0)
	ds_write_b128 v4, v[6:9]
	ds_read_b32 v8, v4
	v_mov_b32_e32 v6, 0x4f800000
	v_mov_b32_e32 v7, 0x41b17218
	s_waitcnt lgkmcnt(0)
	v_mul_f32_e32 v0, 0x3fb8aa3b, v8
	v_exp_f32_e32 v0, v0
	s_nop 0
	v_add_f32_e32 v0, 1.0, v0
	v_cmp_gt_f32_e32 vcc, s16, v0
	s_nop 1
	v_cndmask_b32_e32 v5, 1.0, v6, vcc
	v_mul_f32_e32 v0, v0, v5
	v_log_f32_e32 v9, v0
	v_cndmask_b32_e32 v10, 0, v7, vcc
	v_lshlrev_b32_e32 v5, 2, v3
	v_lshlrev_b32_e32 v0, 2, v5
	v_mul_f32_e32 v11, 0x3f317217, v9
	v_fma_f32 v11, v9, s13, -v11
	v_fmac_f32_e32 v11, 0x3377d1cf, v9
	v_fmac_f32_e32 v11, 0x3f317217, v9
	v_cmp_lt_f32_e64 vcc, |v9|, s14
	s_nop 1
	v_cndmask_b32_e32 v9, v9, v11, vcc
	v_sub_f32_e32 v9, v9, v10
	v_cmp_lt_f32_e32 vcc, s12, v8
	s_nop 1
	v_cndmask_b32_e32 v8, v9, v8, vcc
	v_mul_f32_e32 v9, 0x4f800000, v8
	v_cmp_gt_f32_e32 vcc, s15, v8
	s_nop 1
	v_cndmask_b32_e32 v8, v8, v9, vcc
	v_sqrt_f32_e32 v9, v8
	s_nop 0
	v_add_u32_e32 v10, -1, v9
	v_add_u32_e32 v11, 1, v9
	v_fma_f32 v12, -v10, v9, v8
	v_fma_f32 v13, -v11, v9, v8
	v_cmp_ge_f32_e64 s[4:5], 0, v12
	s_nop 1
	v_cndmask_b32_e64 v9, v9, v10, s[4:5]
	v_cmp_lt_f32_e64 s[4:5], 0, v13
	s_nop 1
	v_cndmask_b32_e64 v9, v9, v11, s[4:5]
	v_mul_f32_e32 v10, 0x37800000, v9
	v_cndmask_b32_e32 v9, v9, v10, vcc
	v_cmp_class_f32_e32 vcc, v8, v1
	s_nop 1
	v_cndmask_b32_e32 v8, v9, v8, vcc
	s_mov_b64 vcc, s[0:1]
	s_cbranch_vccz .LBB77_6
; %bb.5:
	global_load_dword v9, v0, s[10:11]
	s_waitcnt vmcnt(0)
	v_add_f32_e32 v8, v8, v9
.LBB77_6:
	ds_read_b32 v9, v4 offset:4
	ds_write_b32 v4, v8
	s_waitcnt lgkmcnt(1)
	v_mul_f32_e32 v10, 0x3fb8aa3b, v9
	v_exp_f32_e32 v10, v10
	s_nop 0
	v_add_f32_e32 v10, 1.0, v10
	v_cmp_gt_f32_e32 vcc, s16, v10
	s_nop 1
	v_cndmask_b32_e32 v6, 1.0, v6, vcc
	v_mul_f32_e32 v6, v10, v6
	v_log_f32_e32 v6, v6
	v_cndmask_b32_e32 v7, 0, v7, vcc
	v_mul_f32_e32 v8, 0x3f317217, v6
	v_fma_f32 v8, v6, s13, -v8
	v_fmac_f32_e32 v8, 0x3377d1cf, v6
	v_fmac_f32_e32 v8, 0x3f317217, v6
	v_cmp_lt_f32_e64 vcc, |v6|, s14
	s_nop 1
	v_cndmask_b32_e32 v6, v6, v8, vcc
	v_sub_f32_e32 v6, v6, v7
	v_cmp_lt_f32_e32 vcc, s12, v9
	v_cndmask_b32_e64 v8, 0, 1, s[6:7]
	v_cmp_ne_u32_e64 s[0:1], 1, v8
	v_cndmask_b32_e32 v6, v6, v9, vcc
	v_mul_f32_e32 v7, 0x4f800000, v6
	v_cmp_gt_f32_e64 s[4:5], s15, v6
	s_andn2_b64 vcc, exec, s[6:7]
	s_nop 0
	v_cndmask_b32_e64 v6, v6, v7, s[4:5]
	v_sqrt_f32_e32 v7, v6
	s_nop 0
	v_add_u32_e32 v8, -1, v7
	v_add_u32_e32 v9, 1, v7
	v_fma_f32 v10, -v8, v7, v6
	v_fma_f32 v11, -v9, v7, v6
	v_cmp_ge_f32_e64 s[6:7], 0, v10
	s_nop 1
	v_cndmask_b32_e64 v7, v7, v8, s[6:7]
	v_cmp_lt_f32_e64 s[6:7], 0, v11
	s_nop 1
	v_cndmask_b32_e64 v7, v7, v9, s[6:7]
	v_mul_f32_e32 v8, 0x37800000, v7
	v_cndmask_b32_e64 v7, v7, v8, s[4:5]
	v_cmp_class_f32_e64 s[4:5], v6, v1
	s_nop 1
	v_cndmask_b32_e64 v1, v7, v6, s[4:5]
	s_cbranch_vccnz .LBB77_8
; %bb.7:
	global_load_dword v6, v0, s[10:11] offset:4
	s_waitcnt vmcnt(0)
	v_add_f32_e32 v1, v1, v6
.LBB77_8:
	ds_read_b32 v8, v4 offset:8
	s_mov_b32 s12, 0x800000
	s_mov_b32 s7, 0x3f317217
	;; [unrolled: 1-line block ×4, first 2 shown]
	s_waitcnt lgkmcnt(0)
	v_mul_f32_e32 v6, 0x3fb8aa3b, v8
	v_exp_f32_e32 v7, v6
	v_mov_b32_e32 v6, 0x4f800000
	s_mov_b32 s14, 0xf800000
	ds_write_b32 v4, v1 offset:4
	v_add_f32_e32 v7, 1.0, v7
	v_cmp_gt_f32_e32 vcc, s12, v7
	s_nop 1
	v_cndmask_b32_e32 v9, 1.0, v6, vcc
	v_mul_f32_e32 v7, v7, v9
	v_log_f32_e32 v9, v7
	v_mov_b32_e32 v7, 0x41b17218
	v_cndmask_b32_e32 v10, 0, v7, vcc
	v_mul_f32_e32 v11, 0x3f317217, v9
	v_fma_f32 v11, v9, s7, -v11
	v_fmac_f32_e32 v11, 0x3377d1cf, v9
	v_fmac_f32_e32 v11, 0x3f317217, v9
	v_cmp_lt_f32_e64 vcc, |v9|, s13
	s_nop 1
	v_cndmask_b32_e32 v9, v9, v11, vcc
	v_sub_f32_e32 v9, v9, v10
	v_cmp_lt_f32_e32 vcc, s6, v8
	s_nop 1
	v_cndmask_b32_e32 v8, v9, v8, vcc
	v_mul_f32_e32 v9, 0x4f800000, v8
	v_cmp_gt_f32_e32 vcc, s14, v8
	s_nop 1
	v_cndmask_b32_e32 v8, v8, v9, vcc
	v_sqrt_f32_e32 v9, v8
	s_nop 0
	v_add_u32_e32 v1, -1, v9
	v_fma_f32 v10, -v1, v9, v8
	v_cmp_ge_f32_e64 s[4:5], 0, v10
	v_add_u32_e32 v10, 1, v9
	s_nop 0
	v_cndmask_b32_e64 v1, v9, v1, s[4:5]
	v_fma_f32 v9, -v10, v9, v8
	v_cmp_lt_f32_e64 s[4:5], 0, v9
	s_nop 1
	v_cndmask_b32_e64 v1, v1, v10, s[4:5]
	v_mul_f32_e32 v9, 0x37800000, v1
	v_cndmask_b32_e32 v9, v1, v9, vcc
	v_mov_b32_e32 v1, 0x260
	v_cmp_class_f32_e64 s[4:5], v8, v1
	s_and_b64 vcc, exec, s[0:1]
	s_nop 0
	v_cndmask_b32_e64 v8, v9, v8, s[4:5]
	s_cbranch_vccnz .LBB77_10
; %bb.9:
	global_load_dword v9, v0, s[10:11] offset:8
	s_waitcnt vmcnt(0)
	v_add_f32_e32 v8, v8, v9
.LBB77_10:
	ds_read_b32 v9, v4 offset:12
	ds_write_b32 v4, v8 offset:8
	s_waitcnt lgkmcnt(1)
	v_mul_f32_e32 v10, 0x3fb8aa3b, v9
	v_exp_f32_e32 v10, v10
	s_nop 0
	v_add_f32_e32 v10, 1.0, v10
	v_cmp_gt_f32_e32 vcc, s12, v10
	s_nop 1
	v_cndmask_b32_e32 v6, 1.0, v6, vcc
	v_mul_f32_e32 v6, v10, v6
	v_log_f32_e32 v6, v6
	v_cndmask_b32_e32 v7, 0, v7, vcc
	v_mul_f32_e32 v10, 0x3f317217, v6
	v_fma_f32 v10, v6, s7, -v10
	v_fmac_f32_e32 v10, 0x3377d1cf, v6
	v_fmac_f32_e32 v10, 0x3f317217, v6
	v_cmp_lt_f32_e64 vcc, |v6|, s13
	s_nop 1
	v_cndmask_b32_e32 v6, v6, v10, vcc
	v_sub_f32_e32 v6, v6, v7
	v_cmp_lt_f32_e32 vcc, s6, v9
	s_nop 1
	v_cndmask_b32_e32 v6, v6, v9, vcc
	v_mul_f32_e32 v7, 0x4f800000, v6
	v_cmp_gt_f32_e64 s[4:5], s14, v6
	s_and_b64 vcc, exec, s[0:1]
	s_nop 0
	v_cndmask_b32_e64 v6, v6, v7, s[4:5]
	v_sqrt_f32_e32 v7, v6
	s_nop 0
	v_add_u32_e32 v8, -1, v7
	v_add_u32_e32 v9, 1, v7
	v_fma_f32 v10, -v8, v7, v6
	v_fma_f32 v11, -v9, v7, v6
	v_cmp_ge_f32_e64 s[6:7], 0, v10
	s_nop 1
	v_cndmask_b32_e64 v7, v7, v8, s[6:7]
	v_cmp_lt_f32_e64 s[6:7], 0, v11
	s_nop 1
	v_cndmask_b32_e64 v7, v7, v9, s[6:7]
	v_mul_f32_e32 v8, 0x37800000, v7
	v_cndmask_b32_e64 v7, v7, v8, s[4:5]
	v_cmp_class_f32_e64 s[4:5], v6, v1
	s_nop 1
	v_cndmask_b32_e64 v1, v7, v6, s[4:5]
	s_cbranch_vccnz .LBB77_12
; %bb.11:
	global_load_dword v0, v0, s[10:11] offset:12
	s_waitcnt vmcnt(0)
	v_add_f32_e32 v1, v1, v0
.LBB77_12:
	s_load_dwordx4 s[12:15], s[2:3], 0x30
	s_mov_b32 s31, 0
	v_cmp_eq_u32_e64 s[6:7], 0, v3
	ds_write_b32 v4, v1 offset:12
	s_waitcnt lgkmcnt(0)
	s_bitcmp1_b32 s15, 0
	s_cselect_b64 s[4:5], -1, 0
	s_cmp_gt_i32 s12, 0
	s_cselect_b64 s[24:25], -1, 0
	s_and_b64 vcc, exec, s[24:25]
	s_cbranch_vccz .LBB77_29
; %bb.13:
	v_mbcnt_lo_u32_b32 v0, -1, 0
	v_mbcnt_hi_u32_b32 v0, -1, v0
	v_and_b32_e32 v1, 0x7c, v0
	v_add_u32_e32 v1, 4, v1
	v_xor_b32_e32 v6, 2, v0
	v_cmp_lt_i32_e32 vcc, v6, v1
	s_load_dwordx4 s[16:19], s[2:3], 0x20
	v_mul_lo_u32 v7, v2, s12
	v_cndmask_b32_e32 v6, v0, v6, vcc
	v_lshlrev_b32_e32 v8, 2, v6
	v_xor_b32_e32 v6, 1, v0
	v_cmp_lt_i32_e32 vcc, v6, v1
	v_mov_b32_e32 v10, 0xc61c4000
	v_mov_b32_e32 v11, v2
	v_cndmask_b32_e32 v0, v0, v6, vcc
	v_lshlrev_b32_e32 v9, 2, v0
	v_mov_b32_e32 v6, 0
	s_branch .LBB77_15
.LBB77_14:                              ;   in Loop: Header=BB77_15 Depth=1
	s_or_b64 exec, exec, s[2:3]
	s_cmp_eq_u32 s12, s31
	v_add_u32_e32 v11, s30, v11
	s_cbranch_scc1 .LBB77_30
.LBB77_15:                              ; =>This Inner Loop Header: Depth=1
	ds_read_b128 v[12:15], v4
	s_waitcnt lgkmcnt(0)
	v_cmp_gt_f32_e32 vcc, v13, v12
	s_nop 1
	v_cndmask_b32_e32 v1, v12, v13, vcc
	v_cndmask_b32_e64 v0, 0, 1, vcc
	v_cmp_gt_f32_e32 vcc, v14, v1
	s_nop 1
	v_cndmask_b32_e32 v1, v1, v14, vcc
	v_cndmask_b32_e64 v0, v0, 2, vcc
	v_cmp_gt_f32_e32 vcc, v15, v1
	s_nop 1
	v_cndmask_b32_e64 v0, v0, 3, vcc
	v_cndmask_b32_e32 v12, v1, v15, vcc
	ds_bpermute_b32 v1, v8, v12
	v_or_b32_e32 v0, v5, v0
	ds_bpermute_b32 v13, v8, v0
	s_waitcnt lgkmcnt(1)
	v_cmp_lt_f32_e64 s[26:27], v12, v1
	v_cmp_nlt_f32_e32 vcc, v12, v1
	s_and_saveexec_b64 s[28:29], vcc
	s_cbranch_execz .LBB77_17
; %bb.16:                               ;   in Loop: Header=BB77_15 Depth=1
	v_cmp_eq_f32_e32 vcc, v12, v1
	s_waitcnt lgkmcnt(0)
	v_cmp_lt_i32_e64 s[2:3], v13, v0
	s_and_b64 s[2:3], vcc, s[2:3]
	s_andn2_b64 s[26:27], s[26:27], exec
	s_and_b64 s[2:3], s[2:3], exec
	s_or_b64 s[26:27], s[26:27], s[2:3]
.LBB77_17:                              ;   in Loop: Header=BB77_15 Depth=1
	s_or_b64 exec, exec, s[28:29]
	s_and_saveexec_b64 s[2:3], s[26:27]
	s_cbranch_execz .LBB77_19
; %bb.18:                               ;   in Loop: Header=BB77_15 Depth=1
	v_mov_b32_e32 v12, v1
	s_waitcnt lgkmcnt(0)
	v_mov_b32_e32 v0, v13
.LBB77_19:                              ;   in Loop: Header=BB77_15 Depth=1
	s_or_b64 exec, exec, s[2:3]
	ds_bpermute_b32 v1, v9, v12
	s_waitcnt lgkmcnt(1)
	ds_bpermute_b32 v13, v9, v0
	s_waitcnt lgkmcnt(1)
	v_cmp_lt_f32_e64 s[26:27], v12, v1
	v_cmp_nlt_f32_e32 vcc, v12, v1
	s_and_saveexec_b64 s[28:29], vcc
	s_cbranch_execnz .LBB77_22
; %bb.20:                               ;   in Loop: Header=BB77_15 Depth=1
	s_or_b64 exec, exec, s[28:29]
	s_and_saveexec_b64 s[2:3], s[26:27]
	s_cbranch_execnz .LBB77_23
.LBB77_21:                              ;   in Loop: Header=BB77_15 Depth=1
	s_or_b64 exec, exec, s[2:3]
	s_and_saveexec_b64 s[26:27], s[6:7]
	s_cbranch_execnz .LBB77_24
	s_branch .LBB77_27
.LBB77_22:                              ;   in Loop: Header=BB77_15 Depth=1
	v_cmp_eq_f32_e32 vcc, v12, v1
	s_waitcnt lgkmcnt(0)
	v_cmp_lt_i32_e64 s[2:3], v13, v0
	s_and_b64 s[2:3], vcc, s[2:3]
	s_andn2_b64 s[26:27], s[26:27], exec
	s_and_b64 s[2:3], s[2:3], exec
	s_or_b64 s[26:27], s[26:27], s[2:3]
	s_or_b64 exec, exec, s[28:29]
	s_and_saveexec_b64 s[2:3], s[26:27]
	s_cbranch_execz .LBB77_21
.LBB77_23:                              ;   in Loop: Header=BB77_15 Depth=1
	s_waitcnt lgkmcnt(0)
	v_mov_b32_e32 v0, v13
	v_mov_b32_e32 v12, v1
	s_or_b64 exec, exec, s[2:3]
	s_and_saveexec_b64 s[26:27], s[6:7]
	s_cbranch_execz .LBB77_27
.LBB77_24:                              ;   in Loop: Header=BB77_15 Depth=1
	s_and_b64 vcc, exec, s[0:1]
	s_cbranch_vccnz .LBB77_26
; %bb.25:                               ;   in Loop: Header=BB77_15 Depth=1
	v_ashrrev_i32_e32 v1, 31, v0
	v_lshl_add_u64 v[14:15], v[0:1], 2, s[10:11]
	global_load_dword v1, v[14:15], off
	s_waitcnt vmcnt(0)
	v_sub_f32_e32 v12, v12, v1
.LBB77_26:                              ;   in Loop: Header=BB77_15 Depth=1
	v_add_u32_e32 v14, s31, v7
	v_cmp_le_i32_e32 vcc, s13, v0
	v_cmp_gt_i32_e64 s[2:3], s14, v0
	v_ashrrev_i32_e32 v15, 31, v14
	s_and_b64 s[2:3], vcc, s[2:3]
	v_lshlrev_b64 v[14:15], 2, v[14:15]
	v_lshl_add_u64 v[16:17], s[20:21], 0, v[14:15]
	v_subrev_u32_e32 v1, s13, v0
	s_and_b64 vcc, s[22:23], s[2:3]
	global_store_dword v[16:17], v12, off
	v_cndmask_b32_e32 v1, 16, v1, vcc
	v_lshl_add_u64 v[16:17], s[16:17], 0, v[14:15]
	global_store_dword v[16:17], v1, off
	v_add_f32_e32 v1, v6, v12
	v_lshl_add_u64 v[14:15], s[18:19], 0, v[14:15]
	v_cndmask_b32_e64 v6, v6, v1, s[4:5]
	global_store_dword v[14:15], v11, off
.LBB77_27:                              ;   in Loop: Header=BB77_15 Depth=1
	s_or_b64 exec, exec, s[26:27]
	v_ashrrev_i32_e32 v1, 31, v0
	v_lshrrev_b32_e32 v12, 30, v1
	v_add_u32_e32 v12, v0, v12
	v_ashrrev_i32_e32 v12, 2, v12
	s_waitcnt lgkmcnt(0)
	v_lshrrev_b32_e32 v13, 30, v12
	v_add_u32_e32 v13, v12, v13
	s_add_i32 s31, s31, 1
	v_and_b32_e32 v13, -4, v13
	s_cmp_lt_i32 s31, s12
	v_sub_u32_e32 v13, v12, v13
	s_cselect_b64 s[2:3], -1, 0
	v_cmp_eq_u32_e32 vcc, v3, v13
	s_and_b64 s[26:27], s[2:3], vcc
	s_and_saveexec_b64 s[2:3], s[26:27]
	s_cbranch_execz .LBB77_14
; %bb.28:                               ;   in Loop: Header=BB77_15 Depth=1
	v_lshrrev_b32_e32 v1, 28, v1
	v_add_u32_e32 v1, v0, v1
	v_lshlrev_b32_e32 v12, 2, v12
	v_lshrrev_b32_e32 v1, 2, v1
	v_sub_u32_e32 v0, v0, v12
	v_and_b32_e32 v1, 0x3ffffffc, v1
	v_add_u32_e32 v0, v1, v0
	v_lshl_add_u32 v0, v0, 2, v4
	ds_write_b32 v0, v10
	s_branch .LBB77_14
.LBB77_29:
	v_mov_b32_e32 v6, 0
.LBB77_30:
	v_cmp_eq_u32_e32 vcc, 0, v3
	s_and_b64 exec, exec, vcc
	s_cbranch_execz .LBB77_43
; %bb.31:
	s_andn2_b64 vcc, exec, s[4:5]
	v_cvt_f32_f64_e32 v0, s[8:9]
	s_cbranch_vccnz .LBB77_33
; %bb.32:
	v_cmp_lt_f32_e32 vcc, 0, v6
	s_nop 1
	v_cndmask_b32_e32 v1, 1.0, v6, vcc
	v_div_scale_f32 v3, s[0:1], v1, v1, v0
	v_rcp_f32_e32 v4, v3
	s_nop 0
	v_fma_f32 v5, -v3, v4, 1.0
	v_fmac_f32_e32 v4, v5, v4
	v_div_scale_f32 v5, vcc, v0, v1, v0
	v_mul_f32_e32 v6, v5, v4
	v_fma_f32 v7, -v3, v6, v5
	v_fmac_f32_e32 v6, v7, v4
	v_fma_f32 v3, -v3, v6, v5
	v_div_fmas_f32 v3, v3, v4, v6
	v_div_fixup_f32 v0, v3, v1, v0
.LBB77_33:
	s_andn2_b64 vcc, exec, s[24:25]
	s_cbranch_vccnz .LBB77_43
; %bb.34:
	v_mul_lo_u32 v2, v2, s12
	s_cmp_gt_u32 s12, 3
	v_ashrrev_i32_e32 v3, 31, v2
	s_cbranch_scc0 .LBB77_38
; %bb.35:
	s_and_b32 s0, s12, 0x7ffffffc
	v_lshl_add_u64 v[4:5], v[2:3], 2, s[20:21]
	v_mov_b32_e32 v1, v0
	v_lshl_add_u64 v[4:5], v[4:5], 0, 8
	s_mov_b32 s1, s0
.LBB77_36:                              ; =>This Inner Loop Header: Depth=1
	global_load_dwordx4 v[6:9], v[4:5], off offset:-8
	s_add_i32 s1, s1, -4
	s_cmp_lg_u32 s1, 0
	s_waitcnt vmcnt(0)
	v_pk_mul_f32 v[6:7], v[0:1], v[6:7]
	v_pk_mul_f32 v[8:9], v[0:1], v[8:9]
	global_store_dwordx4 v[4:5], v[6:9], off offset:-8
	v_lshl_add_u64 v[4:5], v[4:5], 0, 16
	s_cbranch_scc1 .LBB77_36
; %bb.37:
	s_cmp_lg_u32 s0, s12
	s_cselect_b64 s[2:3], -1, 0
	s_branch .LBB77_40
.LBB77_38:
	s_mov_b64 s[2:3], 0
                                        ; implicit-def: $sgpr0
	s_cbranch_execz .LBB77_40
; %bb.39:
	s_mov_b64 s[2:3], -1
	s_mov_b32 s0, 0
.LBB77_40:
	s_andn2_b64 vcc, exec, s[2:3]
	s_cbranch_vccnz .LBB77_43
; %bb.41:
	s_mov_b32 s1, 0
	v_lshl_add_u64 v[2:3], v[2:3], 0, s[0:1]
	s_sub_i32 s2, s12, s0
	v_lshl_add_u64 v[2:3], v[2:3], 2, s[20:21]
.LBB77_42:                              ; =>This Inner Loop Header: Depth=1
	global_load_dword v1, v[2:3], off
	s_add_i32 s2, s2, -1
	s_cmp_lg_u32 s2, 0
	s_waitcnt vmcnt(0)
	v_mul_f32_e32 v1, v0, v1
	global_store_dword v[2:3], v1, off
	v_lshl_add_u64 v[2:3], v[2:3], 0, 4
	s_cbranch_scc1 .LBB77_42
.LBB77_43:
	s_endpgm
	.section	.rodata,"a",@progbits
	.p2align	6, 0x0
	.amdhsa_kernel _ZN4vllm3moe22topkGatingSoftplusSqrtILi4ELi16ELi4ELi16ELi64ELb0EjfEEvPKT6_PKbPfiPT5_PiiiibdPKfPKS8_SE_
		.amdhsa_group_segment_fixed_size 4096
		.amdhsa_private_segment_fixed_size 0
		.amdhsa_kernarg_size 96
		.amdhsa_user_sgpr_count 4
		.amdhsa_user_sgpr_dispatch_ptr 1
		.amdhsa_user_sgpr_queue_ptr 0
		.amdhsa_user_sgpr_kernarg_segment_ptr 1
		.amdhsa_user_sgpr_dispatch_id 0
		.amdhsa_user_sgpr_kernarg_preload_length 0
		.amdhsa_user_sgpr_kernarg_preload_offset 0
		.amdhsa_user_sgpr_private_segment_size 0
		.amdhsa_uses_dynamic_stack 0
		.amdhsa_enable_private_segment 0
		.amdhsa_system_sgpr_workgroup_id_x 1
		.amdhsa_system_sgpr_workgroup_id_y 0
		.amdhsa_system_sgpr_workgroup_id_z 0
		.amdhsa_system_sgpr_workgroup_info 0
		.amdhsa_system_vgpr_workitem_id 2
		.amdhsa_next_free_vgpr 18
		.amdhsa_next_free_sgpr 32
		.amdhsa_accum_offset 20
		.amdhsa_reserve_vcc 1
		.amdhsa_float_round_mode_32 0
		.amdhsa_float_round_mode_16_64 0
		.amdhsa_float_denorm_mode_32 3
		.amdhsa_float_denorm_mode_16_64 3
		.amdhsa_dx10_clamp 1
		.amdhsa_ieee_mode 1
		.amdhsa_fp16_overflow 0
		.amdhsa_tg_split 0
		.amdhsa_exception_fp_ieee_invalid_op 0
		.amdhsa_exception_fp_denorm_src 0
		.amdhsa_exception_fp_ieee_div_zero 0
		.amdhsa_exception_fp_ieee_overflow 0
		.amdhsa_exception_fp_ieee_underflow 0
		.amdhsa_exception_fp_ieee_inexact 0
		.amdhsa_exception_int_div_zero 0
	.end_amdhsa_kernel
	.section	.text._ZN4vllm3moe22topkGatingSoftplusSqrtILi4ELi16ELi4ELi16ELi64ELb0EjfEEvPKT6_PKbPfiPT5_PiiiibdPKfPKS8_SE_,"axG",@progbits,_ZN4vllm3moe22topkGatingSoftplusSqrtILi4ELi16ELi4ELi16ELi64ELb0EjfEEvPKT6_PKbPfiPT5_PiiiibdPKfPKS8_SE_,comdat
.Lfunc_end77:
	.size	_ZN4vllm3moe22topkGatingSoftplusSqrtILi4ELi16ELi4ELi16ELi64ELb0EjfEEvPKT6_PKbPfiPT5_PiiiibdPKfPKS8_SE_, .Lfunc_end77-_ZN4vllm3moe22topkGatingSoftplusSqrtILi4ELi16ELi4ELi16ELi64ELb0EjfEEvPKT6_PKbPfiPT5_PiiiibdPKfPKS8_SE_
                                        ; -- End function
	.section	.AMDGPU.csdata,"",@progbits
; Kernel info:
; codeLenInByte = 2612
; NumSgprs: 38
; NumVgprs: 18
; NumAgprs: 0
; TotalNumVgprs: 18
; ScratchSize: 0
; MemoryBound: 0
; FloatMode: 240
; IeeeMode: 1
; LDSByteSize: 4096 bytes/workgroup (compile time only)
; SGPRBlocks: 4
; VGPRBlocks: 2
; NumSGPRsForWavesPerEU: 38
; NumVGPRsForWavesPerEU: 18
; AccumOffset: 20
; Occupancy: 8
; WaveLimiterHint : 0
; COMPUTE_PGM_RSRC2:SCRATCH_EN: 0
; COMPUTE_PGM_RSRC2:USER_SGPR: 4
; COMPUTE_PGM_RSRC2:TRAP_HANDLER: 0
; COMPUTE_PGM_RSRC2:TGID_X_EN: 1
; COMPUTE_PGM_RSRC2:TGID_Y_EN: 0
; COMPUTE_PGM_RSRC2:TGID_Z_EN: 0
; COMPUTE_PGM_RSRC2:TIDIG_COMP_CNT: 2
; COMPUTE_PGM_RSRC3_GFX90A:ACCUM_OFFSET: 4
; COMPUTE_PGM_RSRC3_GFX90A:TG_SPLIT: 0
	.section	.text._ZN4vllm3moe22topkGatingSoftplusSqrtILi4ELi16ELi4ELi16ELi32ELb1EjfEEvPKT6_PKbPfiPT5_PiiiibdPKfPKS8_SE_,"axG",@progbits,_ZN4vllm3moe22topkGatingSoftplusSqrtILi4ELi16ELi4ELi16ELi32ELb1EjfEEvPKT6_PKbPfiPT5_PiiiibdPKfPKS8_SE_,comdat
	.protected	_ZN4vllm3moe22topkGatingSoftplusSqrtILi4ELi16ELi4ELi16ELi32ELb1EjfEEvPKT6_PKbPfiPT5_PiiiibdPKfPKS8_SE_ ; -- Begin function _ZN4vllm3moe22topkGatingSoftplusSqrtILi4ELi16ELi4ELi16ELi32ELb1EjfEEvPKT6_PKbPfiPT5_PiiiibdPKfPKS8_SE_
	.globl	_ZN4vllm3moe22topkGatingSoftplusSqrtILi4ELi16ELi4ELi16ELi32ELb1EjfEEvPKT6_PKbPfiPT5_PiiiibdPKfPKS8_SE_
	.p2align	8
	.type	_ZN4vllm3moe22topkGatingSoftplusSqrtILi4ELi16ELi4ELi16ELi32ELb1EjfEEvPKT6_PKbPfiPT5_PiiiibdPKfPKS8_SE_,@function
_ZN4vllm3moe22topkGatingSoftplusSqrtILi4ELi16ELi4ELi16ELi32ELb1EjfEEvPKT6_PKbPfiPT5_PiiiibdPKfPKS8_SE_: ; @_ZN4vllm3moe22topkGatingSoftplusSqrtILi4ELi16ELi4ELi16ELi32ELb1EjfEEvPKT6_PKbPfiPT5_PiiiibdPKfPKS8_SE_
; %bb.0:
	s_load_dword s3, s[0:1], 0x18
	v_bfe_u32 v1, v0, 10, 10
	v_and_b32_e32 v6, 0x3ff, v0
	s_lshl_b32 s2, s2, 5
	v_lshlrev_b32_e32 v1, 3, v1
	v_lshrrev_b32_e32 v0, 2, v6
	v_add3_u32 v2, s2, v1, v0
	s_waitcnt lgkmcnt(0)
	v_cmp_gt_i32_e32 vcc, s3, v2
	s_and_saveexec_b64 s[2:3], vcc
	s_cbranch_execz .LBB78_80
; %bb.1:
	s_load_dwordx2 s[2:3], s[0:1], 0x0
	s_load_dword s20, s[0:1], 0x30
	v_lshlrev_b32_e32 v0, 4, v2
	v_lshlrev_b32_e32 v3, 2, v6
	v_ashrrev_i32_e32 v1, 31, v0
	v_and_b32_e32 v10, 12, v3
	s_waitcnt lgkmcnt(0)
	v_lshl_add_u64 v[4:5], v[0:1], 2, s[2:3]
	v_lshlrev_b32_e32 v0, 2, v10
	v_mov_b32_e32 v1, 0
	v_lshl_add_u64 v[4:5], v[4:5], 0, v[0:1]
	global_load_dwordx4 v[12:15], v[4:5], off
	s_load_dwordx4 s[8:11], s[0:1], 0x50
	v_ashrrev_i32_e32 v3, 31, v2
	s_mov_b32 s6, 0x800000
	s_mov_b32 s12, 0x3f317217
	;; [unrolled: 1-line block ×3, first 2 shown]
	s_waitcnt lgkmcnt(0)
	v_mov_b32_e32 v4, s8
	v_mov_b32_e32 v5, s9
	v_lshl_add_u64 v[4:5], v[2:3], 2, v[4:5]
	global_load_dword v0, v[4:5], off
	v_mov_b32_e32 v3, 0x4f800000
	v_mov_b32_e32 v7, 0x41b17218
	s_mov_b32 s9, 0x41a00000
	s_mov_b32 s14, 0xf800000
	v_mov_b32_e32 v11, 0x260
	s_cmp_gt_i32 s20, 0
	s_mov_b32 s8, 0
	v_mul_lo_u32 v2, v2, s20
	s_waitcnt vmcnt(1)
	v_mul_f32_e32 v4, 0x3fb8aa3b, v12
	v_mul_f32_e32 v5, 0x3fb8aa3b, v13
	v_exp_f32_e32 v4, v4
	v_exp_f32_e32 v5, v5
	v_mul_f32_e32 v8, 0x3fb8aa3b, v14
	v_mul_f32_e32 v9, 0x3fb8aa3b, v15
	v_exp_f32_e32 v8, v8
	v_exp_f32_e32 v9, v9
	v_pk_add_f32 v[4:5], v[4:5], 1.0 op_sel_hi:[1,0]
	s_waitcnt vmcnt(0)
	v_mul_lo_u32 v0, v0, s20
	v_cmp_gt_f32_e32 vcc, s6, v5
	v_pk_add_f32 v[8:9], v[8:9], 1.0 op_sel_hi:[1,0]
	v_cmp_gt_f32_e64 s[2:3], s6, v4
	v_cndmask_b32_e32 v16, 1.0, v3, vcc
	v_cmp_gt_f32_e64 s[4:5], s6, v9
	v_cndmask_b32_e64 v17, 1.0, v3, s[2:3]
	v_mul_f32_e32 v5, v5, v16
	v_cndmask_b32_e64 v18, 1.0, v3, s[4:5]
	v_cmp_gt_f32_e64 s[6:7], s6, v8
	v_mul_f32_e32 v4, v4, v17
	v_log_f32_e32 v5, v5
	v_cndmask_b32_e64 v3, 1.0, v3, s[6:7]
	v_mul_f32_e32 v9, v9, v18
	v_log_f32_e32 v4, v4
	v_mul_f32_e32 v3, v8, v3
	v_log_f32_e32 v8, v9
	v_log_f32_e32 v3, v3
	v_mul_f32_e32 v9, 0x3f317217, v5
	v_mul_f32_e32 v19, 0x3f317217, v4
	v_fma_f32 v9, v5, s12, -v9
	v_mul_f32_e32 v20, 0x3f317217, v8
	v_fma_f32 v19, v4, s12, -v19
	v_fmac_f32_e32 v9, 0x3377d1cf, v5
	v_cndmask_b32_e32 v16, 0, v7, vcc
	v_mul_f32_e32 v21, 0x3f317217, v3
	v_fma_f32 v20, v8, s12, -v20
	v_fmac_f32_e32 v19, 0x3377d1cf, v4
	v_fmac_f32_e32 v9, 0x3f317217, v5
	v_cmp_lt_f32_e64 vcc, |v5|, s13
	v_fma_f32 v21, v3, s12, -v21
	v_fmac_f32_e32 v20, 0x3377d1cf, v8
	v_fmac_f32_e32 v19, 0x3f317217, v4
	v_cndmask_b32_e32 v5, v5, v9, vcc
	v_cmp_lt_f32_e64 vcc, |v4|, s13
	v_fmac_f32_e32 v21, 0x3377d1cf, v3
	v_fmac_f32_e32 v20, 0x3f317217, v8
	v_cndmask_b32_e32 v4, v4, v19, vcc
	v_cmp_lt_f32_e64 vcc, |v8|, s13
	v_cndmask_b32_e64 v17, 0, v7, s[2:3]
	v_fmac_f32_e32 v21, 0x3f317217, v3
	v_cndmask_b32_e32 v8, v8, v20, vcc
	v_cmp_lt_f32_e64 vcc, |v3|, s13
	v_sub_f32_e32 v4, v4, v17
	v_sub_f32_e32 v5, v5, v16
	v_cndmask_b32_e32 v3, v3, v21, vcc
	v_cmp_lt_f32_e32 vcc, s9, v12
	v_cndmask_b32_e64 v18, 0, v7, s[4:5]
	v_sub_f32_e32 v8, v8, v18
	v_cndmask_b32_e32 v4, v4, v12, vcc
	v_cmp_lt_f32_e32 vcc, s9, v13
	v_mul_f32_e32 v12, 0x4f800000, v4
	v_cmp_gt_f32_e64 s[2:3], s14, v4
	v_cndmask_b32_e32 v5, v5, v13, vcc
	v_mul_f32_e32 v9, 0x4f800000, v5
	v_cmp_gt_f32_e32 vcc, s14, v5
	v_cndmask_b32_e64 v4, v4, v12, s[2:3]
	v_sqrt_f32_e32 v12, v4
	v_cndmask_b32_e32 v5, v5, v9, vcc
	v_sqrt_f32_e32 v9, v5
	v_add_u32_e32 v17, -1, v12
	v_fma_f32 v21, -v17, v12, v4
	v_add_u32_e32 v13, -1, v9
	v_fma_f32 v19, -v13, v9, v5
	v_add_u32_e32 v16, 1, v9
	v_cmp_ge_f32_e64 s[4:5], 0, v19
	v_add_u32_e32 v18, 1, v12
	v_fma_f32 v20, -v16, v9, v5
	v_cndmask_b32_e64 v9, v9, v13, s[4:5]
	v_cmp_ge_f32_e64 s[4:5], 0, v21
	v_fma_f32 v22, -v18, v12, v4
	s_nop 0
	v_cndmask_b32_e64 v12, v12, v17, s[4:5]
	v_cmp_lt_f32_e64 s[4:5], 0, v20
	s_nop 1
	v_cndmask_b32_e64 v9, v9, v16, s[4:5]
	v_cmp_lt_f32_e64 s[4:5], 0, v22
	v_mul_f32_e32 v13, 0x37800000, v9
	v_cndmask_b32_e32 v9, v9, v13, vcc
	v_cndmask_b32_e64 v12, v12, v18, s[4:5]
	v_mul_f32_e32 v16, 0x37800000, v12
	v_cmp_class_f32_e32 vcc, v5, v11
	v_cndmask_b32_e64 v12, v12, v16, s[2:3]
	v_cmp_lt_f32_e64 s[2:3], s9, v14
	v_cndmask_b32_e32 v13, v9, v5, vcc
	v_cmp_class_f32_e32 vcc, v4, v11
	s_cselect_b64 s[4:5], -1, 0
	s_cmp_lt_i32 s20, 1
	v_cndmask_b32_e32 v12, v12, v4, vcc
	v_cmp_lt_f32_e32 vcc, s9, v15
	v_cndmask_b32_e64 v4, 0, v7, s[6:7]
	v_sub_f32_e32 v3, v3, v4
	v_cndmask_b32_e32 v5, v8, v15, vcc
	v_mul_f32_e32 v7, 0x4f800000, v5
	v_cmp_gt_f32_e32 vcc, s14, v5
	v_cndmask_b32_e64 v3, v3, v14, s[2:3]
	s_nop 0
	v_cndmask_b32_e32 v5, v5, v7, vcc
	v_sqrt_f32_e32 v7, v5
	s_nop 0
	v_add_u32_e32 v4, -1, v7
	v_fma_f32 v8, -v4, v7, v5
	v_cmp_ge_f32_e64 s[2:3], 0, v8
	v_add_u32_e32 v8, 1, v7
	s_nop 0
	v_cndmask_b32_e64 v4, v7, v4, s[2:3]
	v_fma_f32 v7, -v8, v7, v5
	v_cmp_lt_f32_e64 s[2:3], 0, v7
	s_nop 1
	v_cndmask_b32_e64 v4, v4, v8, s[2:3]
	v_mul_f32_e32 v8, 0x4f800000, v3
	v_cmp_gt_f32_e64 s[2:3], s14, v3
	v_mul_f32_e32 v7, 0x37800000, v4
	v_cndmask_b32_e32 v4, v4, v7, vcc
	v_cndmask_b32_e64 v3, v3, v8, s[2:3]
	v_sqrt_f32_e32 v8, v3
	v_cmp_class_f32_e32 vcc, v5, v11
	s_nop 1
	v_cndmask_b32_e32 v15, v4, v5, vcc
	v_add_u32_e32 v4, -1, v8
	v_fma_f32 v5, -v4, v8, v3
	v_cmp_ge_f32_e32 vcc, 0, v5
	v_add_u32_e32 v5, 1, v8
	v_fma_f32 v7, -v5, v8, v3
	v_cndmask_b32_e32 v4, v8, v4, vcc
	v_cmp_lt_f32_e32 vcc, 0, v7
	s_nop 1
	v_cndmask_b32_e32 v4, v4, v5, vcc
	v_mul_f32_e32 v5, 0x37800000, v4
	v_cndmask_b32_e64 v4, v4, v5, s[2:3]
	v_cmp_class_f32_e32 vcc, v3, v11
	s_nop 1
	v_cndmask_b32_e32 v14, v4, v3, vcc
	scratch_store_dwordx4 off, v[12:15], off
	v_lshl_add_u64 v[4:5], v[0:1], 2, s[10:11]
	s_nop 0
	v_mov_b32_e32 v12, v1
	s_cbranch_scc1 .LBB78_29
; %bb.2:
	s_load_dwordx2 s[6:7], s[0:1], 0x20
	s_cmp_lt_u32 s20, 4
	v_and_b32_e32 v11, 3, v6
	s_cbranch_scc1 .LBB78_21
; %bb.3:
	v_lshlrev_b32_e32 v6, 2, v11
	s_mov_b32 s13, 0
	s_and_b32 s8, s20, 0x7ffffffc
	v_ashrrev_i32_e32 v3, 31, v2
	v_sub_u32_e32 v13, 0, v6
	v_mov_b32_e32 v12, 0
	s_mov_b32 s12, s13
	s_branch .LBB78_5
.LBB78_4:                               ;   in Loop: Header=BB78_5 Depth=1
	s_or_b64 exec, exec, s[14:15]
	s_add_i32 s12, s12, 4
	s_cmp_eq_u32 s12, s8
	s_cbranch_scc1 .LBB78_22
.LBB78_5:                               ; =>This Loop Header: Depth=1
                                        ;     Child Loop BB78_7 Depth 2
                                        ;     Child Loop BB78_11 Depth 2
	;; [unrolled: 1-line block ×4, first 2 shown]
	v_lshl_add_u64 v[6:7], s[12:13], 2, v[4:5]
	global_load_dword v14, v[6:7], off
	v_add_u32_e32 v8, s12, v2
	v_ashrrev_i32_e32 v9, 31, v8
	v_mov_b32_e32 v15, 0
	s_mov_b64 s[14:15], 0
	s_waitcnt lgkmcnt(0)
	v_lshl_add_u64 v[8:9], v[8:9], 2, s[6:7]
	s_mov_b32 s9, 0
	s_waitcnt vmcnt(0)
	v_add_u32_e32 v16, v13, v14
	s_branch .LBB78_7
.LBB78_6:                               ;   in Loop: Header=BB78_7 Depth=2
	s_or_b64 exec, exec, s[16:17]
	s_add_i32 s18, s9, 1
	s_cmp_gt_u32 s9, 2
	s_cselect_b64 s[2:3], -1, 0
	s_xor_b64 s[16:17], vcc, -1
	s_or_b64 s[2:3], s[16:17], s[2:3]
	s_and_b64 s[2:3], exec, s[2:3]
	v_add_u32_e32 v15, 4, v15
	s_or_b64 s[14:15], s[2:3], s[14:15]
	s_mov_b32 s9, s18
	s_andn2_b64 exec, exec, s[14:15]
	s_cbranch_execz .LBB78_9
.LBB78_7:                               ;   Parent Loop BB78_5 Depth=1
                                        ; =>  This Inner Loop Header: Depth=2
	v_cmp_ne_u32_e32 vcc, s9, v16
	v_cmp_eq_u32_e64 s[2:3], s9, v16
	s_and_saveexec_b64 s[16:17], s[2:3]
	s_cbranch_execz .LBB78_6
; %bb.8:                                ;   in Loop: Header=BB78_7 Depth=2
	scratch_load_dword v17, v15, off
	s_waitcnt vmcnt(0)
	v_add_f32_e32 v12, v12, v17
	global_store_dword v[8:9], v14, off
	s_branch .LBB78_6
.LBB78_9:                               ;   in Loop: Header=BB78_5 Depth=1
	s_or_b64 exec, exec, s[14:15]
	global_load_dword v14, v[6:7], off offset:4
	s_ashr_i32 s3, s12, 31
	s_mov_b32 s2, s12
	v_lshl_add_u64 v[8:9], s[2:3], 0, v[2:3]
	v_mov_b32_e32 v15, 0
	s_mov_b32 s9, 0
	v_lshl_add_u64 v[8:9], v[8:9], 2, s[6:7]
	s_mov_b64 s[14:15], 0
	s_waitcnt vmcnt(0)
	v_add_u32_e32 v16, v13, v14
	s_branch .LBB78_11
.LBB78_10:                              ;   in Loop: Header=BB78_11 Depth=2
	s_or_b64 exec, exec, s[16:17]
	s_add_i32 s18, s9, 1
	s_cmp_gt_u32 s9, 2
	s_cselect_b64 s[2:3], -1, 0
	s_xor_b64 s[16:17], vcc, -1
	s_or_b64 s[2:3], s[16:17], s[2:3]
	s_and_b64 s[2:3], exec, s[2:3]
	v_add_u32_e32 v15, 4, v15
	s_or_b64 s[14:15], s[2:3], s[14:15]
	s_mov_b32 s9, s18
	s_andn2_b64 exec, exec, s[14:15]
	s_cbranch_execz .LBB78_13
.LBB78_11:                              ;   Parent Loop BB78_5 Depth=1
                                        ; =>  This Inner Loop Header: Depth=2
	v_cmp_ne_u32_e32 vcc, s9, v16
	v_cmp_eq_u32_e64 s[2:3], s9, v16
	s_and_saveexec_b64 s[16:17], s[2:3]
	s_cbranch_execz .LBB78_10
; %bb.12:                               ;   in Loop: Header=BB78_11 Depth=2
	scratch_load_dword v17, v15, off
	s_waitcnt vmcnt(0)
	v_add_f32_e32 v12, v12, v17
	global_store_dword v[8:9], v14, off offset:4
	s_branch .LBB78_10
.LBB78_13:                              ;   in Loop: Header=BB78_5 Depth=1
	s_or_b64 exec, exec, s[14:15]
	global_load_dword v14, v[6:7], off offset:8
	v_mov_b32_e32 v15, 0
	s_mov_b32 s9, 0
	s_mov_b64 s[14:15], 0
	s_waitcnt vmcnt(0)
	v_add_u32_e32 v16, v13, v14
	s_branch .LBB78_15
.LBB78_14:                              ;   in Loop: Header=BB78_15 Depth=2
	s_or_b64 exec, exec, s[16:17]
	s_add_i32 s18, s9, 1
	s_cmp_gt_u32 s9, 2
	s_cselect_b64 s[2:3], -1, 0
	s_xor_b64 s[16:17], vcc, -1
	s_or_b64 s[2:3], s[16:17], s[2:3]
	s_and_b64 s[2:3], exec, s[2:3]
	v_add_u32_e32 v15, 4, v15
	s_or_b64 s[14:15], s[2:3], s[14:15]
	s_mov_b32 s9, s18
	s_andn2_b64 exec, exec, s[14:15]
	s_cbranch_execz .LBB78_17
.LBB78_15:                              ;   Parent Loop BB78_5 Depth=1
                                        ; =>  This Inner Loop Header: Depth=2
	v_cmp_ne_u32_e32 vcc, s9, v16
	v_cmp_eq_u32_e64 s[2:3], s9, v16
	s_and_saveexec_b64 s[16:17], s[2:3]
	s_cbranch_execz .LBB78_14
; %bb.16:                               ;   in Loop: Header=BB78_15 Depth=2
	scratch_load_dword v17, v15, off
	s_waitcnt vmcnt(0)
	v_add_f32_e32 v12, v12, v17
	global_store_dword v[8:9], v14, off offset:8
	s_branch .LBB78_14
.LBB78_17:                              ;   in Loop: Header=BB78_5 Depth=1
	s_or_b64 exec, exec, s[14:15]
	global_load_dword v6, v[6:7], off offset:12
	v_mov_b32_e32 v7, 0
	s_mov_b32 s9, 0
	s_mov_b64 s[14:15], 0
	s_waitcnt vmcnt(0)
	v_add_u32_e32 v14, v13, v6
	s_branch .LBB78_19
.LBB78_18:                              ;   in Loop: Header=BB78_19 Depth=2
	s_or_b64 exec, exec, s[16:17]
	s_add_i32 s18, s9, 1
	s_cmp_gt_u32 s9, 2
	s_cselect_b64 s[2:3], -1, 0
	s_xor_b64 s[16:17], vcc, -1
	s_or_b64 s[2:3], s[16:17], s[2:3]
	s_and_b64 s[2:3], exec, s[2:3]
	v_add_u32_e32 v7, 4, v7
	s_or_b64 s[14:15], s[2:3], s[14:15]
	s_mov_b32 s9, s18
	s_andn2_b64 exec, exec, s[14:15]
	s_cbranch_execz .LBB78_4
.LBB78_19:                              ;   Parent Loop BB78_5 Depth=1
                                        ; =>  This Inner Loop Header: Depth=2
	v_cmp_ne_u32_e32 vcc, s9, v14
	v_cmp_eq_u32_e64 s[2:3], s9, v14
	s_and_saveexec_b64 s[16:17], s[2:3]
	s_cbranch_execz .LBB78_18
; %bb.20:                               ;   in Loop: Header=BB78_19 Depth=2
	scratch_load_dword v15, v7, off
	s_waitcnt vmcnt(0)
	v_add_f32_e32 v12, v12, v15
	global_store_dword v[8:9], v6, off offset:12
	s_branch .LBB78_18
.LBB78_21:
	v_mov_b32_e32 v12, 0
.LBB78_22:
	s_and_b32 s16, s20, 3
	s_cmp_eq_u32 s16, 0
	s_mov_b32 s9, 0
	s_cbranch_scc1 .LBB78_29
; %bb.23:
	v_lshlrev_b32_e32 v3, 2, v11
	v_sub_u32_e32 v3, 0, v3
	s_mov_b32 s17, s9
	s_branch .LBB78_25
.LBB78_24:                              ;   in Loop: Header=BB78_25 Depth=1
	s_or_b64 exec, exec, s[12:13]
	s_add_i32 s8, s8, 1
	s_add_i32 s17, s17, 1
	s_cmp_lg_u32 s17, s16
	s_cbranch_scc0 .LBB78_29
.LBB78_25:                              ; =>This Loop Header: Depth=1
                                        ;     Child Loop BB78_27 Depth 2
	v_lshl_add_u64 v[6:7], s[8:9], 2, v[4:5]
	global_load_dword v8, v[6:7], off
	v_add_u32_e32 v6, s8, v2
	v_ashrrev_i32_e32 v7, 31, v6
	v_mov_b32_e32 v9, 0
	s_mov_b32 s18, 0
	s_waitcnt lgkmcnt(0)
	v_lshl_add_u64 v[6:7], v[6:7], 2, s[6:7]
	s_mov_b64 s[12:13], 0
	s_waitcnt vmcnt(0)
	v_add_u32_e32 v11, v3, v8
	s_branch .LBB78_27
.LBB78_26:                              ;   in Loop: Header=BB78_27 Depth=2
	s_or_b64 exec, exec, s[14:15]
	s_add_i32 s19, s18, 1
	s_cmp_gt_u32 s18, 2
	s_cselect_b64 s[2:3], -1, 0
	s_xor_b64 s[14:15], vcc, -1
	s_or_b64 s[2:3], s[14:15], s[2:3]
	s_and_b64 s[2:3], exec, s[2:3]
	v_add_u32_e32 v9, 4, v9
	s_or_b64 s[12:13], s[2:3], s[12:13]
	s_mov_b32 s18, s19
	s_andn2_b64 exec, exec, s[12:13]
	s_cbranch_execz .LBB78_24
.LBB78_27:                              ;   Parent Loop BB78_25 Depth=1
                                        ; =>  This Inner Loop Header: Depth=2
	v_cmp_ne_u32_e32 vcc, s18, v11
	v_cmp_eq_u32_e64 s[2:3], s18, v11
	s_and_saveexec_b64 s[14:15], s[2:3]
	s_cbranch_execz .LBB78_26
; %bb.28:                               ;   in Loop: Header=BB78_27 Depth=2
	scratch_load_dword v13, v9, off
	s_waitcnt vmcnt(0)
	v_add_f32_e32 v12, v12, v13
	global_store_dword v[6:7], v8, off
	s_branch .LBB78_26
.LBB78_29:
	s_waitcnt lgkmcnt(0)
	s_load_dword s6, s[0:1], 0x3c
	s_waitcnt lgkmcnt(0)
	s_bitcmp1_b32 s6, 0
	s_cselect_b64 s[2:3], -1, 0
	s_bitcmp0_b32 s6, 0
	s_cbranch_scc0 .LBB78_32
; %bb.30:
	s_load_dwordx2 s[6:7], s[0:1], 0x40
	s_andn2_b64 vcc, exec, s[2:3]
	s_waitcnt lgkmcnt(0)
	v_cvt_f32_f64_e32 v11, s[6:7]
	s_cbranch_vccz .LBB78_33
.LBB78_31:
	s_andn2_b64 vcc, exec, s[4:5]
	s_cbranch_vccz .LBB78_34
	s_branch .LBB78_80
.LBB78_32:
	v_mbcnt_lo_u32_b32 v3, -1, 0
	v_mbcnt_hi_u32_b32 v3, -1, v3
	v_and_b32_e32 v6, 0x7c, v3
	v_add_u32_e32 v6, 4, v6
	v_xor_b32_e32 v7, 2, v3
	v_cmp_lt_i32_e32 vcc, v7, v6
	v_xor_b32_e32 v8, 1, v3
	s_nop 0
	v_cndmask_b32_e32 v7, v3, v7, vcc
	v_lshlrev_b32_e32 v7, 2, v7
	ds_bpermute_b32 v7, v7, v12
	v_cmp_lt_i32_e32 vcc, v8, v6
	s_waitcnt lgkmcnt(0)
	v_add_f32_e32 v7, v12, v7
	v_cndmask_b32_e32 v3, v3, v8, vcc
	v_lshlrev_b32_e32 v3, 2, v3
	ds_bpermute_b32 v3, v3, v7
	s_waitcnt lgkmcnt(0)
	v_add_f32_e32 v12, v7, v3
	s_load_dwordx2 s[6:7], s[0:1], 0x40
	s_andn2_b64 vcc, exec, s[2:3]
	s_waitcnt lgkmcnt(0)
	v_cvt_f32_f64_e32 v11, s[6:7]
	s_cbranch_vccnz .LBB78_31
.LBB78_33:
	v_cmp_lt_f32_e32 vcc, 0, v12
	s_nop 1
	v_cndmask_b32_e32 v3, 1.0, v12, vcc
	v_div_scale_f32 v6, s[2:3], v3, v3, v11
	v_rcp_f32_e32 v7, v6
	s_nop 0
	v_fma_f32 v8, -v6, v7, 1.0
	v_fmac_f32_e32 v7, v8, v7
	v_div_scale_f32 v8, vcc, v11, v3, v11
	v_mul_f32_e32 v9, v8, v7
	v_fma_f32 v12, -v6, v9, v8
	v_fmac_f32_e32 v9, v12, v7
	v_fma_f32 v6, -v6, v9, v8
	v_div_fmas_f32 v6, v6, v7, v9
	v_div_fixup_f32 v11, v6, v3, v11
	s_andn2_b64 vcc, exec, s[4:5]
	s_cbranch_vccnz .LBB78_80
.LBB78_34:
	s_load_dwordx2 s[4:5], s[0:1], 0x10
	v_mov_b32_e32 v3, 0
	v_or_b32_e32 v12, 4, v3
	v_or_b32_e32 v13, 8, v3
	v_or_b32_e32 v14, 12, v3
	v_or_b32_e32 v15, 1, v10
	v_or_b32_e32 v16, 2, v10
	v_or_b32_e32 v17, 3, v10
	s_cmp_lt_u32 s20, 4
	s_mov_b32 s6, 0
	s_cbranch_scc1 .LBB78_69
; %bb.35:
	v_ashrrev_i32_e32 v3, 31, v2
	s_and_b32 s6, s20, 0x7ffffffc
	s_waitcnt lgkmcnt(0)
	v_lshl_add_u64 v[6:7], v[2:3], 2, s[4:5]
	s_mov_b32 s7, 0
	s_mov_b64 s[8:9], 0
	s_branch .LBB78_37
.LBB78_36:                              ;   in Loop: Header=BB78_37 Depth=1
	s_or_b64 exec, exec, s[2:3]
	s_add_i32 s7, s7, 4
	s_add_u32 s8, s8, 16
	s_addc_u32 s9, s9, 0
	s_cmp_eq_u32 s6, s7
	s_cbranch_scc1 .LBB78_69
.LBB78_37:                              ; =>This Inner Loop Header: Depth=1
	v_lshl_add_u64 v[8:9], v[4:5], 0, s[8:9]
	global_load_dword v18, v[8:9], off
	v_mov_b32_e32 v3, 0
	s_waitcnt vmcnt(0)
	v_cmp_eq_u32_e32 vcc, v18, v10
	v_cmp_ne_u32_e64 s[0:1], v18, v10
	s_and_saveexec_b64 s[12:13], s[0:1]
	s_cbranch_execz .LBB78_43
; %bb.38:                               ;   in Loop: Header=BB78_37 Depth=1
	v_cmp_eq_u32_e64 s[0:1], v18, v15
	v_cmp_ne_u32_e64 s[2:3], v18, v15
	v_mov_b32_e32 v3, v12
	s_and_saveexec_b64 s[14:15], s[2:3]
	s_cbranch_execz .LBB78_42
; %bb.39:                               ;   in Loop: Header=BB78_37 Depth=1
	v_cmp_eq_u32_e64 s[16:17], v18, v16
	v_cmp_ne_u32_e64 s[2:3], v18, v16
	v_mov_b32_e32 v3, v13
	s_and_saveexec_b64 s[18:19], s[2:3]
	s_xor_b64 s[18:19], exec, s[18:19]
; %bb.40:                               ;   in Loop: Header=BB78_37 Depth=1
	v_cmp_eq_u32_e64 s[2:3], v18, v17
	s_andn2_b64 s[16:17], s[16:17], exec
	s_and_b64 s[2:3], s[2:3], exec
	s_or_b64 s[16:17], s[16:17], s[2:3]
	v_mov_b32_e32 v3, v14
; %bb.41:                               ;   in Loop: Header=BB78_37 Depth=1
	s_or_b64 exec, exec, s[18:19]
	s_andn2_b64 s[0:1], s[0:1], exec
	s_and_b64 s[2:3], s[16:17], exec
	s_or_b64 s[0:1], s[0:1], s[2:3]
.LBB78_42:                              ;   in Loop: Header=BB78_37 Depth=1
	s_or_b64 exec, exec, s[14:15]
	s_andn2_b64 s[2:3], vcc, exec
	s_and_b64 s[0:1], s[0:1], exec
	s_or_b64 vcc, s[2:3], s[0:1]
.LBB78_43:                              ;   in Loop: Header=BB78_37 Depth=1
	s_or_b64 exec, exec, s[12:13]
	s_and_saveexec_b64 s[0:1], vcc
	s_cbranch_execz .LBB78_45
; %bb.44:                               ;   in Loop: Header=BB78_37 Depth=1
	scratch_load_dword v3, v3, off
	v_add_u32_e32 v18, s7, v2
	v_ashrrev_i32_e32 v19, 31, v18
	v_lshl_add_u64 v[18:19], v[18:19], 2, s[4:5]
	s_waitcnt vmcnt(0)
	v_mul_f32_e32 v3, v11, v3
	global_store_dword v[18:19], v3, off
.LBB78_45:                              ;   in Loop: Header=BB78_37 Depth=1
	s_or_b64 exec, exec, s[0:1]
	global_load_dword v18, v[8:9], off offset:4
	v_mov_b32_e32 v3, 0
	s_waitcnt vmcnt(0)
	v_cmp_eq_u32_e64 s[0:1], v18, v10
	v_cmp_ne_u32_e32 vcc, v18, v10
	s_and_saveexec_b64 s[2:3], vcc
	s_cbranch_execz .LBB78_51
; %bb.46:                               ;   in Loop: Header=BB78_37 Depth=1
	v_cmp_eq_u32_e64 s[12:13], v18, v15
	v_cmp_ne_u32_e32 vcc, v18, v15
	v_mov_b32_e32 v3, v12
	s_and_saveexec_b64 s[14:15], vcc
	s_cbranch_execz .LBB78_50
; %bb.47:                               ;   in Loop: Header=BB78_37 Depth=1
	v_cmp_eq_u32_e64 s[16:17], v18, v16
	v_cmp_ne_u32_e32 vcc, v18, v16
	v_mov_b32_e32 v3, v13
	s_and_saveexec_b64 s[18:19], vcc
; %bb.48:                               ;   in Loop: Header=BB78_37 Depth=1
	v_cmp_eq_u32_e32 vcc, v18, v17
	s_andn2_b64 s[16:17], s[16:17], exec
	s_and_b64 s[22:23], vcc, exec
	s_or_b64 s[16:17], s[16:17], s[22:23]
	v_mov_b32_e32 v3, v14
; %bb.49:                               ;   in Loop: Header=BB78_37 Depth=1
	s_or_b64 exec, exec, s[18:19]
	s_andn2_b64 s[12:13], s[12:13], exec
	s_and_b64 s[16:17], s[16:17], exec
	s_or_b64 s[12:13], s[12:13], s[16:17]
.LBB78_50:                              ;   in Loop: Header=BB78_37 Depth=1
	s_or_b64 exec, exec, s[14:15]
	s_andn2_b64 s[0:1], s[0:1], exec
	s_and_b64 s[12:13], s[12:13], exec
	s_or_b64 s[0:1], s[0:1], s[12:13]
.LBB78_51:                              ;   in Loop: Header=BB78_37 Depth=1
	s_or_b64 exec, exec, s[2:3]
	s_and_saveexec_b64 s[2:3], s[0:1]
	s_cbranch_execz .LBB78_53
; %bb.52:                               ;   in Loop: Header=BB78_37 Depth=1
	scratch_load_dword v3, v3, off
	v_lshl_add_u64 v[18:19], v[6:7], 0, s[8:9]
	s_waitcnt vmcnt(0)
	v_mul_f32_e32 v3, v11, v3
	global_store_dword v[18:19], v3, off offset:4
.LBB78_53:                              ;   in Loop: Header=BB78_37 Depth=1
	s_or_b64 exec, exec, s[2:3]
	global_load_dword v18, v[8:9], off offset:8
	v_mov_b32_e32 v3, 0
	s_waitcnt vmcnt(0)
	v_cmp_eq_u32_e64 s[0:1], v18, v10
	v_cmp_ne_u32_e32 vcc, v18, v10
	s_and_saveexec_b64 s[2:3], vcc
	s_cbranch_execz .LBB78_59
; %bb.54:                               ;   in Loop: Header=BB78_37 Depth=1
	v_cmp_eq_u32_e64 s[12:13], v18, v15
	v_cmp_ne_u32_e32 vcc, v18, v15
	v_mov_b32_e32 v3, v12
	s_and_saveexec_b64 s[14:15], vcc
	s_cbranch_execz .LBB78_58
; %bb.55:                               ;   in Loop: Header=BB78_37 Depth=1
	v_cmp_eq_u32_e64 s[16:17], v18, v16
	v_cmp_ne_u32_e32 vcc, v18, v16
	v_mov_b32_e32 v3, v13
	s_and_saveexec_b64 s[18:19], vcc
; %bb.56:                               ;   in Loop: Header=BB78_37 Depth=1
	v_cmp_eq_u32_e32 vcc, v18, v17
	s_andn2_b64 s[16:17], s[16:17], exec
	s_and_b64 s[22:23], vcc, exec
	s_or_b64 s[16:17], s[16:17], s[22:23]
	v_mov_b32_e32 v3, v14
; %bb.57:                               ;   in Loop: Header=BB78_37 Depth=1
	s_or_b64 exec, exec, s[18:19]
	s_andn2_b64 s[12:13], s[12:13], exec
	s_and_b64 s[16:17], s[16:17], exec
	s_or_b64 s[12:13], s[12:13], s[16:17]
.LBB78_58:                              ;   in Loop: Header=BB78_37 Depth=1
	s_or_b64 exec, exec, s[14:15]
	s_andn2_b64 s[0:1], s[0:1], exec
	s_and_b64 s[12:13], s[12:13], exec
	s_or_b64 s[0:1], s[0:1], s[12:13]
.LBB78_59:                              ;   in Loop: Header=BB78_37 Depth=1
	s_or_b64 exec, exec, s[2:3]
	s_and_saveexec_b64 s[2:3], s[0:1]
	s_cbranch_execz .LBB78_61
; %bb.60:                               ;   in Loop: Header=BB78_37 Depth=1
	scratch_load_dword v3, v3, off
	v_lshl_add_u64 v[18:19], v[6:7], 0, s[8:9]
	s_waitcnt vmcnt(0)
	v_mul_f32_e32 v3, v11, v3
	global_store_dword v[18:19], v3, off offset:8
.LBB78_61:                              ;   in Loop: Header=BB78_37 Depth=1
	s_or_b64 exec, exec, s[2:3]
	global_load_dword v8, v[8:9], off offset:12
	v_mov_b32_e32 v3, 0
	s_waitcnt vmcnt(0)
	v_cmp_eq_u32_e64 s[0:1], v8, v10
	v_cmp_ne_u32_e32 vcc, v8, v10
	s_and_saveexec_b64 s[2:3], vcc
	s_cbranch_execz .LBB78_67
; %bb.62:                               ;   in Loop: Header=BB78_37 Depth=1
	v_cmp_eq_u32_e64 s[12:13], v8, v15
	v_cmp_ne_u32_e32 vcc, v8, v15
	v_mov_b32_e32 v3, v12
	s_and_saveexec_b64 s[14:15], vcc
	s_cbranch_execz .LBB78_66
; %bb.63:                               ;   in Loop: Header=BB78_37 Depth=1
	v_cmp_eq_u32_e64 s[16:17], v8, v16
	v_cmp_ne_u32_e32 vcc, v8, v16
	v_mov_b32_e32 v3, v13
	s_and_saveexec_b64 s[18:19], vcc
; %bb.64:                               ;   in Loop: Header=BB78_37 Depth=1
	v_cmp_eq_u32_e32 vcc, v8, v17
	s_andn2_b64 s[16:17], s[16:17], exec
	s_and_b64 s[22:23], vcc, exec
	s_or_b64 s[16:17], s[16:17], s[22:23]
	v_mov_b32_e32 v3, v14
; %bb.65:                               ;   in Loop: Header=BB78_37 Depth=1
	s_or_b64 exec, exec, s[18:19]
	s_andn2_b64 s[12:13], s[12:13], exec
	s_and_b64 s[16:17], s[16:17], exec
	s_or_b64 s[12:13], s[12:13], s[16:17]
.LBB78_66:                              ;   in Loop: Header=BB78_37 Depth=1
	s_or_b64 exec, exec, s[14:15]
	s_andn2_b64 s[0:1], s[0:1], exec
	s_and_b64 s[12:13], s[12:13], exec
	s_or_b64 s[0:1], s[0:1], s[12:13]
.LBB78_67:                              ;   in Loop: Header=BB78_37 Depth=1
	s_or_b64 exec, exec, s[2:3]
	s_and_saveexec_b64 s[2:3], s[0:1]
	s_cbranch_execz .LBB78_36
; %bb.68:                               ;   in Loop: Header=BB78_37 Depth=1
	scratch_load_dword v3, v3, off
	v_lshl_add_u64 v[8:9], v[6:7], 0, s[8:9]
	s_waitcnt vmcnt(0)
	v_mul_f32_e32 v3, v11, v3
	global_store_dword v[8:9], v3, off offset:12
	s_branch .LBB78_36
.LBB78_69:
	s_and_b32 s14, s20, 3
	s_cmp_eq_u32 s14, 0
	s_mov_b32 s7, 0
	s_cbranch_scc1 .LBB78_80
; %bb.70:
	s_lshl_b64 s[0:1], s[6:7], 2
	s_add_u32 s0, s10, s0
	s_addc_u32 s1, s11, s1
	v_add_u32_e32 v2, s6, v2
	v_lshl_add_u64 v[0:1], v[0:1], 2, s[0:1]
	s_branch .LBB78_72
.LBB78_71:                              ;   in Loop: Header=BB78_72 Depth=1
	s_or_b64 exec, exec, s[2:3]
	s_add_i32 s14, s14, -1
	v_add_u32_e32 v2, 1, v2
	s_cmp_lg_u32 s14, 0
	v_lshl_add_u64 v[0:1], v[0:1], 0, 4
	s_cbranch_scc0 .LBB78_80
.LBB78_72:                              ; =>This Inner Loop Header: Depth=1
	global_load_dword v4, v[0:1], off
	v_mov_b32_e32 v3, 0
	s_waitcnt vmcnt(0)
	v_cmp_eq_u32_e64 s[0:1], v4, v10
	v_cmp_ne_u32_e32 vcc, v4, v10
	s_and_saveexec_b64 s[2:3], vcc
	s_cbranch_execz .LBB78_78
; %bb.73:                               ;   in Loop: Header=BB78_72 Depth=1
	v_cmp_eq_u32_e64 s[6:7], v4, v15
	v_cmp_ne_u32_e32 vcc, v4, v15
	v_mov_b32_e32 v3, v12
	s_and_saveexec_b64 s[8:9], vcc
	s_cbranch_execz .LBB78_77
; %bb.74:                               ;   in Loop: Header=BB78_72 Depth=1
	v_cmp_eq_u32_e64 s[10:11], v4, v16
	v_cmp_ne_u32_e32 vcc, v4, v16
	v_mov_b32_e32 v3, v13
	s_and_saveexec_b64 s[12:13], vcc
; %bb.75:                               ;   in Loop: Header=BB78_72 Depth=1
	v_cmp_eq_u32_e32 vcc, v4, v17
	s_andn2_b64 s[10:11], s[10:11], exec
	s_and_b64 s[16:17], vcc, exec
	s_or_b64 s[10:11], s[10:11], s[16:17]
	v_mov_b32_e32 v3, v14
; %bb.76:                               ;   in Loop: Header=BB78_72 Depth=1
	s_or_b64 exec, exec, s[12:13]
	s_andn2_b64 s[6:7], s[6:7], exec
	s_and_b64 s[10:11], s[10:11], exec
	s_or_b64 s[6:7], s[6:7], s[10:11]
.LBB78_77:                              ;   in Loop: Header=BB78_72 Depth=1
	s_or_b64 exec, exec, s[8:9]
	s_andn2_b64 s[0:1], s[0:1], exec
	s_and_b64 s[6:7], s[6:7], exec
	s_or_b64 s[0:1], s[0:1], s[6:7]
.LBB78_78:                              ;   in Loop: Header=BB78_72 Depth=1
	s_or_b64 exec, exec, s[2:3]
	s_and_saveexec_b64 s[2:3], s[0:1]
	s_cbranch_execz .LBB78_71
; %bb.79:                               ;   in Loop: Header=BB78_72 Depth=1
	scratch_load_dword v4, v3, off
	v_ashrrev_i32_e32 v3, 31, v2
	s_waitcnt vmcnt(0)
	v_mul_f32_e32 v6, v11, v4
	s_waitcnt lgkmcnt(0)
	v_lshl_add_u64 v[4:5], v[2:3], 2, s[4:5]
	global_store_dword v[4:5], v6, off
	s_branch .LBB78_71
.LBB78_80:
	s_endpgm
	.section	.rodata,"a",@progbits
	.p2align	6, 0x0
	.amdhsa_kernel _ZN4vllm3moe22topkGatingSoftplusSqrtILi4ELi16ELi4ELi16ELi32ELb1EjfEEvPKT6_PKbPfiPT5_PiiiibdPKfPKS8_SE_
		.amdhsa_group_segment_fixed_size 0
		.amdhsa_private_segment_fixed_size 32
		.amdhsa_kernarg_size 96
		.amdhsa_user_sgpr_count 2
		.amdhsa_user_sgpr_dispatch_ptr 0
		.amdhsa_user_sgpr_queue_ptr 0
		.amdhsa_user_sgpr_kernarg_segment_ptr 1
		.amdhsa_user_sgpr_dispatch_id 0
		.amdhsa_user_sgpr_kernarg_preload_length 0
		.amdhsa_user_sgpr_kernarg_preload_offset 0
		.amdhsa_user_sgpr_private_segment_size 0
		.amdhsa_uses_dynamic_stack 0
		.amdhsa_enable_private_segment 1
		.amdhsa_system_sgpr_workgroup_id_x 1
		.amdhsa_system_sgpr_workgroup_id_y 0
		.amdhsa_system_sgpr_workgroup_id_z 0
		.amdhsa_system_sgpr_workgroup_info 0
		.amdhsa_system_vgpr_workitem_id 1
		.amdhsa_next_free_vgpr 23
		.amdhsa_next_free_sgpr 24
		.amdhsa_accum_offset 24
		.amdhsa_reserve_vcc 1
		.amdhsa_float_round_mode_32 0
		.amdhsa_float_round_mode_16_64 0
		.amdhsa_float_denorm_mode_32 3
		.amdhsa_float_denorm_mode_16_64 3
		.amdhsa_dx10_clamp 1
		.amdhsa_ieee_mode 1
		.amdhsa_fp16_overflow 0
		.amdhsa_tg_split 0
		.amdhsa_exception_fp_ieee_invalid_op 0
		.amdhsa_exception_fp_denorm_src 0
		.amdhsa_exception_fp_ieee_div_zero 0
		.amdhsa_exception_fp_ieee_overflow 0
		.amdhsa_exception_fp_ieee_underflow 0
		.amdhsa_exception_fp_ieee_inexact 0
		.amdhsa_exception_int_div_zero 0
	.end_amdhsa_kernel
	.section	.text._ZN4vllm3moe22topkGatingSoftplusSqrtILi4ELi16ELi4ELi16ELi32ELb1EjfEEvPKT6_PKbPfiPT5_PiiiibdPKfPKS8_SE_,"axG",@progbits,_ZN4vllm3moe22topkGatingSoftplusSqrtILi4ELi16ELi4ELi16ELi32ELb1EjfEEvPKT6_PKbPfiPT5_PiiiibdPKfPKS8_SE_,comdat
.Lfunc_end78:
	.size	_ZN4vllm3moe22topkGatingSoftplusSqrtILi4ELi16ELi4ELi16ELi32ELb1EjfEEvPKT6_PKbPfiPT5_PiiiibdPKfPKS8_SE_, .Lfunc_end78-_ZN4vllm3moe22topkGatingSoftplusSqrtILi4ELi16ELi4ELi16ELi32ELb1EjfEEvPKT6_PKbPfiPT5_PiiiibdPKfPKS8_SE_
                                        ; -- End function
	.section	.AMDGPU.csdata,"",@progbits
; Kernel info:
; codeLenInByte = 3408
; NumSgprs: 30
; NumVgprs: 23
; NumAgprs: 0
; TotalNumVgprs: 23
; ScratchSize: 32
; MemoryBound: 0
; FloatMode: 240
; IeeeMode: 1
; LDSByteSize: 0 bytes/workgroup (compile time only)
; SGPRBlocks: 3
; VGPRBlocks: 2
; NumSGPRsForWavesPerEU: 30
; NumVGPRsForWavesPerEU: 23
; AccumOffset: 24
; Occupancy: 8
; WaveLimiterHint : 1
; COMPUTE_PGM_RSRC2:SCRATCH_EN: 1
; COMPUTE_PGM_RSRC2:USER_SGPR: 2
; COMPUTE_PGM_RSRC2:TRAP_HANDLER: 0
; COMPUTE_PGM_RSRC2:TGID_X_EN: 1
; COMPUTE_PGM_RSRC2:TGID_Y_EN: 0
; COMPUTE_PGM_RSRC2:TGID_Z_EN: 0
; COMPUTE_PGM_RSRC2:TIDIG_COMP_CNT: 1
; COMPUTE_PGM_RSRC3_GFX90A:ACCUM_OFFSET: 5
; COMPUTE_PGM_RSRC3_GFX90A:TG_SPLIT: 0
	.section	.text._ZN4vllm3moe22topkGatingSoftplusSqrtILi4ELi16ELi4ELi16ELi32ELb0EjfEEvPKT6_PKbPfiPT5_PiiiibdPKfPKS8_SE_,"axG",@progbits,_ZN4vllm3moe22topkGatingSoftplusSqrtILi4ELi16ELi4ELi16ELi32ELb0EjfEEvPKT6_PKbPfiPT5_PiiiibdPKfPKS8_SE_,comdat
	.protected	_ZN4vllm3moe22topkGatingSoftplusSqrtILi4ELi16ELi4ELi16ELi32ELb0EjfEEvPKT6_PKbPfiPT5_PiiiibdPKfPKS8_SE_ ; -- Begin function _ZN4vllm3moe22topkGatingSoftplusSqrtILi4ELi16ELi4ELi16ELi32ELb0EjfEEvPKT6_PKbPfiPT5_PiiiibdPKfPKS8_SE_
	.globl	_ZN4vllm3moe22topkGatingSoftplusSqrtILi4ELi16ELi4ELi16ELi32ELb0EjfEEvPKT6_PKbPfiPT5_PiiiibdPKfPKS8_SE_
	.p2align	8
	.type	_ZN4vllm3moe22topkGatingSoftplusSqrtILi4ELi16ELi4ELi16ELi32ELb0EjfEEvPKT6_PKbPfiPT5_PiiiibdPKfPKS8_SE_,@function
_ZN4vllm3moe22topkGatingSoftplusSqrtILi4ELi16ELi4ELi16ELi32ELb0EjfEEvPKT6_PKbPfiPT5_PiiiibdPKfPKS8_SE_: ; @_ZN4vllm3moe22topkGatingSoftplusSqrtILi4ELi16ELi4ELi16ELi32ELb0EjfEEvPKT6_PKbPfiPT5_PiiiibdPKfPKS8_SE_
; %bb.0:
	s_load_dword s30, s[2:3], 0x18
	v_and_b32_e32 v1, 0x3ff, v0
	v_bfe_u32 v4, v0, 10, 10
	s_lshl_b32 s4, s4, 5
	v_lshlrev_b32_e32 v2, 3, v4
	v_lshrrev_b32_e32 v3, 2, v1
	v_add3_u32 v2, s4, v2, v3
	s_waitcnt lgkmcnt(0)
	v_cmp_gt_i32_e32 vcc, s30, v2
	s_and_saveexec_b64 s[4:5], vcc
	s_cbranch_execz .LBB79_43
; %bb.1:
	s_load_dwordx4 s[4:7], s[2:3], 0x0
	s_load_dwordx2 s[20:21], s[2:3], 0x10
	s_waitcnt lgkmcnt(0)
	s_cmp_eq_u64 s[6:7], 0
	s_cbranch_scc1 .LBB79_3
; %bb.2:
	v_ashrrev_i32_e32 v3, 31, v2
	v_lshl_add_u64 v[6:7], s[6:7], 0, v[2:3]
	global_load_ubyte v3, v[6:7], off
	s_waitcnt vmcnt(0)
	v_and_b32_e32 v3, 1, v3
	v_cmp_eq_u32_e32 vcc, 1, v3
	s_xor_b64 s[6:7], vcc, -1
	s_orn2_b64 s[22:23], s[6:7], exec
	s_branch .LBB79_4
.LBB79_3:
	s_mov_b64 s[22:23], -1
.LBB79_4:
	v_lshlrev_b32_e32 v8, 4, v2
	v_mov_b32_e32 v6, s4
	v_mov_b32_e32 v7, s5
	v_ashrrev_i32_e32 v9, 31, v8
	v_and_b32_e32 v3, 3, v1
	v_lshl_add_u64 v[6:7], v[8:9], 2, v[6:7]
	v_mov_b32_e32 v9, 0
	v_lshlrev_b32_e32 v8, 4, v3
	v_lshl_add_u64 v[6:7], v[6:7], 0, v[8:9]
	global_load_dwordx4 v[6:9], v[6:7], off
	s_load_dwordx2 s[4:5], s[0:1], 0x4
	s_load_dwordx4 s[8:11], s[2:3], 0x40
	v_bfe_u32 v0, v0, 20, 10
	s_mov_b32 s16, 0x800000
	s_mov_b32 s13, 0x3f317217
	s_waitcnt lgkmcnt(0)
	s_lshr_b32 s0, s4, 16
	v_mul_u32_u24_e32 v4, s5, v4
	s_mul_i32 s0, s0, s5
	v_mad_u32_u24 v1, s0, v1, v4
	v_add_lshl_u32 v4, v1, v0, 4
	s_mov_b32 s14, 0x7f800000
	s_mov_b32 s12, 0x41a00000
	;; [unrolled: 1-line block ×3, first 2 shown]
	s_cmp_lg_u64 s[10:11], 0
	v_mov_b32_e32 v1, 0x260
	s_cselect_b64 s[6:7], -1, 0
	s_and_b64 s[0:1], exec, s[6:7]
	s_waitcnt vmcnt(0)
	ds_write_b128 v4, v[6:9]
	ds_read_b32 v8, v4
	v_mov_b32_e32 v6, 0x4f800000
	v_mov_b32_e32 v7, 0x41b17218
	s_waitcnt lgkmcnt(0)
	v_mul_f32_e32 v0, 0x3fb8aa3b, v8
	v_exp_f32_e32 v0, v0
	s_nop 0
	v_add_f32_e32 v0, 1.0, v0
	v_cmp_gt_f32_e32 vcc, s16, v0
	s_nop 1
	v_cndmask_b32_e32 v5, 1.0, v6, vcc
	v_mul_f32_e32 v0, v0, v5
	v_log_f32_e32 v9, v0
	v_cndmask_b32_e32 v10, 0, v7, vcc
	v_lshlrev_b32_e32 v5, 2, v3
	v_lshlrev_b32_e32 v0, 2, v5
	v_mul_f32_e32 v11, 0x3f317217, v9
	v_fma_f32 v11, v9, s13, -v11
	v_fmac_f32_e32 v11, 0x3377d1cf, v9
	v_fmac_f32_e32 v11, 0x3f317217, v9
	v_cmp_lt_f32_e64 vcc, |v9|, s14
	s_nop 1
	v_cndmask_b32_e32 v9, v9, v11, vcc
	v_sub_f32_e32 v9, v9, v10
	v_cmp_lt_f32_e32 vcc, s12, v8
	s_nop 1
	v_cndmask_b32_e32 v8, v9, v8, vcc
	v_mul_f32_e32 v9, 0x4f800000, v8
	v_cmp_gt_f32_e32 vcc, s15, v8
	s_nop 1
	v_cndmask_b32_e32 v8, v8, v9, vcc
	v_sqrt_f32_e32 v9, v8
	s_nop 0
	v_add_u32_e32 v10, -1, v9
	v_add_u32_e32 v11, 1, v9
	v_fma_f32 v12, -v10, v9, v8
	v_fma_f32 v13, -v11, v9, v8
	v_cmp_ge_f32_e64 s[4:5], 0, v12
	s_nop 1
	v_cndmask_b32_e64 v9, v9, v10, s[4:5]
	v_cmp_lt_f32_e64 s[4:5], 0, v13
	s_nop 1
	v_cndmask_b32_e64 v9, v9, v11, s[4:5]
	v_mul_f32_e32 v10, 0x37800000, v9
	v_cndmask_b32_e32 v9, v9, v10, vcc
	v_cmp_class_f32_e32 vcc, v8, v1
	s_nop 1
	v_cndmask_b32_e32 v8, v9, v8, vcc
	s_mov_b64 vcc, s[0:1]
	s_cbranch_vccz .LBB79_6
; %bb.5:
	global_load_dword v9, v0, s[10:11]
	s_waitcnt vmcnt(0)
	v_add_f32_e32 v8, v8, v9
.LBB79_6:
	ds_read_b32 v9, v4 offset:4
	ds_write_b32 v4, v8
	s_waitcnt lgkmcnt(1)
	v_mul_f32_e32 v10, 0x3fb8aa3b, v9
	v_exp_f32_e32 v10, v10
	s_nop 0
	v_add_f32_e32 v10, 1.0, v10
	v_cmp_gt_f32_e32 vcc, s16, v10
	s_nop 1
	v_cndmask_b32_e32 v6, 1.0, v6, vcc
	v_mul_f32_e32 v6, v10, v6
	v_log_f32_e32 v6, v6
	v_cndmask_b32_e32 v7, 0, v7, vcc
	v_mul_f32_e32 v8, 0x3f317217, v6
	v_fma_f32 v8, v6, s13, -v8
	v_fmac_f32_e32 v8, 0x3377d1cf, v6
	v_fmac_f32_e32 v8, 0x3f317217, v6
	v_cmp_lt_f32_e64 vcc, |v6|, s14
	s_nop 1
	v_cndmask_b32_e32 v6, v6, v8, vcc
	v_sub_f32_e32 v6, v6, v7
	v_cmp_lt_f32_e32 vcc, s12, v9
	v_cndmask_b32_e64 v8, 0, 1, s[6:7]
	v_cmp_ne_u32_e64 s[0:1], 1, v8
	v_cndmask_b32_e32 v6, v6, v9, vcc
	v_mul_f32_e32 v7, 0x4f800000, v6
	v_cmp_gt_f32_e64 s[4:5], s15, v6
	s_andn2_b64 vcc, exec, s[6:7]
	s_nop 0
	v_cndmask_b32_e64 v6, v6, v7, s[4:5]
	v_sqrt_f32_e32 v7, v6
	s_nop 0
	v_add_u32_e32 v8, -1, v7
	v_add_u32_e32 v9, 1, v7
	v_fma_f32 v10, -v8, v7, v6
	v_fma_f32 v11, -v9, v7, v6
	v_cmp_ge_f32_e64 s[6:7], 0, v10
	s_nop 1
	v_cndmask_b32_e64 v7, v7, v8, s[6:7]
	v_cmp_lt_f32_e64 s[6:7], 0, v11
	s_nop 1
	v_cndmask_b32_e64 v7, v7, v9, s[6:7]
	v_mul_f32_e32 v8, 0x37800000, v7
	v_cndmask_b32_e64 v7, v7, v8, s[4:5]
	v_cmp_class_f32_e64 s[4:5], v6, v1
	s_nop 1
	v_cndmask_b32_e64 v1, v7, v6, s[4:5]
	s_cbranch_vccnz .LBB79_8
; %bb.7:
	global_load_dword v6, v0, s[10:11] offset:4
	s_waitcnt vmcnt(0)
	v_add_f32_e32 v1, v1, v6
.LBB79_8:
	ds_read_b32 v8, v4 offset:8
	s_mov_b32 s12, 0x800000
	s_mov_b32 s7, 0x3f317217
	;; [unrolled: 1-line block ×4, first 2 shown]
	s_waitcnt lgkmcnt(0)
	v_mul_f32_e32 v6, 0x3fb8aa3b, v8
	v_exp_f32_e32 v7, v6
	v_mov_b32_e32 v6, 0x4f800000
	s_mov_b32 s14, 0xf800000
	ds_write_b32 v4, v1 offset:4
	v_add_f32_e32 v7, 1.0, v7
	v_cmp_gt_f32_e32 vcc, s12, v7
	s_nop 1
	v_cndmask_b32_e32 v9, 1.0, v6, vcc
	v_mul_f32_e32 v7, v7, v9
	v_log_f32_e32 v9, v7
	v_mov_b32_e32 v7, 0x41b17218
	v_cndmask_b32_e32 v10, 0, v7, vcc
	v_mul_f32_e32 v11, 0x3f317217, v9
	v_fma_f32 v11, v9, s7, -v11
	v_fmac_f32_e32 v11, 0x3377d1cf, v9
	v_fmac_f32_e32 v11, 0x3f317217, v9
	v_cmp_lt_f32_e64 vcc, |v9|, s13
	s_nop 1
	v_cndmask_b32_e32 v9, v9, v11, vcc
	v_sub_f32_e32 v9, v9, v10
	v_cmp_lt_f32_e32 vcc, s6, v8
	s_nop 1
	v_cndmask_b32_e32 v8, v9, v8, vcc
	v_mul_f32_e32 v9, 0x4f800000, v8
	v_cmp_gt_f32_e32 vcc, s14, v8
	s_nop 1
	v_cndmask_b32_e32 v8, v8, v9, vcc
	v_sqrt_f32_e32 v9, v8
	s_nop 0
	v_add_u32_e32 v1, -1, v9
	v_fma_f32 v10, -v1, v9, v8
	v_cmp_ge_f32_e64 s[4:5], 0, v10
	v_add_u32_e32 v10, 1, v9
	s_nop 0
	v_cndmask_b32_e64 v1, v9, v1, s[4:5]
	v_fma_f32 v9, -v10, v9, v8
	v_cmp_lt_f32_e64 s[4:5], 0, v9
	s_nop 1
	v_cndmask_b32_e64 v1, v1, v10, s[4:5]
	v_mul_f32_e32 v9, 0x37800000, v1
	v_cndmask_b32_e32 v9, v1, v9, vcc
	v_mov_b32_e32 v1, 0x260
	v_cmp_class_f32_e64 s[4:5], v8, v1
	s_and_b64 vcc, exec, s[0:1]
	s_nop 0
	v_cndmask_b32_e64 v8, v9, v8, s[4:5]
	s_cbranch_vccnz .LBB79_10
; %bb.9:
	global_load_dword v9, v0, s[10:11] offset:8
	s_waitcnt vmcnt(0)
	v_add_f32_e32 v8, v8, v9
.LBB79_10:
	ds_read_b32 v9, v4 offset:12
	ds_write_b32 v4, v8 offset:8
	s_waitcnt lgkmcnt(1)
	v_mul_f32_e32 v10, 0x3fb8aa3b, v9
	v_exp_f32_e32 v10, v10
	s_nop 0
	v_add_f32_e32 v10, 1.0, v10
	v_cmp_gt_f32_e32 vcc, s12, v10
	s_nop 1
	v_cndmask_b32_e32 v6, 1.0, v6, vcc
	v_mul_f32_e32 v6, v10, v6
	v_log_f32_e32 v6, v6
	v_cndmask_b32_e32 v7, 0, v7, vcc
	v_mul_f32_e32 v10, 0x3f317217, v6
	v_fma_f32 v10, v6, s7, -v10
	v_fmac_f32_e32 v10, 0x3377d1cf, v6
	v_fmac_f32_e32 v10, 0x3f317217, v6
	v_cmp_lt_f32_e64 vcc, |v6|, s13
	s_nop 1
	v_cndmask_b32_e32 v6, v6, v10, vcc
	v_sub_f32_e32 v6, v6, v7
	v_cmp_lt_f32_e32 vcc, s6, v9
	s_nop 1
	v_cndmask_b32_e32 v6, v6, v9, vcc
	v_mul_f32_e32 v7, 0x4f800000, v6
	v_cmp_gt_f32_e64 s[4:5], s14, v6
	s_and_b64 vcc, exec, s[0:1]
	s_nop 0
	v_cndmask_b32_e64 v6, v6, v7, s[4:5]
	v_sqrt_f32_e32 v7, v6
	s_nop 0
	v_add_u32_e32 v8, -1, v7
	v_add_u32_e32 v9, 1, v7
	v_fma_f32 v10, -v8, v7, v6
	v_fma_f32 v11, -v9, v7, v6
	v_cmp_ge_f32_e64 s[6:7], 0, v10
	s_nop 1
	v_cndmask_b32_e64 v7, v7, v8, s[6:7]
	v_cmp_lt_f32_e64 s[6:7], 0, v11
	s_nop 1
	v_cndmask_b32_e64 v7, v7, v9, s[6:7]
	v_mul_f32_e32 v8, 0x37800000, v7
	v_cndmask_b32_e64 v7, v7, v8, s[4:5]
	v_cmp_class_f32_e64 s[4:5], v6, v1
	s_nop 1
	v_cndmask_b32_e64 v1, v7, v6, s[4:5]
	s_cbranch_vccnz .LBB79_12
; %bb.11:
	global_load_dword v0, v0, s[10:11] offset:12
	s_waitcnt vmcnt(0)
	v_add_f32_e32 v1, v1, v0
.LBB79_12:
	s_load_dwordx4 s[12:15], s[2:3], 0x30
	s_mov_b32 s31, 0
	v_cmp_eq_u32_e64 s[6:7], 0, v3
	ds_write_b32 v4, v1 offset:12
	s_waitcnt lgkmcnt(0)
	s_bitcmp1_b32 s15, 0
	s_cselect_b64 s[4:5], -1, 0
	s_cmp_gt_i32 s12, 0
	s_cselect_b64 s[24:25], -1, 0
	s_and_b64 vcc, exec, s[24:25]
	s_cbranch_vccz .LBB79_29
; %bb.13:
	v_mbcnt_lo_u32_b32 v0, -1, 0
	v_mbcnt_hi_u32_b32 v0, -1, v0
	v_and_b32_e32 v1, 0x7c, v0
	v_add_u32_e32 v1, 4, v1
	v_xor_b32_e32 v6, 2, v0
	v_cmp_lt_i32_e32 vcc, v6, v1
	s_load_dwordx4 s[16:19], s[2:3], 0x20
	v_mul_lo_u32 v7, v2, s12
	v_cndmask_b32_e32 v6, v0, v6, vcc
	v_lshlrev_b32_e32 v8, 2, v6
	v_xor_b32_e32 v6, 1, v0
	v_cmp_lt_i32_e32 vcc, v6, v1
	v_mov_b32_e32 v10, 0xc61c4000
	v_mov_b32_e32 v11, v2
	v_cndmask_b32_e32 v0, v0, v6, vcc
	v_lshlrev_b32_e32 v9, 2, v0
	v_mov_b32_e32 v6, 0
	s_branch .LBB79_15
.LBB79_14:                              ;   in Loop: Header=BB79_15 Depth=1
	s_or_b64 exec, exec, s[2:3]
	s_cmp_eq_u32 s12, s31
	v_add_u32_e32 v11, s30, v11
	s_cbranch_scc1 .LBB79_30
.LBB79_15:                              ; =>This Inner Loop Header: Depth=1
	ds_read_b128 v[12:15], v4
	s_waitcnt lgkmcnt(0)
	v_cmp_gt_f32_e32 vcc, v13, v12
	s_nop 1
	v_cndmask_b32_e32 v1, v12, v13, vcc
	v_cndmask_b32_e64 v0, 0, 1, vcc
	v_cmp_gt_f32_e32 vcc, v14, v1
	s_nop 1
	v_cndmask_b32_e32 v1, v1, v14, vcc
	v_cndmask_b32_e64 v0, v0, 2, vcc
	v_cmp_gt_f32_e32 vcc, v15, v1
	s_nop 1
	v_cndmask_b32_e64 v0, v0, 3, vcc
	v_cndmask_b32_e32 v12, v1, v15, vcc
	ds_bpermute_b32 v1, v8, v12
	v_or_b32_e32 v0, v5, v0
	ds_bpermute_b32 v13, v8, v0
	s_waitcnt lgkmcnt(1)
	v_cmp_lt_f32_e64 s[26:27], v12, v1
	v_cmp_nlt_f32_e32 vcc, v12, v1
	s_and_saveexec_b64 s[28:29], vcc
	s_cbranch_execz .LBB79_17
; %bb.16:                               ;   in Loop: Header=BB79_15 Depth=1
	v_cmp_eq_f32_e32 vcc, v12, v1
	s_waitcnt lgkmcnt(0)
	v_cmp_lt_i32_e64 s[2:3], v13, v0
	s_and_b64 s[2:3], vcc, s[2:3]
	s_andn2_b64 s[26:27], s[26:27], exec
	s_and_b64 s[2:3], s[2:3], exec
	s_or_b64 s[26:27], s[26:27], s[2:3]
.LBB79_17:                              ;   in Loop: Header=BB79_15 Depth=1
	s_or_b64 exec, exec, s[28:29]
	s_and_saveexec_b64 s[2:3], s[26:27]
	s_cbranch_execz .LBB79_19
; %bb.18:                               ;   in Loop: Header=BB79_15 Depth=1
	v_mov_b32_e32 v12, v1
	s_waitcnt lgkmcnt(0)
	v_mov_b32_e32 v0, v13
.LBB79_19:                              ;   in Loop: Header=BB79_15 Depth=1
	s_or_b64 exec, exec, s[2:3]
	ds_bpermute_b32 v1, v9, v12
	s_waitcnt lgkmcnt(1)
	ds_bpermute_b32 v13, v9, v0
	s_waitcnt lgkmcnt(1)
	v_cmp_lt_f32_e64 s[26:27], v12, v1
	v_cmp_nlt_f32_e32 vcc, v12, v1
	s_and_saveexec_b64 s[28:29], vcc
	s_cbranch_execnz .LBB79_22
; %bb.20:                               ;   in Loop: Header=BB79_15 Depth=1
	s_or_b64 exec, exec, s[28:29]
	s_and_saveexec_b64 s[2:3], s[26:27]
	s_cbranch_execnz .LBB79_23
.LBB79_21:                              ;   in Loop: Header=BB79_15 Depth=1
	s_or_b64 exec, exec, s[2:3]
	s_and_saveexec_b64 s[26:27], s[6:7]
	s_cbranch_execnz .LBB79_24
	s_branch .LBB79_27
.LBB79_22:                              ;   in Loop: Header=BB79_15 Depth=1
	v_cmp_eq_f32_e32 vcc, v12, v1
	s_waitcnt lgkmcnt(0)
	v_cmp_lt_i32_e64 s[2:3], v13, v0
	s_and_b64 s[2:3], vcc, s[2:3]
	s_andn2_b64 s[26:27], s[26:27], exec
	s_and_b64 s[2:3], s[2:3], exec
	s_or_b64 s[26:27], s[26:27], s[2:3]
	s_or_b64 exec, exec, s[28:29]
	s_and_saveexec_b64 s[2:3], s[26:27]
	s_cbranch_execz .LBB79_21
.LBB79_23:                              ;   in Loop: Header=BB79_15 Depth=1
	s_waitcnt lgkmcnt(0)
	v_mov_b32_e32 v0, v13
	v_mov_b32_e32 v12, v1
	s_or_b64 exec, exec, s[2:3]
	s_and_saveexec_b64 s[26:27], s[6:7]
	s_cbranch_execz .LBB79_27
.LBB79_24:                              ;   in Loop: Header=BB79_15 Depth=1
	s_and_b64 vcc, exec, s[0:1]
	s_cbranch_vccnz .LBB79_26
; %bb.25:                               ;   in Loop: Header=BB79_15 Depth=1
	v_ashrrev_i32_e32 v1, 31, v0
	v_lshl_add_u64 v[14:15], v[0:1], 2, s[10:11]
	global_load_dword v1, v[14:15], off
	s_waitcnt vmcnt(0)
	v_sub_f32_e32 v12, v12, v1
.LBB79_26:                              ;   in Loop: Header=BB79_15 Depth=1
	v_add_u32_e32 v14, s31, v7
	v_cmp_le_i32_e32 vcc, s13, v0
	v_cmp_gt_i32_e64 s[2:3], s14, v0
	v_ashrrev_i32_e32 v15, 31, v14
	s_and_b64 s[2:3], vcc, s[2:3]
	v_lshlrev_b64 v[14:15], 2, v[14:15]
	v_lshl_add_u64 v[16:17], s[20:21], 0, v[14:15]
	v_subrev_u32_e32 v1, s13, v0
	s_and_b64 vcc, s[22:23], s[2:3]
	global_store_dword v[16:17], v12, off
	v_cndmask_b32_e32 v1, 16, v1, vcc
	v_lshl_add_u64 v[16:17], s[16:17], 0, v[14:15]
	global_store_dword v[16:17], v1, off
	v_add_f32_e32 v1, v6, v12
	v_lshl_add_u64 v[14:15], s[18:19], 0, v[14:15]
	v_cndmask_b32_e64 v6, v6, v1, s[4:5]
	global_store_dword v[14:15], v11, off
.LBB79_27:                              ;   in Loop: Header=BB79_15 Depth=1
	s_or_b64 exec, exec, s[26:27]
	v_ashrrev_i32_e32 v1, 31, v0
	v_lshrrev_b32_e32 v12, 30, v1
	v_add_u32_e32 v12, v0, v12
	v_ashrrev_i32_e32 v12, 2, v12
	s_waitcnt lgkmcnt(0)
	v_lshrrev_b32_e32 v13, 30, v12
	v_add_u32_e32 v13, v12, v13
	s_add_i32 s31, s31, 1
	v_and_b32_e32 v13, -4, v13
	s_cmp_lt_i32 s31, s12
	v_sub_u32_e32 v13, v12, v13
	s_cselect_b64 s[2:3], -1, 0
	v_cmp_eq_u32_e32 vcc, v3, v13
	s_and_b64 s[26:27], s[2:3], vcc
	s_and_saveexec_b64 s[2:3], s[26:27]
	s_cbranch_execz .LBB79_14
; %bb.28:                               ;   in Loop: Header=BB79_15 Depth=1
	v_lshrrev_b32_e32 v1, 28, v1
	v_add_u32_e32 v1, v0, v1
	v_lshlrev_b32_e32 v12, 2, v12
	v_lshrrev_b32_e32 v1, 2, v1
	v_sub_u32_e32 v0, v0, v12
	v_and_b32_e32 v1, 0x3ffffffc, v1
	v_add_u32_e32 v0, v1, v0
	v_lshl_add_u32 v0, v0, 2, v4
	ds_write_b32 v0, v10
	s_branch .LBB79_14
.LBB79_29:
	v_mov_b32_e32 v6, 0
.LBB79_30:
	v_cmp_eq_u32_e32 vcc, 0, v3
	s_and_b64 exec, exec, vcc
	s_cbranch_execz .LBB79_43
; %bb.31:
	s_andn2_b64 vcc, exec, s[4:5]
	v_cvt_f32_f64_e32 v0, s[8:9]
	s_cbranch_vccnz .LBB79_33
; %bb.32:
	v_cmp_lt_f32_e32 vcc, 0, v6
	s_nop 1
	v_cndmask_b32_e32 v1, 1.0, v6, vcc
	v_div_scale_f32 v3, s[0:1], v1, v1, v0
	v_rcp_f32_e32 v4, v3
	s_nop 0
	v_fma_f32 v5, -v3, v4, 1.0
	v_fmac_f32_e32 v4, v5, v4
	v_div_scale_f32 v5, vcc, v0, v1, v0
	v_mul_f32_e32 v6, v5, v4
	v_fma_f32 v7, -v3, v6, v5
	v_fmac_f32_e32 v6, v7, v4
	v_fma_f32 v3, -v3, v6, v5
	v_div_fmas_f32 v3, v3, v4, v6
	v_div_fixup_f32 v0, v3, v1, v0
.LBB79_33:
	s_andn2_b64 vcc, exec, s[24:25]
	s_cbranch_vccnz .LBB79_43
; %bb.34:
	v_mul_lo_u32 v2, v2, s12
	s_cmp_gt_u32 s12, 3
	v_ashrrev_i32_e32 v3, 31, v2
	s_cbranch_scc0 .LBB79_38
; %bb.35:
	s_and_b32 s0, s12, 0x7ffffffc
	v_lshl_add_u64 v[4:5], v[2:3], 2, s[20:21]
	v_mov_b32_e32 v1, v0
	v_lshl_add_u64 v[4:5], v[4:5], 0, 8
	s_mov_b32 s1, s0
.LBB79_36:                              ; =>This Inner Loop Header: Depth=1
	global_load_dwordx4 v[6:9], v[4:5], off offset:-8
	s_add_i32 s1, s1, -4
	s_cmp_lg_u32 s1, 0
	s_waitcnt vmcnt(0)
	v_pk_mul_f32 v[6:7], v[0:1], v[6:7]
	v_pk_mul_f32 v[8:9], v[0:1], v[8:9]
	global_store_dwordx4 v[4:5], v[6:9], off offset:-8
	v_lshl_add_u64 v[4:5], v[4:5], 0, 16
	s_cbranch_scc1 .LBB79_36
; %bb.37:
	s_cmp_lg_u32 s0, s12
	s_cselect_b64 s[2:3], -1, 0
	s_branch .LBB79_40
.LBB79_38:
	s_mov_b64 s[2:3], 0
                                        ; implicit-def: $sgpr0
	s_cbranch_execz .LBB79_40
; %bb.39:
	s_mov_b64 s[2:3], -1
	s_mov_b32 s0, 0
.LBB79_40:
	s_andn2_b64 vcc, exec, s[2:3]
	s_cbranch_vccnz .LBB79_43
; %bb.41:
	s_mov_b32 s1, 0
	v_lshl_add_u64 v[2:3], v[2:3], 0, s[0:1]
	s_sub_i32 s2, s12, s0
	v_lshl_add_u64 v[2:3], v[2:3], 2, s[20:21]
.LBB79_42:                              ; =>This Inner Loop Header: Depth=1
	global_load_dword v1, v[2:3], off
	s_add_i32 s2, s2, -1
	s_cmp_lg_u32 s2, 0
	s_waitcnt vmcnt(0)
	v_mul_f32_e32 v1, v0, v1
	global_store_dword v[2:3], v1, off
	v_lshl_add_u64 v[2:3], v[2:3], 0, 4
	s_cbranch_scc1 .LBB79_42
.LBB79_43:
	s_endpgm
	.section	.rodata,"a",@progbits
	.p2align	6, 0x0
	.amdhsa_kernel _ZN4vllm3moe22topkGatingSoftplusSqrtILi4ELi16ELi4ELi16ELi32ELb0EjfEEvPKT6_PKbPfiPT5_PiiiibdPKfPKS8_SE_
		.amdhsa_group_segment_fixed_size 2048
		.amdhsa_private_segment_fixed_size 0
		.amdhsa_kernarg_size 96
		.amdhsa_user_sgpr_count 4
		.amdhsa_user_sgpr_dispatch_ptr 1
		.amdhsa_user_sgpr_queue_ptr 0
		.amdhsa_user_sgpr_kernarg_segment_ptr 1
		.amdhsa_user_sgpr_dispatch_id 0
		.amdhsa_user_sgpr_kernarg_preload_length 0
		.amdhsa_user_sgpr_kernarg_preload_offset 0
		.amdhsa_user_sgpr_private_segment_size 0
		.amdhsa_uses_dynamic_stack 0
		.amdhsa_enable_private_segment 0
		.amdhsa_system_sgpr_workgroup_id_x 1
		.amdhsa_system_sgpr_workgroup_id_y 0
		.amdhsa_system_sgpr_workgroup_id_z 0
		.amdhsa_system_sgpr_workgroup_info 0
		.amdhsa_system_vgpr_workitem_id 2
		.amdhsa_next_free_vgpr 18
		.amdhsa_next_free_sgpr 32
		.amdhsa_accum_offset 20
		.amdhsa_reserve_vcc 1
		.amdhsa_float_round_mode_32 0
		.amdhsa_float_round_mode_16_64 0
		.amdhsa_float_denorm_mode_32 3
		.amdhsa_float_denorm_mode_16_64 3
		.amdhsa_dx10_clamp 1
		.amdhsa_ieee_mode 1
		.amdhsa_fp16_overflow 0
		.amdhsa_tg_split 0
		.amdhsa_exception_fp_ieee_invalid_op 0
		.amdhsa_exception_fp_denorm_src 0
		.amdhsa_exception_fp_ieee_div_zero 0
		.amdhsa_exception_fp_ieee_overflow 0
		.amdhsa_exception_fp_ieee_underflow 0
		.amdhsa_exception_fp_ieee_inexact 0
		.amdhsa_exception_int_div_zero 0
	.end_amdhsa_kernel
	.section	.text._ZN4vllm3moe22topkGatingSoftplusSqrtILi4ELi16ELi4ELi16ELi32ELb0EjfEEvPKT6_PKbPfiPT5_PiiiibdPKfPKS8_SE_,"axG",@progbits,_ZN4vllm3moe22topkGatingSoftplusSqrtILi4ELi16ELi4ELi16ELi32ELb0EjfEEvPKT6_PKbPfiPT5_PiiiibdPKfPKS8_SE_,comdat
.Lfunc_end79:
	.size	_ZN4vllm3moe22topkGatingSoftplusSqrtILi4ELi16ELi4ELi16ELi32ELb0EjfEEvPKT6_PKbPfiPT5_PiiiibdPKfPKS8_SE_, .Lfunc_end79-_ZN4vllm3moe22topkGatingSoftplusSqrtILi4ELi16ELi4ELi16ELi32ELb0EjfEEvPKT6_PKbPfiPT5_PiiiibdPKfPKS8_SE_
                                        ; -- End function
	.section	.AMDGPU.csdata,"",@progbits
; Kernel info:
; codeLenInByte = 2608
; NumSgprs: 38
; NumVgprs: 18
; NumAgprs: 0
; TotalNumVgprs: 18
; ScratchSize: 0
; MemoryBound: 0
; FloatMode: 240
; IeeeMode: 1
; LDSByteSize: 2048 bytes/workgroup (compile time only)
; SGPRBlocks: 4
; VGPRBlocks: 2
; NumSGPRsForWavesPerEU: 38
; NumVGPRsForWavesPerEU: 18
; AccumOffset: 20
; Occupancy: 8
; WaveLimiterHint : 0
; COMPUTE_PGM_RSRC2:SCRATCH_EN: 0
; COMPUTE_PGM_RSRC2:USER_SGPR: 4
; COMPUTE_PGM_RSRC2:TRAP_HANDLER: 0
; COMPUTE_PGM_RSRC2:TGID_X_EN: 1
; COMPUTE_PGM_RSRC2:TGID_Y_EN: 0
; COMPUTE_PGM_RSRC2:TGID_Z_EN: 0
; COMPUTE_PGM_RSRC2:TIDIG_COMP_CNT: 2
; COMPUTE_PGM_RSRC3_GFX90A:ACCUM_OFFSET: 4
; COMPUTE_PGM_RSRC3_GFX90A:TG_SPLIT: 0
	.section	.text._ZN4vllm3moe22topkGatingSoftplusSqrtILi4ELi32ELi4ELi16ELi64ELb1EjfEEvPKT6_PKbPfiPT5_PiiiibdPKfPKS8_SE_,"axG",@progbits,_ZN4vllm3moe22topkGatingSoftplusSqrtILi4ELi32ELi4ELi16ELi64ELb1EjfEEvPKT6_PKbPfiPT5_PiiiibdPKfPKS8_SE_,comdat
	.protected	_ZN4vllm3moe22topkGatingSoftplusSqrtILi4ELi32ELi4ELi16ELi64ELb1EjfEEvPKT6_PKbPfiPT5_PiiiibdPKfPKS8_SE_ ; -- Begin function _ZN4vllm3moe22topkGatingSoftplusSqrtILi4ELi32ELi4ELi16ELi64ELb1EjfEEvPKT6_PKbPfiPT5_PiiiibdPKfPKS8_SE_
	.globl	_ZN4vllm3moe22topkGatingSoftplusSqrtILi4ELi32ELi4ELi16ELi64ELb1EjfEEvPKT6_PKbPfiPT5_PiiiibdPKfPKS8_SE_
	.p2align	8
	.type	_ZN4vllm3moe22topkGatingSoftplusSqrtILi4ELi32ELi4ELi16ELi64ELb1EjfEEvPKT6_PKbPfiPT5_PiiiibdPKfPKS8_SE_,@function
_ZN4vllm3moe22topkGatingSoftplusSqrtILi4ELi32ELi4ELi16ELi64ELb1EjfEEvPKT6_PKbPfiPT5_PiiiibdPKfPKS8_SE_: ; @_ZN4vllm3moe22topkGatingSoftplusSqrtILi4ELi32ELi4ELi16ELi64ELb1EjfEEvPKT6_PKbPfiPT5_PiiiibdPKfPKS8_SE_
; %bb.0:
	s_load_dword s3, s[0:1], 0x18
	v_bfe_u32 v1, v0, 10, 10
	v_and_b32_e32 v6, 0x3ff, v0
	s_lshl_b32 s2, s2, 5
	v_lshlrev_b32_e32 v1, 3, v1
	v_lshrrev_b32_e32 v0, 3, v6
	v_add3_u32 v2, s2, v1, v0
	s_waitcnt lgkmcnt(0)
	v_cmp_gt_i32_e32 vcc, s3, v2
	s_and_saveexec_b64 s[2:3], vcc
	s_cbranch_execz .LBB80_80
; %bb.1:
	s_load_dwordx2 s[2:3], s[0:1], 0x0
	s_load_dword s20, s[0:1], 0x30
	v_lshlrev_b32_e32 v0, 5, v2
	v_lshlrev_b32_e32 v3, 2, v6
	v_ashrrev_i32_e32 v1, 31, v0
	v_and_b32_e32 v10, 28, v3
	s_waitcnt lgkmcnt(0)
	v_lshl_add_u64 v[4:5], v[0:1], 2, s[2:3]
	v_lshlrev_b32_e32 v0, 2, v10
	v_mov_b32_e32 v1, 0
	v_lshl_add_u64 v[4:5], v[4:5], 0, v[0:1]
	global_load_dwordx4 v[12:15], v[4:5], off
	s_load_dwordx4 s[8:11], s[0:1], 0x50
	v_ashrrev_i32_e32 v3, 31, v2
	s_mov_b32 s6, 0x800000
	s_mov_b32 s12, 0x3f317217
	s_mov_b32 s13, 0x7f800000
	s_waitcnt lgkmcnt(0)
	v_mov_b32_e32 v4, s8
	v_mov_b32_e32 v5, s9
	v_lshl_add_u64 v[4:5], v[2:3], 2, v[4:5]
	global_load_dword v0, v[4:5], off
	v_mov_b32_e32 v3, 0x4f800000
	v_mov_b32_e32 v7, 0x41b17218
	s_mov_b32 s9, 0x41a00000
	s_mov_b32 s14, 0xf800000
	v_mov_b32_e32 v11, 0x260
	s_cmp_gt_i32 s20, 0
	s_mov_b32 s8, 0
	v_mul_lo_u32 v2, v2, s20
	s_waitcnt vmcnt(1)
	v_mul_f32_e32 v4, 0x3fb8aa3b, v12
	v_mul_f32_e32 v5, 0x3fb8aa3b, v13
	v_exp_f32_e32 v4, v4
	v_exp_f32_e32 v5, v5
	v_mul_f32_e32 v8, 0x3fb8aa3b, v14
	v_mul_f32_e32 v9, 0x3fb8aa3b, v15
	v_exp_f32_e32 v8, v8
	v_exp_f32_e32 v9, v9
	v_pk_add_f32 v[4:5], v[4:5], 1.0 op_sel_hi:[1,0]
	s_waitcnt vmcnt(0)
	v_mul_lo_u32 v0, v0, s20
	v_cmp_gt_f32_e32 vcc, s6, v5
	v_pk_add_f32 v[8:9], v[8:9], 1.0 op_sel_hi:[1,0]
	v_cmp_gt_f32_e64 s[2:3], s6, v4
	v_cndmask_b32_e32 v16, 1.0, v3, vcc
	v_cmp_gt_f32_e64 s[4:5], s6, v9
	v_cndmask_b32_e64 v17, 1.0, v3, s[2:3]
	v_mul_f32_e32 v5, v5, v16
	v_cndmask_b32_e64 v18, 1.0, v3, s[4:5]
	v_cmp_gt_f32_e64 s[6:7], s6, v8
	v_mul_f32_e32 v4, v4, v17
	v_log_f32_e32 v5, v5
	v_cndmask_b32_e64 v3, 1.0, v3, s[6:7]
	v_mul_f32_e32 v9, v9, v18
	v_log_f32_e32 v4, v4
	v_mul_f32_e32 v3, v8, v3
	v_log_f32_e32 v8, v9
	v_log_f32_e32 v3, v3
	v_mul_f32_e32 v9, 0x3f317217, v5
	v_mul_f32_e32 v19, 0x3f317217, v4
	v_fma_f32 v9, v5, s12, -v9
	v_mul_f32_e32 v20, 0x3f317217, v8
	v_fma_f32 v19, v4, s12, -v19
	v_fmac_f32_e32 v9, 0x3377d1cf, v5
	v_cndmask_b32_e32 v16, 0, v7, vcc
	v_mul_f32_e32 v21, 0x3f317217, v3
	v_fma_f32 v20, v8, s12, -v20
	v_fmac_f32_e32 v19, 0x3377d1cf, v4
	v_fmac_f32_e32 v9, 0x3f317217, v5
	v_cmp_lt_f32_e64 vcc, |v5|, s13
	v_fma_f32 v21, v3, s12, -v21
	v_fmac_f32_e32 v20, 0x3377d1cf, v8
	v_fmac_f32_e32 v19, 0x3f317217, v4
	v_cndmask_b32_e32 v5, v5, v9, vcc
	v_cmp_lt_f32_e64 vcc, |v4|, s13
	v_fmac_f32_e32 v21, 0x3377d1cf, v3
	v_fmac_f32_e32 v20, 0x3f317217, v8
	v_cndmask_b32_e32 v4, v4, v19, vcc
	v_cmp_lt_f32_e64 vcc, |v8|, s13
	v_cndmask_b32_e64 v17, 0, v7, s[2:3]
	v_fmac_f32_e32 v21, 0x3f317217, v3
	v_cndmask_b32_e32 v8, v8, v20, vcc
	v_cmp_lt_f32_e64 vcc, |v3|, s13
	v_sub_f32_e32 v4, v4, v17
	v_sub_f32_e32 v5, v5, v16
	v_cndmask_b32_e32 v3, v3, v21, vcc
	v_cmp_lt_f32_e32 vcc, s9, v12
	v_cndmask_b32_e64 v18, 0, v7, s[4:5]
	v_sub_f32_e32 v8, v8, v18
	v_cndmask_b32_e32 v4, v4, v12, vcc
	v_cmp_lt_f32_e32 vcc, s9, v13
	v_mul_f32_e32 v12, 0x4f800000, v4
	v_cmp_gt_f32_e64 s[2:3], s14, v4
	v_cndmask_b32_e32 v5, v5, v13, vcc
	v_mul_f32_e32 v9, 0x4f800000, v5
	v_cmp_gt_f32_e32 vcc, s14, v5
	v_cndmask_b32_e64 v4, v4, v12, s[2:3]
	v_sqrt_f32_e32 v12, v4
	v_cndmask_b32_e32 v5, v5, v9, vcc
	v_sqrt_f32_e32 v9, v5
	v_add_u32_e32 v17, -1, v12
	v_fma_f32 v21, -v17, v12, v4
	v_add_u32_e32 v13, -1, v9
	v_fma_f32 v19, -v13, v9, v5
	v_add_u32_e32 v16, 1, v9
	v_cmp_ge_f32_e64 s[4:5], 0, v19
	v_add_u32_e32 v18, 1, v12
	v_fma_f32 v20, -v16, v9, v5
	v_cndmask_b32_e64 v9, v9, v13, s[4:5]
	v_cmp_ge_f32_e64 s[4:5], 0, v21
	v_fma_f32 v22, -v18, v12, v4
	s_nop 0
	v_cndmask_b32_e64 v12, v12, v17, s[4:5]
	v_cmp_lt_f32_e64 s[4:5], 0, v20
	s_nop 1
	v_cndmask_b32_e64 v9, v9, v16, s[4:5]
	v_cmp_lt_f32_e64 s[4:5], 0, v22
	v_mul_f32_e32 v13, 0x37800000, v9
	v_cndmask_b32_e32 v9, v9, v13, vcc
	v_cndmask_b32_e64 v12, v12, v18, s[4:5]
	v_mul_f32_e32 v16, 0x37800000, v12
	v_cmp_class_f32_e32 vcc, v5, v11
	v_cndmask_b32_e64 v12, v12, v16, s[2:3]
	v_cmp_lt_f32_e64 s[2:3], s9, v14
	v_cndmask_b32_e32 v13, v9, v5, vcc
	v_cmp_class_f32_e32 vcc, v4, v11
	s_cselect_b64 s[4:5], -1, 0
	s_cmp_lt_i32 s20, 1
	v_cndmask_b32_e32 v12, v12, v4, vcc
	v_cmp_lt_f32_e32 vcc, s9, v15
	v_cndmask_b32_e64 v4, 0, v7, s[6:7]
	v_sub_f32_e32 v3, v3, v4
	v_cndmask_b32_e32 v5, v8, v15, vcc
	v_mul_f32_e32 v7, 0x4f800000, v5
	v_cmp_gt_f32_e32 vcc, s14, v5
	v_cndmask_b32_e64 v3, v3, v14, s[2:3]
	s_nop 0
	v_cndmask_b32_e32 v5, v5, v7, vcc
	v_sqrt_f32_e32 v7, v5
	s_nop 0
	v_add_u32_e32 v4, -1, v7
	v_fma_f32 v8, -v4, v7, v5
	v_cmp_ge_f32_e64 s[2:3], 0, v8
	v_add_u32_e32 v8, 1, v7
	s_nop 0
	v_cndmask_b32_e64 v4, v7, v4, s[2:3]
	v_fma_f32 v7, -v8, v7, v5
	v_cmp_lt_f32_e64 s[2:3], 0, v7
	s_nop 1
	v_cndmask_b32_e64 v4, v4, v8, s[2:3]
	v_mul_f32_e32 v8, 0x4f800000, v3
	v_cmp_gt_f32_e64 s[2:3], s14, v3
	v_mul_f32_e32 v7, 0x37800000, v4
	v_cndmask_b32_e32 v4, v4, v7, vcc
	v_cndmask_b32_e64 v3, v3, v8, s[2:3]
	v_sqrt_f32_e32 v8, v3
	v_cmp_class_f32_e32 vcc, v5, v11
	s_nop 1
	v_cndmask_b32_e32 v15, v4, v5, vcc
	v_add_u32_e32 v4, -1, v8
	v_fma_f32 v5, -v4, v8, v3
	v_cmp_ge_f32_e32 vcc, 0, v5
	v_add_u32_e32 v5, 1, v8
	v_fma_f32 v7, -v5, v8, v3
	v_cndmask_b32_e32 v4, v8, v4, vcc
	v_cmp_lt_f32_e32 vcc, 0, v7
	s_nop 1
	v_cndmask_b32_e32 v4, v4, v5, vcc
	v_mul_f32_e32 v5, 0x37800000, v4
	v_cndmask_b32_e64 v4, v4, v5, s[2:3]
	v_cmp_class_f32_e32 vcc, v3, v11
	s_nop 1
	v_cndmask_b32_e32 v14, v4, v3, vcc
	scratch_store_dwordx4 off, v[12:15], off
	v_lshl_add_u64 v[4:5], v[0:1], 2, s[10:11]
	s_nop 0
	v_mov_b32_e32 v12, v1
	s_cbranch_scc1 .LBB80_29
; %bb.2:
	s_load_dwordx2 s[6:7], s[0:1], 0x20
	s_cmp_lt_u32 s20, 4
	v_and_b32_e32 v11, 7, v6
	s_cbranch_scc1 .LBB80_21
; %bb.3:
	v_lshlrev_b32_e32 v6, 2, v11
	s_mov_b32 s13, 0
	s_and_b32 s8, s20, 0x7ffffffc
	v_ashrrev_i32_e32 v3, 31, v2
	v_sub_u32_e32 v13, 0, v6
	v_mov_b32_e32 v12, 0
	s_mov_b32 s12, s13
	s_branch .LBB80_5
.LBB80_4:                               ;   in Loop: Header=BB80_5 Depth=1
	s_or_b64 exec, exec, s[14:15]
	s_add_i32 s12, s12, 4
	s_cmp_eq_u32 s12, s8
	s_cbranch_scc1 .LBB80_22
.LBB80_5:                               ; =>This Loop Header: Depth=1
                                        ;     Child Loop BB80_7 Depth 2
                                        ;     Child Loop BB80_11 Depth 2
	;; [unrolled: 1-line block ×4, first 2 shown]
	v_lshl_add_u64 v[6:7], s[12:13], 2, v[4:5]
	global_load_dword v14, v[6:7], off
	v_add_u32_e32 v8, s12, v2
	v_ashrrev_i32_e32 v9, 31, v8
	v_mov_b32_e32 v15, 0
	s_mov_b64 s[14:15], 0
	s_waitcnt lgkmcnt(0)
	v_lshl_add_u64 v[8:9], v[8:9], 2, s[6:7]
	s_mov_b32 s9, 0
	s_waitcnt vmcnt(0)
	v_add_u32_e32 v16, v13, v14
	s_branch .LBB80_7
.LBB80_6:                               ;   in Loop: Header=BB80_7 Depth=2
	s_or_b64 exec, exec, s[16:17]
	s_add_i32 s18, s9, 1
	s_cmp_gt_u32 s9, 2
	s_cselect_b64 s[2:3], -1, 0
	s_xor_b64 s[16:17], vcc, -1
	s_or_b64 s[2:3], s[16:17], s[2:3]
	s_and_b64 s[2:3], exec, s[2:3]
	v_add_u32_e32 v15, 4, v15
	s_or_b64 s[14:15], s[2:3], s[14:15]
	s_mov_b32 s9, s18
	s_andn2_b64 exec, exec, s[14:15]
	s_cbranch_execz .LBB80_9
.LBB80_7:                               ;   Parent Loop BB80_5 Depth=1
                                        ; =>  This Inner Loop Header: Depth=2
	v_cmp_ne_u32_e32 vcc, s9, v16
	v_cmp_eq_u32_e64 s[2:3], s9, v16
	s_and_saveexec_b64 s[16:17], s[2:3]
	s_cbranch_execz .LBB80_6
; %bb.8:                                ;   in Loop: Header=BB80_7 Depth=2
	scratch_load_dword v17, v15, off
	s_waitcnt vmcnt(0)
	v_add_f32_e32 v12, v12, v17
	global_store_dword v[8:9], v14, off
	s_branch .LBB80_6
.LBB80_9:                               ;   in Loop: Header=BB80_5 Depth=1
	s_or_b64 exec, exec, s[14:15]
	global_load_dword v14, v[6:7], off offset:4
	s_ashr_i32 s3, s12, 31
	s_mov_b32 s2, s12
	v_lshl_add_u64 v[8:9], s[2:3], 0, v[2:3]
	v_mov_b32_e32 v15, 0
	s_mov_b32 s9, 0
	v_lshl_add_u64 v[8:9], v[8:9], 2, s[6:7]
	s_mov_b64 s[14:15], 0
	s_waitcnt vmcnt(0)
	v_add_u32_e32 v16, v13, v14
	s_branch .LBB80_11
.LBB80_10:                              ;   in Loop: Header=BB80_11 Depth=2
	s_or_b64 exec, exec, s[16:17]
	s_add_i32 s18, s9, 1
	s_cmp_gt_u32 s9, 2
	s_cselect_b64 s[2:3], -1, 0
	s_xor_b64 s[16:17], vcc, -1
	s_or_b64 s[2:3], s[16:17], s[2:3]
	s_and_b64 s[2:3], exec, s[2:3]
	v_add_u32_e32 v15, 4, v15
	s_or_b64 s[14:15], s[2:3], s[14:15]
	s_mov_b32 s9, s18
	s_andn2_b64 exec, exec, s[14:15]
	s_cbranch_execz .LBB80_13
.LBB80_11:                              ;   Parent Loop BB80_5 Depth=1
                                        ; =>  This Inner Loop Header: Depth=2
	v_cmp_ne_u32_e32 vcc, s9, v16
	v_cmp_eq_u32_e64 s[2:3], s9, v16
	s_and_saveexec_b64 s[16:17], s[2:3]
	s_cbranch_execz .LBB80_10
; %bb.12:                               ;   in Loop: Header=BB80_11 Depth=2
	scratch_load_dword v17, v15, off
	s_waitcnt vmcnt(0)
	v_add_f32_e32 v12, v12, v17
	global_store_dword v[8:9], v14, off offset:4
	s_branch .LBB80_10
.LBB80_13:                              ;   in Loop: Header=BB80_5 Depth=1
	s_or_b64 exec, exec, s[14:15]
	global_load_dword v14, v[6:7], off offset:8
	v_mov_b32_e32 v15, 0
	s_mov_b32 s9, 0
	s_mov_b64 s[14:15], 0
	s_waitcnt vmcnt(0)
	v_add_u32_e32 v16, v13, v14
	s_branch .LBB80_15
.LBB80_14:                              ;   in Loop: Header=BB80_15 Depth=2
	s_or_b64 exec, exec, s[16:17]
	s_add_i32 s18, s9, 1
	s_cmp_gt_u32 s9, 2
	s_cselect_b64 s[2:3], -1, 0
	s_xor_b64 s[16:17], vcc, -1
	s_or_b64 s[2:3], s[16:17], s[2:3]
	s_and_b64 s[2:3], exec, s[2:3]
	v_add_u32_e32 v15, 4, v15
	s_or_b64 s[14:15], s[2:3], s[14:15]
	s_mov_b32 s9, s18
	s_andn2_b64 exec, exec, s[14:15]
	s_cbranch_execz .LBB80_17
.LBB80_15:                              ;   Parent Loop BB80_5 Depth=1
                                        ; =>  This Inner Loop Header: Depth=2
	v_cmp_ne_u32_e32 vcc, s9, v16
	v_cmp_eq_u32_e64 s[2:3], s9, v16
	s_and_saveexec_b64 s[16:17], s[2:3]
	s_cbranch_execz .LBB80_14
; %bb.16:                               ;   in Loop: Header=BB80_15 Depth=2
	scratch_load_dword v17, v15, off
	s_waitcnt vmcnt(0)
	v_add_f32_e32 v12, v12, v17
	global_store_dword v[8:9], v14, off offset:8
	s_branch .LBB80_14
.LBB80_17:                              ;   in Loop: Header=BB80_5 Depth=1
	s_or_b64 exec, exec, s[14:15]
	global_load_dword v6, v[6:7], off offset:12
	v_mov_b32_e32 v7, 0
	s_mov_b32 s9, 0
	s_mov_b64 s[14:15], 0
	s_waitcnt vmcnt(0)
	v_add_u32_e32 v14, v13, v6
	s_branch .LBB80_19
.LBB80_18:                              ;   in Loop: Header=BB80_19 Depth=2
	s_or_b64 exec, exec, s[16:17]
	s_add_i32 s18, s9, 1
	s_cmp_gt_u32 s9, 2
	s_cselect_b64 s[2:3], -1, 0
	s_xor_b64 s[16:17], vcc, -1
	s_or_b64 s[2:3], s[16:17], s[2:3]
	s_and_b64 s[2:3], exec, s[2:3]
	v_add_u32_e32 v7, 4, v7
	s_or_b64 s[14:15], s[2:3], s[14:15]
	s_mov_b32 s9, s18
	s_andn2_b64 exec, exec, s[14:15]
	s_cbranch_execz .LBB80_4
.LBB80_19:                              ;   Parent Loop BB80_5 Depth=1
                                        ; =>  This Inner Loop Header: Depth=2
	v_cmp_ne_u32_e32 vcc, s9, v14
	v_cmp_eq_u32_e64 s[2:3], s9, v14
	s_and_saveexec_b64 s[16:17], s[2:3]
	s_cbranch_execz .LBB80_18
; %bb.20:                               ;   in Loop: Header=BB80_19 Depth=2
	scratch_load_dword v15, v7, off
	s_waitcnt vmcnt(0)
	v_add_f32_e32 v12, v12, v15
	global_store_dword v[8:9], v6, off offset:12
	s_branch .LBB80_18
.LBB80_21:
	v_mov_b32_e32 v12, 0
.LBB80_22:
	s_and_b32 s16, s20, 3
	s_cmp_eq_u32 s16, 0
	s_mov_b32 s9, 0
	s_cbranch_scc1 .LBB80_29
; %bb.23:
	v_lshlrev_b32_e32 v3, 2, v11
	v_sub_u32_e32 v3, 0, v3
	s_mov_b32 s17, s9
	s_branch .LBB80_25
.LBB80_24:                              ;   in Loop: Header=BB80_25 Depth=1
	s_or_b64 exec, exec, s[12:13]
	s_add_i32 s8, s8, 1
	s_add_i32 s17, s17, 1
	s_cmp_lg_u32 s17, s16
	s_cbranch_scc0 .LBB80_29
.LBB80_25:                              ; =>This Loop Header: Depth=1
                                        ;     Child Loop BB80_27 Depth 2
	v_lshl_add_u64 v[6:7], s[8:9], 2, v[4:5]
	global_load_dword v8, v[6:7], off
	v_add_u32_e32 v6, s8, v2
	v_ashrrev_i32_e32 v7, 31, v6
	v_mov_b32_e32 v9, 0
	s_mov_b32 s18, 0
	s_waitcnt lgkmcnt(0)
	v_lshl_add_u64 v[6:7], v[6:7], 2, s[6:7]
	s_mov_b64 s[12:13], 0
	s_waitcnt vmcnt(0)
	v_add_u32_e32 v11, v3, v8
	s_branch .LBB80_27
.LBB80_26:                              ;   in Loop: Header=BB80_27 Depth=2
	s_or_b64 exec, exec, s[14:15]
	s_add_i32 s19, s18, 1
	s_cmp_gt_u32 s18, 2
	s_cselect_b64 s[2:3], -1, 0
	s_xor_b64 s[14:15], vcc, -1
	s_or_b64 s[2:3], s[14:15], s[2:3]
	s_and_b64 s[2:3], exec, s[2:3]
	v_add_u32_e32 v9, 4, v9
	s_or_b64 s[12:13], s[2:3], s[12:13]
	s_mov_b32 s18, s19
	s_andn2_b64 exec, exec, s[12:13]
	s_cbranch_execz .LBB80_24
.LBB80_27:                              ;   Parent Loop BB80_25 Depth=1
                                        ; =>  This Inner Loop Header: Depth=2
	v_cmp_ne_u32_e32 vcc, s18, v11
	v_cmp_eq_u32_e64 s[2:3], s18, v11
	s_and_saveexec_b64 s[14:15], s[2:3]
	s_cbranch_execz .LBB80_26
; %bb.28:                               ;   in Loop: Header=BB80_27 Depth=2
	scratch_load_dword v13, v9, off
	s_waitcnt vmcnt(0)
	v_add_f32_e32 v12, v12, v13
	global_store_dword v[6:7], v8, off
	s_branch .LBB80_26
.LBB80_29:
	s_waitcnt lgkmcnt(0)
	s_load_dword s6, s[0:1], 0x3c
	s_waitcnt lgkmcnt(0)
	s_bitcmp1_b32 s6, 0
	s_cselect_b64 s[2:3], -1, 0
	s_bitcmp0_b32 s6, 0
	s_cbranch_scc0 .LBB80_32
; %bb.30:
	s_load_dwordx2 s[6:7], s[0:1], 0x40
	s_andn2_b64 vcc, exec, s[2:3]
	s_waitcnt lgkmcnt(0)
	v_cvt_f32_f64_e32 v11, s[6:7]
	s_cbranch_vccz .LBB80_33
.LBB80_31:
	s_andn2_b64 vcc, exec, s[4:5]
	s_cbranch_vccz .LBB80_34
	s_branch .LBB80_80
.LBB80_32:
	v_mbcnt_lo_u32_b32 v3, -1, 0
	v_mbcnt_hi_u32_b32 v3, -1, v3
	v_and_b32_e32 v6, 0x78, v3
	v_add_u32_e32 v6, 8, v6
	v_xor_b32_e32 v7, 4, v3
	v_cmp_lt_i32_e32 vcc, v7, v6
	v_xor_b32_e32 v8, 2, v3
	v_xor_b32_e32 v9, 1, v3
	v_cndmask_b32_e32 v7, v3, v7, vcc
	v_lshlrev_b32_e32 v7, 2, v7
	ds_bpermute_b32 v7, v7, v12
	v_cmp_lt_i32_e32 vcc, v8, v6
	s_waitcnt lgkmcnt(0)
	v_add_f32_e32 v7, v12, v7
	v_cndmask_b32_e32 v8, v3, v8, vcc
	v_lshlrev_b32_e32 v8, 2, v8
	ds_bpermute_b32 v8, v8, v7
	v_cmp_lt_i32_e32 vcc, v9, v6
	s_waitcnt lgkmcnt(0)
	v_add_f32_e32 v7, v7, v8
	v_cndmask_b32_e32 v3, v3, v9, vcc
	v_lshlrev_b32_e32 v3, 2, v3
	ds_bpermute_b32 v3, v3, v7
	s_waitcnt lgkmcnt(0)
	v_add_f32_e32 v12, v7, v3
	s_load_dwordx2 s[6:7], s[0:1], 0x40
	s_andn2_b64 vcc, exec, s[2:3]
	s_waitcnt lgkmcnt(0)
	v_cvt_f32_f64_e32 v11, s[6:7]
	s_cbranch_vccnz .LBB80_31
.LBB80_33:
	v_cmp_lt_f32_e32 vcc, 0, v12
	s_nop 1
	v_cndmask_b32_e32 v3, 1.0, v12, vcc
	v_div_scale_f32 v6, s[2:3], v3, v3, v11
	v_rcp_f32_e32 v7, v6
	s_nop 0
	v_fma_f32 v8, -v6, v7, 1.0
	v_fmac_f32_e32 v7, v8, v7
	v_div_scale_f32 v8, vcc, v11, v3, v11
	v_mul_f32_e32 v9, v8, v7
	v_fma_f32 v12, -v6, v9, v8
	v_fmac_f32_e32 v9, v12, v7
	v_fma_f32 v6, -v6, v9, v8
	v_div_fmas_f32 v6, v6, v7, v9
	v_div_fixup_f32 v11, v6, v3, v11
	s_andn2_b64 vcc, exec, s[4:5]
	s_cbranch_vccnz .LBB80_80
.LBB80_34:
	s_load_dwordx2 s[4:5], s[0:1], 0x10
	v_mov_b32_e32 v3, 0
	v_or_b32_e32 v12, 4, v3
	v_or_b32_e32 v13, 8, v3
	;; [unrolled: 1-line block ×6, first 2 shown]
	s_cmp_lt_u32 s20, 4
	s_mov_b32 s6, 0
	s_cbranch_scc1 .LBB80_69
; %bb.35:
	v_ashrrev_i32_e32 v3, 31, v2
	s_and_b32 s6, s20, 0x7ffffffc
	s_waitcnt lgkmcnt(0)
	v_lshl_add_u64 v[6:7], v[2:3], 2, s[4:5]
	s_mov_b32 s7, 0
	s_mov_b64 s[8:9], 0
	s_branch .LBB80_37
.LBB80_36:                              ;   in Loop: Header=BB80_37 Depth=1
	s_or_b64 exec, exec, s[2:3]
	s_add_i32 s7, s7, 4
	s_add_u32 s8, s8, 16
	s_addc_u32 s9, s9, 0
	s_cmp_eq_u32 s6, s7
	s_cbranch_scc1 .LBB80_69
.LBB80_37:                              ; =>This Inner Loop Header: Depth=1
	v_lshl_add_u64 v[8:9], v[4:5], 0, s[8:9]
	global_load_dword v18, v[8:9], off
	v_mov_b32_e32 v3, 0
	s_waitcnt vmcnt(0)
	v_cmp_eq_u32_e32 vcc, v18, v10
	v_cmp_ne_u32_e64 s[0:1], v18, v10
	s_and_saveexec_b64 s[12:13], s[0:1]
	s_cbranch_execz .LBB80_43
; %bb.38:                               ;   in Loop: Header=BB80_37 Depth=1
	v_cmp_eq_u32_e64 s[0:1], v18, v15
	v_cmp_ne_u32_e64 s[2:3], v18, v15
	v_mov_b32_e32 v3, v12
	s_and_saveexec_b64 s[14:15], s[2:3]
	s_cbranch_execz .LBB80_42
; %bb.39:                               ;   in Loop: Header=BB80_37 Depth=1
	v_cmp_eq_u32_e64 s[16:17], v18, v16
	v_cmp_ne_u32_e64 s[2:3], v18, v16
	v_mov_b32_e32 v3, v13
	s_and_saveexec_b64 s[18:19], s[2:3]
	s_xor_b64 s[18:19], exec, s[18:19]
; %bb.40:                               ;   in Loop: Header=BB80_37 Depth=1
	v_cmp_eq_u32_e64 s[2:3], v18, v17
	s_andn2_b64 s[16:17], s[16:17], exec
	s_and_b64 s[2:3], s[2:3], exec
	s_or_b64 s[16:17], s[16:17], s[2:3]
	v_mov_b32_e32 v3, v14
; %bb.41:                               ;   in Loop: Header=BB80_37 Depth=1
	s_or_b64 exec, exec, s[18:19]
	s_andn2_b64 s[0:1], s[0:1], exec
	s_and_b64 s[2:3], s[16:17], exec
	s_or_b64 s[0:1], s[0:1], s[2:3]
.LBB80_42:                              ;   in Loop: Header=BB80_37 Depth=1
	s_or_b64 exec, exec, s[14:15]
	s_andn2_b64 s[2:3], vcc, exec
	s_and_b64 s[0:1], s[0:1], exec
	s_or_b64 vcc, s[2:3], s[0:1]
.LBB80_43:                              ;   in Loop: Header=BB80_37 Depth=1
	s_or_b64 exec, exec, s[12:13]
	s_and_saveexec_b64 s[0:1], vcc
	s_cbranch_execz .LBB80_45
; %bb.44:                               ;   in Loop: Header=BB80_37 Depth=1
	scratch_load_dword v3, v3, off
	v_add_u32_e32 v18, s7, v2
	v_ashrrev_i32_e32 v19, 31, v18
	v_lshl_add_u64 v[18:19], v[18:19], 2, s[4:5]
	s_waitcnt vmcnt(0)
	v_mul_f32_e32 v3, v11, v3
	global_store_dword v[18:19], v3, off
.LBB80_45:                              ;   in Loop: Header=BB80_37 Depth=1
	s_or_b64 exec, exec, s[0:1]
	global_load_dword v18, v[8:9], off offset:4
	v_mov_b32_e32 v3, 0
	s_waitcnt vmcnt(0)
	v_cmp_eq_u32_e64 s[0:1], v18, v10
	v_cmp_ne_u32_e32 vcc, v18, v10
	s_and_saveexec_b64 s[2:3], vcc
	s_cbranch_execz .LBB80_51
; %bb.46:                               ;   in Loop: Header=BB80_37 Depth=1
	v_cmp_eq_u32_e64 s[12:13], v18, v15
	v_cmp_ne_u32_e32 vcc, v18, v15
	v_mov_b32_e32 v3, v12
	s_and_saveexec_b64 s[14:15], vcc
	s_cbranch_execz .LBB80_50
; %bb.47:                               ;   in Loop: Header=BB80_37 Depth=1
	v_cmp_eq_u32_e64 s[16:17], v18, v16
	v_cmp_ne_u32_e32 vcc, v18, v16
	v_mov_b32_e32 v3, v13
	s_and_saveexec_b64 s[18:19], vcc
; %bb.48:                               ;   in Loop: Header=BB80_37 Depth=1
	v_cmp_eq_u32_e32 vcc, v18, v17
	s_andn2_b64 s[16:17], s[16:17], exec
	s_and_b64 s[22:23], vcc, exec
	s_or_b64 s[16:17], s[16:17], s[22:23]
	v_mov_b32_e32 v3, v14
; %bb.49:                               ;   in Loop: Header=BB80_37 Depth=1
	s_or_b64 exec, exec, s[18:19]
	s_andn2_b64 s[12:13], s[12:13], exec
	s_and_b64 s[16:17], s[16:17], exec
	s_or_b64 s[12:13], s[12:13], s[16:17]
.LBB80_50:                              ;   in Loop: Header=BB80_37 Depth=1
	s_or_b64 exec, exec, s[14:15]
	s_andn2_b64 s[0:1], s[0:1], exec
	s_and_b64 s[12:13], s[12:13], exec
	s_or_b64 s[0:1], s[0:1], s[12:13]
.LBB80_51:                              ;   in Loop: Header=BB80_37 Depth=1
	s_or_b64 exec, exec, s[2:3]
	s_and_saveexec_b64 s[2:3], s[0:1]
	s_cbranch_execz .LBB80_53
; %bb.52:                               ;   in Loop: Header=BB80_37 Depth=1
	scratch_load_dword v3, v3, off
	v_lshl_add_u64 v[18:19], v[6:7], 0, s[8:9]
	s_waitcnt vmcnt(0)
	v_mul_f32_e32 v3, v11, v3
	global_store_dword v[18:19], v3, off offset:4
.LBB80_53:                              ;   in Loop: Header=BB80_37 Depth=1
	s_or_b64 exec, exec, s[2:3]
	global_load_dword v18, v[8:9], off offset:8
	v_mov_b32_e32 v3, 0
	s_waitcnt vmcnt(0)
	v_cmp_eq_u32_e64 s[0:1], v18, v10
	v_cmp_ne_u32_e32 vcc, v18, v10
	s_and_saveexec_b64 s[2:3], vcc
	s_cbranch_execz .LBB80_59
; %bb.54:                               ;   in Loop: Header=BB80_37 Depth=1
	v_cmp_eq_u32_e64 s[12:13], v18, v15
	v_cmp_ne_u32_e32 vcc, v18, v15
	v_mov_b32_e32 v3, v12
	s_and_saveexec_b64 s[14:15], vcc
	s_cbranch_execz .LBB80_58
; %bb.55:                               ;   in Loop: Header=BB80_37 Depth=1
	v_cmp_eq_u32_e64 s[16:17], v18, v16
	v_cmp_ne_u32_e32 vcc, v18, v16
	v_mov_b32_e32 v3, v13
	s_and_saveexec_b64 s[18:19], vcc
; %bb.56:                               ;   in Loop: Header=BB80_37 Depth=1
	v_cmp_eq_u32_e32 vcc, v18, v17
	s_andn2_b64 s[16:17], s[16:17], exec
	s_and_b64 s[22:23], vcc, exec
	s_or_b64 s[16:17], s[16:17], s[22:23]
	v_mov_b32_e32 v3, v14
; %bb.57:                               ;   in Loop: Header=BB80_37 Depth=1
	s_or_b64 exec, exec, s[18:19]
	s_andn2_b64 s[12:13], s[12:13], exec
	s_and_b64 s[16:17], s[16:17], exec
	s_or_b64 s[12:13], s[12:13], s[16:17]
.LBB80_58:                              ;   in Loop: Header=BB80_37 Depth=1
	s_or_b64 exec, exec, s[14:15]
	s_andn2_b64 s[0:1], s[0:1], exec
	s_and_b64 s[12:13], s[12:13], exec
	s_or_b64 s[0:1], s[0:1], s[12:13]
.LBB80_59:                              ;   in Loop: Header=BB80_37 Depth=1
	s_or_b64 exec, exec, s[2:3]
	s_and_saveexec_b64 s[2:3], s[0:1]
	s_cbranch_execz .LBB80_61
; %bb.60:                               ;   in Loop: Header=BB80_37 Depth=1
	scratch_load_dword v3, v3, off
	v_lshl_add_u64 v[18:19], v[6:7], 0, s[8:9]
	s_waitcnt vmcnt(0)
	v_mul_f32_e32 v3, v11, v3
	global_store_dword v[18:19], v3, off offset:8
.LBB80_61:                              ;   in Loop: Header=BB80_37 Depth=1
	s_or_b64 exec, exec, s[2:3]
	global_load_dword v8, v[8:9], off offset:12
	v_mov_b32_e32 v3, 0
	s_waitcnt vmcnt(0)
	v_cmp_eq_u32_e64 s[0:1], v8, v10
	v_cmp_ne_u32_e32 vcc, v8, v10
	s_and_saveexec_b64 s[2:3], vcc
	s_cbranch_execz .LBB80_67
; %bb.62:                               ;   in Loop: Header=BB80_37 Depth=1
	v_cmp_eq_u32_e64 s[12:13], v8, v15
	v_cmp_ne_u32_e32 vcc, v8, v15
	v_mov_b32_e32 v3, v12
	s_and_saveexec_b64 s[14:15], vcc
	s_cbranch_execz .LBB80_66
; %bb.63:                               ;   in Loop: Header=BB80_37 Depth=1
	v_cmp_eq_u32_e64 s[16:17], v8, v16
	v_cmp_ne_u32_e32 vcc, v8, v16
	v_mov_b32_e32 v3, v13
	s_and_saveexec_b64 s[18:19], vcc
; %bb.64:                               ;   in Loop: Header=BB80_37 Depth=1
	v_cmp_eq_u32_e32 vcc, v8, v17
	s_andn2_b64 s[16:17], s[16:17], exec
	s_and_b64 s[22:23], vcc, exec
	s_or_b64 s[16:17], s[16:17], s[22:23]
	v_mov_b32_e32 v3, v14
; %bb.65:                               ;   in Loop: Header=BB80_37 Depth=1
	s_or_b64 exec, exec, s[18:19]
	s_andn2_b64 s[12:13], s[12:13], exec
	s_and_b64 s[16:17], s[16:17], exec
	s_or_b64 s[12:13], s[12:13], s[16:17]
.LBB80_66:                              ;   in Loop: Header=BB80_37 Depth=1
	s_or_b64 exec, exec, s[14:15]
	s_andn2_b64 s[0:1], s[0:1], exec
	s_and_b64 s[12:13], s[12:13], exec
	s_or_b64 s[0:1], s[0:1], s[12:13]
.LBB80_67:                              ;   in Loop: Header=BB80_37 Depth=1
	s_or_b64 exec, exec, s[2:3]
	s_and_saveexec_b64 s[2:3], s[0:1]
	s_cbranch_execz .LBB80_36
; %bb.68:                               ;   in Loop: Header=BB80_37 Depth=1
	scratch_load_dword v3, v3, off
	v_lshl_add_u64 v[8:9], v[6:7], 0, s[8:9]
	s_waitcnt vmcnt(0)
	v_mul_f32_e32 v3, v11, v3
	global_store_dword v[8:9], v3, off offset:12
	s_branch .LBB80_36
.LBB80_69:
	s_and_b32 s14, s20, 3
	s_cmp_eq_u32 s14, 0
	s_mov_b32 s7, 0
	s_cbranch_scc1 .LBB80_80
; %bb.70:
	s_lshl_b64 s[0:1], s[6:7], 2
	s_add_u32 s0, s10, s0
	s_addc_u32 s1, s11, s1
	v_add_u32_e32 v2, s6, v2
	v_lshl_add_u64 v[0:1], v[0:1], 2, s[0:1]
	s_branch .LBB80_72
.LBB80_71:                              ;   in Loop: Header=BB80_72 Depth=1
	s_or_b64 exec, exec, s[2:3]
	s_add_i32 s14, s14, -1
	v_add_u32_e32 v2, 1, v2
	s_cmp_lg_u32 s14, 0
	v_lshl_add_u64 v[0:1], v[0:1], 0, 4
	s_cbranch_scc0 .LBB80_80
.LBB80_72:                              ; =>This Inner Loop Header: Depth=1
	global_load_dword v4, v[0:1], off
	v_mov_b32_e32 v3, 0
	s_waitcnt vmcnt(0)
	v_cmp_eq_u32_e64 s[0:1], v4, v10
	v_cmp_ne_u32_e32 vcc, v4, v10
	s_and_saveexec_b64 s[2:3], vcc
	s_cbranch_execz .LBB80_78
; %bb.73:                               ;   in Loop: Header=BB80_72 Depth=1
	v_cmp_eq_u32_e64 s[6:7], v4, v15
	v_cmp_ne_u32_e32 vcc, v4, v15
	v_mov_b32_e32 v3, v12
	s_and_saveexec_b64 s[8:9], vcc
	s_cbranch_execz .LBB80_77
; %bb.74:                               ;   in Loop: Header=BB80_72 Depth=1
	v_cmp_eq_u32_e64 s[10:11], v4, v16
	v_cmp_ne_u32_e32 vcc, v4, v16
	v_mov_b32_e32 v3, v13
	s_and_saveexec_b64 s[12:13], vcc
; %bb.75:                               ;   in Loop: Header=BB80_72 Depth=1
	v_cmp_eq_u32_e32 vcc, v4, v17
	s_andn2_b64 s[10:11], s[10:11], exec
	s_and_b64 s[16:17], vcc, exec
	s_or_b64 s[10:11], s[10:11], s[16:17]
	v_mov_b32_e32 v3, v14
; %bb.76:                               ;   in Loop: Header=BB80_72 Depth=1
	s_or_b64 exec, exec, s[12:13]
	s_andn2_b64 s[6:7], s[6:7], exec
	s_and_b64 s[10:11], s[10:11], exec
	s_or_b64 s[6:7], s[6:7], s[10:11]
.LBB80_77:                              ;   in Loop: Header=BB80_72 Depth=1
	s_or_b64 exec, exec, s[8:9]
	s_andn2_b64 s[0:1], s[0:1], exec
	s_and_b64 s[6:7], s[6:7], exec
	s_or_b64 s[0:1], s[0:1], s[6:7]
.LBB80_78:                              ;   in Loop: Header=BB80_72 Depth=1
	s_or_b64 exec, exec, s[2:3]
	s_and_saveexec_b64 s[2:3], s[0:1]
	s_cbranch_execz .LBB80_71
; %bb.79:                               ;   in Loop: Header=BB80_72 Depth=1
	scratch_load_dword v4, v3, off
	v_ashrrev_i32_e32 v3, 31, v2
	s_waitcnt vmcnt(0)
	v_mul_f32_e32 v6, v11, v4
	s_waitcnt lgkmcnt(0)
	v_lshl_add_u64 v[4:5], v[2:3], 2, s[4:5]
	global_store_dword v[4:5], v6, off
	s_branch .LBB80_71
.LBB80_80:
	s_endpgm
	.section	.rodata,"a",@progbits
	.p2align	6, 0x0
	.amdhsa_kernel _ZN4vllm3moe22topkGatingSoftplusSqrtILi4ELi32ELi4ELi16ELi64ELb1EjfEEvPKT6_PKbPfiPT5_PiiiibdPKfPKS8_SE_
		.amdhsa_group_segment_fixed_size 0
		.amdhsa_private_segment_fixed_size 32
		.amdhsa_kernarg_size 96
		.amdhsa_user_sgpr_count 2
		.amdhsa_user_sgpr_dispatch_ptr 0
		.amdhsa_user_sgpr_queue_ptr 0
		.amdhsa_user_sgpr_kernarg_segment_ptr 1
		.amdhsa_user_sgpr_dispatch_id 0
		.amdhsa_user_sgpr_kernarg_preload_length 0
		.amdhsa_user_sgpr_kernarg_preload_offset 0
		.amdhsa_user_sgpr_private_segment_size 0
		.amdhsa_uses_dynamic_stack 0
		.amdhsa_enable_private_segment 1
		.amdhsa_system_sgpr_workgroup_id_x 1
		.amdhsa_system_sgpr_workgroup_id_y 0
		.amdhsa_system_sgpr_workgroup_id_z 0
		.amdhsa_system_sgpr_workgroup_info 0
		.amdhsa_system_vgpr_workitem_id 1
		.amdhsa_next_free_vgpr 23
		.amdhsa_next_free_sgpr 24
		.amdhsa_accum_offset 24
		.amdhsa_reserve_vcc 1
		.amdhsa_float_round_mode_32 0
		.amdhsa_float_round_mode_16_64 0
		.amdhsa_float_denorm_mode_32 3
		.amdhsa_float_denorm_mode_16_64 3
		.amdhsa_dx10_clamp 1
		.amdhsa_ieee_mode 1
		.amdhsa_fp16_overflow 0
		.amdhsa_tg_split 0
		.amdhsa_exception_fp_ieee_invalid_op 0
		.amdhsa_exception_fp_denorm_src 0
		.amdhsa_exception_fp_ieee_div_zero 0
		.amdhsa_exception_fp_ieee_overflow 0
		.amdhsa_exception_fp_ieee_underflow 0
		.amdhsa_exception_fp_ieee_inexact 0
		.amdhsa_exception_int_div_zero 0
	.end_amdhsa_kernel
	.section	.text._ZN4vllm3moe22topkGatingSoftplusSqrtILi4ELi32ELi4ELi16ELi64ELb1EjfEEvPKT6_PKbPfiPT5_PiiiibdPKfPKS8_SE_,"axG",@progbits,_ZN4vllm3moe22topkGatingSoftplusSqrtILi4ELi32ELi4ELi16ELi64ELb1EjfEEvPKT6_PKbPfiPT5_PiiiibdPKfPKS8_SE_,comdat
.Lfunc_end80:
	.size	_ZN4vllm3moe22topkGatingSoftplusSqrtILi4ELi32ELi4ELi16ELi64ELb1EjfEEvPKT6_PKbPfiPT5_PiiiibdPKfPKS8_SE_, .Lfunc_end80-_ZN4vllm3moe22topkGatingSoftplusSqrtILi4ELi32ELi4ELi16ELi64ELb1EjfEEvPKT6_PKbPfiPT5_PiiiibdPKfPKS8_SE_
                                        ; -- End function
	.section	.AMDGPU.csdata,"",@progbits
; Kernel info:
; codeLenInByte = 3436
; NumSgprs: 30
; NumVgprs: 23
; NumAgprs: 0
; TotalNumVgprs: 23
; ScratchSize: 32
; MemoryBound: 0
; FloatMode: 240
; IeeeMode: 1
; LDSByteSize: 0 bytes/workgroup (compile time only)
; SGPRBlocks: 3
; VGPRBlocks: 2
; NumSGPRsForWavesPerEU: 30
; NumVGPRsForWavesPerEU: 23
; AccumOffset: 24
; Occupancy: 8
; WaveLimiterHint : 1
; COMPUTE_PGM_RSRC2:SCRATCH_EN: 1
; COMPUTE_PGM_RSRC2:USER_SGPR: 2
; COMPUTE_PGM_RSRC2:TRAP_HANDLER: 0
; COMPUTE_PGM_RSRC2:TGID_X_EN: 1
; COMPUTE_PGM_RSRC2:TGID_Y_EN: 0
; COMPUTE_PGM_RSRC2:TGID_Z_EN: 0
; COMPUTE_PGM_RSRC2:TIDIG_COMP_CNT: 1
; COMPUTE_PGM_RSRC3_GFX90A:ACCUM_OFFSET: 5
; COMPUTE_PGM_RSRC3_GFX90A:TG_SPLIT: 0
	.section	.text._ZN4vllm3moe22topkGatingSoftplusSqrtILi4ELi32ELi4ELi16ELi64ELb0EjfEEvPKT6_PKbPfiPT5_PiiiibdPKfPKS8_SE_,"axG",@progbits,_ZN4vllm3moe22topkGatingSoftplusSqrtILi4ELi32ELi4ELi16ELi64ELb0EjfEEvPKT6_PKbPfiPT5_PiiiibdPKfPKS8_SE_,comdat
	.protected	_ZN4vllm3moe22topkGatingSoftplusSqrtILi4ELi32ELi4ELi16ELi64ELb0EjfEEvPKT6_PKbPfiPT5_PiiiibdPKfPKS8_SE_ ; -- Begin function _ZN4vllm3moe22topkGatingSoftplusSqrtILi4ELi32ELi4ELi16ELi64ELb0EjfEEvPKT6_PKbPfiPT5_PiiiibdPKfPKS8_SE_
	.globl	_ZN4vllm3moe22topkGatingSoftplusSqrtILi4ELi32ELi4ELi16ELi64ELb0EjfEEvPKT6_PKbPfiPT5_PiiiibdPKfPKS8_SE_
	.p2align	8
	.type	_ZN4vllm3moe22topkGatingSoftplusSqrtILi4ELi32ELi4ELi16ELi64ELb0EjfEEvPKT6_PKbPfiPT5_PiiiibdPKfPKS8_SE_,@function
_ZN4vllm3moe22topkGatingSoftplusSqrtILi4ELi32ELi4ELi16ELi64ELb0EjfEEvPKT6_PKbPfiPT5_PiiiibdPKfPKS8_SE_: ; @_ZN4vllm3moe22topkGatingSoftplusSqrtILi4ELi32ELi4ELi16ELi64ELb0EjfEEvPKT6_PKbPfiPT5_PiiiibdPKfPKS8_SE_
; %bb.0:
	s_load_dword s30, s[2:3], 0x18
	v_and_b32_e32 v1, 0x3ff, v0
	v_bfe_u32 v4, v0, 10, 10
	s_lshl_b32 s4, s4, 5
	v_lshlrev_b32_e32 v2, 3, v4
	v_lshrrev_b32_e32 v3, 3, v1
	v_add3_u32 v2, s4, v2, v3
	s_waitcnt lgkmcnt(0)
	v_cmp_gt_i32_e32 vcc, s30, v2
	s_and_saveexec_b64 s[4:5], vcc
	s_cbranch_execz .LBB81_47
; %bb.1:
	s_load_dwordx4 s[4:7], s[2:3], 0x0
	s_load_dwordx2 s[20:21], s[2:3], 0x10
	s_waitcnt lgkmcnt(0)
	s_cmp_eq_u64 s[6:7], 0
	s_cbranch_scc1 .LBB81_3
; %bb.2:
	v_ashrrev_i32_e32 v3, 31, v2
	v_lshl_add_u64 v[6:7], s[6:7], 0, v[2:3]
	global_load_ubyte v3, v[6:7], off
	s_waitcnt vmcnt(0)
	v_and_b32_e32 v3, 1, v3
	v_cmp_eq_u32_e32 vcc, 1, v3
	s_xor_b64 s[6:7], vcc, -1
	s_orn2_b64 s[22:23], s[6:7], exec
	s_branch .LBB81_4
.LBB81_3:
	s_mov_b64 s[22:23], -1
.LBB81_4:
	v_lshlrev_b32_e32 v8, 5, v2
	v_mov_b32_e32 v6, s4
	v_mov_b32_e32 v7, s5
	v_ashrrev_i32_e32 v9, 31, v8
	v_and_b32_e32 v3, 7, v1
	v_lshl_add_u64 v[6:7], v[8:9], 2, v[6:7]
	v_mov_b32_e32 v9, 0
	v_lshlrev_b32_e32 v8, 4, v3
	v_lshl_add_u64 v[6:7], v[6:7], 0, v[8:9]
	global_load_dwordx4 v[6:9], v[6:7], off
	s_load_dwordx2 s[4:5], s[0:1], 0x4
	s_load_dwordx4 s[8:11], s[2:3], 0x40
	v_bfe_u32 v0, v0, 20, 10
	s_mov_b32 s16, 0x800000
	s_mov_b32 s13, 0x3f317217
	s_waitcnt lgkmcnt(0)
	s_lshr_b32 s0, s4, 16
	s_mul_i32 s0, s0, s5
	v_mul_lo_u32 v1, s0, v1
	v_mad_u32_u24 v1, v4, s5, v1
	v_add_lshl_u32 v4, v1, v0, 4
	s_mov_b32 s14, 0x7f800000
	s_mov_b32 s12, 0x41a00000
	;; [unrolled: 1-line block ×3, first 2 shown]
	s_cmp_lg_u64 s[10:11], 0
	v_mov_b32_e32 v1, 0x260
	s_cselect_b64 s[6:7], -1, 0
	s_and_b64 s[0:1], exec, s[6:7]
	s_waitcnt vmcnt(0)
	ds_write_b128 v4, v[6:9]
	ds_read_b32 v8, v4
	v_mov_b32_e32 v6, 0x4f800000
	v_mov_b32_e32 v7, 0x41b17218
	s_waitcnt lgkmcnt(0)
	v_mul_f32_e32 v0, 0x3fb8aa3b, v8
	v_exp_f32_e32 v0, v0
	s_nop 0
	v_add_f32_e32 v0, 1.0, v0
	v_cmp_gt_f32_e32 vcc, s16, v0
	s_nop 1
	v_cndmask_b32_e32 v5, 1.0, v6, vcc
	v_mul_f32_e32 v0, v0, v5
	v_log_f32_e32 v9, v0
	v_cndmask_b32_e32 v10, 0, v7, vcc
	v_lshlrev_b32_e32 v5, 2, v3
	v_lshlrev_b32_e32 v0, 2, v5
	v_mul_f32_e32 v11, 0x3f317217, v9
	v_fma_f32 v11, v9, s13, -v11
	v_fmac_f32_e32 v11, 0x3377d1cf, v9
	v_fmac_f32_e32 v11, 0x3f317217, v9
	v_cmp_lt_f32_e64 vcc, |v9|, s14
	s_nop 1
	v_cndmask_b32_e32 v9, v9, v11, vcc
	v_sub_f32_e32 v9, v9, v10
	v_cmp_lt_f32_e32 vcc, s12, v8
	s_nop 1
	v_cndmask_b32_e32 v8, v9, v8, vcc
	v_mul_f32_e32 v9, 0x4f800000, v8
	v_cmp_gt_f32_e32 vcc, s15, v8
	s_nop 1
	v_cndmask_b32_e32 v8, v8, v9, vcc
	v_sqrt_f32_e32 v9, v8
	s_nop 0
	v_add_u32_e32 v10, -1, v9
	v_add_u32_e32 v11, 1, v9
	v_fma_f32 v12, -v10, v9, v8
	v_fma_f32 v13, -v11, v9, v8
	v_cmp_ge_f32_e64 s[4:5], 0, v12
	s_nop 1
	v_cndmask_b32_e64 v9, v9, v10, s[4:5]
	v_cmp_lt_f32_e64 s[4:5], 0, v13
	s_nop 1
	v_cndmask_b32_e64 v9, v9, v11, s[4:5]
	v_mul_f32_e32 v10, 0x37800000, v9
	v_cndmask_b32_e32 v9, v9, v10, vcc
	v_cmp_class_f32_e32 vcc, v8, v1
	s_nop 1
	v_cndmask_b32_e32 v8, v9, v8, vcc
	s_mov_b64 vcc, s[0:1]
	s_cbranch_vccz .LBB81_6
; %bb.5:
	global_load_dword v9, v0, s[10:11]
	s_waitcnt vmcnt(0)
	v_add_f32_e32 v8, v8, v9
.LBB81_6:
	ds_read_b32 v9, v4 offset:4
	ds_write_b32 v4, v8
	s_waitcnt lgkmcnt(1)
	v_mul_f32_e32 v10, 0x3fb8aa3b, v9
	v_exp_f32_e32 v10, v10
	s_nop 0
	v_add_f32_e32 v10, 1.0, v10
	v_cmp_gt_f32_e32 vcc, s16, v10
	s_nop 1
	v_cndmask_b32_e32 v6, 1.0, v6, vcc
	v_mul_f32_e32 v6, v10, v6
	v_log_f32_e32 v6, v6
	v_cndmask_b32_e32 v7, 0, v7, vcc
	v_mul_f32_e32 v8, 0x3f317217, v6
	v_fma_f32 v8, v6, s13, -v8
	v_fmac_f32_e32 v8, 0x3377d1cf, v6
	v_fmac_f32_e32 v8, 0x3f317217, v6
	v_cmp_lt_f32_e64 vcc, |v6|, s14
	s_nop 1
	v_cndmask_b32_e32 v6, v6, v8, vcc
	v_sub_f32_e32 v6, v6, v7
	v_cmp_lt_f32_e32 vcc, s12, v9
	v_cndmask_b32_e64 v8, 0, 1, s[6:7]
	v_cmp_ne_u32_e64 s[0:1], 1, v8
	v_cndmask_b32_e32 v6, v6, v9, vcc
	v_mul_f32_e32 v7, 0x4f800000, v6
	v_cmp_gt_f32_e64 s[4:5], s15, v6
	s_andn2_b64 vcc, exec, s[6:7]
	s_nop 0
	v_cndmask_b32_e64 v6, v6, v7, s[4:5]
	v_sqrt_f32_e32 v7, v6
	s_nop 0
	v_add_u32_e32 v8, -1, v7
	v_add_u32_e32 v9, 1, v7
	v_fma_f32 v10, -v8, v7, v6
	v_fma_f32 v11, -v9, v7, v6
	v_cmp_ge_f32_e64 s[6:7], 0, v10
	s_nop 1
	v_cndmask_b32_e64 v7, v7, v8, s[6:7]
	v_cmp_lt_f32_e64 s[6:7], 0, v11
	s_nop 1
	v_cndmask_b32_e64 v7, v7, v9, s[6:7]
	v_mul_f32_e32 v8, 0x37800000, v7
	v_cndmask_b32_e64 v7, v7, v8, s[4:5]
	v_cmp_class_f32_e64 s[4:5], v6, v1
	s_nop 1
	v_cndmask_b32_e64 v1, v7, v6, s[4:5]
	s_cbranch_vccnz .LBB81_8
; %bb.7:
	global_load_dword v6, v0, s[10:11] offset:4
	s_waitcnt vmcnt(0)
	v_add_f32_e32 v1, v1, v6
.LBB81_8:
	ds_read_b32 v8, v4 offset:8
	s_mov_b32 s12, 0x800000
	s_mov_b32 s7, 0x3f317217
	;; [unrolled: 1-line block ×4, first 2 shown]
	s_waitcnt lgkmcnt(0)
	v_mul_f32_e32 v6, 0x3fb8aa3b, v8
	v_exp_f32_e32 v7, v6
	v_mov_b32_e32 v6, 0x4f800000
	s_mov_b32 s14, 0xf800000
	ds_write_b32 v4, v1 offset:4
	v_add_f32_e32 v7, 1.0, v7
	v_cmp_gt_f32_e32 vcc, s12, v7
	s_nop 1
	v_cndmask_b32_e32 v9, 1.0, v6, vcc
	v_mul_f32_e32 v7, v7, v9
	v_log_f32_e32 v9, v7
	v_mov_b32_e32 v7, 0x41b17218
	v_cndmask_b32_e32 v10, 0, v7, vcc
	v_mul_f32_e32 v11, 0x3f317217, v9
	v_fma_f32 v11, v9, s7, -v11
	v_fmac_f32_e32 v11, 0x3377d1cf, v9
	v_fmac_f32_e32 v11, 0x3f317217, v9
	v_cmp_lt_f32_e64 vcc, |v9|, s13
	s_nop 1
	v_cndmask_b32_e32 v9, v9, v11, vcc
	v_sub_f32_e32 v9, v9, v10
	v_cmp_lt_f32_e32 vcc, s6, v8
	s_nop 1
	v_cndmask_b32_e32 v8, v9, v8, vcc
	v_mul_f32_e32 v9, 0x4f800000, v8
	v_cmp_gt_f32_e32 vcc, s14, v8
	s_nop 1
	v_cndmask_b32_e32 v8, v8, v9, vcc
	v_sqrt_f32_e32 v9, v8
	s_nop 0
	v_add_u32_e32 v1, -1, v9
	v_fma_f32 v10, -v1, v9, v8
	v_cmp_ge_f32_e64 s[4:5], 0, v10
	v_add_u32_e32 v10, 1, v9
	s_nop 0
	v_cndmask_b32_e64 v1, v9, v1, s[4:5]
	v_fma_f32 v9, -v10, v9, v8
	v_cmp_lt_f32_e64 s[4:5], 0, v9
	s_nop 1
	v_cndmask_b32_e64 v1, v1, v10, s[4:5]
	v_mul_f32_e32 v9, 0x37800000, v1
	v_cndmask_b32_e32 v9, v1, v9, vcc
	v_mov_b32_e32 v1, 0x260
	v_cmp_class_f32_e64 s[4:5], v8, v1
	s_and_b64 vcc, exec, s[0:1]
	s_nop 0
	v_cndmask_b32_e64 v8, v9, v8, s[4:5]
	s_cbranch_vccnz .LBB81_10
; %bb.9:
	global_load_dword v9, v0, s[10:11] offset:8
	s_waitcnt vmcnt(0)
	v_add_f32_e32 v8, v8, v9
.LBB81_10:
	ds_read_b32 v9, v4 offset:12
	ds_write_b32 v4, v8 offset:8
	s_waitcnt lgkmcnt(1)
	v_mul_f32_e32 v10, 0x3fb8aa3b, v9
	v_exp_f32_e32 v10, v10
	s_nop 0
	v_add_f32_e32 v10, 1.0, v10
	v_cmp_gt_f32_e32 vcc, s12, v10
	s_nop 1
	v_cndmask_b32_e32 v6, 1.0, v6, vcc
	v_mul_f32_e32 v6, v10, v6
	v_log_f32_e32 v6, v6
	v_cndmask_b32_e32 v7, 0, v7, vcc
	v_mul_f32_e32 v10, 0x3f317217, v6
	v_fma_f32 v10, v6, s7, -v10
	v_fmac_f32_e32 v10, 0x3377d1cf, v6
	v_fmac_f32_e32 v10, 0x3f317217, v6
	v_cmp_lt_f32_e64 vcc, |v6|, s13
	s_nop 1
	v_cndmask_b32_e32 v6, v6, v10, vcc
	v_sub_f32_e32 v6, v6, v7
	v_cmp_lt_f32_e32 vcc, s6, v9
	s_nop 1
	v_cndmask_b32_e32 v6, v6, v9, vcc
	v_mul_f32_e32 v7, 0x4f800000, v6
	v_cmp_gt_f32_e64 s[4:5], s14, v6
	s_and_b64 vcc, exec, s[0:1]
	s_nop 0
	v_cndmask_b32_e64 v6, v6, v7, s[4:5]
	v_sqrt_f32_e32 v7, v6
	s_nop 0
	v_add_u32_e32 v8, -1, v7
	v_add_u32_e32 v9, 1, v7
	v_fma_f32 v10, -v8, v7, v6
	v_fma_f32 v11, -v9, v7, v6
	v_cmp_ge_f32_e64 s[6:7], 0, v10
	s_nop 1
	v_cndmask_b32_e64 v7, v7, v8, s[6:7]
	v_cmp_lt_f32_e64 s[6:7], 0, v11
	s_nop 1
	v_cndmask_b32_e64 v7, v7, v9, s[6:7]
	v_mul_f32_e32 v8, 0x37800000, v7
	v_cndmask_b32_e64 v7, v7, v8, s[4:5]
	v_cmp_class_f32_e64 s[4:5], v6, v1
	s_nop 1
	v_cndmask_b32_e64 v1, v7, v6, s[4:5]
	s_cbranch_vccnz .LBB81_12
; %bb.11:
	global_load_dword v0, v0, s[10:11] offset:12
	s_waitcnt vmcnt(0)
	v_add_f32_e32 v1, v1, v0
.LBB81_12:
	s_load_dwordx4 s[12:15], s[2:3], 0x30
	s_mov_b32 s31, 0
	v_cmp_eq_u32_e64 s[6:7], 0, v3
	ds_write_b32 v4, v1 offset:12
	s_waitcnt lgkmcnt(0)
	s_bitcmp1_b32 s15, 0
	s_cselect_b64 s[4:5], -1, 0
	s_cmp_gt_i32 s12, 0
	s_cselect_b64 s[24:25], -1, 0
	s_and_b64 vcc, exec, s[24:25]
	s_cbranch_vccz .LBB81_33
; %bb.13:
	v_mbcnt_lo_u32_b32 v0, -1, 0
	v_mbcnt_hi_u32_b32 v0, -1, v0
	v_and_b32_e32 v1, 0x78, v0
	v_add_u32_e32 v1, 8, v1
	v_xor_b32_e32 v6, 4, v0
	v_cmp_lt_i32_e32 vcc, v6, v1
	s_load_dwordx4 s[16:19], s[2:3], 0x20
	v_mul_lo_u32 v7, v2, s12
	v_cndmask_b32_e32 v6, v0, v6, vcc
	v_lshlrev_b32_e32 v8, 2, v6
	v_xor_b32_e32 v6, 2, v0
	v_cmp_lt_i32_e32 vcc, v6, v1
	v_mov_b32_e32 v11, 0xc61c4000
	v_mov_b32_e32 v12, v2
	v_cndmask_b32_e32 v6, v0, v6, vcc
	v_lshlrev_b32_e32 v9, 2, v6
	v_xor_b32_e32 v6, 1, v0
	v_cmp_lt_i32_e32 vcc, v6, v1
	s_nop 1
	v_cndmask_b32_e32 v0, v0, v6, vcc
	v_lshlrev_b32_e32 v10, 2, v0
	v_mov_b32_e32 v6, 0
	s_branch .LBB81_15
.LBB81_14:                              ;   in Loop: Header=BB81_15 Depth=1
	s_or_b64 exec, exec, s[2:3]
	s_cmp_eq_u32 s12, s31
	v_add_u32_e32 v12, s30, v12
	s_cbranch_scc1 .LBB81_34
.LBB81_15:                              ; =>This Inner Loop Header: Depth=1
	ds_read_b128 v[14:17], v4
	s_waitcnt lgkmcnt(0)
	v_cmp_gt_f32_e32 vcc, v15, v14
	s_nop 1
	v_cndmask_b32_e32 v1, v14, v15, vcc
	v_cndmask_b32_e64 v0, 0, 1, vcc
	v_cmp_gt_f32_e32 vcc, v16, v1
	s_nop 1
	v_cndmask_b32_e32 v1, v1, v16, vcc
	v_cndmask_b32_e64 v0, v0, 2, vcc
	v_cmp_gt_f32_e32 vcc, v17, v1
	s_nop 1
	v_cndmask_b32_e64 v0, v0, 3, vcc
	v_cndmask_b32_e32 v13, v1, v17, vcc
	ds_bpermute_b32 v1, v8, v13
	v_or_b32_e32 v0, v5, v0
	ds_bpermute_b32 v14, v8, v0
	s_waitcnt lgkmcnt(1)
	v_cmp_lt_f32_e64 s[26:27], v13, v1
	v_cmp_nlt_f32_e32 vcc, v13, v1
	s_and_saveexec_b64 s[28:29], vcc
	s_cbranch_execz .LBB81_17
; %bb.16:                               ;   in Loop: Header=BB81_15 Depth=1
	v_cmp_eq_f32_e32 vcc, v13, v1
	s_waitcnt lgkmcnt(0)
	v_cmp_lt_i32_e64 s[2:3], v14, v0
	s_and_b64 s[2:3], vcc, s[2:3]
	s_andn2_b64 s[26:27], s[26:27], exec
	s_and_b64 s[2:3], s[2:3], exec
	s_or_b64 s[26:27], s[26:27], s[2:3]
.LBB81_17:                              ;   in Loop: Header=BB81_15 Depth=1
	s_or_b64 exec, exec, s[28:29]
	s_and_saveexec_b64 s[2:3], s[26:27]
	s_cbranch_execz .LBB81_19
; %bb.18:                               ;   in Loop: Header=BB81_15 Depth=1
	v_mov_b32_e32 v13, v1
	s_waitcnt lgkmcnt(0)
	v_mov_b32_e32 v0, v14
.LBB81_19:                              ;   in Loop: Header=BB81_15 Depth=1
	s_or_b64 exec, exec, s[2:3]
	ds_bpermute_b32 v1, v9, v13
	s_waitcnt lgkmcnt(1)
	ds_bpermute_b32 v14, v9, v0
	s_waitcnt lgkmcnt(1)
	v_cmp_lt_f32_e64 s[26:27], v13, v1
	v_cmp_nlt_f32_e32 vcc, v13, v1
	s_and_saveexec_b64 s[28:29], vcc
	s_cbranch_execz .LBB81_21
; %bb.20:                               ;   in Loop: Header=BB81_15 Depth=1
	v_cmp_eq_f32_e32 vcc, v13, v1
	s_waitcnt lgkmcnt(0)
	v_cmp_lt_i32_e64 s[2:3], v14, v0
	s_and_b64 s[2:3], vcc, s[2:3]
	s_andn2_b64 s[26:27], s[26:27], exec
	s_and_b64 s[2:3], s[2:3], exec
	s_or_b64 s[26:27], s[26:27], s[2:3]
.LBB81_21:                              ;   in Loop: Header=BB81_15 Depth=1
	s_or_b64 exec, exec, s[28:29]
	s_and_saveexec_b64 s[2:3], s[26:27]
	s_cbranch_execz .LBB81_23
; %bb.22:                               ;   in Loop: Header=BB81_15 Depth=1
	v_mov_b32_e32 v13, v1
	s_waitcnt lgkmcnt(0)
	v_mov_b32_e32 v0, v14
.LBB81_23:                              ;   in Loop: Header=BB81_15 Depth=1
	s_or_b64 exec, exec, s[2:3]
	ds_bpermute_b32 v1, v10, v13
	s_waitcnt lgkmcnt(1)
	ds_bpermute_b32 v14, v10, v0
	s_waitcnt lgkmcnt(1)
	v_cmp_lt_f32_e64 s[26:27], v13, v1
	v_cmp_nlt_f32_e32 vcc, v13, v1
	s_and_saveexec_b64 s[28:29], vcc
	s_cbranch_execnz .LBB81_26
; %bb.24:                               ;   in Loop: Header=BB81_15 Depth=1
	s_or_b64 exec, exec, s[28:29]
	s_and_saveexec_b64 s[2:3], s[26:27]
	s_cbranch_execnz .LBB81_27
.LBB81_25:                              ;   in Loop: Header=BB81_15 Depth=1
	s_or_b64 exec, exec, s[2:3]
	s_and_saveexec_b64 s[26:27], s[6:7]
	s_cbranch_execnz .LBB81_28
	s_branch .LBB81_31
.LBB81_26:                              ;   in Loop: Header=BB81_15 Depth=1
	v_cmp_eq_f32_e32 vcc, v13, v1
	s_waitcnt lgkmcnt(0)
	v_cmp_lt_i32_e64 s[2:3], v14, v0
	s_and_b64 s[2:3], vcc, s[2:3]
	s_andn2_b64 s[26:27], s[26:27], exec
	s_and_b64 s[2:3], s[2:3], exec
	s_or_b64 s[26:27], s[26:27], s[2:3]
	s_or_b64 exec, exec, s[28:29]
	s_and_saveexec_b64 s[2:3], s[26:27]
	s_cbranch_execz .LBB81_25
.LBB81_27:                              ;   in Loop: Header=BB81_15 Depth=1
	s_waitcnt lgkmcnt(0)
	v_mov_b32_e32 v0, v14
	v_mov_b32_e32 v13, v1
	s_or_b64 exec, exec, s[2:3]
	s_and_saveexec_b64 s[26:27], s[6:7]
	s_cbranch_execz .LBB81_31
.LBB81_28:                              ;   in Loop: Header=BB81_15 Depth=1
	s_and_b64 vcc, exec, s[0:1]
	s_cbranch_vccnz .LBB81_30
; %bb.29:                               ;   in Loop: Header=BB81_15 Depth=1
	v_ashrrev_i32_e32 v1, 31, v0
	s_waitcnt lgkmcnt(0)
	v_lshl_add_u64 v[14:15], v[0:1], 2, s[10:11]
	global_load_dword v1, v[14:15], off
	s_waitcnt vmcnt(0)
	v_sub_f32_e32 v13, v13, v1
.LBB81_30:                              ;   in Loop: Header=BB81_15 Depth=1
	s_waitcnt lgkmcnt(0)
	v_add_u32_e32 v14, s31, v7
	v_cmp_le_i32_e32 vcc, s13, v0
	v_cmp_gt_i32_e64 s[2:3], s14, v0
	v_ashrrev_i32_e32 v15, 31, v14
	s_and_b64 s[2:3], vcc, s[2:3]
	v_lshlrev_b64 v[14:15], 2, v[14:15]
	v_lshl_add_u64 v[16:17], s[20:21], 0, v[14:15]
	v_subrev_u32_e32 v1, s13, v0
	s_and_b64 vcc, s[22:23], s[2:3]
	global_store_dword v[16:17], v13, off
	v_cndmask_b32_e32 v1, 32, v1, vcc
	v_lshl_add_u64 v[16:17], s[16:17], 0, v[14:15]
	global_store_dword v[16:17], v1, off
	v_add_f32_e32 v1, v6, v13
	v_lshl_add_u64 v[14:15], s[18:19], 0, v[14:15]
	v_cndmask_b32_e64 v6, v6, v1, s[4:5]
	global_store_dword v[14:15], v12, off
.LBB81_31:                              ;   in Loop: Header=BB81_15 Depth=1
	s_or_b64 exec, exec, s[26:27]
	v_ashrrev_i32_e32 v13, 31, v0
	v_lshrrev_b32_e32 v1, 30, v13
	v_add_u32_e32 v1, v0, v1
	v_ashrrev_i32_e32 v1, 2, v1
	s_waitcnt lgkmcnt(0)
	v_lshrrev_b32_e32 v14, 29, v1
	v_add_u32_e32 v14, v1, v14
	s_add_i32 s31, s31, 1
	v_and_b32_e32 v14, -8, v14
	s_cmp_lt_i32 s31, s12
	v_sub_u32_e32 v14, v1, v14
	s_cselect_b64 s[2:3], -1, 0
	v_cmp_eq_u32_e32 vcc, v3, v14
	s_and_b64 s[26:27], s[2:3], vcc
	s_and_saveexec_b64 s[2:3], s[26:27]
	s_cbranch_execz .LBB81_14
; %bb.32:                               ;   in Loop: Header=BB81_15 Depth=1
	v_lshrrev_b32_e32 v13, 27, v13
	v_add_u32_e32 v13, v0, v13
	v_lshlrev_b32_e32 v1, 2, v1
	v_ashrrev_i32_e32 v13, 5, v13
	v_sub_u32_e32 v0, v0, v1
	v_lshl_add_u32 v0, v13, 2, v0
	v_lshl_add_u32 v0, v0, 2, v4
	ds_write_b32 v0, v11
	s_branch .LBB81_14
.LBB81_33:
	v_mov_b32_e32 v6, 0
.LBB81_34:
	v_cmp_eq_u32_e32 vcc, 0, v3
	s_and_b64 exec, exec, vcc
	s_cbranch_execz .LBB81_47
; %bb.35:
	s_andn2_b64 vcc, exec, s[4:5]
	v_cvt_f32_f64_e32 v0, s[8:9]
	s_cbranch_vccnz .LBB81_37
; %bb.36:
	v_cmp_lt_f32_e32 vcc, 0, v6
	s_nop 1
	v_cndmask_b32_e32 v1, 1.0, v6, vcc
	v_div_scale_f32 v3, s[0:1], v1, v1, v0
	v_rcp_f32_e32 v4, v3
	s_nop 0
	v_fma_f32 v5, -v3, v4, 1.0
	v_fmac_f32_e32 v4, v5, v4
	v_div_scale_f32 v5, vcc, v0, v1, v0
	v_mul_f32_e32 v6, v5, v4
	v_fma_f32 v7, -v3, v6, v5
	v_fmac_f32_e32 v6, v7, v4
	v_fma_f32 v3, -v3, v6, v5
	v_div_fmas_f32 v3, v3, v4, v6
	v_div_fixup_f32 v0, v3, v1, v0
.LBB81_37:
	s_andn2_b64 vcc, exec, s[24:25]
	s_cbranch_vccnz .LBB81_47
; %bb.38:
	v_mul_lo_u32 v2, v2, s12
	s_cmp_gt_u32 s12, 3
	v_ashrrev_i32_e32 v3, 31, v2
	s_cbranch_scc0 .LBB81_42
; %bb.39:
	s_and_b32 s0, s12, 0x7ffffffc
	v_lshl_add_u64 v[4:5], v[2:3], 2, s[20:21]
	v_mov_b32_e32 v1, v0
	v_lshl_add_u64 v[4:5], v[4:5], 0, 8
	s_mov_b32 s1, s0
.LBB81_40:                              ; =>This Inner Loop Header: Depth=1
	global_load_dwordx4 v[6:9], v[4:5], off offset:-8
	s_add_i32 s1, s1, -4
	s_cmp_lg_u32 s1, 0
	s_waitcnt vmcnt(0)
	v_pk_mul_f32 v[6:7], v[0:1], v[6:7]
	v_pk_mul_f32 v[8:9], v[0:1], v[8:9]
	global_store_dwordx4 v[4:5], v[6:9], off offset:-8
	v_lshl_add_u64 v[4:5], v[4:5], 0, 16
	s_cbranch_scc1 .LBB81_40
; %bb.41:
	s_cmp_lg_u32 s0, s12
	s_cselect_b64 s[2:3], -1, 0
	s_branch .LBB81_44
.LBB81_42:
	s_mov_b64 s[2:3], 0
                                        ; implicit-def: $sgpr0
	s_cbranch_execz .LBB81_44
; %bb.43:
	s_mov_b64 s[2:3], -1
	s_mov_b32 s0, 0
.LBB81_44:
	s_andn2_b64 vcc, exec, s[2:3]
	s_cbranch_vccnz .LBB81_47
; %bb.45:
	s_mov_b32 s1, 0
	v_lshl_add_u64 v[2:3], v[2:3], 0, s[0:1]
	s_sub_i32 s2, s12, s0
	v_lshl_add_u64 v[2:3], v[2:3], 2, s[20:21]
.LBB81_46:                              ; =>This Inner Loop Header: Depth=1
	global_load_dword v1, v[2:3], off
	s_add_i32 s2, s2, -1
	s_cmp_lg_u32 s2, 0
	s_waitcnt vmcnt(0)
	v_mul_f32_e32 v1, v0, v1
	global_store_dword v[2:3], v1, off
	v_lshl_add_u64 v[2:3], v[2:3], 0, 4
	s_cbranch_scc1 .LBB81_46
.LBB81_47:
	s_endpgm
	.section	.rodata,"a",@progbits
	.p2align	6, 0x0
	.amdhsa_kernel _ZN4vllm3moe22topkGatingSoftplusSqrtILi4ELi32ELi4ELi16ELi64ELb0EjfEEvPKT6_PKbPfiPT5_PiiiibdPKfPKS8_SE_
		.amdhsa_group_segment_fixed_size 4096
		.amdhsa_private_segment_fixed_size 0
		.amdhsa_kernarg_size 96
		.amdhsa_user_sgpr_count 4
		.amdhsa_user_sgpr_dispatch_ptr 1
		.amdhsa_user_sgpr_queue_ptr 0
		.amdhsa_user_sgpr_kernarg_segment_ptr 1
		.amdhsa_user_sgpr_dispatch_id 0
		.amdhsa_user_sgpr_kernarg_preload_length 0
		.amdhsa_user_sgpr_kernarg_preload_offset 0
		.amdhsa_user_sgpr_private_segment_size 0
		.amdhsa_uses_dynamic_stack 0
		.amdhsa_enable_private_segment 0
		.amdhsa_system_sgpr_workgroup_id_x 1
		.amdhsa_system_sgpr_workgroup_id_y 0
		.amdhsa_system_sgpr_workgroup_id_z 0
		.amdhsa_system_sgpr_workgroup_info 0
		.amdhsa_system_vgpr_workitem_id 2
		.amdhsa_next_free_vgpr 18
		.amdhsa_next_free_sgpr 32
		.amdhsa_accum_offset 20
		.amdhsa_reserve_vcc 1
		.amdhsa_float_round_mode_32 0
		.amdhsa_float_round_mode_16_64 0
		.amdhsa_float_denorm_mode_32 3
		.amdhsa_float_denorm_mode_16_64 3
		.amdhsa_dx10_clamp 1
		.amdhsa_ieee_mode 1
		.amdhsa_fp16_overflow 0
		.amdhsa_tg_split 0
		.amdhsa_exception_fp_ieee_invalid_op 0
		.amdhsa_exception_fp_denorm_src 0
		.amdhsa_exception_fp_ieee_div_zero 0
		.amdhsa_exception_fp_ieee_overflow 0
		.amdhsa_exception_fp_ieee_underflow 0
		.amdhsa_exception_fp_ieee_inexact 0
		.amdhsa_exception_int_div_zero 0
	.end_amdhsa_kernel
	.section	.text._ZN4vllm3moe22topkGatingSoftplusSqrtILi4ELi32ELi4ELi16ELi64ELb0EjfEEvPKT6_PKbPfiPT5_PiiiibdPKfPKS8_SE_,"axG",@progbits,_ZN4vllm3moe22topkGatingSoftplusSqrtILi4ELi32ELi4ELi16ELi64ELb0EjfEEvPKT6_PKbPfiPT5_PiiiibdPKfPKS8_SE_,comdat
.Lfunc_end81:
	.size	_ZN4vllm3moe22topkGatingSoftplusSqrtILi4ELi32ELi4ELi16ELi64ELb0EjfEEvPKT6_PKbPfiPT5_PiiiibdPKfPKS8_SE_, .Lfunc_end81-_ZN4vllm3moe22topkGatingSoftplusSqrtILi4ELi32ELi4ELi16ELi64ELb0EjfEEvPKT6_PKbPfiPT5_PiiiibdPKfPKS8_SE_
                                        ; -- End function
	.section	.AMDGPU.csdata,"",@progbits
; Kernel info:
; codeLenInByte = 2740
; NumSgprs: 38
; NumVgprs: 18
; NumAgprs: 0
; TotalNumVgprs: 18
; ScratchSize: 0
; MemoryBound: 0
; FloatMode: 240
; IeeeMode: 1
; LDSByteSize: 4096 bytes/workgroup (compile time only)
; SGPRBlocks: 4
; VGPRBlocks: 2
; NumSGPRsForWavesPerEU: 38
; NumVGPRsForWavesPerEU: 18
; AccumOffset: 20
; Occupancy: 8
; WaveLimiterHint : 0
; COMPUTE_PGM_RSRC2:SCRATCH_EN: 0
; COMPUTE_PGM_RSRC2:USER_SGPR: 4
; COMPUTE_PGM_RSRC2:TRAP_HANDLER: 0
; COMPUTE_PGM_RSRC2:TGID_X_EN: 1
; COMPUTE_PGM_RSRC2:TGID_Y_EN: 0
; COMPUTE_PGM_RSRC2:TGID_Z_EN: 0
; COMPUTE_PGM_RSRC2:TIDIG_COMP_CNT: 2
; COMPUTE_PGM_RSRC3_GFX90A:ACCUM_OFFSET: 4
; COMPUTE_PGM_RSRC3_GFX90A:TG_SPLIT: 0
	.section	.text._ZN4vllm3moe22topkGatingSoftplusSqrtILi4ELi32ELi4ELi16ELi32ELb1EjfEEvPKT6_PKbPfiPT5_PiiiibdPKfPKS8_SE_,"axG",@progbits,_ZN4vllm3moe22topkGatingSoftplusSqrtILi4ELi32ELi4ELi16ELi32ELb1EjfEEvPKT6_PKbPfiPT5_PiiiibdPKfPKS8_SE_,comdat
	.protected	_ZN4vllm3moe22topkGatingSoftplusSqrtILi4ELi32ELi4ELi16ELi32ELb1EjfEEvPKT6_PKbPfiPT5_PiiiibdPKfPKS8_SE_ ; -- Begin function _ZN4vllm3moe22topkGatingSoftplusSqrtILi4ELi32ELi4ELi16ELi32ELb1EjfEEvPKT6_PKbPfiPT5_PiiiibdPKfPKS8_SE_
	.globl	_ZN4vllm3moe22topkGatingSoftplusSqrtILi4ELi32ELi4ELi16ELi32ELb1EjfEEvPKT6_PKbPfiPT5_PiiiibdPKfPKS8_SE_
	.p2align	8
	.type	_ZN4vllm3moe22topkGatingSoftplusSqrtILi4ELi32ELi4ELi16ELi32ELb1EjfEEvPKT6_PKbPfiPT5_PiiiibdPKfPKS8_SE_,@function
_ZN4vllm3moe22topkGatingSoftplusSqrtILi4ELi32ELi4ELi16ELi32ELb1EjfEEvPKT6_PKbPfiPT5_PiiiibdPKfPKS8_SE_: ; @_ZN4vllm3moe22topkGatingSoftplusSqrtILi4ELi32ELi4ELi16ELi32ELb1EjfEEvPKT6_PKbPfiPT5_PiiiibdPKfPKS8_SE_
; %bb.0:
	s_load_dword s3, s[0:1], 0x18
	v_bfe_u32 v1, v0, 10, 10
	v_and_b32_e32 v6, 0x3ff, v0
	s_lshl_b32 s2, s2, 4
	v_lshlrev_b32_e32 v1, 2, v1
	v_lshrrev_b32_e32 v0, 3, v6
	v_add3_u32 v2, s2, v1, v0
	s_waitcnt lgkmcnt(0)
	v_cmp_gt_i32_e32 vcc, s3, v2
	s_and_saveexec_b64 s[2:3], vcc
	s_cbranch_execz .LBB82_80
; %bb.1:
	s_load_dwordx2 s[2:3], s[0:1], 0x0
	s_load_dword s20, s[0:1], 0x30
	v_lshlrev_b32_e32 v0, 5, v2
	v_lshlrev_b32_e32 v3, 2, v6
	v_ashrrev_i32_e32 v1, 31, v0
	v_and_b32_e32 v10, 28, v3
	s_waitcnt lgkmcnt(0)
	v_lshl_add_u64 v[4:5], v[0:1], 2, s[2:3]
	v_lshlrev_b32_e32 v0, 2, v10
	v_mov_b32_e32 v1, 0
	v_lshl_add_u64 v[4:5], v[4:5], 0, v[0:1]
	global_load_dwordx4 v[12:15], v[4:5], off
	s_load_dwordx4 s[8:11], s[0:1], 0x50
	v_ashrrev_i32_e32 v3, 31, v2
	s_mov_b32 s6, 0x800000
	s_mov_b32 s12, 0x3f317217
	;; [unrolled: 1-line block ×3, first 2 shown]
	s_waitcnt lgkmcnt(0)
	v_mov_b32_e32 v4, s8
	v_mov_b32_e32 v5, s9
	v_lshl_add_u64 v[4:5], v[2:3], 2, v[4:5]
	global_load_dword v0, v[4:5], off
	v_mov_b32_e32 v3, 0x4f800000
	v_mov_b32_e32 v7, 0x41b17218
	s_mov_b32 s9, 0x41a00000
	s_mov_b32 s14, 0xf800000
	v_mov_b32_e32 v11, 0x260
	s_cmp_gt_i32 s20, 0
	s_mov_b32 s8, 0
	v_mul_lo_u32 v2, v2, s20
	s_waitcnt vmcnt(1)
	v_mul_f32_e32 v4, 0x3fb8aa3b, v12
	v_mul_f32_e32 v5, 0x3fb8aa3b, v13
	v_exp_f32_e32 v4, v4
	v_exp_f32_e32 v5, v5
	v_mul_f32_e32 v8, 0x3fb8aa3b, v14
	v_mul_f32_e32 v9, 0x3fb8aa3b, v15
	v_exp_f32_e32 v8, v8
	v_exp_f32_e32 v9, v9
	v_pk_add_f32 v[4:5], v[4:5], 1.0 op_sel_hi:[1,0]
	s_waitcnt vmcnt(0)
	v_mul_lo_u32 v0, v0, s20
	v_cmp_gt_f32_e32 vcc, s6, v5
	v_pk_add_f32 v[8:9], v[8:9], 1.0 op_sel_hi:[1,0]
	v_cmp_gt_f32_e64 s[2:3], s6, v4
	v_cndmask_b32_e32 v16, 1.0, v3, vcc
	v_cmp_gt_f32_e64 s[4:5], s6, v9
	v_cndmask_b32_e64 v17, 1.0, v3, s[2:3]
	v_mul_f32_e32 v5, v5, v16
	v_cndmask_b32_e64 v18, 1.0, v3, s[4:5]
	v_cmp_gt_f32_e64 s[6:7], s6, v8
	v_mul_f32_e32 v4, v4, v17
	v_log_f32_e32 v5, v5
	v_cndmask_b32_e64 v3, 1.0, v3, s[6:7]
	v_mul_f32_e32 v9, v9, v18
	v_log_f32_e32 v4, v4
	v_mul_f32_e32 v3, v8, v3
	v_log_f32_e32 v8, v9
	v_log_f32_e32 v3, v3
	v_mul_f32_e32 v9, 0x3f317217, v5
	v_mul_f32_e32 v19, 0x3f317217, v4
	v_fma_f32 v9, v5, s12, -v9
	v_mul_f32_e32 v20, 0x3f317217, v8
	v_fma_f32 v19, v4, s12, -v19
	v_fmac_f32_e32 v9, 0x3377d1cf, v5
	v_cndmask_b32_e32 v16, 0, v7, vcc
	v_mul_f32_e32 v21, 0x3f317217, v3
	v_fma_f32 v20, v8, s12, -v20
	v_fmac_f32_e32 v19, 0x3377d1cf, v4
	v_fmac_f32_e32 v9, 0x3f317217, v5
	v_cmp_lt_f32_e64 vcc, |v5|, s13
	v_fma_f32 v21, v3, s12, -v21
	v_fmac_f32_e32 v20, 0x3377d1cf, v8
	v_fmac_f32_e32 v19, 0x3f317217, v4
	v_cndmask_b32_e32 v5, v5, v9, vcc
	v_cmp_lt_f32_e64 vcc, |v4|, s13
	v_fmac_f32_e32 v21, 0x3377d1cf, v3
	v_fmac_f32_e32 v20, 0x3f317217, v8
	v_cndmask_b32_e32 v4, v4, v19, vcc
	v_cmp_lt_f32_e64 vcc, |v8|, s13
	v_cndmask_b32_e64 v17, 0, v7, s[2:3]
	v_fmac_f32_e32 v21, 0x3f317217, v3
	v_cndmask_b32_e32 v8, v8, v20, vcc
	v_cmp_lt_f32_e64 vcc, |v3|, s13
	v_sub_f32_e32 v4, v4, v17
	v_sub_f32_e32 v5, v5, v16
	v_cndmask_b32_e32 v3, v3, v21, vcc
	v_cmp_lt_f32_e32 vcc, s9, v12
	v_cndmask_b32_e64 v18, 0, v7, s[4:5]
	v_sub_f32_e32 v8, v8, v18
	v_cndmask_b32_e32 v4, v4, v12, vcc
	v_cmp_lt_f32_e32 vcc, s9, v13
	v_mul_f32_e32 v12, 0x4f800000, v4
	v_cmp_gt_f32_e64 s[2:3], s14, v4
	v_cndmask_b32_e32 v5, v5, v13, vcc
	v_mul_f32_e32 v9, 0x4f800000, v5
	v_cmp_gt_f32_e32 vcc, s14, v5
	v_cndmask_b32_e64 v4, v4, v12, s[2:3]
	v_sqrt_f32_e32 v12, v4
	v_cndmask_b32_e32 v5, v5, v9, vcc
	v_sqrt_f32_e32 v9, v5
	v_add_u32_e32 v17, -1, v12
	v_fma_f32 v21, -v17, v12, v4
	v_add_u32_e32 v13, -1, v9
	v_fma_f32 v19, -v13, v9, v5
	v_add_u32_e32 v16, 1, v9
	v_cmp_ge_f32_e64 s[4:5], 0, v19
	v_add_u32_e32 v18, 1, v12
	v_fma_f32 v20, -v16, v9, v5
	v_cndmask_b32_e64 v9, v9, v13, s[4:5]
	v_cmp_ge_f32_e64 s[4:5], 0, v21
	v_fma_f32 v22, -v18, v12, v4
	s_nop 0
	v_cndmask_b32_e64 v12, v12, v17, s[4:5]
	v_cmp_lt_f32_e64 s[4:5], 0, v20
	s_nop 1
	v_cndmask_b32_e64 v9, v9, v16, s[4:5]
	v_cmp_lt_f32_e64 s[4:5], 0, v22
	v_mul_f32_e32 v13, 0x37800000, v9
	v_cndmask_b32_e32 v9, v9, v13, vcc
	v_cndmask_b32_e64 v12, v12, v18, s[4:5]
	v_mul_f32_e32 v16, 0x37800000, v12
	v_cmp_class_f32_e32 vcc, v5, v11
	v_cndmask_b32_e64 v12, v12, v16, s[2:3]
	v_cmp_lt_f32_e64 s[2:3], s9, v14
	v_cndmask_b32_e32 v13, v9, v5, vcc
	v_cmp_class_f32_e32 vcc, v4, v11
	s_cselect_b64 s[4:5], -1, 0
	s_cmp_lt_i32 s20, 1
	v_cndmask_b32_e32 v12, v12, v4, vcc
	v_cmp_lt_f32_e32 vcc, s9, v15
	v_cndmask_b32_e64 v4, 0, v7, s[6:7]
	v_sub_f32_e32 v3, v3, v4
	v_cndmask_b32_e32 v5, v8, v15, vcc
	v_mul_f32_e32 v7, 0x4f800000, v5
	v_cmp_gt_f32_e32 vcc, s14, v5
	v_cndmask_b32_e64 v3, v3, v14, s[2:3]
	s_nop 0
	v_cndmask_b32_e32 v5, v5, v7, vcc
	v_sqrt_f32_e32 v7, v5
	s_nop 0
	v_add_u32_e32 v4, -1, v7
	v_fma_f32 v8, -v4, v7, v5
	v_cmp_ge_f32_e64 s[2:3], 0, v8
	v_add_u32_e32 v8, 1, v7
	s_nop 0
	v_cndmask_b32_e64 v4, v7, v4, s[2:3]
	v_fma_f32 v7, -v8, v7, v5
	v_cmp_lt_f32_e64 s[2:3], 0, v7
	s_nop 1
	v_cndmask_b32_e64 v4, v4, v8, s[2:3]
	v_mul_f32_e32 v8, 0x4f800000, v3
	v_cmp_gt_f32_e64 s[2:3], s14, v3
	v_mul_f32_e32 v7, 0x37800000, v4
	v_cndmask_b32_e32 v4, v4, v7, vcc
	v_cndmask_b32_e64 v3, v3, v8, s[2:3]
	v_sqrt_f32_e32 v8, v3
	v_cmp_class_f32_e32 vcc, v5, v11
	s_nop 1
	v_cndmask_b32_e32 v15, v4, v5, vcc
	v_add_u32_e32 v4, -1, v8
	v_fma_f32 v5, -v4, v8, v3
	v_cmp_ge_f32_e32 vcc, 0, v5
	v_add_u32_e32 v5, 1, v8
	v_fma_f32 v7, -v5, v8, v3
	v_cndmask_b32_e32 v4, v8, v4, vcc
	v_cmp_lt_f32_e32 vcc, 0, v7
	s_nop 1
	v_cndmask_b32_e32 v4, v4, v5, vcc
	v_mul_f32_e32 v5, 0x37800000, v4
	v_cndmask_b32_e64 v4, v4, v5, s[2:3]
	v_cmp_class_f32_e32 vcc, v3, v11
	s_nop 1
	v_cndmask_b32_e32 v14, v4, v3, vcc
	scratch_store_dwordx4 off, v[12:15], off
	v_lshl_add_u64 v[4:5], v[0:1], 2, s[10:11]
	s_nop 0
	v_mov_b32_e32 v12, v1
	s_cbranch_scc1 .LBB82_29
; %bb.2:
	s_load_dwordx2 s[6:7], s[0:1], 0x20
	s_cmp_lt_u32 s20, 4
	v_and_b32_e32 v11, 7, v6
	s_cbranch_scc1 .LBB82_21
; %bb.3:
	v_lshlrev_b32_e32 v6, 2, v11
	s_mov_b32 s13, 0
	s_and_b32 s8, s20, 0x7ffffffc
	v_ashrrev_i32_e32 v3, 31, v2
	v_sub_u32_e32 v13, 0, v6
	v_mov_b32_e32 v12, 0
	s_mov_b32 s12, s13
	s_branch .LBB82_5
.LBB82_4:                               ;   in Loop: Header=BB82_5 Depth=1
	s_or_b64 exec, exec, s[14:15]
	s_add_i32 s12, s12, 4
	s_cmp_eq_u32 s12, s8
	s_cbranch_scc1 .LBB82_22
.LBB82_5:                               ; =>This Loop Header: Depth=1
                                        ;     Child Loop BB82_7 Depth 2
                                        ;     Child Loop BB82_11 Depth 2
	;; [unrolled: 1-line block ×4, first 2 shown]
	v_lshl_add_u64 v[6:7], s[12:13], 2, v[4:5]
	global_load_dword v14, v[6:7], off
	v_add_u32_e32 v8, s12, v2
	v_ashrrev_i32_e32 v9, 31, v8
	v_mov_b32_e32 v15, 0
	s_mov_b64 s[14:15], 0
	s_waitcnt lgkmcnt(0)
	v_lshl_add_u64 v[8:9], v[8:9], 2, s[6:7]
	s_mov_b32 s9, 0
	s_waitcnt vmcnt(0)
	v_add_u32_e32 v16, v13, v14
	s_branch .LBB82_7
.LBB82_6:                               ;   in Loop: Header=BB82_7 Depth=2
	s_or_b64 exec, exec, s[16:17]
	s_add_i32 s18, s9, 1
	s_cmp_gt_u32 s9, 2
	s_cselect_b64 s[2:3], -1, 0
	s_xor_b64 s[16:17], vcc, -1
	s_or_b64 s[2:3], s[16:17], s[2:3]
	s_and_b64 s[2:3], exec, s[2:3]
	v_add_u32_e32 v15, 4, v15
	s_or_b64 s[14:15], s[2:3], s[14:15]
	s_mov_b32 s9, s18
	s_andn2_b64 exec, exec, s[14:15]
	s_cbranch_execz .LBB82_9
.LBB82_7:                               ;   Parent Loop BB82_5 Depth=1
                                        ; =>  This Inner Loop Header: Depth=2
	v_cmp_ne_u32_e32 vcc, s9, v16
	v_cmp_eq_u32_e64 s[2:3], s9, v16
	s_and_saveexec_b64 s[16:17], s[2:3]
	s_cbranch_execz .LBB82_6
; %bb.8:                                ;   in Loop: Header=BB82_7 Depth=2
	scratch_load_dword v17, v15, off
	s_waitcnt vmcnt(0)
	v_add_f32_e32 v12, v12, v17
	global_store_dword v[8:9], v14, off
	s_branch .LBB82_6
.LBB82_9:                               ;   in Loop: Header=BB82_5 Depth=1
	s_or_b64 exec, exec, s[14:15]
	global_load_dword v14, v[6:7], off offset:4
	s_ashr_i32 s3, s12, 31
	s_mov_b32 s2, s12
	v_lshl_add_u64 v[8:9], s[2:3], 0, v[2:3]
	v_mov_b32_e32 v15, 0
	s_mov_b32 s9, 0
	v_lshl_add_u64 v[8:9], v[8:9], 2, s[6:7]
	s_mov_b64 s[14:15], 0
	s_waitcnt vmcnt(0)
	v_add_u32_e32 v16, v13, v14
	s_branch .LBB82_11
.LBB82_10:                              ;   in Loop: Header=BB82_11 Depth=2
	s_or_b64 exec, exec, s[16:17]
	s_add_i32 s18, s9, 1
	s_cmp_gt_u32 s9, 2
	s_cselect_b64 s[2:3], -1, 0
	s_xor_b64 s[16:17], vcc, -1
	s_or_b64 s[2:3], s[16:17], s[2:3]
	s_and_b64 s[2:3], exec, s[2:3]
	v_add_u32_e32 v15, 4, v15
	s_or_b64 s[14:15], s[2:3], s[14:15]
	s_mov_b32 s9, s18
	s_andn2_b64 exec, exec, s[14:15]
	s_cbranch_execz .LBB82_13
.LBB82_11:                              ;   Parent Loop BB82_5 Depth=1
                                        ; =>  This Inner Loop Header: Depth=2
	v_cmp_ne_u32_e32 vcc, s9, v16
	v_cmp_eq_u32_e64 s[2:3], s9, v16
	s_and_saveexec_b64 s[16:17], s[2:3]
	s_cbranch_execz .LBB82_10
; %bb.12:                               ;   in Loop: Header=BB82_11 Depth=2
	scratch_load_dword v17, v15, off
	s_waitcnt vmcnt(0)
	v_add_f32_e32 v12, v12, v17
	global_store_dword v[8:9], v14, off offset:4
	s_branch .LBB82_10
.LBB82_13:                              ;   in Loop: Header=BB82_5 Depth=1
	s_or_b64 exec, exec, s[14:15]
	global_load_dword v14, v[6:7], off offset:8
	v_mov_b32_e32 v15, 0
	s_mov_b32 s9, 0
	s_mov_b64 s[14:15], 0
	s_waitcnt vmcnt(0)
	v_add_u32_e32 v16, v13, v14
	s_branch .LBB82_15
.LBB82_14:                              ;   in Loop: Header=BB82_15 Depth=2
	s_or_b64 exec, exec, s[16:17]
	s_add_i32 s18, s9, 1
	s_cmp_gt_u32 s9, 2
	s_cselect_b64 s[2:3], -1, 0
	s_xor_b64 s[16:17], vcc, -1
	s_or_b64 s[2:3], s[16:17], s[2:3]
	s_and_b64 s[2:3], exec, s[2:3]
	v_add_u32_e32 v15, 4, v15
	s_or_b64 s[14:15], s[2:3], s[14:15]
	s_mov_b32 s9, s18
	s_andn2_b64 exec, exec, s[14:15]
	s_cbranch_execz .LBB82_17
.LBB82_15:                              ;   Parent Loop BB82_5 Depth=1
                                        ; =>  This Inner Loop Header: Depth=2
	v_cmp_ne_u32_e32 vcc, s9, v16
	v_cmp_eq_u32_e64 s[2:3], s9, v16
	s_and_saveexec_b64 s[16:17], s[2:3]
	s_cbranch_execz .LBB82_14
; %bb.16:                               ;   in Loop: Header=BB82_15 Depth=2
	scratch_load_dword v17, v15, off
	s_waitcnt vmcnt(0)
	v_add_f32_e32 v12, v12, v17
	global_store_dword v[8:9], v14, off offset:8
	s_branch .LBB82_14
.LBB82_17:                              ;   in Loop: Header=BB82_5 Depth=1
	s_or_b64 exec, exec, s[14:15]
	global_load_dword v6, v[6:7], off offset:12
	v_mov_b32_e32 v7, 0
	s_mov_b32 s9, 0
	s_mov_b64 s[14:15], 0
	s_waitcnt vmcnt(0)
	v_add_u32_e32 v14, v13, v6
	s_branch .LBB82_19
.LBB82_18:                              ;   in Loop: Header=BB82_19 Depth=2
	s_or_b64 exec, exec, s[16:17]
	s_add_i32 s18, s9, 1
	s_cmp_gt_u32 s9, 2
	s_cselect_b64 s[2:3], -1, 0
	s_xor_b64 s[16:17], vcc, -1
	s_or_b64 s[2:3], s[16:17], s[2:3]
	s_and_b64 s[2:3], exec, s[2:3]
	v_add_u32_e32 v7, 4, v7
	s_or_b64 s[14:15], s[2:3], s[14:15]
	s_mov_b32 s9, s18
	s_andn2_b64 exec, exec, s[14:15]
	s_cbranch_execz .LBB82_4
.LBB82_19:                              ;   Parent Loop BB82_5 Depth=1
                                        ; =>  This Inner Loop Header: Depth=2
	v_cmp_ne_u32_e32 vcc, s9, v14
	v_cmp_eq_u32_e64 s[2:3], s9, v14
	s_and_saveexec_b64 s[16:17], s[2:3]
	s_cbranch_execz .LBB82_18
; %bb.20:                               ;   in Loop: Header=BB82_19 Depth=2
	scratch_load_dword v15, v7, off
	s_waitcnt vmcnt(0)
	v_add_f32_e32 v12, v12, v15
	global_store_dword v[8:9], v6, off offset:12
	s_branch .LBB82_18
.LBB82_21:
	v_mov_b32_e32 v12, 0
.LBB82_22:
	s_and_b32 s16, s20, 3
	s_cmp_eq_u32 s16, 0
	s_mov_b32 s9, 0
	s_cbranch_scc1 .LBB82_29
; %bb.23:
	v_lshlrev_b32_e32 v3, 2, v11
	v_sub_u32_e32 v3, 0, v3
	s_mov_b32 s17, s9
	s_branch .LBB82_25
.LBB82_24:                              ;   in Loop: Header=BB82_25 Depth=1
	s_or_b64 exec, exec, s[12:13]
	s_add_i32 s8, s8, 1
	s_add_i32 s17, s17, 1
	s_cmp_lg_u32 s17, s16
	s_cbranch_scc0 .LBB82_29
.LBB82_25:                              ; =>This Loop Header: Depth=1
                                        ;     Child Loop BB82_27 Depth 2
	v_lshl_add_u64 v[6:7], s[8:9], 2, v[4:5]
	global_load_dword v8, v[6:7], off
	v_add_u32_e32 v6, s8, v2
	v_ashrrev_i32_e32 v7, 31, v6
	v_mov_b32_e32 v9, 0
	s_mov_b32 s18, 0
	s_waitcnt lgkmcnt(0)
	v_lshl_add_u64 v[6:7], v[6:7], 2, s[6:7]
	s_mov_b64 s[12:13], 0
	s_waitcnt vmcnt(0)
	v_add_u32_e32 v11, v3, v8
	s_branch .LBB82_27
.LBB82_26:                              ;   in Loop: Header=BB82_27 Depth=2
	s_or_b64 exec, exec, s[14:15]
	s_add_i32 s19, s18, 1
	s_cmp_gt_u32 s18, 2
	s_cselect_b64 s[2:3], -1, 0
	s_xor_b64 s[14:15], vcc, -1
	s_or_b64 s[2:3], s[14:15], s[2:3]
	s_and_b64 s[2:3], exec, s[2:3]
	v_add_u32_e32 v9, 4, v9
	s_or_b64 s[12:13], s[2:3], s[12:13]
	s_mov_b32 s18, s19
	s_andn2_b64 exec, exec, s[12:13]
	s_cbranch_execz .LBB82_24
.LBB82_27:                              ;   Parent Loop BB82_25 Depth=1
                                        ; =>  This Inner Loop Header: Depth=2
	v_cmp_ne_u32_e32 vcc, s18, v11
	v_cmp_eq_u32_e64 s[2:3], s18, v11
	s_and_saveexec_b64 s[14:15], s[2:3]
	s_cbranch_execz .LBB82_26
; %bb.28:                               ;   in Loop: Header=BB82_27 Depth=2
	scratch_load_dword v13, v9, off
	s_waitcnt vmcnt(0)
	v_add_f32_e32 v12, v12, v13
	global_store_dword v[6:7], v8, off
	s_branch .LBB82_26
.LBB82_29:
	s_waitcnt lgkmcnt(0)
	s_load_dword s6, s[0:1], 0x3c
	s_waitcnt lgkmcnt(0)
	s_bitcmp1_b32 s6, 0
	s_cselect_b64 s[2:3], -1, 0
	s_bitcmp0_b32 s6, 0
	s_cbranch_scc0 .LBB82_32
; %bb.30:
	s_load_dwordx2 s[6:7], s[0:1], 0x40
	s_andn2_b64 vcc, exec, s[2:3]
	s_waitcnt lgkmcnt(0)
	v_cvt_f32_f64_e32 v11, s[6:7]
	s_cbranch_vccz .LBB82_33
.LBB82_31:
	s_andn2_b64 vcc, exec, s[4:5]
	s_cbranch_vccz .LBB82_34
	s_branch .LBB82_80
.LBB82_32:
	v_mbcnt_lo_u32_b32 v3, -1, 0
	v_mbcnt_hi_u32_b32 v3, -1, v3
	v_and_b32_e32 v6, 0x78, v3
	v_add_u32_e32 v6, 8, v6
	v_xor_b32_e32 v7, 4, v3
	v_cmp_lt_i32_e32 vcc, v7, v6
	v_xor_b32_e32 v8, 2, v3
	v_xor_b32_e32 v9, 1, v3
	v_cndmask_b32_e32 v7, v3, v7, vcc
	v_lshlrev_b32_e32 v7, 2, v7
	ds_bpermute_b32 v7, v7, v12
	v_cmp_lt_i32_e32 vcc, v8, v6
	s_waitcnt lgkmcnt(0)
	v_add_f32_e32 v7, v12, v7
	v_cndmask_b32_e32 v8, v3, v8, vcc
	v_lshlrev_b32_e32 v8, 2, v8
	ds_bpermute_b32 v8, v8, v7
	v_cmp_lt_i32_e32 vcc, v9, v6
	s_waitcnt lgkmcnt(0)
	v_add_f32_e32 v7, v7, v8
	v_cndmask_b32_e32 v3, v3, v9, vcc
	v_lshlrev_b32_e32 v3, 2, v3
	ds_bpermute_b32 v3, v3, v7
	s_waitcnt lgkmcnt(0)
	v_add_f32_e32 v12, v7, v3
	s_load_dwordx2 s[6:7], s[0:1], 0x40
	s_andn2_b64 vcc, exec, s[2:3]
	s_waitcnt lgkmcnt(0)
	v_cvt_f32_f64_e32 v11, s[6:7]
	s_cbranch_vccnz .LBB82_31
.LBB82_33:
	v_cmp_lt_f32_e32 vcc, 0, v12
	s_nop 1
	v_cndmask_b32_e32 v3, 1.0, v12, vcc
	v_div_scale_f32 v6, s[2:3], v3, v3, v11
	v_rcp_f32_e32 v7, v6
	s_nop 0
	v_fma_f32 v8, -v6, v7, 1.0
	v_fmac_f32_e32 v7, v8, v7
	v_div_scale_f32 v8, vcc, v11, v3, v11
	v_mul_f32_e32 v9, v8, v7
	v_fma_f32 v12, -v6, v9, v8
	v_fmac_f32_e32 v9, v12, v7
	v_fma_f32 v6, -v6, v9, v8
	v_div_fmas_f32 v6, v6, v7, v9
	v_div_fixup_f32 v11, v6, v3, v11
	s_andn2_b64 vcc, exec, s[4:5]
	s_cbranch_vccnz .LBB82_80
.LBB82_34:
	s_load_dwordx2 s[4:5], s[0:1], 0x10
	v_mov_b32_e32 v3, 0
	v_or_b32_e32 v12, 4, v3
	v_or_b32_e32 v13, 8, v3
	;; [unrolled: 1-line block ×6, first 2 shown]
	s_cmp_lt_u32 s20, 4
	s_mov_b32 s6, 0
	s_cbranch_scc1 .LBB82_69
; %bb.35:
	v_ashrrev_i32_e32 v3, 31, v2
	s_and_b32 s6, s20, 0x7ffffffc
	s_waitcnt lgkmcnt(0)
	v_lshl_add_u64 v[6:7], v[2:3], 2, s[4:5]
	s_mov_b32 s7, 0
	s_mov_b64 s[8:9], 0
	s_branch .LBB82_37
.LBB82_36:                              ;   in Loop: Header=BB82_37 Depth=1
	s_or_b64 exec, exec, s[2:3]
	s_add_i32 s7, s7, 4
	s_add_u32 s8, s8, 16
	s_addc_u32 s9, s9, 0
	s_cmp_eq_u32 s6, s7
	s_cbranch_scc1 .LBB82_69
.LBB82_37:                              ; =>This Inner Loop Header: Depth=1
	v_lshl_add_u64 v[8:9], v[4:5], 0, s[8:9]
	global_load_dword v18, v[8:9], off
	v_mov_b32_e32 v3, 0
	s_waitcnt vmcnt(0)
	v_cmp_eq_u32_e32 vcc, v18, v10
	v_cmp_ne_u32_e64 s[0:1], v18, v10
	s_and_saveexec_b64 s[12:13], s[0:1]
	s_cbranch_execz .LBB82_43
; %bb.38:                               ;   in Loop: Header=BB82_37 Depth=1
	v_cmp_eq_u32_e64 s[0:1], v18, v15
	v_cmp_ne_u32_e64 s[2:3], v18, v15
	v_mov_b32_e32 v3, v12
	s_and_saveexec_b64 s[14:15], s[2:3]
	s_cbranch_execz .LBB82_42
; %bb.39:                               ;   in Loop: Header=BB82_37 Depth=1
	v_cmp_eq_u32_e64 s[16:17], v18, v16
	v_cmp_ne_u32_e64 s[2:3], v18, v16
	v_mov_b32_e32 v3, v13
	s_and_saveexec_b64 s[18:19], s[2:3]
	s_xor_b64 s[18:19], exec, s[18:19]
; %bb.40:                               ;   in Loop: Header=BB82_37 Depth=1
	v_cmp_eq_u32_e64 s[2:3], v18, v17
	s_andn2_b64 s[16:17], s[16:17], exec
	s_and_b64 s[2:3], s[2:3], exec
	s_or_b64 s[16:17], s[16:17], s[2:3]
	v_mov_b32_e32 v3, v14
; %bb.41:                               ;   in Loop: Header=BB82_37 Depth=1
	s_or_b64 exec, exec, s[18:19]
	s_andn2_b64 s[0:1], s[0:1], exec
	s_and_b64 s[2:3], s[16:17], exec
	s_or_b64 s[0:1], s[0:1], s[2:3]
.LBB82_42:                              ;   in Loop: Header=BB82_37 Depth=1
	s_or_b64 exec, exec, s[14:15]
	s_andn2_b64 s[2:3], vcc, exec
	s_and_b64 s[0:1], s[0:1], exec
	s_or_b64 vcc, s[2:3], s[0:1]
.LBB82_43:                              ;   in Loop: Header=BB82_37 Depth=1
	s_or_b64 exec, exec, s[12:13]
	s_and_saveexec_b64 s[0:1], vcc
	s_cbranch_execz .LBB82_45
; %bb.44:                               ;   in Loop: Header=BB82_37 Depth=1
	scratch_load_dword v3, v3, off
	v_add_u32_e32 v18, s7, v2
	v_ashrrev_i32_e32 v19, 31, v18
	v_lshl_add_u64 v[18:19], v[18:19], 2, s[4:5]
	s_waitcnt vmcnt(0)
	v_mul_f32_e32 v3, v11, v3
	global_store_dword v[18:19], v3, off
.LBB82_45:                              ;   in Loop: Header=BB82_37 Depth=1
	s_or_b64 exec, exec, s[0:1]
	global_load_dword v18, v[8:9], off offset:4
	v_mov_b32_e32 v3, 0
	s_waitcnt vmcnt(0)
	v_cmp_eq_u32_e64 s[0:1], v18, v10
	v_cmp_ne_u32_e32 vcc, v18, v10
	s_and_saveexec_b64 s[2:3], vcc
	s_cbranch_execz .LBB82_51
; %bb.46:                               ;   in Loop: Header=BB82_37 Depth=1
	v_cmp_eq_u32_e64 s[12:13], v18, v15
	v_cmp_ne_u32_e32 vcc, v18, v15
	v_mov_b32_e32 v3, v12
	s_and_saveexec_b64 s[14:15], vcc
	s_cbranch_execz .LBB82_50
; %bb.47:                               ;   in Loop: Header=BB82_37 Depth=1
	v_cmp_eq_u32_e64 s[16:17], v18, v16
	v_cmp_ne_u32_e32 vcc, v18, v16
	v_mov_b32_e32 v3, v13
	s_and_saveexec_b64 s[18:19], vcc
; %bb.48:                               ;   in Loop: Header=BB82_37 Depth=1
	v_cmp_eq_u32_e32 vcc, v18, v17
	s_andn2_b64 s[16:17], s[16:17], exec
	s_and_b64 s[22:23], vcc, exec
	s_or_b64 s[16:17], s[16:17], s[22:23]
	v_mov_b32_e32 v3, v14
; %bb.49:                               ;   in Loop: Header=BB82_37 Depth=1
	s_or_b64 exec, exec, s[18:19]
	s_andn2_b64 s[12:13], s[12:13], exec
	s_and_b64 s[16:17], s[16:17], exec
	s_or_b64 s[12:13], s[12:13], s[16:17]
.LBB82_50:                              ;   in Loop: Header=BB82_37 Depth=1
	s_or_b64 exec, exec, s[14:15]
	s_andn2_b64 s[0:1], s[0:1], exec
	s_and_b64 s[12:13], s[12:13], exec
	s_or_b64 s[0:1], s[0:1], s[12:13]
.LBB82_51:                              ;   in Loop: Header=BB82_37 Depth=1
	s_or_b64 exec, exec, s[2:3]
	s_and_saveexec_b64 s[2:3], s[0:1]
	s_cbranch_execz .LBB82_53
; %bb.52:                               ;   in Loop: Header=BB82_37 Depth=1
	scratch_load_dword v3, v3, off
	v_lshl_add_u64 v[18:19], v[6:7], 0, s[8:9]
	s_waitcnt vmcnt(0)
	v_mul_f32_e32 v3, v11, v3
	global_store_dword v[18:19], v3, off offset:4
.LBB82_53:                              ;   in Loop: Header=BB82_37 Depth=1
	s_or_b64 exec, exec, s[2:3]
	global_load_dword v18, v[8:9], off offset:8
	v_mov_b32_e32 v3, 0
	s_waitcnt vmcnt(0)
	v_cmp_eq_u32_e64 s[0:1], v18, v10
	v_cmp_ne_u32_e32 vcc, v18, v10
	s_and_saveexec_b64 s[2:3], vcc
	s_cbranch_execz .LBB82_59
; %bb.54:                               ;   in Loop: Header=BB82_37 Depth=1
	v_cmp_eq_u32_e64 s[12:13], v18, v15
	v_cmp_ne_u32_e32 vcc, v18, v15
	v_mov_b32_e32 v3, v12
	s_and_saveexec_b64 s[14:15], vcc
	s_cbranch_execz .LBB82_58
; %bb.55:                               ;   in Loop: Header=BB82_37 Depth=1
	v_cmp_eq_u32_e64 s[16:17], v18, v16
	v_cmp_ne_u32_e32 vcc, v18, v16
	v_mov_b32_e32 v3, v13
	s_and_saveexec_b64 s[18:19], vcc
; %bb.56:                               ;   in Loop: Header=BB82_37 Depth=1
	v_cmp_eq_u32_e32 vcc, v18, v17
	s_andn2_b64 s[16:17], s[16:17], exec
	s_and_b64 s[22:23], vcc, exec
	s_or_b64 s[16:17], s[16:17], s[22:23]
	v_mov_b32_e32 v3, v14
; %bb.57:                               ;   in Loop: Header=BB82_37 Depth=1
	s_or_b64 exec, exec, s[18:19]
	s_andn2_b64 s[12:13], s[12:13], exec
	s_and_b64 s[16:17], s[16:17], exec
	s_or_b64 s[12:13], s[12:13], s[16:17]
.LBB82_58:                              ;   in Loop: Header=BB82_37 Depth=1
	s_or_b64 exec, exec, s[14:15]
	s_andn2_b64 s[0:1], s[0:1], exec
	s_and_b64 s[12:13], s[12:13], exec
	s_or_b64 s[0:1], s[0:1], s[12:13]
.LBB82_59:                              ;   in Loop: Header=BB82_37 Depth=1
	s_or_b64 exec, exec, s[2:3]
	s_and_saveexec_b64 s[2:3], s[0:1]
	s_cbranch_execz .LBB82_61
; %bb.60:                               ;   in Loop: Header=BB82_37 Depth=1
	scratch_load_dword v3, v3, off
	v_lshl_add_u64 v[18:19], v[6:7], 0, s[8:9]
	s_waitcnt vmcnt(0)
	v_mul_f32_e32 v3, v11, v3
	global_store_dword v[18:19], v3, off offset:8
.LBB82_61:                              ;   in Loop: Header=BB82_37 Depth=1
	s_or_b64 exec, exec, s[2:3]
	global_load_dword v8, v[8:9], off offset:12
	v_mov_b32_e32 v3, 0
	s_waitcnt vmcnt(0)
	v_cmp_eq_u32_e64 s[0:1], v8, v10
	v_cmp_ne_u32_e32 vcc, v8, v10
	s_and_saveexec_b64 s[2:3], vcc
	s_cbranch_execz .LBB82_67
; %bb.62:                               ;   in Loop: Header=BB82_37 Depth=1
	v_cmp_eq_u32_e64 s[12:13], v8, v15
	v_cmp_ne_u32_e32 vcc, v8, v15
	v_mov_b32_e32 v3, v12
	s_and_saveexec_b64 s[14:15], vcc
	s_cbranch_execz .LBB82_66
; %bb.63:                               ;   in Loop: Header=BB82_37 Depth=1
	v_cmp_eq_u32_e64 s[16:17], v8, v16
	v_cmp_ne_u32_e32 vcc, v8, v16
	v_mov_b32_e32 v3, v13
	s_and_saveexec_b64 s[18:19], vcc
; %bb.64:                               ;   in Loop: Header=BB82_37 Depth=1
	v_cmp_eq_u32_e32 vcc, v8, v17
	s_andn2_b64 s[16:17], s[16:17], exec
	s_and_b64 s[22:23], vcc, exec
	s_or_b64 s[16:17], s[16:17], s[22:23]
	v_mov_b32_e32 v3, v14
; %bb.65:                               ;   in Loop: Header=BB82_37 Depth=1
	s_or_b64 exec, exec, s[18:19]
	s_andn2_b64 s[12:13], s[12:13], exec
	s_and_b64 s[16:17], s[16:17], exec
	s_or_b64 s[12:13], s[12:13], s[16:17]
.LBB82_66:                              ;   in Loop: Header=BB82_37 Depth=1
	s_or_b64 exec, exec, s[14:15]
	s_andn2_b64 s[0:1], s[0:1], exec
	s_and_b64 s[12:13], s[12:13], exec
	s_or_b64 s[0:1], s[0:1], s[12:13]
.LBB82_67:                              ;   in Loop: Header=BB82_37 Depth=1
	s_or_b64 exec, exec, s[2:3]
	s_and_saveexec_b64 s[2:3], s[0:1]
	s_cbranch_execz .LBB82_36
; %bb.68:                               ;   in Loop: Header=BB82_37 Depth=1
	scratch_load_dword v3, v3, off
	v_lshl_add_u64 v[8:9], v[6:7], 0, s[8:9]
	s_waitcnt vmcnt(0)
	v_mul_f32_e32 v3, v11, v3
	global_store_dword v[8:9], v3, off offset:12
	s_branch .LBB82_36
.LBB82_69:
	s_and_b32 s14, s20, 3
	s_cmp_eq_u32 s14, 0
	s_mov_b32 s7, 0
	s_cbranch_scc1 .LBB82_80
; %bb.70:
	s_lshl_b64 s[0:1], s[6:7], 2
	s_add_u32 s0, s10, s0
	s_addc_u32 s1, s11, s1
	v_add_u32_e32 v2, s6, v2
	v_lshl_add_u64 v[0:1], v[0:1], 2, s[0:1]
	s_branch .LBB82_72
.LBB82_71:                              ;   in Loop: Header=BB82_72 Depth=1
	s_or_b64 exec, exec, s[2:3]
	s_add_i32 s14, s14, -1
	v_add_u32_e32 v2, 1, v2
	s_cmp_lg_u32 s14, 0
	v_lshl_add_u64 v[0:1], v[0:1], 0, 4
	s_cbranch_scc0 .LBB82_80
.LBB82_72:                              ; =>This Inner Loop Header: Depth=1
	global_load_dword v4, v[0:1], off
	v_mov_b32_e32 v3, 0
	s_waitcnt vmcnt(0)
	v_cmp_eq_u32_e64 s[0:1], v4, v10
	v_cmp_ne_u32_e32 vcc, v4, v10
	s_and_saveexec_b64 s[2:3], vcc
	s_cbranch_execz .LBB82_78
; %bb.73:                               ;   in Loop: Header=BB82_72 Depth=1
	v_cmp_eq_u32_e64 s[6:7], v4, v15
	v_cmp_ne_u32_e32 vcc, v4, v15
	v_mov_b32_e32 v3, v12
	s_and_saveexec_b64 s[8:9], vcc
	s_cbranch_execz .LBB82_77
; %bb.74:                               ;   in Loop: Header=BB82_72 Depth=1
	v_cmp_eq_u32_e64 s[10:11], v4, v16
	v_cmp_ne_u32_e32 vcc, v4, v16
	v_mov_b32_e32 v3, v13
	s_and_saveexec_b64 s[12:13], vcc
; %bb.75:                               ;   in Loop: Header=BB82_72 Depth=1
	v_cmp_eq_u32_e32 vcc, v4, v17
	s_andn2_b64 s[10:11], s[10:11], exec
	s_and_b64 s[16:17], vcc, exec
	s_or_b64 s[10:11], s[10:11], s[16:17]
	v_mov_b32_e32 v3, v14
; %bb.76:                               ;   in Loop: Header=BB82_72 Depth=1
	s_or_b64 exec, exec, s[12:13]
	s_andn2_b64 s[6:7], s[6:7], exec
	s_and_b64 s[10:11], s[10:11], exec
	s_or_b64 s[6:7], s[6:7], s[10:11]
.LBB82_77:                              ;   in Loop: Header=BB82_72 Depth=1
	s_or_b64 exec, exec, s[8:9]
	s_andn2_b64 s[0:1], s[0:1], exec
	s_and_b64 s[6:7], s[6:7], exec
	s_or_b64 s[0:1], s[0:1], s[6:7]
.LBB82_78:                              ;   in Loop: Header=BB82_72 Depth=1
	s_or_b64 exec, exec, s[2:3]
	s_and_saveexec_b64 s[2:3], s[0:1]
	s_cbranch_execz .LBB82_71
; %bb.79:                               ;   in Loop: Header=BB82_72 Depth=1
	scratch_load_dword v4, v3, off
	v_ashrrev_i32_e32 v3, 31, v2
	s_waitcnt vmcnt(0)
	v_mul_f32_e32 v6, v11, v4
	s_waitcnt lgkmcnt(0)
	v_lshl_add_u64 v[4:5], v[2:3], 2, s[4:5]
	global_store_dword v[4:5], v6, off
	s_branch .LBB82_71
.LBB82_80:
	s_endpgm
	.section	.rodata,"a",@progbits
	.p2align	6, 0x0
	.amdhsa_kernel _ZN4vllm3moe22topkGatingSoftplusSqrtILi4ELi32ELi4ELi16ELi32ELb1EjfEEvPKT6_PKbPfiPT5_PiiiibdPKfPKS8_SE_
		.amdhsa_group_segment_fixed_size 0
		.amdhsa_private_segment_fixed_size 32
		.amdhsa_kernarg_size 96
		.amdhsa_user_sgpr_count 2
		.amdhsa_user_sgpr_dispatch_ptr 0
		.amdhsa_user_sgpr_queue_ptr 0
		.amdhsa_user_sgpr_kernarg_segment_ptr 1
		.amdhsa_user_sgpr_dispatch_id 0
		.amdhsa_user_sgpr_kernarg_preload_length 0
		.amdhsa_user_sgpr_kernarg_preload_offset 0
		.amdhsa_user_sgpr_private_segment_size 0
		.amdhsa_uses_dynamic_stack 0
		.amdhsa_enable_private_segment 1
		.amdhsa_system_sgpr_workgroup_id_x 1
		.amdhsa_system_sgpr_workgroup_id_y 0
		.amdhsa_system_sgpr_workgroup_id_z 0
		.amdhsa_system_sgpr_workgroup_info 0
		.amdhsa_system_vgpr_workitem_id 1
		.amdhsa_next_free_vgpr 23
		.amdhsa_next_free_sgpr 24
		.amdhsa_accum_offset 24
		.amdhsa_reserve_vcc 1
		.amdhsa_float_round_mode_32 0
		.amdhsa_float_round_mode_16_64 0
		.amdhsa_float_denorm_mode_32 3
		.amdhsa_float_denorm_mode_16_64 3
		.amdhsa_dx10_clamp 1
		.amdhsa_ieee_mode 1
		.amdhsa_fp16_overflow 0
		.amdhsa_tg_split 0
		.amdhsa_exception_fp_ieee_invalid_op 0
		.amdhsa_exception_fp_denorm_src 0
		.amdhsa_exception_fp_ieee_div_zero 0
		.amdhsa_exception_fp_ieee_overflow 0
		.amdhsa_exception_fp_ieee_underflow 0
		.amdhsa_exception_fp_ieee_inexact 0
		.amdhsa_exception_int_div_zero 0
	.end_amdhsa_kernel
	.section	.text._ZN4vllm3moe22topkGatingSoftplusSqrtILi4ELi32ELi4ELi16ELi32ELb1EjfEEvPKT6_PKbPfiPT5_PiiiibdPKfPKS8_SE_,"axG",@progbits,_ZN4vllm3moe22topkGatingSoftplusSqrtILi4ELi32ELi4ELi16ELi32ELb1EjfEEvPKT6_PKbPfiPT5_PiiiibdPKfPKS8_SE_,comdat
.Lfunc_end82:
	.size	_ZN4vllm3moe22topkGatingSoftplusSqrtILi4ELi32ELi4ELi16ELi32ELb1EjfEEvPKT6_PKbPfiPT5_PiiiibdPKfPKS8_SE_, .Lfunc_end82-_ZN4vllm3moe22topkGatingSoftplusSqrtILi4ELi32ELi4ELi16ELi32ELb1EjfEEvPKT6_PKbPfiPT5_PiiiibdPKfPKS8_SE_
                                        ; -- End function
	.section	.AMDGPU.csdata,"",@progbits
; Kernel info:
; codeLenInByte = 3436
; NumSgprs: 30
; NumVgprs: 23
; NumAgprs: 0
; TotalNumVgprs: 23
; ScratchSize: 32
; MemoryBound: 0
; FloatMode: 240
; IeeeMode: 1
; LDSByteSize: 0 bytes/workgroup (compile time only)
; SGPRBlocks: 3
; VGPRBlocks: 2
; NumSGPRsForWavesPerEU: 30
; NumVGPRsForWavesPerEU: 23
; AccumOffset: 24
; Occupancy: 8
; WaveLimiterHint : 1
; COMPUTE_PGM_RSRC2:SCRATCH_EN: 1
; COMPUTE_PGM_RSRC2:USER_SGPR: 2
; COMPUTE_PGM_RSRC2:TRAP_HANDLER: 0
; COMPUTE_PGM_RSRC2:TGID_X_EN: 1
; COMPUTE_PGM_RSRC2:TGID_Y_EN: 0
; COMPUTE_PGM_RSRC2:TGID_Z_EN: 0
; COMPUTE_PGM_RSRC2:TIDIG_COMP_CNT: 1
; COMPUTE_PGM_RSRC3_GFX90A:ACCUM_OFFSET: 5
; COMPUTE_PGM_RSRC3_GFX90A:TG_SPLIT: 0
	.section	.text._ZN4vllm3moe22topkGatingSoftplusSqrtILi4ELi32ELi4ELi16ELi32ELb0EjfEEvPKT6_PKbPfiPT5_PiiiibdPKfPKS8_SE_,"axG",@progbits,_ZN4vllm3moe22topkGatingSoftplusSqrtILi4ELi32ELi4ELi16ELi32ELb0EjfEEvPKT6_PKbPfiPT5_PiiiibdPKfPKS8_SE_,comdat
	.protected	_ZN4vllm3moe22topkGatingSoftplusSqrtILi4ELi32ELi4ELi16ELi32ELb0EjfEEvPKT6_PKbPfiPT5_PiiiibdPKfPKS8_SE_ ; -- Begin function _ZN4vllm3moe22topkGatingSoftplusSqrtILi4ELi32ELi4ELi16ELi32ELb0EjfEEvPKT6_PKbPfiPT5_PiiiibdPKfPKS8_SE_
	.globl	_ZN4vllm3moe22topkGatingSoftplusSqrtILi4ELi32ELi4ELi16ELi32ELb0EjfEEvPKT6_PKbPfiPT5_PiiiibdPKfPKS8_SE_
	.p2align	8
	.type	_ZN4vllm3moe22topkGatingSoftplusSqrtILi4ELi32ELi4ELi16ELi32ELb0EjfEEvPKT6_PKbPfiPT5_PiiiibdPKfPKS8_SE_,@function
_ZN4vllm3moe22topkGatingSoftplusSqrtILi4ELi32ELi4ELi16ELi32ELb0EjfEEvPKT6_PKbPfiPT5_PiiiibdPKfPKS8_SE_: ; @_ZN4vllm3moe22topkGatingSoftplusSqrtILi4ELi32ELi4ELi16ELi32ELb0EjfEEvPKT6_PKbPfiPT5_PiiiibdPKfPKS8_SE_
; %bb.0:
	s_load_dword s30, s[2:3], 0x18
	v_and_b32_e32 v1, 0x3ff, v0
	v_bfe_u32 v4, v0, 10, 10
	s_lshl_b32 s4, s4, 4
	v_lshlrev_b32_e32 v2, 2, v4
	v_lshrrev_b32_e32 v3, 3, v1
	v_add3_u32 v2, s4, v2, v3
	s_waitcnt lgkmcnt(0)
	v_cmp_gt_i32_e32 vcc, s30, v2
	s_and_saveexec_b64 s[4:5], vcc
	s_cbranch_execz .LBB83_47
; %bb.1:
	s_load_dwordx4 s[4:7], s[2:3], 0x0
	s_load_dwordx2 s[20:21], s[2:3], 0x10
	s_waitcnt lgkmcnt(0)
	s_cmp_eq_u64 s[6:7], 0
	s_cbranch_scc1 .LBB83_3
; %bb.2:
	v_ashrrev_i32_e32 v3, 31, v2
	v_lshl_add_u64 v[6:7], s[6:7], 0, v[2:3]
	global_load_ubyte v3, v[6:7], off
	s_waitcnt vmcnt(0)
	v_and_b32_e32 v3, 1, v3
	v_cmp_eq_u32_e32 vcc, 1, v3
	s_xor_b64 s[6:7], vcc, -1
	s_orn2_b64 s[22:23], s[6:7], exec
	s_branch .LBB83_4
.LBB83_3:
	s_mov_b64 s[22:23], -1
.LBB83_4:
	v_lshlrev_b32_e32 v8, 5, v2
	v_mov_b32_e32 v6, s4
	v_mov_b32_e32 v7, s5
	v_ashrrev_i32_e32 v9, 31, v8
	v_and_b32_e32 v3, 7, v1
	v_lshl_add_u64 v[6:7], v[8:9], 2, v[6:7]
	v_mov_b32_e32 v9, 0
	v_lshlrev_b32_e32 v8, 4, v3
	v_lshl_add_u64 v[6:7], v[6:7], 0, v[8:9]
	global_load_dwordx4 v[6:9], v[6:7], off
	s_load_dwordx2 s[4:5], s[0:1], 0x4
	s_load_dwordx4 s[8:11], s[2:3], 0x40
	v_bfe_u32 v0, v0, 20, 10
	s_mov_b32 s16, 0x800000
	s_mov_b32 s13, 0x3f317217
	s_waitcnt lgkmcnt(0)
	s_lshr_b32 s0, s4, 16
	v_mul_u32_u24_e32 v4, s5, v4
	s_mul_i32 s0, s0, s5
	v_mad_u32_u24 v1, s0, v1, v4
	v_add_lshl_u32 v4, v1, v0, 4
	s_mov_b32 s14, 0x7f800000
	s_mov_b32 s12, 0x41a00000
	;; [unrolled: 1-line block ×3, first 2 shown]
	s_cmp_lg_u64 s[10:11], 0
	v_mov_b32_e32 v1, 0x260
	s_cselect_b64 s[6:7], -1, 0
	s_and_b64 s[0:1], exec, s[6:7]
	s_waitcnt vmcnt(0)
	ds_write_b128 v4, v[6:9]
	ds_read_b32 v8, v4
	v_mov_b32_e32 v6, 0x4f800000
	v_mov_b32_e32 v7, 0x41b17218
	s_waitcnt lgkmcnt(0)
	v_mul_f32_e32 v0, 0x3fb8aa3b, v8
	v_exp_f32_e32 v0, v0
	s_nop 0
	v_add_f32_e32 v0, 1.0, v0
	v_cmp_gt_f32_e32 vcc, s16, v0
	s_nop 1
	v_cndmask_b32_e32 v5, 1.0, v6, vcc
	v_mul_f32_e32 v0, v0, v5
	v_log_f32_e32 v9, v0
	v_cndmask_b32_e32 v10, 0, v7, vcc
	v_lshlrev_b32_e32 v5, 2, v3
	v_lshlrev_b32_e32 v0, 2, v5
	v_mul_f32_e32 v11, 0x3f317217, v9
	v_fma_f32 v11, v9, s13, -v11
	v_fmac_f32_e32 v11, 0x3377d1cf, v9
	v_fmac_f32_e32 v11, 0x3f317217, v9
	v_cmp_lt_f32_e64 vcc, |v9|, s14
	s_nop 1
	v_cndmask_b32_e32 v9, v9, v11, vcc
	v_sub_f32_e32 v9, v9, v10
	v_cmp_lt_f32_e32 vcc, s12, v8
	s_nop 1
	v_cndmask_b32_e32 v8, v9, v8, vcc
	v_mul_f32_e32 v9, 0x4f800000, v8
	v_cmp_gt_f32_e32 vcc, s15, v8
	s_nop 1
	v_cndmask_b32_e32 v8, v8, v9, vcc
	v_sqrt_f32_e32 v9, v8
	s_nop 0
	v_add_u32_e32 v10, -1, v9
	v_add_u32_e32 v11, 1, v9
	v_fma_f32 v12, -v10, v9, v8
	v_fma_f32 v13, -v11, v9, v8
	v_cmp_ge_f32_e64 s[4:5], 0, v12
	s_nop 1
	v_cndmask_b32_e64 v9, v9, v10, s[4:5]
	v_cmp_lt_f32_e64 s[4:5], 0, v13
	s_nop 1
	v_cndmask_b32_e64 v9, v9, v11, s[4:5]
	v_mul_f32_e32 v10, 0x37800000, v9
	v_cndmask_b32_e32 v9, v9, v10, vcc
	v_cmp_class_f32_e32 vcc, v8, v1
	s_nop 1
	v_cndmask_b32_e32 v8, v9, v8, vcc
	s_mov_b64 vcc, s[0:1]
	s_cbranch_vccz .LBB83_6
; %bb.5:
	global_load_dword v9, v0, s[10:11]
	s_waitcnt vmcnt(0)
	v_add_f32_e32 v8, v8, v9
.LBB83_6:
	ds_read_b32 v9, v4 offset:4
	ds_write_b32 v4, v8
	s_waitcnt lgkmcnt(1)
	v_mul_f32_e32 v10, 0x3fb8aa3b, v9
	v_exp_f32_e32 v10, v10
	s_nop 0
	v_add_f32_e32 v10, 1.0, v10
	v_cmp_gt_f32_e32 vcc, s16, v10
	s_nop 1
	v_cndmask_b32_e32 v6, 1.0, v6, vcc
	v_mul_f32_e32 v6, v10, v6
	v_log_f32_e32 v6, v6
	v_cndmask_b32_e32 v7, 0, v7, vcc
	v_mul_f32_e32 v8, 0x3f317217, v6
	v_fma_f32 v8, v6, s13, -v8
	v_fmac_f32_e32 v8, 0x3377d1cf, v6
	v_fmac_f32_e32 v8, 0x3f317217, v6
	v_cmp_lt_f32_e64 vcc, |v6|, s14
	s_nop 1
	v_cndmask_b32_e32 v6, v6, v8, vcc
	v_sub_f32_e32 v6, v6, v7
	v_cmp_lt_f32_e32 vcc, s12, v9
	v_cndmask_b32_e64 v8, 0, 1, s[6:7]
	v_cmp_ne_u32_e64 s[0:1], 1, v8
	v_cndmask_b32_e32 v6, v6, v9, vcc
	v_mul_f32_e32 v7, 0x4f800000, v6
	v_cmp_gt_f32_e64 s[4:5], s15, v6
	s_andn2_b64 vcc, exec, s[6:7]
	s_nop 0
	v_cndmask_b32_e64 v6, v6, v7, s[4:5]
	v_sqrt_f32_e32 v7, v6
	s_nop 0
	v_add_u32_e32 v8, -1, v7
	v_add_u32_e32 v9, 1, v7
	v_fma_f32 v10, -v8, v7, v6
	v_fma_f32 v11, -v9, v7, v6
	v_cmp_ge_f32_e64 s[6:7], 0, v10
	s_nop 1
	v_cndmask_b32_e64 v7, v7, v8, s[6:7]
	v_cmp_lt_f32_e64 s[6:7], 0, v11
	s_nop 1
	v_cndmask_b32_e64 v7, v7, v9, s[6:7]
	v_mul_f32_e32 v8, 0x37800000, v7
	v_cndmask_b32_e64 v7, v7, v8, s[4:5]
	v_cmp_class_f32_e64 s[4:5], v6, v1
	s_nop 1
	v_cndmask_b32_e64 v1, v7, v6, s[4:5]
	s_cbranch_vccnz .LBB83_8
; %bb.7:
	global_load_dword v6, v0, s[10:11] offset:4
	s_waitcnt vmcnt(0)
	v_add_f32_e32 v1, v1, v6
.LBB83_8:
	ds_read_b32 v8, v4 offset:8
	s_mov_b32 s12, 0x800000
	s_mov_b32 s7, 0x3f317217
	;; [unrolled: 1-line block ×4, first 2 shown]
	s_waitcnt lgkmcnt(0)
	v_mul_f32_e32 v6, 0x3fb8aa3b, v8
	v_exp_f32_e32 v7, v6
	v_mov_b32_e32 v6, 0x4f800000
	s_mov_b32 s14, 0xf800000
	ds_write_b32 v4, v1 offset:4
	v_add_f32_e32 v7, 1.0, v7
	v_cmp_gt_f32_e32 vcc, s12, v7
	s_nop 1
	v_cndmask_b32_e32 v9, 1.0, v6, vcc
	v_mul_f32_e32 v7, v7, v9
	v_log_f32_e32 v9, v7
	v_mov_b32_e32 v7, 0x41b17218
	v_cndmask_b32_e32 v10, 0, v7, vcc
	v_mul_f32_e32 v11, 0x3f317217, v9
	v_fma_f32 v11, v9, s7, -v11
	v_fmac_f32_e32 v11, 0x3377d1cf, v9
	v_fmac_f32_e32 v11, 0x3f317217, v9
	v_cmp_lt_f32_e64 vcc, |v9|, s13
	s_nop 1
	v_cndmask_b32_e32 v9, v9, v11, vcc
	v_sub_f32_e32 v9, v9, v10
	v_cmp_lt_f32_e32 vcc, s6, v8
	s_nop 1
	v_cndmask_b32_e32 v8, v9, v8, vcc
	v_mul_f32_e32 v9, 0x4f800000, v8
	v_cmp_gt_f32_e32 vcc, s14, v8
	s_nop 1
	v_cndmask_b32_e32 v8, v8, v9, vcc
	v_sqrt_f32_e32 v9, v8
	s_nop 0
	v_add_u32_e32 v1, -1, v9
	v_fma_f32 v10, -v1, v9, v8
	v_cmp_ge_f32_e64 s[4:5], 0, v10
	v_add_u32_e32 v10, 1, v9
	s_nop 0
	v_cndmask_b32_e64 v1, v9, v1, s[4:5]
	v_fma_f32 v9, -v10, v9, v8
	v_cmp_lt_f32_e64 s[4:5], 0, v9
	s_nop 1
	v_cndmask_b32_e64 v1, v1, v10, s[4:5]
	v_mul_f32_e32 v9, 0x37800000, v1
	v_cndmask_b32_e32 v9, v1, v9, vcc
	v_mov_b32_e32 v1, 0x260
	v_cmp_class_f32_e64 s[4:5], v8, v1
	s_and_b64 vcc, exec, s[0:1]
	s_nop 0
	v_cndmask_b32_e64 v8, v9, v8, s[4:5]
	s_cbranch_vccnz .LBB83_10
; %bb.9:
	global_load_dword v9, v0, s[10:11] offset:8
	s_waitcnt vmcnt(0)
	v_add_f32_e32 v8, v8, v9
.LBB83_10:
	ds_read_b32 v9, v4 offset:12
	ds_write_b32 v4, v8 offset:8
	s_waitcnt lgkmcnt(1)
	v_mul_f32_e32 v10, 0x3fb8aa3b, v9
	v_exp_f32_e32 v10, v10
	s_nop 0
	v_add_f32_e32 v10, 1.0, v10
	v_cmp_gt_f32_e32 vcc, s12, v10
	s_nop 1
	v_cndmask_b32_e32 v6, 1.0, v6, vcc
	v_mul_f32_e32 v6, v10, v6
	v_log_f32_e32 v6, v6
	v_cndmask_b32_e32 v7, 0, v7, vcc
	v_mul_f32_e32 v10, 0x3f317217, v6
	v_fma_f32 v10, v6, s7, -v10
	v_fmac_f32_e32 v10, 0x3377d1cf, v6
	v_fmac_f32_e32 v10, 0x3f317217, v6
	v_cmp_lt_f32_e64 vcc, |v6|, s13
	s_nop 1
	v_cndmask_b32_e32 v6, v6, v10, vcc
	v_sub_f32_e32 v6, v6, v7
	v_cmp_lt_f32_e32 vcc, s6, v9
	s_nop 1
	v_cndmask_b32_e32 v6, v6, v9, vcc
	v_mul_f32_e32 v7, 0x4f800000, v6
	v_cmp_gt_f32_e64 s[4:5], s14, v6
	s_and_b64 vcc, exec, s[0:1]
	s_nop 0
	v_cndmask_b32_e64 v6, v6, v7, s[4:5]
	v_sqrt_f32_e32 v7, v6
	s_nop 0
	v_add_u32_e32 v8, -1, v7
	v_add_u32_e32 v9, 1, v7
	v_fma_f32 v10, -v8, v7, v6
	v_fma_f32 v11, -v9, v7, v6
	v_cmp_ge_f32_e64 s[6:7], 0, v10
	s_nop 1
	v_cndmask_b32_e64 v7, v7, v8, s[6:7]
	v_cmp_lt_f32_e64 s[6:7], 0, v11
	s_nop 1
	v_cndmask_b32_e64 v7, v7, v9, s[6:7]
	v_mul_f32_e32 v8, 0x37800000, v7
	v_cndmask_b32_e64 v7, v7, v8, s[4:5]
	v_cmp_class_f32_e64 s[4:5], v6, v1
	s_nop 1
	v_cndmask_b32_e64 v1, v7, v6, s[4:5]
	s_cbranch_vccnz .LBB83_12
; %bb.11:
	global_load_dword v0, v0, s[10:11] offset:12
	s_waitcnt vmcnt(0)
	v_add_f32_e32 v1, v1, v0
.LBB83_12:
	s_load_dwordx4 s[12:15], s[2:3], 0x30
	s_mov_b32 s31, 0
	v_cmp_eq_u32_e64 s[6:7], 0, v3
	ds_write_b32 v4, v1 offset:12
	s_waitcnt lgkmcnt(0)
	s_bitcmp1_b32 s15, 0
	s_cselect_b64 s[4:5], -1, 0
	s_cmp_gt_i32 s12, 0
	s_cselect_b64 s[24:25], -1, 0
	s_and_b64 vcc, exec, s[24:25]
	s_cbranch_vccz .LBB83_33
; %bb.13:
	v_mbcnt_lo_u32_b32 v0, -1, 0
	v_mbcnt_hi_u32_b32 v0, -1, v0
	v_and_b32_e32 v1, 0x78, v0
	v_add_u32_e32 v1, 8, v1
	v_xor_b32_e32 v6, 4, v0
	v_cmp_lt_i32_e32 vcc, v6, v1
	s_load_dwordx4 s[16:19], s[2:3], 0x20
	v_mul_lo_u32 v7, v2, s12
	v_cndmask_b32_e32 v6, v0, v6, vcc
	v_lshlrev_b32_e32 v8, 2, v6
	v_xor_b32_e32 v6, 2, v0
	v_cmp_lt_i32_e32 vcc, v6, v1
	v_mov_b32_e32 v11, 0xc61c4000
	v_mov_b32_e32 v12, v2
	v_cndmask_b32_e32 v6, v0, v6, vcc
	v_lshlrev_b32_e32 v9, 2, v6
	v_xor_b32_e32 v6, 1, v0
	v_cmp_lt_i32_e32 vcc, v6, v1
	s_nop 1
	v_cndmask_b32_e32 v0, v0, v6, vcc
	v_lshlrev_b32_e32 v10, 2, v0
	v_mov_b32_e32 v6, 0
	s_branch .LBB83_15
.LBB83_14:                              ;   in Loop: Header=BB83_15 Depth=1
	s_or_b64 exec, exec, s[2:3]
	s_cmp_eq_u32 s12, s31
	v_add_u32_e32 v12, s30, v12
	s_cbranch_scc1 .LBB83_34
.LBB83_15:                              ; =>This Inner Loop Header: Depth=1
	ds_read_b128 v[14:17], v4
	s_waitcnt lgkmcnt(0)
	v_cmp_gt_f32_e32 vcc, v15, v14
	s_nop 1
	v_cndmask_b32_e32 v1, v14, v15, vcc
	v_cndmask_b32_e64 v0, 0, 1, vcc
	v_cmp_gt_f32_e32 vcc, v16, v1
	s_nop 1
	v_cndmask_b32_e32 v1, v1, v16, vcc
	v_cndmask_b32_e64 v0, v0, 2, vcc
	v_cmp_gt_f32_e32 vcc, v17, v1
	s_nop 1
	v_cndmask_b32_e64 v0, v0, 3, vcc
	v_cndmask_b32_e32 v13, v1, v17, vcc
	ds_bpermute_b32 v1, v8, v13
	v_or_b32_e32 v0, v5, v0
	ds_bpermute_b32 v14, v8, v0
	s_waitcnt lgkmcnt(1)
	v_cmp_lt_f32_e64 s[26:27], v13, v1
	v_cmp_nlt_f32_e32 vcc, v13, v1
	s_and_saveexec_b64 s[28:29], vcc
	s_cbranch_execz .LBB83_17
; %bb.16:                               ;   in Loop: Header=BB83_15 Depth=1
	v_cmp_eq_f32_e32 vcc, v13, v1
	s_waitcnt lgkmcnt(0)
	v_cmp_lt_i32_e64 s[2:3], v14, v0
	s_and_b64 s[2:3], vcc, s[2:3]
	s_andn2_b64 s[26:27], s[26:27], exec
	s_and_b64 s[2:3], s[2:3], exec
	s_or_b64 s[26:27], s[26:27], s[2:3]
.LBB83_17:                              ;   in Loop: Header=BB83_15 Depth=1
	s_or_b64 exec, exec, s[28:29]
	s_and_saveexec_b64 s[2:3], s[26:27]
	s_cbranch_execz .LBB83_19
; %bb.18:                               ;   in Loop: Header=BB83_15 Depth=1
	v_mov_b32_e32 v13, v1
	s_waitcnt lgkmcnt(0)
	v_mov_b32_e32 v0, v14
.LBB83_19:                              ;   in Loop: Header=BB83_15 Depth=1
	s_or_b64 exec, exec, s[2:3]
	ds_bpermute_b32 v1, v9, v13
	s_waitcnt lgkmcnt(1)
	ds_bpermute_b32 v14, v9, v0
	s_waitcnt lgkmcnt(1)
	v_cmp_lt_f32_e64 s[26:27], v13, v1
	v_cmp_nlt_f32_e32 vcc, v13, v1
	s_and_saveexec_b64 s[28:29], vcc
	s_cbranch_execz .LBB83_21
; %bb.20:                               ;   in Loop: Header=BB83_15 Depth=1
	v_cmp_eq_f32_e32 vcc, v13, v1
	s_waitcnt lgkmcnt(0)
	v_cmp_lt_i32_e64 s[2:3], v14, v0
	s_and_b64 s[2:3], vcc, s[2:3]
	s_andn2_b64 s[26:27], s[26:27], exec
	s_and_b64 s[2:3], s[2:3], exec
	s_or_b64 s[26:27], s[26:27], s[2:3]
.LBB83_21:                              ;   in Loop: Header=BB83_15 Depth=1
	s_or_b64 exec, exec, s[28:29]
	s_and_saveexec_b64 s[2:3], s[26:27]
	s_cbranch_execz .LBB83_23
; %bb.22:                               ;   in Loop: Header=BB83_15 Depth=1
	v_mov_b32_e32 v13, v1
	s_waitcnt lgkmcnt(0)
	v_mov_b32_e32 v0, v14
.LBB83_23:                              ;   in Loop: Header=BB83_15 Depth=1
	s_or_b64 exec, exec, s[2:3]
	ds_bpermute_b32 v1, v10, v13
	s_waitcnt lgkmcnt(1)
	ds_bpermute_b32 v14, v10, v0
	s_waitcnt lgkmcnt(1)
	v_cmp_lt_f32_e64 s[26:27], v13, v1
	v_cmp_nlt_f32_e32 vcc, v13, v1
	s_and_saveexec_b64 s[28:29], vcc
	s_cbranch_execnz .LBB83_26
; %bb.24:                               ;   in Loop: Header=BB83_15 Depth=1
	s_or_b64 exec, exec, s[28:29]
	s_and_saveexec_b64 s[2:3], s[26:27]
	s_cbranch_execnz .LBB83_27
.LBB83_25:                              ;   in Loop: Header=BB83_15 Depth=1
	s_or_b64 exec, exec, s[2:3]
	s_and_saveexec_b64 s[26:27], s[6:7]
	s_cbranch_execnz .LBB83_28
	s_branch .LBB83_31
.LBB83_26:                              ;   in Loop: Header=BB83_15 Depth=1
	v_cmp_eq_f32_e32 vcc, v13, v1
	s_waitcnt lgkmcnt(0)
	v_cmp_lt_i32_e64 s[2:3], v14, v0
	s_and_b64 s[2:3], vcc, s[2:3]
	s_andn2_b64 s[26:27], s[26:27], exec
	s_and_b64 s[2:3], s[2:3], exec
	s_or_b64 s[26:27], s[26:27], s[2:3]
	s_or_b64 exec, exec, s[28:29]
	s_and_saveexec_b64 s[2:3], s[26:27]
	s_cbranch_execz .LBB83_25
.LBB83_27:                              ;   in Loop: Header=BB83_15 Depth=1
	s_waitcnt lgkmcnt(0)
	v_mov_b32_e32 v0, v14
	v_mov_b32_e32 v13, v1
	s_or_b64 exec, exec, s[2:3]
	s_and_saveexec_b64 s[26:27], s[6:7]
	s_cbranch_execz .LBB83_31
.LBB83_28:                              ;   in Loop: Header=BB83_15 Depth=1
	s_and_b64 vcc, exec, s[0:1]
	s_cbranch_vccnz .LBB83_30
; %bb.29:                               ;   in Loop: Header=BB83_15 Depth=1
	v_ashrrev_i32_e32 v1, 31, v0
	s_waitcnt lgkmcnt(0)
	v_lshl_add_u64 v[14:15], v[0:1], 2, s[10:11]
	global_load_dword v1, v[14:15], off
	s_waitcnt vmcnt(0)
	v_sub_f32_e32 v13, v13, v1
.LBB83_30:                              ;   in Loop: Header=BB83_15 Depth=1
	s_waitcnt lgkmcnt(0)
	v_add_u32_e32 v14, s31, v7
	v_cmp_le_i32_e32 vcc, s13, v0
	v_cmp_gt_i32_e64 s[2:3], s14, v0
	v_ashrrev_i32_e32 v15, 31, v14
	s_and_b64 s[2:3], vcc, s[2:3]
	v_lshlrev_b64 v[14:15], 2, v[14:15]
	v_lshl_add_u64 v[16:17], s[20:21], 0, v[14:15]
	v_subrev_u32_e32 v1, s13, v0
	s_and_b64 vcc, s[22:23], s[2:3]
	global_store_dword v[16:17], v13, off
	v_cndmask_b32_e32 v1, 32, v1, vcc
	v_lshl_add_u64 v[16:17], s[16:17], 0, v[14:15]
	global_store_dword v[16:17], v1, off
	v_add_f32_e32 v1, v6, v13
	v_lshl_add_u64 v[14:15], s[18:19], 0, v[14:15]
	v_cndmask_b32_e64 v6, v6, v1, s[4:5]
	global_store_dword v[14:15], v12, off
.LBB83_31:                              ;   in Loop: Header=BB83_15 Depth=1
	s_or_b64 exec, exec, s[26:27]
	v_ashrrev_i32_e32 v13, 31, v0
	v_lshrrev_b32_e32 v1, 30, v13
	v_add_u32_e32 v1, v0, v1
	v_ashrrev_i32_e32 v1, 2, v1
	s_waitcnt lgkmcnt(0)
	v_lshrrev_b32_e32 v14, 29, v1
	v_add_u32_e32 v14, v1, v14
	s_add_i32 s31, s31, 1
	v_and_b32_e32 v14, -8, v14
	s_cmp_lt_i32 s31, s12
	v_sub_u32_e32 v14, v1, v14
	s_cselect_b64 s[2:3], -1, 0
	v_cmp_eq_u32_e32 vcc, v3, v14
	s_and_b64 s[26:27], s[2:3], vcc
	s_and_saveexec_b64 s[2:3], s[26:27]
	s_cbranch_execz .LBB83_14
; %bb.32:                               ;   in Loop: Header=BB83_15 Depth=1
	v_lshrrev_b32_e32 v13, 27, v13
	v_add_u32_e32 v13, v0, v13
	v_lshlrev_b32_e32 v1, 2, v1
	v_ashrrev_i32_e32 v13, 5, v13
	v_sub_u32_e32 v0, v0, v1
	v_lshl_add_u32 v0, v13, 2, v0
	v_lshl_add_u32 v0, v0, 2, v4
	ds_write_b32 v0, v11
	s_branch .LBB83_14
.LBB83_33:
	v_mov_b32_e32 v6, 0
.LBB83_34:
	v_cmp_eq_u32_e32 vcc, 0, v3
	s_and_b64 exec, exec, vcc
	s_cbranch_execz .LBB83_47
; %bb.35:
	s_andn2_b64 vcc, exec, s[4:5]
	v_cvt_f32_f64_e32 v0, s[8:9]
	s_cbranch_vccnz .LBB83_37
; %bb.36:
	v_cmp_lt_f32_e32 vcc, 0, v6
	s_nop 1
	v_cndmask_b32_e32 v1, 1.0, v6, vcc
	v_div_scale_f32 v3, s[0:1], v1, v1, v0
	v_rcp_f32_e32 v4, v3
	s_nop 0
	v_fma_f32 v5, -v3, v4, 1.0
	v_fmac_f32_e32 v4, v5, v4
	v_div_scale_f32 v5, vcc, v0, v1, v0
	v_mul_f32_e32 v6, v5, v4
	v_fma_f32 v7, -v3, v6, v5
	v_fmac_f32_e32 v6, v7, v4
	v_fma_f32 v3, -v3, v6, v5
	v_div_fmas_f32 v3, v3, v4, v6
	v_div_fixup_f32 v0, v3, v1, v0
.LBB83_37:
	s_andn2_b64 vcc, exec, s[24:25]
	s_cbranch_vccnz .LBB83_47
; %bb.38:
	v_mul_lo_u32 v2, v2, s12
	s_cmp_gt_u32 s12, 3
	v_ashrrev_i32_e32 v3, 31, v2
	s_cbranch_scc0 .LBB83_42
; %bb.39:
	s_and_b32 s0, s12, 0x7ffffffc
	v_lshl_add_u64 v[4:5], v[2:3], 2, s[20:21]
	v_mov_b32_e32 v1, v0
	v_lshl_add_u64 v[4:5], v[4:5], 0, 8
	s_mov_b32 s1, s0
.LBB83_40:                              ; =>This Inner Loop Header: Depth=1
	global_load_dwordx4 v[6:9], v[4:5], off offset:-8
	s_add_i32 s1, s1, -4
	s_cmp_lg_u32 s1, 0
	s_waitcnt vmcnt(0)
	v_pk_mul_f32 v[6:7], v[0:1], v[6:7]
	v_pk_mul_f32 v[8:9], v[0:1], v[8:9]
	global_store_dwordx4 v[4:5], v[6:9], off offset:-8
	v_lshl_add_u64 v[4:5], v[4:5], 0, 16
	s_cbranch_scc1 .LBB83_40
; %bb.41:
	s_cmp_lg_u32 s0, s12
	s_cselect_b64 s[2:3], -1, 0
	s_branch .LBB83_44
.LBB83_42:
	s_mov_b64 s[2:3], 0
                                        ; implicit-def: $sgpr0
	s_cbranch_execz .LBB83_44
; %bb.43:
	s_mov_b64 s[2:3], -1
	s_mov_b32 s0, 0
.LBB83_44:
	s_andn2_b64 vcc, exec, s[2:3]
	s_cbranch_vccnz .LBB83_47
; %bb.45:
	s_mov_b32 s1, 0
	v_lshl_add_u64 v[2:3], v[2:3], 0, s[0:1]
	s_sub_i32 s2, s12, s0
	v_lshl_add_u64 v[2:3], v[2:3], 2, s[20:21]
.LBB83_46:                              ; =>This Inner Loop Header: Depth=1
	global_load_dword v1, v[2:3], off
	s_add_i32 s2, s2, -1
	s_cmp_lg_u32 s2, 0
	s_waitcnt vmcnt(0)
	v_mul_f32_e32 v1, v0, v1
	global_store_dword v[2:3], v1, off
	v_lshl_add_u64 v[2:3], v[2:3], 0, 4
	s_cbranch_scc1 .LBB83_46
.LBB83_47:
	s_endpgm
	.section	.rodata,"a",@progbits
	.p2align	6, 0x0
	.amdhsa_kernel _ZN4vllm3moe22topkGatingSoftplusSqrtILi4ELi32ELi4ELi16ELi32ELb0EjfEEvPKT6_PKbPfiPT5_PiiiibdPKfPKS8_SE_
		.amdhsa_group_segment_fixed_size 2048
		.amdhsa_private_segment_fixed_size 0
		.amdhsa_kernarg_size 96
		.amdhsa_user_sgpr_count 4
		.amdhsa_user_sgpr_dispatch_ptr 1
		.amdhsa_user_sgpr_queue_ptr 0
		.amdhsa_user_sgpr_kernarg_segment_ptr 1
		.amdhsa_user_sgpr_dispatch_id 0
		.amdhsa_user_sgpr_kernarg_preload_length 0
		.amdhsa_user_sgpr_kernarg_preload_offset 0
		.amdhsa_user_sgpr_private_segment_size 0
		.amdhsa_uses_dynamic_stack 0
		.amdhsa_enable_private_segment 0
		.amdhsa_system_sgpr_workgroup_id_x 1
		.amdhsa_system_sgpr_workgroup_id_y 0
		.amdhsa_system_sgpr_workgroup_id_z 0
		.amdhsa_system_sgpr_workgroup_info 0
		.amdhsa_system_vgpr_workitem_id 2
		.amdhsa_next_free_vgpr 18
		.amdhsa_next_free_sgpr 32
		.amdhsa_accum_offset 20
		.amdhsa_reserve_vcc 1
		.amdhsa_float_round_mode_32 0
		.amdhsa_float_round_mode_16_64 0
		.amdhsa_float_denorm_mode_32 3
		.amdhsa_float_denorm_mode_16_64 3
		.amdhsa_dx10_clamp 1
		.amdhsa_ieee_mode 1
		.amdhsa_fp16_overflow 0
		.amdhsa_tg_split 0
		.amdhsa_exception_fp_ieee_invalid_op 0
		.amdhsa_exception_fp_denorm_src 0
		.amdhsa_exception_fp_ieee_div_zero 0
		.amdhsa_exception_fp_ieee_overflow 0
		.amdhsa_exception_fp_ieee_underflow 0
		.amdhsa_exception_fp_ieee_inexact 0
		.amdhsa_exception_int_div_zero 0
	.end_amdhsa_kernel
	.section	.text._ZN4vllm3moe22topkGatingSoftplusSqrtILi4ELi32ELi4ELi16ELi32ELb0EjfEEvPKT6_PKbPfiPT5_PiiiibdPKfPKS8_SE_,"axG",@progbits,_ZN4vllm3moe22topkGatingSoftplusSqrtILi4ELi32ELi4ELi16ELi32ELb0EjfEEvPKT6_PKbPfiPT5_PiiiibdPKfPKS8_SE_,comdat
.Lfunc_end83:
	.size	_ZN4vllm3moe22topkGatingSoftplusSqrtILi4ELi32ELi4ELi16ELi32ELb0EjfEEvPKT6_PKbPfiPT5_PiiiibdPKfPKS8_SE_, .Lfunc_end83-_ZN4vllm3moe22topkGatingSoftplusSqrtILi4ELi32ELi4ELi16ELi32ELb0EjfEEvPKT6_PKbPfiPT5_PiiiibdPKfPKS8_SE_
                                        ; -- End function
	.section	.AMDGPU.csdata,"",@progbits
; Kernel info:
; codeLenInByte = 2736
; NumSgprs: 38
; NumVgprs: 18
; NumAgprs: 0
; TotalNumVgprs: 18
; ScratchSize: 0
; MemoryBound: 0
; FloatMode: 240
; IeeeMode: 1
; LDSByteSize: 2048 bytes/workgroup (compile time only)
; SGPRBlocks: 4
; VGPRBlocks: 2
; NumSGPRsForWavesPerEU: 38
; NumVGPRsForWavesPerEU: 18
; AccumOffset: 20
; Occupancy: 8
; WaveLimiterHint : 0
; COMPUTE_PGM_RSRC2:SCRATCH_EN: 0
; COMPUTE_PGM_RSRC2:USER_SGPR: 4
; COMPUTE_PGM_RSRC2:TRAP_HANDLER: 0
; COMPUTE_PGM_RSRC2:TGID_X_EN: 1
; COMPUTE_PGM_RSRC2:TGID_Y_EN: 0
; COMPUTE_PGM_RSRC2:TGID_Z_EN: 0
; COMPUTE_PGM_RSRC2:TIDIG_COMP_CNT: 2
; COMPUTE_PGM_RSRC3_GFX90A:ACCUM_OFFSET: 4
; COMPUTE_PGM_RSRC3_GFX90A:TG_SPLIT: 0
	.section	.text._ZN4vllm3moe22topkGatingSoftplusSqrtILi4ELi64ELi4ELi16ELi64ELb1EjfEEvPKT6_PKbPfiPT5_PiiiibdPKfPKS8_SE_,"axG",@progbits,_ZN4vllm3moe22topkGatingSoftplusSqrtILi4ELi64ELi4ELi16ELi64ELb1EjfEEvPKT6_PKbPfiPT5_PiiiibdPKfPKS8_SE_,comdat
	.protected	_ZN4vllm3moe22topkGatingSoftplusSqrtILi4ELi64ELi4ELi16ELi64ELb1EjfEEvPKT6_PKbPfiPT5_PiiiibdPKfPKS8_SE_ ; -- Begin function _ZN4vllm3moe22topkGatingSoftplusSqrtILi4ELi64ELi4ELi16ELi64ELb1EjfEEvPKT6_PKbPfiPT5_PiiiibdPKfPKS8_SE_
	.globl	_ZN4vllm3moe22topkGatingSoftplusSqrtILi4ELi64ELi4ELi16ELi64ELb1EjfEEvPKT6_PKbPfiPT5_PiiiibdPKfPKS8_SE_
	.p2align	8
	.type	_ZN4vllm3moe22topkGatingSoftplusSqrtILi4ELi64ELi4ELi16ELi64ELb1EjfEEvPKT6_PKbPfiPT5_PiiiibdPKfPKS8_SE_,@function
_ZN4vllm3moe22topkGatingSoftplusSqrtILi4ELi64ELi4ELi16ELi64ELb1EjfEEvPKT6_PKbPfiPT5_PiiiibdPKfPKS8_SE_: ; @_ZN4vllm3moe22topkGatingSoftplusSqrtILi4ELi64ELi4ELi16ELi64ELb1EjfEEvPKT6_PKbPfiPT5_PiiiibdPKfPKS8_SE_
; %bb.0:
	s_load_dword s3, s[0:1], 0x18
	v_bfe_u32 v1, v0, 10, 10
	v_and_b32_e32 v6, 0x3ff, v0
	s_lshl_b32 s2, s2, 4
	v_lshlrev_b32_e32 v1, 2, v1
	v_lshrrev_b32_e32 v0, 4, v6
	v_add3_u32 v2, s2, v1, v0
	s_waitcnt lgkmcnt(0)
	v_cmp_gt_i32_e32 vcc, s3, v2
	s_and_saveexec_b64 s[2:3], vcc
	s_cbranch_execz .LBB84_80
; %bb.1:
	s_load_dwordx2 s[2:3], s[0:1], 0x0
	s_load_dword s20, s[0:1], 0x30
	v_lshlrev_b32_e32 v0, 6, v2
	v_lshlrev_b32_e32 v3, 2, v6
	v_ashrrev_i32_e32 v1, 31, v0
	v_and_b32_e32 v10, 60, v3
	s_waitcnt lgkmcnt(0)
	v_lshl_add_u64 v[4:5], v[0:1], 2, s[2:3]
	v_lshlrev_b32_e32 v0, 2, v10
	v_mov_b32_e32 v1, 0
	v_lshl_add_u64 v[4:5], v[4:5], 0, v[0:1]
	global_load_dwordx4 v[12:15], v[4:5], off
	s_load_dwordx4 s[8:11], s[0:1], 0x50
	v_ashrrev_i32_e32 v3, 31, v2
	s_mov_b32 s6, 0x800000
	s_mov_b32 s12, 0x3f317217
	;; [unrolled: 1-line block ×3, first 2 shown]
	s_waitcnt lgkmcnt(0)
	v_mov_b32_e32 v4, s8
	v_mov_b32_e32 v5, s9
	v_lshl_add_u64 v[4:5], v[2:3], 2, v[4:5]
	global_load_dword v0, v[4:5], off
	v_mov_b32_e32 v3, 0x4f800000
	v_mov_b32_e32 v7, 0x41b17218
	s_mov_b32 s9, 0x41a00000
	s_mov_b32 s14, 0xf800000
	v_mov_b32_e32 v11, 0x260
	s_cmp_gt_i32 s20, 0
	s_mov_b32 s8, 0
	v_mul_lo_u32 v2, v2, s20
	s_waitcnt vmcnt(1)
	v_mul_f32_e32 v4, 0x3fb8aa3b, v12
	v_mul_f32_e32 v5, 0x3fb8aa3b, v13
	v_exp_f32_e32 v4, v4
	v_exp_f32_e32 v5, v5
	v_mul_f32_e32 v8, 0x3fb8aa3b, v14
	v_mul_f32_e32 v9, 0x3fb8aa3b, v15
	v_exp_f32_e32 v8, v8
	v_exp_f32_e32 v9, v9
	v_pk_add_f32 v[4:5], v[4:5], 1.0 op_sel_hi:[1,0]
	s_waitcnt vmcnt(0)
	v_mul_lo_u32 v0, v0, s20
	v_cmp_gt_f32_e32 vcc, s6, v5
	v_pk_add_f32 v[8:9], v[8:9], 1.0 op_sel_hi:[1,0]
	v_cmp_gt_f32_e64 s[2:3], s6, v4
	v_cndmask_b32_e32 v16, 1.0, v3, vcc
	v_cmp_gt_f32_e64 s[4:5], s6, v9
	v_cndmask_b32_e64 v17, 1.0, v3, s[2:3]
	v_mul_f32_e32 v5, v5, v16
	v_cndmask_b32_e64 v18, 1.0, v3, s[4:5]
	v_cmp_gt_f32_e64 s[6:7], s6, v8
	v_mul_f32_e32 v4, v4, v17
	v_log_f32_e32 v5, v5
	v_cndmask_b32_e64 v3, 1.0, v3, s[6:7]
	v_mul_f32_e32 v9, v9, v18
	v_log_f32_e32 v4, v4
	v_mul_f32_e32 v3, v8, v3
	v_log_f32_e32 v8, v9
	v_log_f32_e32 v3, v3
	v_mul_f32_e32 v9, 0x3f317217, v5
	v_mul_f32_e32 v19, 0x3f317217, v4
	v_fma_f32 v9, v5, s12, -v9
	v_mul_f32_e32 v20, 0x3f317217, v8
	v_fma_f32 v19, v4, s12, -v19
	v_fmac_f32_e32 v9, 0x3377d1cf, v5
	v_cndmask_b32_e32 v16, 0, v7, vcc
	v_mul_f32_e32 v21, 0x3f317217, v3
	v_fma_f32 v20, v8, s12, -v20
	v_fmac_f32_e32 v19, 0x3377d1cf, v4
	v_fmac_f32_e32 v9, 0x3f317217, v5
	v_cmp_lt_f32_e64 vcc, |v5|, s13
	v_fma_f32 v21, v3, s12, -v21
	v_fmac_f32_e32 v20, 0x3377d1cf, v8
	v_fmac_f32_e32 v19, 0x3f317217, v4
	v_cndmask_b32_e32 v5, v5, v9, vcc
	v_cmp_lt_f32_e64 vcc, |v4|, s13
	v_fmac_f32_e32 v21, 0x3377d1cf, v3
	v_fmac_f32_e32 v20, 0x3f317217, v8
	v_cndmask_b32_e32 v4, v4, v19, vcc
	v_cmp_lt_f32_e64 vcc, |v8|, s13
	v_cndmask_b32_e64 v17, 0, v7, s[2:3]
	v_fmac_f32_e32 v21, 0x3f317217, v3
	v_cndmask_b32_e32 v8, v8, v20, vcc
	v_cmp_lt_f32_e64 vcc, |v3|, s13
	v_sub_f32_e32 v4, v4, v17
	v_sub_f32_e32 v5, v5, v16
	v_cndmask_b32_e32 v3, v3, v21, vcc
	v_cmp_lt_f32_e32 vcc, s9, v12
	v_cndmask_b32_e64 v18, 0, v7, s[4:5]
	v_sub_f32_e32 v8, v8, v18
	v_cndmask_b32_e32 v4, v4, v12, vcc
	v_cmp_lt_f32_e32 vcc, s9, v13
	v_mul_f32_e32 v12, 0x4f800000, v4
	v_cmp_gt_f32_e64 s[2:3], s14, v4
	v_cndmask_b32_e32 v5, v5, v13, vcc
	v_mul_f32_e32 v9, 0x4f800000, v5
	v_cmp_gt_f32_e32 vcc, s14, v5
	v_cndmask_b32_e64 v4, v4, v12, s[2:3]
	v_sqrt_f32_e32 v12, v4
	v_cndmask_b32_e32 v5, v5, v9, vcc
	v_sqrt_f32_e32 v9, v5
	v_add_u32_e32 v17, -1, v12
	v_fma_f32 v21, -v17, v12, v4
	v_add_u32_e32 v13, -1, v9
	v_fma_f32 v19, -v13, v9, v5
	v_add_u32_e32 v16, 1, v9
	v_cmp_ge_f32_e64 s[4:5], 0, v19
	v_add_u32_e32 v18, 1, v12
	v_fma_f32 v20, -v16, v9, v5
	v_cndmask_b32_e64 v9, v9, v13, s[4:5]
	v_cmp_ge_f32_e64 s[4:5], 0, v21
	v_fma_f32 v22, -v18, v12, v4
	s_nop 0
	v_cndmask_b32_e64 v12, v12, v17, s[4:5]
	v_cmp_lt_f32_e64 s[4:5], 0, v20
	s_nop 1
	v_cndmask_b32_e64 v9, v9, v16, s[4:5]
	v_cmp_lt_f32_e64 s[4:5], 0, v22
	v_mul_f32_e32 v13, 0x37800000, v9
	v_cndmask_b32_e32 v9, v9, v13, vcc
	v_cndmask_b32_e64 v12, v12, v18, s[4:5]
	v_mul_f32_e32 v16, 0x37800000, v12
	v_cmp_class_f32_e32 vcc, v5, v11
	v_cndmask_b32_e64 v12, v12, v16, s[2:3]
	v_cmp_lt_f32_e64 s[2:3], s9, v14
	v_cndmask_b32_e32 v13, v9, v5, vcc
	v_cmp_class_f32_e32 vcc, v4, v11
	s_cselect_b64 s[4:5], -1, 0
	s_cmp_lt_i32 s20, 1
	v_cndmask_b32_e32 v12, v12, v4, vcc
	v_cmp_lt_f32_e32 vcc, s9, v15
	v_cndmask_b32_e64 v4, 0, v7, s[6:7]
	v_sub_f32_e32 v3, v3, v4
	v_cndmask_b32_e32 v5, v8, v15, vcc
	v_mul_f32_e32 v7, 0x4f800000, v5
	v_cmp_gt_f32_e32 vcc, s14, v5
	v_cndmask_b32_e64 v3, v3, v14, s[2:3]
	s_nop 0
	v_cndmask_b32_e32 v5, v5, v7, vcc
	v_sqrt_f32_e32 v7, v5
	s_nop 0
	v_add_u32_e32 v4, -1, v7
	v_fma_f32 v8, -v4, v7, v5
	v_cmp_ge_f32_e64 s[2:3], 0, v8
	v_add_u32_e32 v8, 1, v7
	s_nop 0
	v_cndmask_b32_e64 v4, v7, v4, s[2:3]
	v_fma_f32 v7, -v8, v7, v5
	v_cmp_lt_f32_e64 s[2:3], 0, v7
	s_nop 1
	v_cndmask_b32_e64 v4, v4, v8, s[2:3]
	v_mul_f32_e32 v8, 0x4f800000, v3
	v_cmp_gt_f32_e64 s[2:3], s14, v3
	v_mul_f32_e32 v7, 0x37800000, v4
	v_cndmask_b32_e32 v4, v4, v7, vcc
	v_cndmask_b32_e64 v3, v3, v8, s[2:3]
	v_sqrt_f32_e32 v8, v3
	v_cmp_class_f32_e32 vcc, v5, v11
	s_nop 1
	v_cndmask_b32_e32 v15, v4, v5, vcc
	v_add_u32_e32 v4, -1, v8
	v_fma_f32 v5, -v4, v8, v3
	v_cmp_ge_f32_e32 vcc, 0, v5
	v_add_u32_e32 v5, 1, v8
	v_fma_f32 v7, -v5, v8, v3
	v_cndmask_b32_e32 v4, v8, v4, vcc
	v_cmp_lt_f32_e32 vcc, 0, v7
	s_nop 1
	v_cndmask_b32_e32 v4, v4, v5, vcc
	v_mul_f32_e32 v5, 0x37800000, v4
	v_cndmask_b32_e64 v4, v4, v5, s[2:3]
	v_cmp_class_f32_e32 vcc, v3, v11
	s_nop 1
	v_cndmask_b32_e32 v14, v4, v3, vcc
	scratch_store_dwordx4 off, v[12:15], off
	v_lshl_add_u64 v[4:5], v[0:1], 2, s[10:11]
	s_nop 0
	v_mov_b32_e32 v12, v1
	s_cbranch_scc1 .LBB84_29
; %bb.2:
	s_load_dwordx2 s[6:7], s[0:1], 0x20
	s_cmp_lt_u32 s20, 4
	v_and_b32_e32 v11, 15, v6
	s_cbranch_scc1 .LBB84_21
; %bb.3:
	v_lshlrev_b32_e32 v6, 2, v11
	s_mov_b32 s13, 0
	s_and_b32 s8, s20, 0x7ffffffc
	v_ashrrev_i32_e32 v3, 31, v2
	v_sub_u32_e32 v13, 0, v6
	v_mov_b32_e32 v12, 0
	s_mov_b32 s12, s13
	s_branch .LBB84_5
.LBB84_4:                               ;   in Loop: Header=BB84_5 Depth=1
	s_or_b64 exec, exec, s[14:15]
	s_add_i32 s12, s12, 4
	s_cmp_eq_u32 s12, s8
	s_cbranch_scc1 .LBB84_22
.LBB84_5:                               ; =>This Loop Header: Depth=1
                                        ;     Child Loop BB84_7 Depth 2
                                        ;     Child Loop BB84_11 Depth 2
	;; [unrolled: 1-line block ×4, first 2 shown]
	v_lshl_add_u64 v[6:7], s[12:13], 2, v[4:5]
	global_load_dword v14, v[6:7], off
	v_add_u32_e32 v8, s12, v2
	v_ashrrev_i32_e32 v9, 31, v8
	v_mov_b32_e32 v15, 0
	s_mov_b64 s[14:15], 0
	s_waitcnt lgkmcnt(0)
	v_lshl_add_u64 v[8:9], v[8:9], 2, s[6:7]
	s_mov_b32 s9, 0
	s_waitcnt vmcnt(0)
	v_add_u32_e32 v16, v13, v14
	s_branch .LBB84_7
.LBB84_6:                               ;   in Loop: Header=BB84_7 Depth=2
	s_or_b64 exec, exec, s[16:17]
	s_add_i32 s18, s9, 1
	s_cmp_gt_u32 s9, 2
	s_cselect_b64 s[2:3], -1, 0
	s_xor_b64 s[16:17], vcc, -1
	s_or_b64 s[2:3], s[16:17], s[2:3]
	s_and_b64 s[2:3], exec, s[2:3]
	v_add_u32_e32 v15, 4, v15
	s_or_b64 s[14:15], s[2:3], s[14:15]
	s_mov_b32 s9, s18
	s_andn2_b64 exec, exec, s[14:15]
	s_cbranch_execz .LBB84_9
.LBB84_7:                               ;   Parent Loop BB84_5 Depth=1
                                        ; =>  This Inner Loop Header: Depth=2
	v_cmp_ne_u32_e32 vcc, s9, v16
	v_cmp_eq_u32_e64 s[2:3], s9, v16
	s_and_saveexec_b64 s[16:17], s[2:3]
	s_cbranch_execz .LBB84_6
; %bb.8:                                ;   in Loop: Header=BB84_7 Depth=2
	scratch_load_dword v17, v15, off
	s_waitcnt vmcnt(0)
	v_add_f32_e32 v12, v12, v17
	global_store_dword v[8:9], v14, off
	s_branch .LBB84_6
.LBB84_9:                               ;   in Loop: Header=BB84_5 Depth=1
	s_or_b64 exec, exec, s[14:15]
	global_load_dword v14, v[6:7], off offset:4
	s_ashr_i32 s3, s12, 31
	s_mov_b32 s2, s12
	v_lshl_add_u64 v[8:9], s[2:3], 0, v[2:3]
	v_mov_b32_e32 v15, 0
	s_mov_b32 s9, 0
	v_lshl_add_u64 v[8:9], v[8:9], 2, s[6:7]
	s_mov_b64 s[14:15], 0
	s_waitcnt vmcnt(0)
	v_add_u32_e32 v16, v13, v14
	s_branch .LBB84_11
.LBB84_10:                              ;   in Loop: Header=BB84_11 Depth=2
	s_or_b64 exec, exec, s[16:17]
	s_add_i32 s18, s9, 1
	s_cmp_gt_u32 s9, 2
	s_cselect_b64 s[2:3], -1, 0
	s_xor_b64 s[16:17], vcc, -1
	s_or_b64 s[2:3], s[16:17], s[2:3]
	s_and_b64 s[2:3], exec, s[2:3]
	v_add_u32_e32 v15, 4, v15
	s_or_b64 s[14:15], s[2:3], s[14:15]
	s_mov_b32 s9, s18
	s_andn2_b64 exec, exec, s[14:15]
	s_cbranch_execz .LBB84_13
.LBB84_11:                              ;   Parent Loop BB84_5 Depth=1
                                        ; =>  This Inner Loop Header: Depth=2
	v_cmp_ne_u32_e32 vcc, s9, v16
	v_cmp_eq_u32_e64 s[2:3], s9, v16
	s_and_saveexec_b64 s[16:17], s[2:3]
	s_cbranch_execz .LBB84_10
; %bb.12:                               ;   in Loop: Header=BB84_11 Depth=2
	scratch_load_dword v17, v15, off
	s_waitcnt vmcnt(0)
	v_add_f32_e32 v12, v12, v17
	global_store_dword v[8:9], v14, off offset:4
	s_branch .LBB84_10
.LBB84_13:                              ;   in Loop: Header=BB84_5 Depth=1
	s_or_b64 exec, exec, s[14:15]
	global_load_dword v14, v[6:7], off offset:8
	v_mov_b32_e32 v15, 0
	s_mov_b32 s9, 0
	s_mov_b64 s[14:15], 0
	s_waitcnt vmcnt(0)
	v_add_u32_e32 v16, v13, v14
	s_branch .LBB84_15
.LBB84_14:                              ;   in Loop: Header=BB84_15 Depth=2
	s_or_b64 exec, exec, s[16:17]
	s_add_i32 s18, s9, 1
	s_cmp_gt_u32 s9, 2
	s_cselect_b64 s[2:3], -1, 0
	s_xor_b64 s[16:17], vcc, -1
	s_or_b64 s[2:3], s[16:17], s[2:3]
	s_and_b64 s[2:3], exec, s[2:3]
	v_add_u32_e32 v15, 4, v15
	s_or_b64 s[14:15], s[2:3], s[14:15]
	s_mov_b32 s9, s18
	s_andn2_b64 exec, exec, s[14:15]
	s_cbranch_execz .LBB84_17
.LBB84_15:                              ;   Parent Loop BB84_5 Depth=1
                                        ; =>  This Inner Loop Header: Depth=2
	v_cmp_ne_u32_e32 vcc, s9, v16
	v_cmp_eq_u32_e64 s[2:3], s9, v16
	s_and_saveexec_b64 s[16:17], s[2:3]
	s_cbranch_execz .LBB84_14
; %bb.16:                               ;   in Loop: Header=BB84_15 Depth=2
	scratch_load_dword v17, v15, off
	s_waitcnt vmcnt(0)
	v_add_f32_e32 v12, v12, v17
	global_store_dword v[8:9], v14, off offset:8
	s_branch .LBB84_14
.LBB84_17:                              ;   in Loop: Header=BB84_5 Depth=1
	s_or_b64 exec, exec, s[14:15]
	global_load_dword v6, v[6:7], off offset:12
	v_mov_b32_e32 v7, 0
	s_mov_b32 s9, 0
	s_mov_b64 s[14:15], 0
	s_waitcnt vmcnt(0)
	v_add_u32_e32 v14, v13, v6
	s_branch .LBB84_19
.LBB84_18:                              ;   in Loop: Header=BB84_19 Depth=2
	s_or_b64 exec, exec, s[16:17]
	s_add_i32 s18, s9, 1
	s_cmp_gt_u32 s9, 2
	s_cselect_b64 s[2:3], -1, 0
	s_xor_b64 s[16:17], vcc, -1
	s_or_b64 s[2:3], s[16:17], s[2:3]
	s_and_b64 s[2:3], exec, s[2:3]
	v_add_u32_e32 v7, 4, v7
	s_or_b64 s[14:15], s[2:3], s[14:15]
	s_mov_b32 s9, s18
	s_andn2_b64 exec, exec, s[14:15]
	s_cbranch_execz .LBB84_4
.LBB84_19:                              ;   Parent Loop BB84_5 Depth=1
                                        ; =>  This Inner Loop Header: Depth=2
	v_cmp_ne_u32_e32 vcc, s9, v14
	v_cmp_eq_u32_e64 s[2:3], s9, v14
	s_and_saveexec_b64 s[16:17], s[2:3]
	s_cbranch_execz .LBB84_18
; %bb.20:                               ;   in Loop: Header=BB84_19 Depth=2
	scratch_load_dword v15, v7, off
	s_waitcnt vmcnt(0)
	v_add_f32_e32 v12, v12, v15
	global_store_dword v[8:9], v6, off offset:12
	s_branch .LBB84_18
.LBB84_21:
	v_mov_b32_e32 v12, 0
.LBB84_22:
	s_and_b32 s16, s20, 3
	s_cmp_eq_u32 s16, 0
	s_mov_b32 s9, 0
	s_cbranch_scc1 .LBB84_29
; %bb.23:
	v_lshlrev_b32_e32 v3, 2, v11
	v_sub_u32_e32 v3, 0, v3
	s_mov_b32 s17, s9
	s_branch .LBB84_25
.LBB84_24:                              ;   in Loop: Header=BB84_25 Depth=1
	s_or_b64 exec, exec, s[12:13]
	s_add_i32 s8, s8, 1
	s_add_i32 s17, s17, 1
	s_cmp_lg_u32 s17, s16
	s_cbranch_scc0 .LBB84_29
.LBB84_25:                              ; =>This Loop Header: Depth=1
                                        ;     Child Loop BB84_27 Depth 2
	v_lshl_add_u64 v[6:7], s[8:9], 2, v[4:5]
	global_load_dword v8, v[6:7], off
	v_add_u32_e32 v6, s8, v2
	v_ashrrev_i32_e32 v7, 31, v6
	v_mov_b32_e32 v9, 0
	s_mov_b32 s18, 0
	s_waitcnt lgkmcnt(0)
	v_lshl_add_u64 v[6:7], v[6:7], 2, s[6:7]
	s_mov_b64 s[12:13], 0
	s_waitcnt vmcnt(0)
	v_add_u32_e32 v11, v3, v8
	s_branch .LBB84_27
.LBB84_26:                              ;   in Loop: Header=BB84_27 Depth=2
	s_or_b64 exec, exec, s[14:15]
	s_add_i32 s19, s18, 1
	s_cmp_gt_u32 s18, 2
	s_cselect_b64 s[2:3], -1, 0
	s_xor_b64 s[14:15], vcc, -1
	s_or_b64 s[2:3], s[14:15], s[2:3]
	s_and_b64 s[2:3], exec, s[2:3]
	v_add_u32_e32 v9, 4, v9
	s_or_b64 s[12:13], s[2:3], s[12:13]
	s_mov_b32 s18, s19
	s_andn2_b64 exec, exec, s[12:13]
	s_cbranch_execz .LBB84_24
.LBB84_27:                              ;   Parent Loop BB84_25 Depth=1
                                        ; =>  This Inner Loop Header: Depth=2
	v_cmp_ne_u32_e32 vcc, s18, v11
	v_cmp_eq_u32_e64 s[2:3], s18, v11
	s_and_saveexec_b64 s[14:15], s[2:3]
	s_cbranch_execz .LBB84_26
; %bb.28:                               ;   in Loop: Header=BB84_27 Depth=2
	scratch_load_dword v13, v9, off
	s_waitcnt vmcnt(0)
	v_add_f32_e32 v12, v12, v13
	global_store_dword v[6:7], v8, off
	s_branch .LBB84_26
.LBB84_29:
	s_waitcnt lgkmcnt(0)
	s_load_dword s6, s[0:1], 0x3c
	s_waitcnt lgkmcnt(0)
	s_bitcmp1_b32 s6, 0
	s_cselect_b64 s[2:3], -1, 0
	s_bitcmp0_b32 s6, 0
	s_cbranch_scc0 .LBB84_32
; %bb.30:
	s_load_dwordx2 s[6:7], s[0:1], 0x40
	s_andn2_b64 vcc, exec, s[2:3]
	s_waitcnt lgkmcnt(0)
	v_cvt_f32_f64_e32 v11, s[6:7]
	s_cbranch_vccz .LBB84_33
.LBB84_31:
	s_andn2_b64 vcc, exec, s[4:5]
	s_cbranch_vccz .LBB84_34
	s_branch .LBB84_80
.LBB84_32:
	v_mbcnt_lo_u32_b32 v3, -1, 0
	v_mbcnt_hi_u32_b32 v3, -1, v3
	v_and_b32_e32 v6, 0x70, v3
	v_add_u32_e32 v6, 16, v6
	v_xor_b32_e32 v7, 8, v3
	v_cmp_lt_i32_e32 vcc, v7, v6
	v_xor_b32_e32 v8, 4, v3
	v_xor_b32_e32 v9, 2, v3
	v_cndmask_b32_e32 v7, v3, v7, vcc
	v_lshlrev_b32_e32 v7, 2, v7
	ds_bpermute_b32 v7, v7, v12
	v_cmp_lt_i32_e32 vcc, v8, v6
	s_waitcnt lgkmcnt(0)
	v_add_f32_e32 v7, v12, v7
	v_cndmask_b32_e32 v8, v3, v8, vcc
	v_lshlrev_b32_e32 v8, 2, v8
	ds_bpermute_b32 v8, v8, v7
	v_cmp_lt_i32_e32 vcc, v9, v6
	s_waitcnt lgkmcnt(0)
	v_add_f32_e32 v7, v7, v8
	v_cndmask_b32_e32 v8, v3, v9, vcc
	v_lshlrev_b32_e32 v8, 2, v8
	ds_bpermute_b32 v8, v8, v7
	v_xor_b32_e32 v9, 1, v3
	v_cmp_lt_i32_e32 vcc, v9, v6
	s_waitcnt lgkmcnt(0)
	v_add_f32_e32 v7, v7, v8
	v_cndmask_b32_e32 v3, v3, v9, vcc
	v_lshlrev_b32_e32 v3, 2, v3
	ds_bpermute_b32 v3, v3, v7
	s_waitcnt lgkmcnt(0)
	v_add_f32_e32 v12, v7, v3
	s_load_dwordx2 s[6:7], s[0:1], 0x40
	s_andn2_b64 vcc, exec, s[2:3]
	s_waitcnt lgkmcnt(0)
	v_cvt_f32_f64_e32 v11, s[6:7]
	s_cbranch_vccnz .LBB84_31
.LBB84_33:
	v_cmp_lt_f32_e32 vcc, 0, v12
	s_nop 1
	v_cndmask_b32_e32 v3, 1.0, v12, vcc
	v_div_scale_f32 v6, s[2:3], v3, v3, v11
	v_rcp_f32_e32 v7, v6
	s_nop 0
	v_fma_f32 v8, -v6, v7, 1.0
	v_fmac_f32_e32 v7, v8, v7
	v_div_scale_f32 v8, vcc, v11, v3, v11
	v_mul_f32_e32 v9, v8, v7
	v_fma_f32 v12, -v6, v9, v8
	v_fmac_f32_e32 v9, v12, v7
	v_fma_f32 v6, -v6, v9, v8
	v_div_fmas_f32 v6, v6, v7, v9
	v_div_fixup_f32 v11, v6, v3, v11
	s_andn2_b64 vcc, exec, s[4:5]
	s_cbranch_vccnz .LBB84_80
.LBB84_34:
	s_load_dwordx2 s[4:5], s[0:1], 0x10
	v_mov_b32_e32 v3, 0
	v_or_b32_e32 v12, 4, v3
	v_or_b32_e32 v13, 8, v3
	;; [unrolled: 1-line block ×6, first 2 shown]
	s_cmp_lt_u32 s20, 4
	s_mov_b32 s6, 0
	s_cbranch_scc1 .LBB84_69
; %bb.35:
	v_ashrrev_i32_e32 v3, 31, v2
	s_and_b32 s6, s20, 0x7ffffffc
	s_waitcnt lgkmcnt(0)
	v_lshl_add_u64 v[6:7], v[2:3], 2, s[4:5]
	s_mov_b32 s7, 0
	s_mov_b64 s[8:9], 0
	s_branch .LBB84_37
.LBB84_36:                              ;   in Loop: Header=BB84_37 Depth=1
	s_or_b64 exec, exec, s[2:3]
	s_add_i32 s7, s7, 4
	s_add_u32 s8, s8, 16
	s_addc_u32 s9, s9, 0
	s_cmp_eq_u32 s6, s7
	s_cbranch_scc1 .LBB84_69
.LBB84_37:                              ; =>This Inner Loop Header: Depth=1
	v_lshl_add_u64 v[8:9], v[4:5], 0, s[8:9]
	global_load_dword v18, v[8:9], off
	v_mov_b32_e32 v3, 0
	s_waitcnt vmcnt(0)
	v_cmp_eq_u32_e32 vcc, v18, v10
	v_cmp_ne_u32_e64 s[0:1], v18, v10
	s_and_saveexec_b64 s[12:13], s[0:1]
	s_cbranch_execz .LBB84_43
; %bb.38:                               ;   in Loop: Header=BB84_37 Depth=1
	v_cmp_eq_u32_e64 s[0:1], v18, v15
	v_cmp_ne_u32_e64 s[2:3], v18, v15
	v_mov_b32_e32 v3, v12
	s_and_saveexec_b64 s[14:15], s[2:3]
	s_cbranch_execz .LBB84_42
; %bb.39:                               ;   in Loop: Header=BB84_37 Depth=1
	v_cmp_eq_u32_e64 s[16:17], v18, v16
	v_cmp_ne_u32_e64 s[2:3], v18, v16
	v_mov_b32_e32 v3, v13
	s_and_saveexec_b64 s[18:19], s[2:3]
	s_xor_b64 s[18:19], exec, s[18:19]
; %bb.40:                               ;   in Loop: Header=BB84_37 Depth=1
	v_cmp_eq_u32_e64 s[2:3], v18, v17
	s_andn2_b64 s[16:17], s[16:17], exec
	s_and_b64 s[2:3], s[2:3], exec
	s_or_b64 s[16:17], s[16:17], s[2:3]
	v_mov_b32_e32 v3, v14
; %bb.41:                               ;   in Loop: Header=BB84_37 Depth=1
	s_or_b64 exec, exec, s[18:19]
	s_andn2_b64 s[0:1], s[0:1], exec
	s_and_b64 s[2:3], s[16:17], exec
	s_or_b64 s[0:1], s[0:1], s[2:3]
.LBB84_42:                              ;   in Loop: Header=BB84_37 Depth=1
	s_or_b64 exec, exec, s[14:15]
	s_andn2_b64 s[2:3], vcc, exec
	s_and_b64 s[0:1], s[0:1], exec
	s_or_b64 vcc, s[2:3], s[0:1]
.LBB84_43:                              ;   in Loop: Header=BB84_37 Depth=1
	s_or_b64 exec, exec, s[12:13]
	s_and_saveexec_b64 s[0:1], vcc
	s_cbranch_execz .LBB84_45
; %bb.44:                               ;   in Loop: Header=BB84_37 Depth=1
	scratch_load_dword v3, v3, off
	v_add_u32_e32 v18, s7, v2
	v_ashrrev_i32_e32 v19, 31, v18
	v_lshl_add_u64 v[18:19], v[18:19], 2, s[4:5]
	s_waitcnt vmcnt(0)
	v_mul_f32_e32 v3, v11, v3
	global_store_dword v[18:19], v3, off
.LBB84_45:                              ;   in Loop: Header=BB84_37 Depth=1
	s_or_b64 exec, exec, s[0:1]
	global_load_dword v18, v[8:9], off offset:4
	v_mov_b32_e32 v3, 0
	s_waitcnt vmcnt(0)
	v_cmp_eq_u32_e64 s[0:1], v18, v10
	v_cmp_ne_u32_e32 vcc, v18, v10
	s_and_saveexec_b64 s[2:3], vcc
	s_cbranch_execz .LBB84_51
; %bb.46:                               ;   in Loop: Header=BB84_37 Depth=1
	v_cmp_eq_u32_e64 s[12:13], v18, v15
	v_cmp_ne_u32_e32 vcc, v18, v15
	v_mov_b32_e32 v3, v12
	s_and_saveexec_b64 s[14:15], vcc
	s_cbranch_execz .LBB84_50
; %bb.47:                               ;   in Loop: Header=BB84_37 Depth=1
	v_cmp_eq_u32_e64 s[16:17], v18, v16
	v_cmp_ne_u32_e32 vcc, v18, v16
	v_mov_b32_e32 v3, v13
	s_and_saveexec_b64 s[18:19], vcc
; %bb.48:                               ;   in Loop: Header=BB84_37 Depth=1
	v_cmp_eq_u32_e32 vcc, v18, v17
	s_andn2_b64 s[16:17], s[16:17], exec
	s_and_b64 s[22:23], vcc, exec
	s_or_b64 s[16:17], s[16:17], s[22:23]
	v_mov_b32_e32 v3, v14
; %bb.49:                               ;   in Loop: Header=BB84_37 Depth=1
	s_or_b64 exec, exec, s[18:19]
	s_andn2_b64 s[12:13], s[12:13], exec
	s_and_b64 s[16:17], s[16:17], exec
	s_or_b64 s[12:13], s[12:13], s[16:17]
.LBB84_50:                              ;   in Loop: Header=BB84_37 Depth=1
	s_or_b64 exec, exec, s[14:15]
	s_andn2_b64 s[0:1], s[0:1], exec
	s_and_b64 s[12:13], s[12:13], exec
	s_or_b64 s[0:1], s[0:1], s[12:13]
.LBB84_51:                              ;   in Loop: Header=BB84_37 Depth=1
	s_or_b64 exec, exec, s[2:3]
	s_and_saveexec_b64 s[2:3], s[0:1]
	s_cbranch_execz .LBB84_53
; %bb.52:                               ;   in Loop: Header=BB84_37 Depth=1
	scratch_load_dword v3, v3, off
	v_lshl_add_u64 v[18:19], v[6:7], 0, s[8:9]
	s_waitcnt vmcnt(0)
	v_mul_f32_e32 v3, v11, v3
	global_store_dword v[18:19], v3, off offset:4
.LBB84_53:                              ;   in Loop: Header=BB84_37 Depth=1
	s_or_b64 exec, exec, s[2:3]
	global_load_dword v18, v[8:9], off offset:8
	v_mov_b32_e32 v3, 0
	s_waitcnt vmcnt(0)
	v_cmp_eq_u32_e64 s[0:1], v18, v10
	v_cmp_ne_u32_e32 vcc, v18, v10
	s_and_saveexec_b64 s[2:3], vcc
	s_cbranch_execz .LBB84_59
; %bb.54:                               ;   in Loop: Header=BB84_37 Depth=1
	v_cmp_eq_u32_e64 s[12:13], v18, v15
	v_cmp_ne_u32_e32 vcc, v18, v15
	v_mov_b32_e32 v3, v12
	s_and_saveexec_b64 s[14:15], vcc
	s_cbranch_execz .LBB84_58
; %bb.55:                               ;   in Loop: Header=BB84_37 Depth=1
	v_cmp_eq_u32_e64 s[16:17], v18, v16
	v_cmp_ne_u32_e32 vcc, v18, v16
	v_mov_b32_e32 v3, v13
	s_and_saveexec_b64 s[18:19], vcc
; %bb.56:                               ;   in Loop: Header=BB84_37 Depth=1
	v_cmp_eq_u32_e32 vcc, v18, v17
	s_andn2_b64 s[16:17], s[16:17], exec
	s_and_b64 s[22:23], vcc, exec
	s_or_b64 s[16:17], s[16:17], s[22:23]
	v_mov_b32_e32 v3, v14
; %bb.57:                               ;   in Loop: Header=BB84_37 Depth=1
	s_or_b64 exec, exec, s[18:19]
	s_andn2_b64 s[12:13], s[12:13], exec
	s_and_b64 s[16:17], s[16:17], exec
	s_or_b64 s[12:13], s[12:13], s[16:17]
.LBB84_58:                              ;   in Loop: Header=BB84_37 Depth=1
	s_or_b64 exec, exec, s[14:15]
	s_andn2_b64 s[0:1], s[0:1], exec
	s_and_b64 s[12:13], s[12:13], exec
	s_or_b64 s[0:1], s[0:1], s[12:13]
.LBB84_59:                              ;   in Loop: Header=BB84_37 Depth=1
	s_or_b64 exec, exec, s[2:3]
	s_and_saveexec_b64 s[2:3], s[0:1]
	s_cbranch_execz .LBB84_61
; %bb.60:                               ;   in Loop: Header=BB84_37 Depth=1
	scratch_load_dword v3, v3, off
	v_lshl_add_u64 v[18:19], v[6:7], 0, s[8:9]
	s_waitcnt vmcnt(0)
	v_mul_f32_e32 v3, v11, v3
	global_store_dword v[18:19], v3, off offset:8
.LBB84_61:                              ;   in Loop: Header=BB84_37 Depth=1
	s_or_b64 exec, exec, s[2:3]
	global_load_dword v8, v[8:9], off offset:12
	v_mov_b32_e32 v3, 0
	s_waitcnt vmcnt(0)
	v_cmp_eq_u32_e64 s[0:1], v8, v10
	v_cmp_ne_u32_e32 vcc, v8, v10
	s_and_saveexec_b64 s[2:3], vcc
	s_cbranch_execz .LBB84_67
; %bb.62:                               ;   in Loop: Header=BB84_37 Depth=1
	v_cmp_eq_u32_e64 s[12:13], v8, v15
	v_cmp_ne_u32_e32 vcc, v8, v15
	v_mov_b32_e32 v3, v12
	s_and_saveexec_b64 s[14:15], vcc
	s_cbranch_execz .LBB84_66
; %bb.63:                               ;   in Loop: Header=BB84_37 Depth=1
	v_cmp_eq_u32_e64 s[16:17], v8, v16
	v_cmp_ne_u32_e32 vcc, v8, v16
	v_mov_b32_e32 v3, v13
	s_and_saveexec_b64 s[18:19], vcc
; %bb.64:                               ;   in Loop: Header=BB84_37 Depth=1
	v_cmp_eq_u32_e32 vcc, v8, v17
	s_andn2_b64 s[16:17], s[16:17], exec
	s_and_b64 s[22:23], vcc, exec
	s_or_b64 s[16:17], s[16:17], s[22:23]
	v_mov_b32_e32 v3, v14
; %bb.65:                               ;   in Loop: Header=BB84_37 Depth=1
	s_or_b64 exec, exec, s[18:19]
	s_andn2_b64 s[12:13], s[12:13], exec
	s_and_b64 s[16:17], s[16:17], exec
	s_or_b64 s[12:13], s[12:13], s[16:17]
.LBB84_66:                              ;   in Loop: Header=BB84_37 Depth=1
	s_or_b64 exec, exec, s[14:15]
	s_andn2_b64 s[0:1], s[0:1], exec
	s_and_b64 s[12:13], s[12:13], exec
	s_or_b64 s[0:1], s[0:1], s[12:13]
.LBB84_67:                              ;   in Loop: Header=BB84_37 Depth=1
	s_or_b64 exec, exec, s[2:3]
	s_and_saveexec_b64 s[2:3], s[0:1]
	s_cbranch_execz .LBB84_36
; %bb.68:                               ;   in Loop: Header=BB84_37 Depth=1
	scratch_load_dword v3, v3, off
	v_lshl_add_u64 v[8:9], v[6:7], 0, s[8:9]
	s_waitcnt vmcnt(0)
	v_mul_f32_e32 v3, v11, v3
	global_store_dword v[8:9], v3, off offset:12
	s_branch .LBB84_36
.LBB84_69:
	s_and_b32 s14, s20, 3
	s_cmp_eq_u32 s14, 0
	s_mov_b32 s7, 0
	s_cbranch_scc1 .LBB84_80
; %bb.70:
	s_lshl_b64 s[0:1], s[6:7], 2
	s_add_u32 s0, s10, s0
	s_addc_u32 s1, s11, s1
	v_add_u32_e32 v2, s6, v2
	v_lshl_add_u64 v[0:1], v[0:1], 2, s[0:1]
	s_branch .LBB84_72
.LBB84_71:                              ;   in Loop: Header=BB84_72 Depth=1
	s_or_b64 exec, exec, s[2:3]
	s_add_i32 s14, s14, -1
	v_add_u32_e32 v2, 1, v2
	s_cmp_lg_u32 s14, 0
	v_lshl_add_u64 v[0:1], v[0:1], 0, 4
	s_cbranch_scc0 .LBB84_80
.LBB84_72:                              ; =>This Inner Loop Header: Depth=1
	global_load_dword v4, v[0:1], off
	v_mov_b32_e32 v3, 0
	s_waitcnt vmcnt(0)
	v_cmp_eq_u32_e64 s[0:1], v4, v10
	v_cmp_ne_u32_e32 vcc, v4, v10
	s_and_saveexec_b64 s[2:3], vcc
	s_cbranch_execz .LBB84_78
; %bb.73:                               ;   in Loop: Header=BB84_72 Depth=1
	v_cmp_eq_u32_e64 s[6:7], v4, v15
	v_cmp_ne_u32_e32 vcc, v4, v15
	v_mov_b32_e32 v3, v12
	s_and_saveexec_b64 s[8:9], vcc
	s_cbranch_execz .LBB84_77
; %bb.74:                               ;   in Loop: Header=BB84_72 Depth=1
	v_cmp_eq_u32_e64 s[10:11], v4, v16
	v_cmp_ne_u32_e32 vcc, v4, v16
	v_mov_b32_e32 v3, v13
	s_and_saveexec_b64 s[12:13], vcc
; %bb.75:                               ;   in Loop: Header=BB84_72 Depth=1
	v_cmp_eq_u32_e32 vcc, v4, v17
	s_andn2_b64 s[10:11], s[10:11], exec
	s_and_b64 s[16:17], vcc, exec
	s_or_b64 s[10:11], s[10:11], s[16:17]
	v_mov_b32_e32 v3, v14
; %bb.76:                               ;   in Loop: Header=BB84_72 Depth=1
	s_or_b64 exec, exec, s[12:13]
	s_andn2_b64 s[6:7], s[6:7], exec
	s_and_b64 s[10:11], s[10:11], exec
	s_or_b64 s[6:7], s[6:7], s[10:11]
.LBB84_77:                              ;   in Loop: Header=BB84_72 Depth=1
	s_or_b64 exec, exec, s[8:9]
	s_andn2_b64 s[0:1], s[0:1], exec
	s_and_b64 s[6:7], s[6:7], exec
	s_or_b64 s[0:1], s[0:1], s[6:7]
.LBB84_78:                              ;   in Loop: Header=BB84_72 Depth=1
	s_or_b64 exec, exec, s[2:3]
	s_and_saveexec_b64 s[2:3], s[0:1]
	s_cbranch_execz .LBB84_71
; %bb.79:                               ;   in Loop: Header=BB84_72 Depth=1
	scratch_load_dword v4, v3, off
	v_ashrrev_i32_e32 v3, 31, v2
	s_waitcnt vmcnt(0)
	v_mul_f32_e32 v6, v11, v4
	s_waitcnt lgkmcnt(0)
	v_lshl_add_u64 v[4:5], v[2:3], 2, s[4:5]
	global_store_dword v[4:5], v6, off
	s_branch .LBB84_71
.LBB84_80:
	s_endpgm
	.section	.rodata,"a",@progbits
	.p2align	6, 0x0
	.amdhsa_kernel _ZN4vllm3moe22topkGatingSoftplusSqrtILi4ELi64ELi4ELi16ELi64ELb1EjfEEvPKT6_PKbPfiPT5_PiiiibdPKfPKS8_SE_
		.amdhsa_group_segment_fixed_size 0
		.amdhsa_private_segment_fixed_size 32
		.amdhsa_kernarg_size 96
		.amdhsa_user_sgpr_count 2
		.amdhsa_user_sgpr_dispatch_ptr 0
		.amdhsa_user_sgpr_queue_ptr 0
		.amdhsa_user_sgpr_kernarg_segment_ptr 1
		.amdhsa_user_sgpr_dispatch_id 0
		.amdhsa_user_sgpr_kernarg_preload_length 0
		.amdhsa_user_sgpr_kernarg_preload_offset 0
		.amdhsa_user_sgpr_private_segment_size 0
		.amdhsa_uses_dynamic_stack 0
		.amdhsa_enable_private_segment 1
		.amdhsa_system_sgpr_workgroup_id_x 1
		.amdhsa_system_sgpr_workgroup_id_y 0
		.amdhsa_system_sgpr_workgroup_id_z 0
		.amdhsa_system_sgpr_workgroup_info 0
		.amdhsa_system_vgpr_workitem_id 1
		.amdhsa_next_free_vgpr 23
		.amdhsa_next_free_sgpr 24
		.amdhsa_accum_offset 24
		.amdhsa_reserve_vcc 1
		.amdhsa_float_round_mode_32 0
		.amdhsa_float_round_mode_16_64 0
		.amdhsa_float_denorm_mode_32 3
		.amdhsa_float_denorm_mode_16_64 3
		.amdhsa_dx10_clamp 1
		.amdhsa_ieee_mode 1
		.amdhsa_fp16_overflow 0
		.amdhsa_tg_split 0
		.amdhsa_exception_fp_ieee_invalid_op 0
		.amdhsa_exception_fp_denorm_src 0
		.amdhsa_exception_fp_ieee_div_zero 0
		.amdhsa_exception_fp_ieee_overflow 0
		.amdhsa_exception_fp_ieee_underflow 0
		.amdhsa_exception_fp_ieee_inexact 0
		.amdhsa_exception_int_div_zero 0
	.end_amdhsa_kernel
	.section	.text._ZN4vllm3moe22topkGatingSoftplusSqrtILi4ELi64ELi4ELi16ELi64ELb1EjfEEvPKT6_PKbPfiPT5_PiiiibdPKfPKS8_SE_,"axG",@progbits,_ZN4vllm3moe22topkGatingSoftplusSqrtILi4ELi64ELi4ELi16ELi64ELb1EjfEEvPKT6_PKbPfiPT5_PiiiibdPKfPKS8_SE_,comdat
.Lfunc_end84:
	.size	_ZN4vllm3moe22topkGatingSoftplusSqrtILi4ELi64ELi4ELi16ELi64ELb1EjfEEvPKT6_PKbPfiPT5_PiiiibdPKfPKS8_SE_, .Lfunc_end84-_ZN4vllm3moe22topkGatingSoftplusSqrtILi4ELi64ELi4ELi16ELi64ELb1EjfEEvPKT6_PKbPfiPT5_PiiiibdPKfPKS8_SE_
                                        ; -- End function
	.section	.AMDGPU.csdata,"",@progbits
; Kernel info:
; codeLenInByte = 3468
; NumSgprs: 30
; NumVgprs: 23
; NumAgprs: 0
; TotalNumVgprs: 23
; ScratchSize: 32
; MemoryBound: 0
; FloatMode: 240
; IeeeMode: 1
; LDSByteSize: 0 bytes/workgroup (compile time only)
; SGPRBlocks: 3
; VGPRBlocks: 2
; NumSGPRsForWavesPerEU: 30
; NumVGPRsForWavesPerEU: 23
; AccumOffset: 24
; Occupancy: 8
; WaveLimiterHint : 1
; COMPUTE_PGM_RSRC2:SCRATCH_EN: 1
; COMPUTE_PGM_RSRC2:USER_SGPR: 2
; COMPUTE_PGM_RSRC2:TRAP_HANDLER: 0
; COMPUTE_PGM_RSRC2:TGID_X_EN: 1
; COMPUTE_PGM_RSRC2:TGID_Y_EN: 0
; COMPUTE_PGM_RSRC2:TGID_Z_EN: 0
; COMPUTE_PGM_RSRC2:TIDIG_COMP_CNT: 1
; COMPUTE_PGM_RSRC3_GFX90A:ACCUM_OFFSET: 5
; COMPUTE_PGM_RSRC3_GFX90A:TG_SPLIT: 0
	.section	.text._ZN4vllm3moe22topkGatingSoftplusSqrtILi4ELi64ELi4ELi16ELi64ELb0EjfEEvPKT6_PKbPfiPT5_PiiiibdPKfPKS8_SE_,"axG",@progbits,_ZN4vllm3moe22topkGatingSoftplusSqrtILi4ELi64ELi4ELi16ELi64ELb0EjfEEvPKT6_PKbPfiPT5_PiiiibdPKfPKS8_SE_,comdat
	.protected	_ZN4vllm3moe22topkGatingSoftplusSqrtILi4ELi64ELi4ELi16ELi64ELb0EjfEEvPKT6_PKbPfiPT5_PiiiibdPKfPKS8_SE_ ; -- Begin function _ZN4vllm3moe22topkGatingSoftplusSqrtILi4ELi64ELi4ELi16ELi64ELb0EjfEEvPKT6_PKbPfiPT5_PiiiibdPKfPKS8_SE_
	.globl	_ZN4vllm3moe22topkGatingSoftplusSqrtILi4ELi64ELi4ELi16ELi64ELb0EjfEEvPKT6_PKbPfiPT5_PiiiibdPKfPKS8_SE_
	.p2align	8
	.type	_ZN4vllm3moe22topkGatingSoftplusSqrtILi4ELi64ELi4ELi16ELi64ELb0EjfEEvPKT6_PKbPfiPT5_PiiiibdPKfPKS8_SE_,@function
_ZN4vllm3moe22topkGatingSoftplusSqrtILi4ELi64ELi4ELi16ELi64ELb0EjfEEvPKT6_PKbPfiPT5_PiiiibdPKfPKS8_SE_: ; @_ZN4vllm3moe22topkGatingSoftplusSqrtILi4ELi64ELi4ELi16ELi64ELb0EjfEEvPKT6_PKbPfiPT5_PiiiibdPKfPKS8_SE_
; %bb.0:
	s_load_dword s30, s[2:3], 0x18
	v_and_b32_e32 v1, 0x3ff, v0
	v_bfe_u32 v4, v0, 10, 10
	s_lshl_b32 s4, s4, 4
	v_lshlrev_b32_e32 v2, 2, v4
	v_lshrrev_b32_e32 v3, 4, v1
	v_add3_u32 v2, s4, v2, v3
	s_waitcnt lgkmcnt(0)
	v_cmp_gt_i32_e32 vcc, s30, v2
	s_and_saveexec_b64 s[4:5], vcc
	s_cbranch_execz .LBB85_51
; %bb.1:
	s_load_dwordx4 s[4:7], s[2:3], 0x0
	s_load_dwordx2 s[20:21], s[2:3], 0x10
	s_waitcnt lgkmcnt(0)
	s_cmp_eq_u64 s[6:7], 0
	s_cbranch_scc1 .LBB85_3
; %bb.2:
	v_ashrrev_i32_e32 v3, 31, v2
	v_lshl_add_u64 v[6:7], s[6:7], 0, v[2:3]
	global_load_ubyte v3, v[6:7], off
	s_waitcnt vmcnt(0)
	v_and_b32_e32 v3, 1, v3
	v_cmp_eq_u32_e32 vcc, 1, v3
	s_xor_b64 s[6:7], vcc, -1
	s_orn2_b64 s[22:23], s[6:7], exec
	s_branch .LBB85_4
.LBB85_3:
	s_mov_b64 s[22:23], -1
.LBB85_4:
	v_lshlrev_b32_e32 v8, 6, v2
	v_mov_b32_e32 v6, s4
	v_mov_b32_e32 v7, s5
	v_ashrrev_i32_e32 v9, 31, v8
	v_and_b32_e32 v3, 15, v1
	v_lshl_add_u64 v[6:7], v[8:9], 2, v[6:7]
	v_mov_b32_e32 v9, 0
	v_lshlrev_b32_e32 v8, 4, v3
	v_lshl_add_u64 v[6:7], v[6:7], 0, v[8:9]
	global_load_dwordx4 v[6:9], v[6:7], off
	s_load_dwordx2 s[4:5], s[0:1], 0x4
	s_load_dwordx4 s[8:11], s[2:3], 0x40
	v_bfe_u32 v0, v0, 20, 10
	s_mov_b32 s16, 0x800000
	s_mov_b32 s13, 0x3f317217
	s_waitcnt lgkmcnt(0)
	s_lshr_b32 s0, s4, 16
	s_mul_i32 s0, s0, s5
	v_mul_lo_u32 v1, s0, v1
	v_mad_u32_u24 v1, v4, s5, v1
	v_add_lshl_u32 v4, v1, v0, 4
	s_mov_b32 s14, 0x7f800000
	s_mov_b32 s12, 0x41a00000
	;; [unrolled: 1-line block ×3, first 2 shown]
	s_cmp_lg_u64 s[10:11], 0
	v_mov_b32_e32 v1, 0x260
	s_cselect_b64 s[6:7], -1, 0
	s_and_b64 s[0:1], exec, s[6:7]
	s_waitcnt vmcnt(0)
	ds_write_b128 v4, v[6:9]
	ds_read_b32 v8, v4
	v_mov_b32_e32 v6, 0x4f800000
	v_mov_b32_e32 v7, 0x41b17218
	s_waitcnt lgkmcnt(0)
	v_mul_f32_e32 v0, 0x3fb8aa3b, v8
	v_exp_f32_e32 v0, v0
	s_nop 0
	v_add_f32_e32 v0, 1.0, v0
	v_cmp_gt_f32_e32 vcc, s16, v0
	s_nop 1
	v_cndmask_b32_e32 v5, 1.0, v6, vcc
	v_mul_f32_e32 v0, v0, v5
	v_log_f32_e32 v9, v0
	v_cndmask_b32_e32 v10, 0, v7, vcc
	v_lshlrev_b32_e32 v5, 2, v3
	v_lshlrev_b32_e32 v0, 2, v5
	v_mul_f32_e32 v11, 0x3f317217, v9
	v_fma_f32 v11, v9, s13, -v11
	v_fmac_f32_e32 v11, 0x3377d1cf, v9
	v_fmac_f32_e32 v11, 0x3f317217, v9
	v_cmp_lt_f32_e64 vcc, |v9|, s14
	s_nop 1
	v_cndmask_b32_e32 v9, v9, v11, vcc
	v_sub_f32_e32 v9, v9, v10
	v_cmp_lt_f32_e32 vcc, s12, v8
	s_nop 1
	v_cndmask_b32_e32 v8, v9, v8, vcc
	v_mul_f32_e32 v9, 0x4f800000, v8
	v_cmp_gt_f32_e32 vcc, s15, v8
	s_nop 1
	v_cndmask_b32_e32 v8, v8, v9, vcc
	v_sqrt_f32_e32 v9, v8
	s_nop 0
	v_add_u32_e32 v10, -1, v9
	v_add_u32_e32 v11, 1, v9
	v_fma_f32 v12, -v10, v9, v8
	v_fma_f32 v13, -v11, v9, v8
	v_cmp_ge_f32_e64 s[4:5], 0, v12
	s_nop 1
	v_cndmask_b32_e64 v9, v9, v10, s[4:5]
	v_cmp_lt_f32_e64 s[4:5], 0, v13
	s_nop 1
	v_cndmask_b32_e64 v9, v9, v11, s[4:5]
	v_mul_f32_e32 v10, 0x37800000, v9
	v_cndmask_b32_e32 v9, v9, v10, vcc
	v_cmp_class_f32_e32 vcc, v8, v1
	s_nop 1
	v_cndmask_b32_e32 v8, v9, v8, vcc
	s_mov_b64 vcc, s[0:1]
	s_cbranch_vccz .LBB85_6
; %bb.5:
	global_load_dword v9, v0, s[10:11]
	s_waitcnt vmcnt(0)
	v_add_f32_e32 v8, v8, v9
.LBB85_6:
	ds_read_b32 v9, v4 offset:4
	ds_write_b32 v4, v8
	s_waitcnt lgkmcnt(1)
	v_mul_f32_e32 v10, 0x3fb8aa3b, v9
	v_exp_f32_e32 v10, v10
	s_nop 0
	v_add_f32_e32 v10, 1.0, v10
	v_cmp_gt_f32_e32 vcc, s16, v10
	s_nop 1
	v_cndmask_b32_e32 v6, 1.0, v6, vcc
	v_mul_f32_e32 v6, v10, v6
	v_log_f32_e32 v6, v6
	v_cndmask_b32_e32 v7, 0, v7, vcc
	v_mul_f32_e32 v8, 0x3f317217, v6
	v_fma_f32 v8, v6, s13, -v8
	v_fmac_f32_e32 v8, 0x3377d1cf, v6
	v_fmac_f32_e32 v8, 0x3f317217, v6
	v_cmp_lt_f32_e64 vcc, |v6|, s14
	s_nop 1
	v_cndmask_b32_e32 v6, v6, v8, vcc
	v_sub_f32_e32 v6, v6, v7
	v_cmp_lt_f32_e32 vcc, s12, v9
	v_cndmask_b32_e64 v8, 0, 1, s[6:7]
	v_cmp_ne_u32_e64 s[0:1], 1, v8
	v_cndmask_b32_e32 v6, v6, v9, vcc
	v_mul_f32_e32 v7, 0x4f800000, v6
	v_cmp_gt_f32_e64 s[4:5], s15, v6
	s_andn2_b64 vcc, exec, s[6:7]
	s_nop 0
	v_cndmask_b32_e64 v6, v6, v7, s[4:5]
	v_sqrt_f32_e32 v7, v6
	s_nop 0
	v_add_u32_e32 v8, -1, v7
	v_add_u32_e32 v9, 1, v7
	v_fma_f32 v10, -v8, v7, v6
	v_fma_f32 v11, -v9, v7, v6
	v_cmp_ge_f32_e64 s[6:7], 0, v10
	s_nop 1
	v_cndmask_b32_e64 v7, v7, v8, s[6:7]
	v_cmp_lt_f32_e64 s[6:7], 0, v11
	s_nop 1
	v_cndmask_b32_e64 v7, v7, v9, s[6:7]
	v_mul_f32_e32 v8, 0x37800000, v7
	v_cndmask_b32_e64 v7, v7, v8, s[4:5]
	v_cmp_class_f32_e64 s[4:5], v6, v1
	s_nop 1
	v_cndmask_b32_e64 v1, v7, v6, s[4:5]
	s_cbranch_vccnz .LBB85_8
; %bb.7:
	global_load_dword v6, v0, s[10:11] offset:4
	s_waitcnt vmcnt(0)
	v_add_f32_e32 v1, v1, v6
.LBB85_8:
	ds_read_b32 v8, v4 offset:8
	s_mov_b32 s12, 0x800000
	s_mov_b32 s7, 0x3f317217
	;; [unrolled: 1-line block ×4, first 2 shown]
	s_waitcnt lgkmcnt(0)
	v_mul_f32_e32 v6, 0x3fb8aa3b, v8
	v_exp_f32_e32 v7, v6
	v_mov_b32_e32 v6, 0x4f800000
	s_mov_b32 s14, 0xf800000
	ds_write_b32 v4, v1 offset:4
	v_add_f32_e32 v7, 1.0, v7
	v_cmp_gt_f32_e32 vcc, s12, v7
	s_nop 1
	v_cndmask_b32_e32 v9, 1.0, v6, vcc
	v_mul_f32_e32 v7, v7, v9
	v_log_f32_e32 v9, v7
	v_mov_b32_e32 v7, 0x41b17218
	v_cndmask_b32_e32 v10, 0, v7, vcc
	v_mul_f32_e32 v11, 0x3f317217, v9
	v_fma_f32 v11, v9, s7, -v11
	v_fmac_f32_e32 v11, 0x3377d1cf, v9
	v_fmac_f32_e32 v11, 0x3f317217, v9
	v_cmp_lt_f32_e64 vcc, |v9|, s13
	s_nop 1
	v_cndmask_b32_e32 v9, v9, v11, vcc
	v_sub_f32_e32 v9, v9, v10
	v_cmp_lt_f32_e32 vcc, s6, v8
	s_nop 1
	v_cndmask_b32_e32 v8, v9, v8, vcc
	v_mul_f32_e32 v9, 0x4f800000, v8
	v_cmp_gt_f32_e32 vcc, s14, v8
	s_nop 1
	v_cndmask_b32_e32 v8, v8, v9, vcc
	v_sqrt_f32_e32 v9, v8
	s_nop 0
	v_add_u32_e32 v1, -1, v9
	v_fma_f32 v10, -v1, v9, v8
	v_cmp_ge_f32_e64 s[4:5], 0, v10
	v_add_u32_e32 v10, 1, v9
	s_nop 0
	v_cndmask_b32_e64 v1, v9, v1, s[4:5]
	v_fma_f32 v9, -v10, v9, v8
	v_cmp_lt_f32_e64 s[4:5], 0, v9
	s_nop 1
	v_cndmask_b32_e64 v1, v1, v10, s[4:5]
	v_mul_f32_e32 v9, 0x37800000, v1
	v_cndmask_b32_e32 v9, v1, v9, vcc
	v_mov_b32_e32 v1, 0x260
	v_cmp_class_f32_e64 s[4:5], v8, v1
	s_and_b64 vcc, exec, s[0:1]
	s_nop 0
	v_cndmask_b32_e64 v8, v9, v8, s[4:5]
	s_cbranch_vccnz .LBB85_10
; %bb.9:
	global_load_dword v9, v0, s[10:11] offset:8
	s_waitcnt vmcnt(0)
	v_add_f32_e32 v8, v8, v9
.LBB85_10:
	ds_read_b32 v9, v4 offset:12
	ds_write_b32 v4, v8 offset:8
	s_waitcnt lgkmcnt(1)
	v_mul_f32_e32 v10, 0x3fb8aa3b, v9
	v_exp_f32_e32 v10, v10
	s_nop 0
	v_add_f32_e32 v10, 1.0, v10
	v_cmp_gt_f32_e32 vcc, s12, v10
	s_nop 1
	v_cndmask_b32_e32 v6, 1.0, v6, vcc
	v_mul_f32_e32 v6, v10, v6
	v_log_f32_e32 v6, v6
	v_cndmask_b32_e32 v7, 0, v7, vcc
	v_mul_f32_e32 v10, 0x3f317217, v6
	v_fma_f32 v10, v6, s7, -v10
	v_fmac_f32_e32 v10, 0x3377d1cf, v6
	v_fmac_f32_e32 v10, 0x3f317217, v6
	v_cmp_lt_f32_e64 vcc, |v6|, s13
	s_nop 1
	v_cndmask_b32_e32 v6, v6, v10, vcc
	v_sub_f32_e32 v6, v6, v7
	v_cmp_lt_f32_e32 vcc, s6, v9
	s_nop 1
	v_cndmask_b32_e32 v6, v6, v9, vcc
	v_mul_f32_e32 v7, 0x4f800000, v6
	v_cmp_gt_f32_e64 s[4:5], s14, v6
	s_and_b64 vcc, exec, s[0:1]
	s_nop 0
	v_cndmask_b32_e64 v6, v6, v7, s[4:5]
	v_sqrt_f32_e32 v7, v6
	s_nop 0
	v_add_u32_e32 v8, -1, v7
	v_add_u32_e32 v9, 1, v7
	v_fma_f32 v10, -v8, v7, v6
	v_fma_f32 v11, -v9, v7, v6
	v_cmp_ge_f32_e64 s[6:7], 0, v10
	s_nop 1
	v_cndmask_b32_e64 v7, v7, v8, s[6:7]
	v_cmp_lt_f32_e64 s[6:7], 0, v11
	s_nop 1
	v_cndmask_b32_e64 v7, v7, v9, s[6:7]
	v_mul_f32_e32 v8, 0x37800000, v7
	v_cndmask_b32_e64 v7, v7, v8, s[4:5]
	v_cmp_class_f32_e64 s[4:5], v6, v1
	s_nop 1
	v_cndmask_b32_e64 v1, v7, v6, s[4:5]
	s_cbranch_vccnz .LBB85_12
; %bb.11:
	global_load_dword v0, v0, s[10:11] offset:12
	s_waitcnt vmcnt(0)
	v_add_f32_e32 v1, v1, v0
.LBB85_12:
	s_load_dwordx4 s[12:15], s[2:3], 0x30
	s_mov_b32 s31, 0
	v_cmp_eq_u32_e64 s[6:7], 0, v3
	ds_write_b32 v4, v1 offset:12
	s_waitcnt lgkmcnt(0)
	s_bitcmp1_b32 s15, 0
	s_cselect_b64 s[4:5], -1, 0
	s_cmp_gt_i32 s12, 0
	s_cselect_b64 s[24:25], -1, 0
	s_and_b64 vcc, exec, s[24:25]
	s_cbranch_vccz .LBB85_37
; %bb.13:
	v_mbcnt_lo_u32_b32 v0, -1, 0
	v_mbcnt_hi_u32_b32 v0, -1, v0
	v_and_b32_e32 v1, 0x70, v0
	v_add_u32_e32 v1, 16, v1
	v_xor_b32_e32 v6, 8, v0
	v_cmp_lt_i32_e32 vcc, v6, v1
	s_load_dwordx4 s[16:19], s[2:3], 0x20
	v_mul_lo_u32 v7, v2, s12
	v_cndmask_b32_e32 v6, v0, v6, vcc
	v_lshlrev_b32_e32 v8, 2, v6
	v_xor_b32_e32 v6, 4, v0
	v_cmp_lt_i32_e32 vcc, v6, v1
	v_mov_b32_e32 v12, 0xc61c4000
	v_mov_b32_e32 v13, v2
	v_cndmask_b32_e32 v6, v0, v6, vcc
	v_lshlrev_b32_e32 v9, 2, v6
	v_xor_b32_e32 v6, 2, v0
	v_cmp_lt_i32_e32 vcc, v6, v1
	s_nop 1
	v_cndmask_b32_e32 v6, v0, v6, vcc
	v_lshlrev_b32_e32 v10, 2, v6
	v_xor_b32_e32 v6, 1, v0
	v_cmp_lt_i32_e32 vcc, v6, v1
	s_nop 1
	v_cndmask_b32_e32 v0, v0, v6, vcc
	v_lshlrev_b32_e32 v11, 2, v0
	v_mov_b32_e32 v6, 0
	s_branch .LBB85_15
.LBB85_14:                              ;   in Loop: Header=BB85_15 Depth=1
	s_or_b64 exec, exec, s[2:3]
	s_cmp_eq_u32 s12, s31
	v_add_u32_e32 v13, s30, v13
	s_cbranch_scc1 .LBB85_38
.LBB85_15:                              ; =>This Inner Loop Header: Depth=1
	ds_read_b128 v[14:17], v4
	s_waitcnt lgkmcnt(0)
	v_cmp_gt_f32_e32 vcc, v15, v14
	s_nop 1
	v_cndmask_b32_e32 v1, v14, v15, vcc
	v_cndmask_b32_e64 v0, 0, 1, vcc
	v_cmp_gt_f32_e32 vcc, v16, v1
	s_nop 1
	v_cndmask_b32_e32 v1, v1, v16, vcc
	v_cndmask_b32_e64 v0, v0, 2, vcc
	v_cmp_gt_f32_e32 vcc, v17, v1
	s_nop 1
	v_cndmask_b32_e64 v0, v0, 3, vcc
	v_cndmask_b32_e32 v14, v1, v17, vcc
	ds_bpermute_b32 v1, v8, v14
	v_or_b32_e32 v0, v5, v0
	ds_bpermute_b32 v15, v8, v0
	s_waitcnt lgkmcnt(1)
	v_cmp_lt_f32_e64 s[26:27], v14, v1
	v_cmp_nlt_f32_e32 vcc, v14, v1
	s_and_saveexec_b64 s[28:29], vcc
	s_cbranch_execz .LBB85_17
; %bb.16:                               ;   in Loop: Header=BB85_15 Depth=1
	v_cmp_eq_f32_e32 vcc, v14, v1
	s_waitcnt lgkmcnt(0)
	v_cmp_lt_i32_e64 s[2:3], v15, v0
	s_and_b64 s[2:3], vcc, s[2:3]
	s_andn2_b64 s[26:27], s[26:27], exec
	s_and_b64 s[2:3], s[2:3], exec
	s_or_b64 s[26:27], s[26:27], s[2:3]
.LBB85_17:                              ;   in Loop: Header=BB85_15 Depth=1
	s_or_b64 exec, exec, s[28:29]
	s_and_saveexec_b64 s[2:3], s[26:27]
	s_cbranch_execz .LBB85_19
; %bb.18:                               ;   in Loop: Header=BB85_15 Depth=1
	v_mov_b32_e32 v14, v1
	s_waitcnt lgkmcnt(0)
	v_mov_b32_e32 v0, v15
.LBB85_19:                              ;   in Loop: Header=BB85_15 Depth=1
	s_or_b64 exec, exec, s[2:3]
	ds_bpermute_b32 v1, v9, v14
	s_waitcnt lgkmcnt(1)
	ds_bpermute_b32 v15, v9, v0
	s_waitcnt lgkmcnt(1)
	v_cmp_lt_f32_e64 s[26:27], v14, v1
	v_cmp_nlt_f32_e32 vcc, v14, v1
	s_and_saveexec_b64 s[28:29], vcc
	s_cbranch_execz .LBB85_21
; %bb.20:                               ;   in Loop: Header=BB85_15 Depth=1
	v_cmp_eq_f32_e32 vcc, v14, v1
	s_waitcnt lgkmcnt(0)
	v_cmp_lt_i32_e64 s[2:3], v15, v0
	s_and_b64 s[2:3], vcc, s[2:3]
	s_andn2_b64 s[26:27], s[26:27], exec
	s_and_b64 s[2:3], s[2:3], exec
	s_or_b64 s[26:27], s[26:27], s[2:3]
.LBB85_21:                              ;   in Loop: Header=BB85_15 Depth=1
	s_or_b64 exec, exec, s[28:29]
	s_and_saveexec_b64 s[2:3], s[26:27]
	s_cbranch_execz .LBB85_23
; %bb.22:                               ;   in Loop: Header=BB85_15 Depth=1
	v_mov_b32_e32 v14, v1
	s_waitcnt lgkmcnt(0)
	v_mov_b32_e32 v0, v15
.LBB85_23:                              ;   in Loop: Header=BB85_15 Depth=1
	s_or_b64 exec, exec, s[2:3]
	ds_bpermute_b32 v1, v10, v14
	s_waitcnt lgkmcnt(1)
	;; [unrolled: 26-line block ×3, first 2 shown]
	ds_bpermute_b32 v15, v11, v0
	s_waitcnt lgkmcnt(1)
	v_cmp_lt_f32_e64 s[26:27], v14, v1
	v_cmp_nlt_f32_e32 vcc, v14, v1
	s_and_saveexec_b64 s[28:29], vcc
	s_cbranch_execnz .LBB85_30
; %bb.28:                               ;   in Loop: Header=BB85_15 Depth=1
	s_or_b64 exec, exec, s[28:29]
	s_and_saveexec_b64 s[2:3], s[26:27]
	s_cbranch_execnz .LBB85_31
.LBB85_29:                              ;   in Loop: Header=BB85_15 Depth=1
	s_or_b64 exec, exec, s[2:3]
	s_and_saveexec_b64 s[26:27], s[6:7]
	s_cbranch_execnz .LBB85_32
	s_branch .LBB85_35
.LBB85_30:                              ;   in Loop: Header=BB85_15 Depth=1
	v_cmp_eq_f32_e32 vcc, v14, v1
	s_waitcnt lgkmcnt(0)
	v_cmp_lt_i32_e64 s[2:3], v15, v0
	s_and_b64 s[2:3], vcc, s[2:3]
	s_andn2_b64 s[26:27], s[26:27], exec
	s_and_b64 s[2:3], s[2:3], exec
	s_or_b64 s[26:27], s[26:27], s[2:3]
	s_or_b64 exec, exec, s[28:29]
	s_and_saveexec_b64 s[2:3], s[26:27]
	s_cbranch_execz .LBB85_29
.LBB85_31:                              ;   in Loop: Header=BB85_15 Depth=1
	s_waitcnt lgkmcnt(0)
	v_mov_b32_e32 v0, v15
	v_mov_b32_e32 v14, v1
	s_or_b64 exec, exec, s[2:3]
	s_and_saveexec_b64 s[26:27], s[6:7]
	s_cbranch_execz .LBB85_35
.LBB85_32:                              ;   in Loop: Header=BB85_15 Depth=1
	s_and_b64 vcc, exec, s[0:1]
	s_cbranch_vccnz .LBB85_34
; %bb.33:                               ;   in Loop: Header=BB85_15 Depth=1
	v_ashrrev_i32_e32 v1, 31, v0
	v_lshl_add_u64 v[16:17], v[0:1], 2, s[10:11]
	global_load_dword v1, v[16:17], off
	s_waitcnt vmcnt(0)
	v_sub_f32_e32 v14, v14, v1
.LBB85_34:                              ;   in Loop: Header=BB85_15 Depth=1
	v_add_u32_e32 v16, s31, v7
	v_cmp_le_i32_e32 vcc, s13, v0
	v_cmp_gt_i32_e64 s[2:3], s14, v0
	v_ashrrev_i32_e32 v17, 31, v16
	s_and_b64 s[2:3], vcc, s[2:3]
	v_lshlrev_b64 v[16:17], 2, v[16:17]
	v_lshl_add_u64 v[18:19], s[20:21], 0, v[16:17]
	v_subrev_u32_e32 v1, s13, v0
	s_and_b64 vcc, s[22:23], s[2:3]
	global_store_dword v[18:19], v14, off
	v_cndmask_b32_e32 v1, 64, v1, vcc
	v_lshl_add_u64 v[18:19], s[16:17], 0, v[16:17]
	global_store_dword v[18:19], v1, off
	v_add_f32_e32 v1, v6, v14
	v_lshl_add_u64 v[16:17], s[18:19], 0, v[16:17]
	v_cndmask_b32_e64 v6, v6, v1, s[4:5]
	global_store_dword v[16:17], v13, off
.LBB85_35:                              ;   in Loop: Header=BB85_15 Depth=1
	s_or_b64 exec, exec, s[26:27]
	v_ashrrev_i32_e32 v14, 31, v0
	v_lshrrev_b32_e32 v1, 30, v14
	s_waitcnt lgkmcnt(0)
	v_add_u32_e32 v15, v0, v1
	v_ashrrev_i32_e32 v1, 2, v15
	v_ashrrev_i32_e32 v15, 31, v15
	v_lshrrev_b32_e32 v15, 28, v15
	v_add_u32_e32 v15, v1, v15
	s_add_i32 s31, s31, 1
	v_and_b32_e32 v15, -16, v15
	s_cmp_lt_i32 s31, s12
	v_sub_u32_e32 v15, v1, v15
	s_cselect_b64 s[2:3], -1, 0
	v_cmp_eq_u32_e32 vcc, v3, v15
	s_and_b64 s[26:27], s[2:3], vcc
	s_and_saveexec_b64 s[2:3], s[26:27]
	s_cbranch_execz .LBB85_14
; %bb.36:                               ;   in Loop: Header=BB85_15 Depth=1
	v_lshrrev_b32_e32 v14, 26, v14
	v_add_u32_e32 v14, v0, v14
	v_lshlrev_b32_e32 v1, 2, v1
	v_ashrrev_i32_e32 v14, 6, v14
	v_sub_u32_e32 v0, v0, v1
	v_lshl_add_u32 v0, v14, 2, v0
	v_lshl_add_u32 v0, v0, 2, v4
	ds_write_b32 v0, v12
	s_branch .LBB85_14
.LBB85_37:
	v_mov_b32_e32 v6, 0
.LBB85_38:
	v_cmp_eq_u32_e32 vcc, 0, v3
	s_and_b64 exec, exec, vcc
	s_cbranch_execz .LBB85_51
; %bb.39:
	s_andn2_b64 vcc, exec, s[4:5]
	v_cvt_f32_f64_e32 v0, s[8:9]
	s_cbranch_vccnz .LBB85_41
; %bb.40:
	v_cmp_lt_f32_e32 vcc, 0, v6
	s_nop 1
	v_cndmask_b32_e32 v1, 1.0, v6, vcc
	v_div_scale_f32 v3, s[0:1], v1, v1, v0
	v_rcp_f32_e32 v4, v3
	s_nop 0
	v_fma_f32 v5, -v3, v4, 1.0
	v_fmac_f32_e32 v4, v5, v4
	v_div_scale_f32 v5, vcc, v0, v1, v0
	v_mul_f32_e32 v6, v5, v4
	v_fma_f32 v7, -v3, v6, v5
	v_fmac_f32_e32 v6, v7, v4
	v_fma_f32 v3, -v3, v6, v5
	v_div_fmas_f32 v3, v3, v4, v6
	v_div_fixup_f32 v0, v3, v1, v0
.LBB85_41:
	s_andn2_b64 vcc, exec, s[24:25]
	s_cbranch_vccnz .LBB85_51
; %bb.42:
	v_mul_lo_u32 v2, v2, s12
	s_cmp_gt_u32 s12, 3
	v_ashrrev_i32_e32 v3, 31, v2
	s_cbranch_scc0 .LBB85_46
; %bb.43:
	s_and_b32 s0, s12, 0x7ffffffc
	v_lshl_add_u64 v[4:5], v[2:3], 2, s[20:21]
	v_mov_b32_e32 v1, v0
	v_lshl_add_u64 v[4:5], v[4:5], 0, 8
	s_mov_b32 s1, s0
.LBB85_44:                              ; =>This Inner Loop Header: Depth=1
	global_load_dwordx4 v[6:9], v[4:5], off offset:-8
	s_add_i32 s1, s1, -4
	s_cmp_lg_u32 s1, 0
	s_waitcnt vmcnt(0)
	v_pk_mul_f32 v[6:7], v[0:1], v[6:7]
	v_pk_mul_f32 v[8:9], v[0:1], v[8:9]
	global_store_dwordx4 v[4:5], v[6:9], off offset:-8
	v_lshl_add_u64 v[4:5], v[4:5], 0, 16
	s_cbranch_scc1 .LBB85_44
; %bb.45:
	s_cmp_lg_u32 s0, s12
	s_cselect_b64 s[2:3], -1, 0
	s_branch .LBB85_48
.LBB85_46:
	s_mov_b64 s[2:3], 0
                                        ; implicit-def: $sgpr0
	s_cbranch_execz .LBB85_48
; %bb.47:
	s_mov_b64 s[2:3], -1
	s_mov_b32 s0, 0
.LBB85_48:
	s_andn2_b64 vcc, exec, s[2:3]
	s_cbranch_vccnz .LBB85_51
; %bb.49:
	s_mov_b32 s1, 0
	v_lshl_add_u64 v[2:3], v[2:3], 0, s[0:1]
	s_sub_i32 s2, s12, s0
	v_lshl_add_u64 v[2:3], v[2:3], 2, s[20:21]
.LBB85_50:                              ; =>This Inner Loop Header: Depth=1
	global_load_dword v1, v[2:3], off
	s_add_i32 s2, s2, -1
	s_cmp_lg_u32 s2, 0
	s_waitcnt vmcnt(0)
	v_mul_f32_e32 v1, v0, v1
	global_store_dword v[2:3], v1, off
	v_lshl_add_u64 v[2:3], v[2:3], 0, 4
	s_cbranch_scc1 .LBB85_50
.LBB85_51:
	s_endpgm
	.section	.rodata,"a",@progbits
	.p2align	6, 0x0
	.amdhsa_kernel _ZN4vllm3moe22topkGatingSoftplusSqrtILi4ELi64ELi4ELi16ELi64ELb0EjfEEvPKT6_PKbPfiPT5_PiiiibdPKfPKS8_SE_
		.amdhsa_group_segment_fixed_size 4096
		.amdhsa_private_segment_fixed_size 0
		.amdhsa_kernarg_size 96
		.amdhsa_user_sgpr_count 4
		.amdhsa_user_sgpr_dispatch_ptr 1
		.amdhsa_user_sgpr_queue_ptr 0
		.amdhsa_user_sgpr_kernarg_segment_ptr 1
		.amdhsa_user_sgpr_dispatch_id 0
		.amdhsa_user_sgpr_kernarg_preload_length 0
		.amdhsa_user_sgpr_kernarg_preload_offset 0
		.amdhsa_user_sgpr_private_segment_size 0
		.amdhsa_uses_dynamic_stack 0
		.amdhsa_enable_private_segment 0
		.amdhsa_system_sgpr_workgroup_id_x 1
		.amdhsa_system_sgpr_workgroup_id_y 0
		.amdhsa_system_sgpr_workgroup_id_z 0
		.amdhsa_system_sgpr_workgroup_info 0
		.amdhsa_system_vgpr_workitem_id 2
		.amdhsa_next_free_vgpr 20
		.amdhsa_next_free_sgpr 32
		.amdhsa_accum_offset 20
		.amdhsa_reserve_vcc 1
		.amdhsa_float_round_mode_32 0
		.amdhsa_float_round_mode_16_64 0
		.amdhsa_float_denorm_mode_32 3
		.amdhsa_float_denorm_mode_16_64 3
		.amdhsa_dx10_clamp 1
		.amdhsa_ieee_mode 1
		.amdhsa_fp16_overflow 0
		.amdhsa_tg_split 0
		.amdhsa_exception_fp_ieee_invalid_op 0
		.amdhsa_exception_fp_denorm_src 0
		.amdhsa_exception_fp_ieee_div_zero 0
		.amdhsa_exception_fp_ieee_overflow 0
		.amdhsa_exception_fp_ieee_underflow 0
		.amdhsa_exception_fp_ieee_inexact 0
		.amdhsa_exception_int_div_zero 0
	.end_amdhsa_kernel
	.section	.text._ZN4vllm3moe22topkGatingSoftplusSqrtILi4ELi64ELi4ELi16ELi64ELb0EjfEEvPKT6_PKbPfiPT5_PiiiibdPKfPKS8_SE_,"axG",@progbits,_ZN4vllm3moe22topkGatingSoftplusSqrtILi4ELi64ELi4ELi16ELi64ELb0EjfEEvPKT6_PKbPfiPT5_PiiiibdPKfPKS8_SE_,comdat
.Lfunc_end85:
	.size	_ZN4vllm3moe22topkGatingSoftplusSqrtILi4ELi64ELi4ELi16ELi64ELb0EjfEEvPKT6_PKbPfiPT5_PiiiibdPKfPKS8_SE_, .Lfunc_end85-_ZN4vllm3moe22topkGatingSoftplusSqrtILi4ELi64ELi4ELi16ELi64ELb0EjfEEvPKT6_PKbPfiPT5_PiiiibdPKfPKS8_SE_
                                        ; -- End function
	.section	.AMDGPU.csdata,"",@progbits
; Kernel info:
; codeLenInByte = 2860
; NumSgprs: 38
; NumVgprs: 20
; NumAgprs: 0
; TotalNumVgprs: 20
; ScratchSize: 0
; MemoryBound: 0
; FloatMode: 240
; IeeeMode: 1
; LDSByteSize: 4096 bytes/workgroup (compile time only)
; SGPRBlocks: 4
; VGPRBlocks: 2
; NumSGPRsForWavesPerEU: 38
; NumVGPRsForWavesPerEU: 20
; AccumOffset: 20
; Occupancy: 8
; WaveLimiterHint : 0
; COMPUTE_PGM_RSRC2:SCRATCH_EN: 0
; COMPUTE_PGM_RSRC2:USER_SGPR: 4
; COMPUTE_PGM_RSRC2:TRAP_HANDLER: 0
; COMPUTE_PGM_RSRC2:TGID_X_EN: 1
; COMPUTE_PGM_RSRC2:TGID_Y_EN: 0
; COMPUTE_PGM_RSRC2:TGID_Z_EN: 0
; COMPUTE_PGM_RSRC2:TIDIG_COMP_CNT: 2
; COMPUTE_PGM_RSRC3_GFX90A:ACCUM_OFFSET: 4
; COMPUTE_PGM_RSRC3_GFX90A:TG_SPLIT: 0
	.section	.text._ZN4vllm3moe22topkGatingSoftplusSqrtILi4ELi64ELi4ELi16ELi32ELb1EjfEEvPKT6_PKbPfiPT5_PiiiibdPKfPKS8_SE_,"axG",@progbits,_ZN4vllm3moe22topkGatingSoftplusSqrtILi4ELi64ELi4ELi16ELi32ELb1EjfEEvPKT6_PKbPfiPT5_PiiiibdPKfPKS8_SE_,comdat
	.protected	_ZN4vllm3moe22topkGatingSoftplusSqrtILi4ELi64ELi4ELi16ELi32ELb1EjfEEvPKT6_PKbPfiPT5_PiiiibdPKfPKS8_SE_ ; -- Begin function _ZN4vllm3moe22topkGatingSoftplusSqrtILi4ELi64ELi4ELi16ELi32ELb1EjfEEvPKT6_PKbPfiPT5_PiiiibdPKfPKS8_SE_
	.globl	_ZN4vllm3moe22topkGatingSoftplusSqrtILi4ELi64ELi4ELi16ELi32ELb1EjfEEvPKT6_PKbPfiPT5_PiiiibdPKfPKS8_SE_
	.p2align	8
	.type	_ZN4vllm3moe22topkGatingSoftplusSqrtILi4ELi64ELi4ELi16ELi32ELb1EjfEEvPKT6_PKbPfiPT5_PiiiibdPKfPKS8_SE_,@function
_ZN4vllm3moe22topkGatingSoftplusSqrtILi4ELi64ELi4ELi16ELi32ELb1EjfEEvPKT6_PKbPfiPT5_PiiiibdPKfPKS8_SE_: ; @_ZN4vllm3moe22topkGatingSoftplusSqrtILi4ELi64ELi4ELi16ELi32ELb1EjfEEvPKT6_PKbPfiPT5_PiiiibdPKfPKS8_SE_
; %bb.0:
	s_load_dword s3, s[0:1], 0x18
	v_bfe_u32 v1, v0, 10, 10
	v_and_b32_e32 v6, 0x3ff, v0
	s_lshl_b32 s2, s2, 3
	v_lshlrev_b32_e32 v1, 1, v1
	v_lshrrev_b32_e32 v0, 4, v6
	v_add3_u32 v2, s2, v1, v0
	s_waitcnt lgkmcnt(0)
	v_cmp_gt_i32_e32 vcc, s3, v2
	s_and_saveexec_b64 s[2:3], vcc
	s_cbranch_execz .LBB86_80
; %bb.1:
	s_load_dwordx2 s[2:3], s[0:1], 0x0
	s_load_dword s20, s[0:1], 0x30
	v_lshlrev_b32_e32 v0, 6, v2
	v_lshlrev_b32_e32 v3, 2, v6
	v_ashrrev_i32_e32 v1, 31, v0
	v_and_b32_e32 v10, 60, v3
	s_waitcnt lgkmcnt(0)
	v_lshl_add_u64 v[4:5], v[0:1], 2, s[2:3]
	v_lshlrev_b32_e32 v0, 2, v10
	v_mov_b32_e32 v1, 0
	v_lshl_add_u64 v[4:5], v[4:5], 0, v[0:1]
	global_load_dwordx4 v[12:15], v[4:5], off
	s_load_dwordx4 s[8:11], s[0:1], 0x50
	v_ashrrev_i32_e32 v3, 31, v2
	s_mov_b32 s6, 0x800000
	s_mov_b32 s12, 0x3f317217
	;; [unrolled: 1-line block ×3, first 2 shown]
	s_waitcnt lgkmcnt(0)
	v_mov_b32_e32 v4, s8
	v_mov_b32_e32 v5, s9
	v_lshl_add_u64 v[4:5], v[2:3], 2, v[4:5]
	global_load_dword v0, v[4:5], off
	v_mov_b32_e32 v3, 0x4f800000
	v_mov_b32_e32 v7, 0x41b17218
	s_mov_b32 s9, 0x41a00000
	s_mov_b32 s14, 0xf800000
	v_mov_b32_e32 v11, 0x260
	s_cmp_gt_i32 s20, 0
	s_mov_b32 s8, 0
	v_mul_lo_u32 v2, v2, s20
	s_waitcnt vmcnt(1)
	v_mul_f32_e32 v4, 0x3fb8aa3b, v12
	v_mul_f32_e32 v5, 0x3fb8aa3b, v13
	v_exp_f32_e32 v4, v4
	v_exp_f32_e32 v5, v5
	v_mul_f32_e32 v8, 0x3fb8aa3b, v14
	v_mul_f32_e32 v9, 0x3fb8aa3b, v15
	v_exp_f32_e32 v8, v8
	v_exp_f32_e32 v9, v9
	v_pk_add_f32 v[4:5], v[4:5], 1.0 op_sel_hi:[1,0]
	s_waitcnt vmcnt(0)
	v_mul_lo_u32 v0, v0, s20
	v_cmp_gt_f32_e32 vcc, s6, v5
	v_pk_add_f32 v[8:9], v[8:9], 1.0 op_sel_hi:[1,0]
	v_cmp_gt_f32_e64 s[2:3], s6, v4
	v_cndmask_b32_e32 v16, 1.0, v3, vcc
	v_cmp_gt_f32_e64 s[4:5], s6, v9
	v_cndmask_b32_e64 v17, 1.0, v3, s[2:3]
	v_mul_f32_e32 v5, v5, v16
	v_cndmask_b32_e64 v18, 1.0, v3, s[4:5]
	v_cmp_gt_f32_e64 s[6:7], s6, v8
	v_mul_f32_e32 v4, v4, v17
	v_log_f32_e32 v5, v5
	v_cndmask_b32_e64 v3, 1.0, v3, s[6:7]
	v_mul_f32_e32 v9, v9, v18
	v_log_f32_e32 v4, v4
	v_mul_f32_e32 v3, v8, v3
	v_log_f32_e32 v8, v9
	v_log_f32_e32 v3, v3
	v_mul_f32_e32 v9, 0x3f317217, v5
	v_mul_f32_e32 v19, 0x3f317217, v4
	v_fma_f32 v9, v5, s12, -v9
	v_mul_f32_e32 v20, 0x3f317217, v8
	v_fma_f32 v19, v4, s12, -v19
	v_fmac_f32_e32 v9, 0x3377d1cf, v5
	v_cndmask_b32_e32 v16, 0, v7, vcc
	v_mul_f32_e32 v21, 0x3f317217, v3
	v_fma_f32 v20, v8, s12, -v20
	v_fmac_f32_e32 v19, 0x3377d1cf, v4
	v_fmac_f32_e32 v9, 0x3f317217, v5
	v_cmp_lt_f32_e64 vcc, |v5|, s13
	v_fma_f32 v21, v3, s12, -v21
	v_fmac_f32_e32 v20, 0x3377d1cf, v8
	v_fmac_f32_e32 v19, 0x3f317217, v4
	v_cndmask_b32_e32 v5, v5, v9, vcc
	v_cmp_lt_f32_e64 vcc, |v4|, s13
	v_fmac_f32_e32 v21, 0x3377d1cf, v3
	v_fmac_f32_e32 v20, 0x3f317217, v8
	v_cndmask_b32_e32 v4, v4, v19, vcc
	v_cmp_lt_f32_e64 vcc, |v8|, s13
	v_cndmask_b32_e64 v17, 0, v7, s[2:3]
	v_fmac_f32_e32 v21, 0x3f317217, v3
	v_cndmask_b32_e32 v8, v8, v20, vcc
	v_cmp_lt_f32_e64 vcc, |v3|, s13
	v_sub_f32_e32 v4, v4, v17
	v_sub_f32_e32 v5, v5, v16
	v_cndmask_b32_e32 v3, v3, v21, vcc
	v_cmp_lt_f32_e32 vcc, s9, v12
	v_cndmask_b32_e64 v18, 0, v7, s[4:5]
	v_sub_f32_e32 v8, v8, v18
	v_cndmask_b32_e32 v4, v4, v12, vcc
	v_cmp_lt_f32_e32 vcc, s9, v13
	v_mul_f32_e32 v12, 0x4f800000, v4
	v_cmp_gt_f32_e64 s[2:3], s14, v4
	v_cndmask_b32_e32 v5, v5, v13, vcc
	v_mul_f32_e32 v9, 0x4f800000, v5
	v_cmp_gt_f32_e32 vcc, s14, v5
	v_cndmask_b32_e64 v4, v4, v12, s[2:3]
	v_sqrt_f32_e32 v12, v4
	v_cndmask_b32_e32 v5, v5, v9, vcc
	v_sqrt_f32_e32 v9, v5
	v_add_u32_e32 v17, -1, v12
	v_fma_f32 v21, -v17, v12, v4
	v_add_u32_e32 v13, -1, v9
	v_fma_f32 v19, -v13, v9, v5
	v_add_u32_e32 v16, 1, v9
	v_cmp_ge_f32_e64 s[4:5], 0, v19
	v_add_u32_e32 v18, 1, v12
	v_fma_f32 v20, -v16, v9, v5
	v_cndmask_b32_e64 v9, v9, v13, s[4:5]
	v_cmp_ge_f32_e64 s[4:5], 0, v21
	v_fma_f32 v22, -v18, v12, v4
	s_nop 0
	v_cndmask_b32_e64 v12, v12, v17, s[4:5]
	v_cmp_lt_f32_e64 s[4:5], 0, v20
	s_nop 1
	v_cndmask_b32_e64 v9, v9, v16, s[4:5]
	v_cmp_lt_f32_e64 s[4:5], 0, v22
	v_mul_f32_e32 v13, 0x37800000, v9
	v_cndmask_b32_e32 v9, v9, v13, vcc
	v_cndmask_b32_e64 v12, v12, v18, s[4:5]
	v_mul_f32_e32 v16, 0x37800000, v12
	v_cmp_class_f32_e32 vcc, v5, v11
	v_cndmask_b32_e64 v12, v12, v16, s[2:3]
	v_cmp_lt_f32_e64 s[2:3], s9, v14
	v_cndmask_b32_e32 v13, v9, v5, vcc
	v_cmp_class_f32_e32 vcc, v4, v11
	s_cselect_b64 s[4:5], -1, 0
	s_cmp_lt_i32 s20, 1
	v_cndmask_b32_e32 v12, v12, v4, vcc
	v_cmp_lt_f32_e32 vcc, s9, v15
	v_cndmask_b32_e64 v4, 0, v7, s[6:7]
	v_sub_f32_e32 v3, v3, v4
	v_cndmask_b32_e32 v5, v8, v15, vcc
	v_mul_f32_e32 v7, 0x4f800000, v5
	v_cmp_gt_f32_e32 vcc, s14, v5
	v_cndmask_b32_e64 v3, v3, v14, s[2:3]
	s_nop 0
	v_cndmask_b32_e32 v5, v5, v7, vcc
	v_sqrt_f32_e32 v7, v5
	s_nop 0
	v_add_u32_e32 v4, -1, v7
	v_fma_f32 v8, -v4, v7, v5
	v_cmp_ge_f32_e64 s[2:3], 0, v8
	v_add_u32_e32 v8, 1, v7
	s_nop 0
	v_cndmask_b32_e64 v4, v7, v4, s[2:3]
	v_fma_f32 v7, -v8, v7, v5
	v_cmp_lt_f32_e64 s[2:3], 0, v7
	s_nop 1
	v_cndmask_b32_e64 v4, v4, v8, s[2:3]
	v_mul_f32_e32 v8, 0x4f800000, v3
	v_cmp_gt_f32_e64 s[2:3], s14, v3
	v_mul_f32_e32 v7, 0x37800000, v4
	v_cndmask_b32_e32 v4, v4, v7, vcc
	v_cndmask_b32_e64 v3, v3, v8, s[2:3]
	v_sqrt_f32_e32 v8, v3
	v_cmp_class_f32_e32 vcc, v5, v11
	s_nop 1
	v_cndmask_b32_e32 v15, v4, v5, vcc
	v_add_u32_e32 v4, -1, v8
	v_fma_f32 v5, -v4, v8, v3
	v_cmp_ge_f32_e32 vcc, 0, v5
	v_add_u32_e32 v5, 1, v8
	v_fma_f32 v7, -v5, v8, v3
	v_cndmask_b32_e32 v4, v8, v4, vcc
	v_cmp_lt_f32_e32 vcc, 0, v7
	s_nop 1
	v_cndmask_b32_e32 v4, v4, v5, vcc
	v_mul_f32_e32 v5, 0x37800000, v4
	v_cndmask_b32_e64 v4, v4, v5, s[2:3]
	v_cmp_class_f32_e32 vcc, v3, v11
	s_nop 1
	v_cndmask_b32_e32 v14, v4, v3, vcc
	scratch_store_dwordx4 off, v[12:15], off
	v_lshl_add_u64 v[4:5], v[0:1], 2, s[10:11]
	s_nop 0
	v_mov_b32_e32 v12, v1
	s_cbranch_scc1 .LBB86_29
; %bb.2:
	s_load_dwordx2 s[6:7], s[0:1], 0x20
	s_cmp_lt_u32 s20, 4
	v_and_b32_e32 v11, 15, v6
	s_cbranch_scc1 .LBB86_21
; %bb.3:
	v_lshlrev_b32_e32 v6, 2, v11
	s_mov_b32 s13, 0
	s_and_b32 s8, s20, 0x7ffffffc
	v_ashrrev_i32_e32 v3, 31, v2
	v_sub_u32_e32 v13, 0, v6
	v_mov_b32_e32 v12, 0
	s_mov_b32 s12, s13
	s_branch .LBB86_5
.LBB86_4:                               ;   in Loop: Header=BB86_5 Depth=1
	s_or_b64 exec, exec, s[14:15]
	s_add_i32 s12, s12, 4
	s_cmp_eq_u32 s12, s8
	s_cbranch_scc1 .LBB86_22
.LBB86_5:                               ; =>This Loop Header: Depth=1
                                        ;     Child Loop BB86_7 Depth 2
                                        ;     Child Loop BB86_11 Depth 2
	;; [unrolled: 1-line block ×4, first 2 shown]
	v_lshl_add_u64 v[6:7], s[12:13], 2, v[4:5]
	global_load_dword v14, v[6:7], off
	v_add_u32_e32 v8, s12, v2
	v_ashrrev_i32_e32 v9, 31, v8
	v_mov_b32_e32 v15, 0
	s_mov_b64 s[14:15], 0
	s_waitcnt lgkmcnt(0)
	v_lshl_add_u64 v[8:9], v[8:9], 2, s[6:7]
	s_mov_b32 s9, 0
	s_waitcnt vmcnt(0)
	v_add_u32_e32 v16, v13, v14
	s_branch .LBB86_7
.LBB86_6:                               ;   in Loop: Header=BB86_7 Depth=2
	s_or_b64 exec, exec, s[16:17]
	s_add_i32 s18, s9, 1
	s_cmp_gt_u32 s9, 2
	s_cselect_b64 s[2:3], -1, 0
	s_xor_b64 s[16:17], vcc, -1
	s_or_b64 s[2:3], s[16:17], s[2:3]
	s_and_b64 s[2:3], exec, s[2:3]
	v_add_u32_e32 v15, 4, v15
	s_or_b64 s[14:15], s[2:3], s[14:15]
	s_mov_b32 s9, s18
	s_andn2_b64 exec, exec, s[14:15]
	s_cbranch_execz .LBB86_9
.LBB86_7:                               ;   Parent Loop BB86_5 Depth=1
                                        ; =>  This Inner Loop Header: Depth=2
	v_cmp_ne_u32_e32 vcc, s9, v16
	v_cmp_eq_u32_e64 s[2:3], s9, v16
	s_and_saveexec_b64 s[16:17], s[2:3]
	s_cbranch_execz .LBB86_6
; %bb.8:                                ;   in Loop: Header=BB86_7 Depth=2
	scratch_load_dword v17, v15, off
	s_waitcnt vmcnt(0)
	v_add_f32_e32 v12, v12, v17
	global_store_dword v[8:9], v14, off
	s_branch .LBB86_6
.LBB86_9:                               ;   in Loop: Header=BB86_5 Depth=1
	s_or_b64 exec, exec, s[14:15]
	global_load_dword v14, v[6:7], off offset:4
	s_ashr_i32 s3, s12, 31
	s_mov_b32 s2, s12
	v_lshl_add_u64 v[8:9], s[2:3], 0, v[2:3]
	v_mov_b32_e32 v15, 0
	s_mov_b32 s9, 0
	v_lshl_add_u64 v[8:9], v[8:9], 2, s[6:7]
	s_mov_b64 s[14:15], 0
	s_waitcnt vmcnt(0)
	v_add_u32_e32 v16, v13, v14
	s_branch .LBB86_11
.LBB86_10:                              ;   in Loop: Header=BB86_11 Depth=2
	s_or_b64 exec, exec, s[16:17]
	s_add_i32 s18, s9, 1
	s_cmp_gt_u32 s9, 2
	s_cselect_b64 s[2:3], -1, 0
	s_xor_b64 s[16:17], vcc, -1
	s_or_b64 s[2:3], s[16:17], s[2:3]
	s_and_b64 s[2:3], exec, s[2:3]
	v_add_u32_e32 v15, 4, v15
	s_or_b64 s[14:15], s[2:3], s[14:15]
	s_mov_b32 s9, s18
	s_andn2_b64 exec, exec, s[14:15]
	s_cbranch_execz .LBB86_13
.LBB86_11:                              ;   Parent Loop BB86_5 Depth=1
                                        ; =>  This Inner Loop Header: Depth=2
	v_cmp_ne_u32_e32 vcc, s9, v16
	v_cmp_eq_u32_e64 s[2:3], s9, v16
	s_and_saveexec_b64 s[16:17], s[2:3]
	s_cbranch_execz .LBB86_10
; %bb.12:                               ;   in Loop: Header=BB86_11 Depth=2
	scratch_load_dword v17, v15, off
	s_waitcnt vmcnt(0)
	v_add_f32_e32 v12, v12, v17
	global_store_dword v[8:9], v14, off offset:4
	s_branch .LBB86_10
.LBB86_13:                              ;   in Loop: Header=BB86_5 Depth=1
	s_or_b64 exec, exec, s[14:15]
	global_load_dword v14, v[6:7], off offset:8
	v_mov_b32_e32 v15, 0
	s_mov_b32 s9, 0
	s_mov_b64 s[14:15], 0
	s_waitcnt vmcnt(0)
	v_add_u32_e32 v16, v13, v14
	s_branch .LBB86_15
.LBB86_14:                              ;   in Loop: Header=BB86_15 Depth=2
	s_or_b64 exec, exec, s[16:17]
	s_add_i32 s18, s9, 1
	s_cmp_gt_u32 s9, 2
	s_cselect_b64 s[2:3], -1, 0
	s_xor_b64 s[16:17], vcc, -1
	s_or_b64 s[2:3], s[16:17], s[2:3]
	s_and_b64 s[2:3], exec, s[2:3]
	v_add_u32_e32 v15, 4, v15
	s_or_b64 s[14:15], s[2:3], s[14:15]
	s_mov_b32 s9, s18
	s_andn2_b64 exec, exec, s[14:15]
	s_cbranch_execz .LBB86_17
.LBB86_15:                              ;   Parent Loop BB86_5 Depth=1
                                        ; =>  This Inner Loop Header: Depth=2
	v_cmp_ne_u32_e32 vcc, s9, v16
	v_cmp_eq_u32_e64 s[2:3], s9, v16
	s_and_saveexec_b64 s[16:17], s[2:3]
	s_cbranch_execz .LBB86_14
; %bb.16:                               ;   in Loop: Header=BB86_15 Depth=2
	scratch_load_dword v17, v15, off
	s_waitcnt vmcnt(0)
	v_add_f32_e32 v12, v12, v17
	global_store_dword v[8:9], v14, off offset:8
	s_branch .LBB86_14
.LBB86_17:                              ;   in Loop: Header=BB86_5 Depth=1
	s_or_b64 exec, exec, s[14:15]
	global_load_dword v6, v[6:7], off offset:12
	v_mov_b32_e32 v7, 0
	s_mov_b32 s9, 0
	s_mov_b64 s[14:15], 0
	s_waitcnt vmcnt(0)
	v_add_u32_e32 v14, v13, v6
	s_branch .LBB86_19
.LBB86_18:                              ;   in Loop: Header=BB86_19 Depth=2
	s_or_b64 exec, exec, s[16:17]
	s_add_i32 s18, s9, 1
	s_cmp_gt_u32 s9, 2
	s_cselect_b64 s[2:3], -1, 0
	s_xor_b64 s[16:17], vcc, -1
	s_or_b64 s[2:3], s[16:17], s[2:3]
	s_and_b64 s[2:3], exec, s[2:3]
	v_add_u32_e32 v7, 4, v7
	s_or_b64 s[14:15], s[2:3], s[14:15]
	s_mov_b32 s9, s18
	s_andn2_b64 exec, exec, s[14:15]
	s_cbranch_execz .LBB86_4
.LBB86_19:                              ;   Parent Loop BB86_5 Depth=1
                                        ; =>  This Inner Loop Header: Depth=2
	v_cmp_ne_u32_e32 vcc, s9, v14
	v_cmp_eq_u32_e64 s[2:3], s9, v14
	s_and_saveexec_b64 s[16:17], s[2:3]
	s_cbranch_execz .LBB86_18
; %bb.20:                               ;   in Loop: Header=BB86_19 Depth=2
	scratch_load_dword v15, v7, off
	s_waitcnt vmcnt(0)
	v_add_f32_e32 v12, v12, v15
	global_store_dword v[8:9], v6, off offset:12
	s_branch .LBB86_18
.LBB86_21:
	v_mov_b32_e32 v12, 0
.LBB86_22:
	s_and_b32 s16, s20, 3
	s_cmp_eq_u32 s16, 0
	s_mov_b32 s9, 0
	s_cbranch_scc1 .LBB86_29
; %bb.23:
	v_lshlrev_b32_e32 v3, 2, v11
	v_sub_u32_e32 v3, 0, v3
	s_mov_b32 s17, s9
	s_branch .LBB86_25
.LBB86_24:                              ;   in Loop: Header=BB86_25 Depth=1
	s_or_b64 exec, exec, s[12:13]
	s_add_i32 s8, s8, 1
	s_add_i32 s17, s17, 1
	s_cmp_lg_u32 s17, s16
	s_cbranch_scc0 .LBB86_29
.LBB86_25:                              ; =>This Loop Header: Depth=1
                                        ;     Child Loop BB86_27 Depth 2
	v_lshl_add_u64 v[6:7], s[8:9], 2, v[4:5]
	global_load_dword v8, v[6:7], off
	v_add_u32_e32 v6, s8, v2
	v_ashrrev_i32_e32 v7, 31, v6
	v_mov_b32_e32 v9, 0
	s_mov_b32 s18, 0
	s_waitcnt lgkmcnt(0)
	v_lshl_add_u64 v[6:7], v[6:7], 2, s[6:7]
	s_mov_b64 s[12:13], 0
	s_waitcnt vmcnt(0)
	v_add_u32_e32 v11, v3, v8
	s_branch .LBB86_27
.LBB86_26:                              ;   in Loop: Header=BB86_27 Depth=2
	s_or_b64 exec, exec, s[14:15]
	s_add_i32 s19, s18, 1
	s_cmp_gt_u32 s18, 2
	s_cselect_b64 s[2:3], -1, 0
	s_xor_b64 s[14:15], vcc, -1
	s_or_b64 s[2:3], s[14:15], s[2:3]
	s_and_b64 s[2:3], exec, s[2:3]
	v_add_u32_e32 v9, 4, v9
	s_or_b64 s[12:13], s[2:3], s[12:13]
	s_mov_b32 s18, s19
	s_andn2_b64 exec, exec, s[12:13]
	s_cbranch_execz .LBB86_24
.LBB86_27:                              ;   Parent Loop BB86_25 Depth=1
                                        ; =>  This Inner Loop Header: Depth=2
	v_cmp_ne_u32_e32 vcc, s18, v11
	v_cmp_eq_u32_e64 s[2:3], s18, v11
	s_and_saveexec_b64 s[14:15], s[2:3]
	s_cbranch_execz .LBB86_26
; %bb.28:                               ;   in Loop: Header=BB86_27 Depth=2
	scratch_load_dword v13, v9, off
	s_waitcnt vmcnt(0)
	v_add_f32_e32 v12, v12, v13
	global_store_dword v[6:7], v8, off
	s_branch .LBB86_26
.LBB86_29:
	s_waitcnt lgkmcnt(0)
	s_load_dword s6, s[0:1], 0x3c
	s_waitcnt lgkmcnt(0)
	s_bitcmp1_b32 s6, 0
	s_cselect_b64 s[2:3], -1, 0
	s_bitcmp0_b32 s6, 0
	s_cbranch_scc0 .LBB86_32
; %bb.30:
	s_load_dwordx2 s[6:7], s[0:1], 0x40
	s_andn2_b64 vcc, exec, s[2:3]
	s_waitcnt lgkmcnt(0)
	v_cvt_f32_f64_e32 v11, s[6:7]
	s_cbranch_vccz .LBB86_33
.LBB86_31:
	s_andn2_b64 vcc, exec, s[4:5]
	s_cbranch_vccz .LBB86_34
	s_branch .LBB86_80
.LBB86_32:
	v_mbcnt_lo_u32_b32 v3, -1, 0
	v_mbcnt_hi_u32_b32 v3, -1, v3
	v_and_b32_e32 v6, 0x70, v3
	v_add_u32_e32 v6, 16, v6
	v_xor_b32_e32 v7, 8, v3
	v_cmp_lt_i32_e32 vcc, v7, v6
	v_xor_b32_e32 v8, 4, v3
	v_xor_b32_e32 v9, 2, v3
	v_cndmask_b32_e32 v7, v3, v7, vcc
	v_lshlrev_b32_e32 v7, 2, v7
	ds_bpermute_b32 v7, v7, v12
	v_cmp_lt_i32_e32 vcc, v8, v6
	s_waitcnt lgkmcnt(0)
	v_add_f32_e32 v7, v12, v7
	v_cndmask_b32_e32 v8, v3, v8, vcc
	v_lshlrev_b32_e32 v8, 2, v8
	ds_bpermute_b32 v8, v8, v7
	v_cmp_lt_i32_e32 vcc, v9, v6
	s_waitcnt lgkmcnt(0)
	v_add_f32_e32 v7, v7, v8
	v_cndmask_b32_e32 v8, v3, v9, vcc
	v_lshlrev_b32_e32 v8, 2, v8
	ds_bpermute_b32 v8, v8, v7
	v_xor_b32_e32 v9, 1, v3
	v_cmp_lt_i32_e32 vcc, v9, v6
	s_waitcnt lgkmcnt(0)
	v_add_f32_e32 v7, v7, v8
	v_cndmask_b32_e32 v3, v3, v9, vcc
	v_lshlrev_b32_e32 v3, 2, v3
	ds_bpermute_b32 v3, v3, v7
	s_waitcnt lgkmcnt(0)
	v_add_f32_e32 v12, v7, v3
	s_load_dwordx2 s[6:7], s[0:1], 0x40
	s_andn2_b64 vcc, exec, s[2:3]
	s_waitcnt lgkmcnt(0)
	v_cvt_f32_f64_e32 v11, s[6:7]
	s_cbranch_vccnz .LBB86_31
.LBB86_33:
	v_cmp_lt_f32_e32 vcc, 0, v12
	s_nop 1
	v_cndmask_b32_e32 v3, 1.0, v12, vcc
	v_div_scale_f32 v6, s[2:3], v3, v3, v11
	v_rcp_f32_e32 v7, v6
	s_nop 0
	v_fma_f32 v8, -v6, v7, 1.0
	v_fmac_f32_e32 v7, v8, v7
	v_div_scale_f32 v8, vcc, v11, v3, v11
	v_mul_f32_e32 v9, v8, v7
	v_fma_f32 v12, -v6, v9, v8
	v_fmac_f32_e32 v9, v12, v7
	v_fma_f32 v6, -v6, v9, v8
	v_div_fmas_f32 v6, v6, v7, v9
	v_div_fixup_f32 v11, v6, v3, v11
	s_andn2_b64 vcc, exec, s[4:5]
	s_cbranch_vccnz .LBB86_80
.LBB86_34:
	s_load_dwordx2 s[4:5], s[0:1], 0x10
	v_mov_b32_e32 v3, 0
	v_or_b32_e32 v12, 4, v3
	v_or_b32_e32 v13, 8, v3
	;; [unrolled: 1-line block ×6, first 2 shown]
	s_cmp_lt_u32 s20, 4
	s_mov_b32 s6, 0
	s_cbranch_scc1 .LBB86_69
; %bb.35:
	v_ashrrev_i32_e32 v3, 31, v2
	s_and_b32 s6, s20, 0x7ffffffc
	s_waitcnt lgkmcnt(0)
	v_lshl_add_u64 v[6:7], v[2:3], 2, s[4:5]
	s_mov_b32 s7, 0
	s_mov_b64 s[8:9], 0
	s_branch .LBB86_37
.LBB86_36:                              ;   in Loop: Header=BB86_37 Depth=1
	s_or_b64 exec, exec, s[2:3]
	s_add_i32 s7, s7, 4
	s_add_u32 s8, s8, 16
	s_addc_u32 s9, s9, 0
	s_cmp_eq_u32 s6, s7
	s_cbranch_scc1 .LBB86_69
.LBB86_37:                              ; =>This Inner Loop Header: Depth=1
	v_lshl_add_u64 v[8:9], v[4:5], 0, s[8:9]
	global_load_dword v18, v[8:9], off
	v_mov_b32_e32 v3, 0
	s_waitcnt vmcnt(0)
	v_cmp_eq_u32_e32 vcc, v18, v10
	v_cmp_ne_u32_e64 s[0:1], v18, v10
	s_and_saveexec_b64 s[12:13], s[0:1]
	s_cbranch_execz .LBB86_43
; %bb.38:                               ;   in Loop: Header=BB86_37 Depth=1
	v_cmp_eq_u32_e64 s[0:1], v18, v15
	v_cmp_ne_u32_e64 s[2:3], v18, v15
	v_mov_b32_e32 v3, v12
	s_and_saveexec_b64 s[14:15], s[2:3]
	s_cbranch_execz .LBB86_42
; %bb.39:                               ;   in Loop: Header=BB86_37 Depth=1
	v_cmp_eq_u32_e64 s[16:17], v18, v16
	v_cmp_ne_u32_e64 s[2:3], v18, v16
	v_mov_b32_e32 v3, v13
	s_and_saveexec_b64 s[18:19], s[2:3]
	s_xor_b64 s[18:19], exec, s[18:19]
; %bb.40:                               ;   in Loop: Header=BB86_37 Depth=1
	v_cmp_eq_u32_e64 s[2:3], v18, v17
	s_andn2_b64 s[16:17], s[16:17], exec
	s_and_b64 s[2:3], s[2:3], exec
	s_or_b64 s[16:17], s[16:17], s[2:3]
	v_mov_b32_e32 v3, v14
; %bb.41:                               ;   in Loop: Header=BB86_37 Depth=1
	s_or_b64 exec, exec, s[18:19]
	s_andn2_b64 s[0:1], s[0:1], exec
	s_and_b64 s[2:3], s[16:17], exec
	s_or_b64 s[0:1], s[0:1], s[2:3]
.LBB86_42:                              ;   in Loop: Header=BB86_37 Depth=1
	s_or_b64 exec, exec, s[14:15]
	s_andn2_b64 s[2:3], vcc, exec
	s_and_b64 s[0:1], s[0:1], exec
	s_or_b64 vcc, s[2:3], s[0:1]
.LBB86_43:                              ;   in Loop: Header=BB86_37 Depth=1
	s_or_b64 exec, exec, s[12:13]
	s_and_saveexec_b64 s[0:1], vcc
	s_cbranch_execz .LBB86_45
; %bb.44:                               ;   in Loop: Header=BB86_37 Depth=1
	scratch_load_dword v3, v3, off
	v_add_u32_e32 v18, s7, v2
	v_ashrrev_i32_e32 v19, 31, v18
	v_lshl_add_u64 v[18:19], v[18:19], 2, s[4:5]
	s_waitcnt vmcnt(0)
	v_mul_f32_e32 v3, v11, v3
	global_store_dword v[18:19], v3, off
.LBB86_45:                              ;   in Loop: Header=BB86_37 Depth=1
	s_or_b64 exec, exec, s[0:1]
	global_load_dword v18, v[8:9], off offset:4
	v_mov_b32_e32 v3, 0
	s_waitcnt vmcnt(0)
	v_cmp_eq_u32_e64 s[0:1], v18, v10
	v_cmp_ne_u32_e32 vcc, v18, v10
	s_and_saveexec_b64 s[2:3], vcc
	s_cbranch_execz .LBB86_51
; %bb.46:                               ;   in Loop: Header=BB86_37 Depth=1
	v_cmp_eq_u32_e64 s[12:13], v18, v15
	v_cmp_ne_u32_e32 vcc, v18, v15
	v_mov_b32_e32 v3, v12
	s_and_saveexec_b64 s[14:15], vcc
	s_cbranch_execz .LBB86_50
; %bb.47:                               ;   in Loop: Header=BB86_37 Depth=1
	v_cmp_eq_u32_e64 s[16:17], v18, v16
	v_cmp_ne_u32_e32 vcc, v18, v16
	v_mov_b32_e32 v3, v13
	s_and_saveexec_b64 s[18:19], vcc
; %bb.48:                               ;   in Loop: Header=BB86_37 Depth=1
	v_cmp_eq_u32_e32 vcc, v18, v17
	s_andn2_b64 s[16:17], s[16:17], exec
	s_and_b64 s[22:23], vcc, exec
	s_or_b64 s[16:17], s[16:17], s[22:23]
	v_mov_b32_e32 v3, v14
; %bb.49:                               ;   in Loop: Header=BB86_37 Depth=1
	s_or_b64 exec, exec, s[18:19]
	s_andn2_b64 s[12:13], s[12:13], exec
	s_and_b64 s[16:17], s[16:17], exec
	s_or_b64 s[12:13], s[12:13], s[16:17]
.LBB86_50:                              ;   in Loop: Header=BB86_37 Depth=1
	s_or_b64 exec, exec, s[14:15]
	s_andn2_b64 s[0:1], s[0:1], exec
	s_and_b64 s[12:13], s[12:13], exec
	s_or_b64 s[0:1], s[0:1], s[12:13]
.LBB86_51:                              ;   in Loop: Header=BB86_37 Depth=1
	s_or_b64 exec, exec, s[2:3]
	s_and_saveexec_b64 s[2:3], s[0:1]
	s_cbranch_execz .LBB86_53
; %bb.52:                               ;   in Loop: Header=BB86_37 Depth=1
	scratch_load_dword v3, v3, off
	v_lshl_add_u64 v[18:19], v[6:7], 0, s[8:9]
	s_waitcnt vmcnt(0)
	v_mul_f32_e32 v3, v11, v3
	global_store_dword v[18:19], v3, off offset:4
.LBB86_53:                              ;   in Loop: Header=BB86_37 Depth=1
	s_or_b64 exec, exec, s[2:3]
	global_load_dword v18, v[8:9], off offset:8
	v_mov_b32_e32 v3, 0
	s_waitcnt vmcnt(0)
	v_cmp_eq_u32_e64 s[0:1], v18, v10
	v_cmp_ne_u32_e32 vcc, v18, v10
	s_and_saveexec_b64 s[2:3], vcc
	s_cbranch_execz .LBB86_59
; %bb.54:                               ;   in Loop: Header=BB86_37 Depth=1
	v_cmp_eq_u32_e64 s[12:13], v18, v15
	v_cmp_ne_u32_e32 vcc, v18, v15
	v_mov_b32_e32 v3, v12
	s_and_saveexec_b64 s[14:15], vcc
	s_cbranch_execz .LBB86_58
; %bb.55:                               ;   in Loop: Header=BB86_37 Depth=1
	v_cmp_eq_u32_e64 s[16:17], v18, v16
	v_cmp_ne_u32_e32 vcc, v18, v16
	v_mov_b32_e32 v3, v13
	s_and_saveexec_b64 s[18:19], vcc
; %bb.56:                               ;   in Loop: Header=BB86_37 Depth=1
	v_cmp_eq_u32_e32 vcc, v18, v17
	s_andn2_b64 s[16:17], s[16:17], exec
	s_and_b64 s[22:23], vcc, exec
	s_or_b64 s[16:17], s[16:17], s[22:23]
	v_mov_b32_e32 v3, v14
; %bb.57:                               ;   in Loop: Header=BB86_37 Depth=1
	s_or_b64 exec, exec, s[18:19]
	s_andn2_b64 s[12:13], s[12:13], exec
	s_and_b64 s[16:17], s[16:17], exec
	s_or_b64 s[12:13], s[12:13], s[16:17]
.LBB86_58:                              ;   in Loop: Header=BB86_37 Depth=1
	s_or_b64 exec, exec, s[14:15]
	s_andn2_b64 s[0:1], s[0:1], exec
	s_and_b64 s[12:13], s[12:13], exec
	s_or_b64 s[0:1], s[0:1], s[12:13]
.LBB86_59:                              ;   in Loop: Header=BB86_37 Depth=1
	s_or_b64 exec, exec, s[2:3]
	s_and_saveexec_b64 s[2:3], s[0:1]
	s_cbranch_execz .LBB86_61
; %bb.60:                               ;   in Loop: Header=BB86_37 Depth=1
	scratch_load_dword v3, v3, off
	v_lshl_add_u64 v[18:19], v[6:7], 0, s[8:9]
	s_waitcnt vmcnt(0)
	v_mul_f32_e32 v3, v11, v3
	global_store_dword v[18:19], v3, off offset:8
.LBB86_61:                              ;   in Loop: Header=BB86_37 Depth=1
	s_or_b64 exec, exec, s[2:3]
	global_load_dword v8, v[8:9], off offset:12
	v_mov_b32_e32 v3, 0
	s_waitcnt vmcnt(0)
	v_cmp_eq_u32_e64 s[0:1], v8, v10
	v_cmp_ne_u32_e32 vcc, v8, v10
	s_and_saveexec_b64 s[2:3], vcc
	s_cbranch_execz .LBB86_67
; %bb.62:                               ;   in Loop: Header=BB86_37 Depth=1
	v_cmp_eq_u32_e64 s[12:13], v8, v15
	v_cmp_ne_u32_e32 vcc, v8, v15
	v_mov_b32_e32 v3, v12
	s_and_saveexec_b64 s[14:15], vcc
	s_cbranch_execz .LBB86_66
; %bb.63:                               ;   in Loop: Header=BB86_37 Depth=1
	v_cmp_eq_u32_e64 s[16:17], v8, v16
	v_cmp_ne_u32_e32 vcc, v8, v16
	v_mov_b32_e32 v3, v13
	s_and_saveexec_b64 s[18:19], vcc
; %bb.64:                               ;   in Loop: Header=BB86_37 Depth=1
	v_cmp_eq_u32_e32 vcc, v8, v17
	s_andn2_b64 s[16:17], s[16:17], exec
	s_and_b64 s[22:23], vcc, exec
	s_or_b64 s[16:17], s[16:17], s[22:23]
	v_mov_b32_e32 v3, v14
; %bb.65:                               ;   in Loop: Header=BB86_37 Depth=1
	s_or_b64 exec, exec, s[18:19]
	s_andn2_b64 s[12:13], s[12:13], exec
	s_and_b64 s[16:17], s[16:17], exec
	s_or_b64 s[12:13], s[12:13], s[16:17]
.LBB86_66:                              ;   in Loop: Header=BB86_37 Depth=1
	s_or_b64 exec, exec, s[14:15]
	s_andn2_b64 s[0:1], s[0:1], exec
	s_and_b64 s[12:13], s[12:13], exec
	s_or_b64 s[0:1], s[0:1], s[12:13]
.LBB86_67:                              ;   in Loop: Header=BB86_37 Depth=1
	s_or_b64 exec, exec, s[2:3]
	s_and_saveexec_b64 s[2:3], s[0:1]
	s_cbranch_execz .LBB86_36
; %bb.68:                               ;   in Loop: Header=BB86_37 Depth=1
	scratch_load_dword v3, v3, off
	v_lshl_add_u64 v[8:9], v[6:7], 0, s[8:9]
	s_waitcnt vmcnt(0)
	v_mul_f32_e32 v3, v11, v3
	global_store_dword v[8:9], v3, off offset:12
	s_branch .LBB86_36
.LBB86_69:
	s_and_b32 s14, s20, 3
	s_cmp_eq_u32 s14, 0
	s_mov_b32 s7, 0
	s_cbranch_scc1 .LBB86_80
; %bb.70:
	s_lshl_b64 s[0:1], s[6:7], 2
	s_add_u32 s0, s10, s0
	s_addc_u32 s1, s11, s1
	v_add_u32_e32 v2, s6, v2
	v_lshl_add_u64 v[0:1], v[0:1], 2, s[0:1]
	s_branch .LBB86_72
.LBB86_71:                              ;   in Loop: Header=BB86_72 Depth=1
	s_or_b64 exec, exec, s[2:3]
	s_add_i32 s14, s14, -1
	v_add_u32_e32 v2, 1, v2
	s_cmp_lg_u32 s14, 0
	v_lshl_add_u64 v[0:1], v[0:1], 0, 4
	s_cbranch_scc0 .LBB86_80
.LBB86_72:                              ; =>This Inner Loop Header: Depth=1
	global_load_dword v4, v[0:1], off
	v_mov_b32_e32 v3, 0
	s_waitcnt vmcnt(0)
	v_cmp_eq_u32_e64 s[0:1], v4, v10
	v_cmp_ne_u32_e32 vcc, v4, v10
	s_and_saveexec_b64 s[2:3], vcc
	s_cbranch_execz .LBB86_78
; %bb.73:                               ;   in Loop: Header=BB86_72 Depth=1
	v_cmp_eq_u32_e64 s[6:7], v4, v15
	v_cmp_ne_u32_e32 vcc, v4, v15
	v_mov_b32_e32 v3, v12
	s_and_saveexec_b64 s[8:9], vcc
	s_cbranch_execz .LBB86_77
; %bb.74:                               ;   in Loop: Header=BB86_72 Depth=1
	v_cmp_eq_u32_e64 s[10:11], v4, v16
	v_cmp_ne_u32_e32 vcc, v4, v16
	v_mov_b32_e32 v3, v13
	s_and_saveexec_b64 s[12:13], vcc
; %bb.75:                               ;   in Loop: Header=BB86_72 Depth=1
	v_cmp_eq_u32_e32 vcc, v4, v17
	s_andn2_b64 s[10:11], s[10:11], exec
	s_and_b64 s[16:17], vcc, exec
	s_or_b64 s[10:11], s[10:11], s[16:17]
	v_mov_b32_e32 v3, v14
; %bb.76:                               ;   in Loop: Header=BB86_72 Depth=1
	s_or_b64 exec, exec, s[12:13]
	s_andn2_b64 s[6:7], s[6:7], exec
	s_and_b64 s[10:11], s[10:11], exec
	s_or_b64 s[6:7], s[6:7], s[10:11]
.LBB86_77:                              ;   in Loop: Header=BB86_72 Depth=1
	s_or_b64 exec, exec, s[8:9]
	s_andn2_b64 s[0:1], s[0:1], exec
	s_and_b64 s[6:7], s[6:7], exec
	s_or_b64 s[0:1], s[0:1], s[6:7]
.LBB86_78:                              ;   in Loop: Header=BB86_72 Depth=1
	s_or_b64 exec, exec, s[2:3]
	s_and_saveexec_b64 s[2:3], s[0:1]
	s_cbranch_execz .LBB86_71
; %bb.79:                               ;   in Loop: Header=BB86_72 Depth=1
	scratch_load_dword v4, v3, off
	v_ashrrev_i32_e32 v3, 31, v2
	s_waitcnt vmcnt(0)
	v_mul_f32_e32 v6, v11, v4
	s_waitcnt lgkmcnt(0)
	v_lshl_add_u64 v[4:5], v[2:3], 2, s[4:5]
	global_store_dword v[4:5], v6, off
	s_branch .LBB86_71
.LBB86_80:
	s_endpgm
	.section	.rodata,"a",@progbits
	.p2align	6, 0x0
	.amdhsa_kernel _ZN4vllm3moe22topkGatingSoftplusSqrtILi4ELi64ELi4ELi16ELi32ELb1EjfEEvPKT6_PKbPfiPT5_PiiiibdPKfPKS8_SE_
		.amdhsa_group_segment_fixed_size 0
		.amdhsa_private_segment_fixed_size 32
		.amdhsa_kernarg_size 96
		.amdhsa_user_sgpr_count 2
		.amdhsa_user_sgpr_dispatch_ptr 0
		.amdhsa_user_sgpr_queue_ptr 0
		.amdhsa_user_sgpr_kernarg_segment_ptr 1
		.amdhsa_user_sgpr_dispatch_id 0
		.amdhsa_user_sgpr_kernarg_preload_length 0
		.amdhsa_user_sgpr_kernarg_preload_offset 0
		.amdhsa_user_sgpr_private_segment_size 0
		.amdhsa_uses_dynamic_stack 0
		.amdhsa_enable_private_segment 1
		.amdhsa_system_sgpr_workgroup_id_x 1
		.amdhsa_system_sgpr_workgroup_id_y 0
		.amdhsa_system_sgpr_workgroup_id_z 0
		.amdhsa_system_sgpr_workgroup_info 0
		.amdhsa_system_vgpr_workitem_id 1
		.amdhsa_next_free_vgpr 23
		.amdhsa_next_free_sgpr 24
		.amdhsa_accum_offset 24
		.amdhsa_reserve_vcc 1
		.amdhsa_float_round_mode_32 0
		.amdhsa_float_round_mode_16_64 0
		.amdhsa_float_denorm_mode_32 3
		.amdhsa_float_denorm_mode_16_64 3
		.amdhsa_dx10_clamp 1
		.amdhsa_ieee_mode 1
		.amdhsa_fp16_overflow 0
		.amdhsa_tg_split 0
		.amdhsa_exception_fp_ieee_invalid_op 0
		.amdhsa_exception_fp_denorm_src 0
		.amdhsa_exception_fp_ieee_div_zero 0
		.amdhsa_exception_fp_ieee_overflow 0
		.amdhsa_exception_fp_ieee_underflow 0
		.amdhsa_exception_fp_ieee_inexact 0
		.amdhsa_exception_int_div_zero 0
	.end_amdhsa_kernel
	.section	.text._ZN4vllm3moe22topkGatingSoftplusSqrtILi4ELi64ELi4ELi16ELi32ELb1EjfEEvPKT6_PKbPfiPT5_PiiiibdPKfPKS8_SE_,"axG",@progbits,_ZN4vllm3moe22topkGatingSoftplusSqrtILi4ELi64ELi4ELi16ELi32ELb1EjfEEvPKT6_PKbPfiPT5_PiiiibdPKfPKS8_SE_,comdat
.Lfunc_end86:
	.size	_ZN4vllm3moe22topkGatingSoftplusSqrtILi4ELi64ELi4ELi16ELi32ELb1EjfEEvPKT6_PKbPfiPT5_PiiiibdPKfPKS8_SE_, .Lfunc_end86-_ZN4vllm3moe22topkGatingSoftplusSqrtILi4ELi64ELi4ELi16ELi32ELb1EjfEEvPKT6_PKbPfiPT5_PiiiibdPKfPKS8_SE_
                                        ; -- End function
	.section	.AMDGPU.csdata,"",@progbits
; Kernel info:
; codeLenInByte = 3468
; NumSgprs: 30
; NumVgprs: 23
; NumAgprs: 0
; TotalNumVgprs: 23
; ScratchSize: 32
; MemoryBound: 0
; FloatMode: 240
; IeeeMode: 1
; LDSByteSize: 0 bytes/workgroup (compile time only)
; SGPRBlocks: 3
; VGPRBlocks: 2
; NumSGPRsForWavesPerEU: 30
; NumVGPRsForWavesPerEU: 23
; AccumOffset: 24
; Occupancy: 8
; WaveLimiterHint : 1
; COMPUTE_PGM_RSRC2:SCRATCH_EN: 1
; COMPUTE_PGM_RSRC2:USER_SGPR: 2
; COMPUTE_PGM_RSRC2:TRAP_HANDLER: 0
; COMPUTE_PGM_RSRC2:TGID_X_EN: 1
; COMPUTE_PGM_RSRC2:TGID_Y_EN: 0
; COMPUTE_PGM_RSRC2:TGID_Z_EN: 0
; COMPUTE_PGM_RSRC2:TIDIG_COMP_CNT: 1
; COMPUTE_PGM_RSRC3_GFX90A:ACCUM_OFFSET: 5
; COMPUTE_PGM_RSRC3_GFX90A:TG_SPLIT: 0
	.section	.text._ZN4vllm3moe22topkGatingSoftplusSqrtILi4ELi64ELi4ELi16ELi32ELb0EjfEEvPKT6_PKbPfiPT5_PiiiibdPKfPKS8_SE_,"axG",@progbits,_ZN4vllm3moe22topkGatingSoftplusSqrtILi4ELi64ELi4ELi16ELi32ELb0EjfEEvPKT6_PKbPfiPT5_PiiiibdPKfPKS8_SE_,comdat
	.protected	_ZN4vllm3moe22topkGatingSoftplusSqrtILi4ELi64ELi4ELi16ELi32ELb0EjfEEvPKT6_PKbPfiPT5_PiiiibdPKfPKS8_SE_ ; -- Begin function _ZN4vllm3moe22topkGatingSoftplusSqrtILi4ELi64ELi4ELi16ELi32ELb0EjfEEvPKT6_PKbPfiPT5_PiiiibdPKfPKS8_SE_
	.globl	_ZN4vllm3moe22topkGatingSoftplusSqrtILi4ELi64ELi4ELi16ELi32ELb0EjfEEvPKT6_PKbPfiPT5_PiiiibdPKfPKS8_SE_
	.p2align	8
	.type	_ZN4vllm3moe22topkGatingSoftplusSqrtILi4ELi64ELi4ELi16ELi32ELb0EjfEEvPKT6_PKbPfiPT5_PiiiibdPKfPKS8_SE_,@function
_ZN4vllm3moe22topkGatingSoftplusSqrtILi4ELi64ELi4ELi16ELi32ELb0EjfEEvPKT6_PKbPfiPT5_PiiiibdPKfPKS8_SE_: ; @_ZN4vllm3moe22topkGatingSoftplusSqrtILi4ELi64ELi4ELi16ELi32ELb0EjfEEvPKT6_PKbPfiPT5_PiiiibdPKfPKS8_SE_
; %bb.0:
	s_load_dword s30, s[2:3], 0x18
	v_and_b32_e32 v1, 0x3ff, v0
	v_bfe_u32 v4, v0, 10, 10
	s_lshl_b32 s4, s4, 3
	v_lshlrev_b32_e32 v2, 1, v4
	v_lshrrev_b32_e32 v3, 4, v1
	v_add3_u32 v2, s4, v2, v3
	s_waitcnt lgkmcnt(0)
	v_cmp_gt_i32_e32 vcc, s30, v2
	s_and_saveexec_b64 s[4:5], vcc
	s_cbranch_execz .LBB87_51
; %bb.1:
	s_load_dwordx4 s[4:7], s[2:3], 0x0
	s_load_dwordx2 s[20:21], s[2:3], 0x10
	s_waitcnt lgkmcnt(0)
	s_cmp_eq_u64 s[6:7], 0
	s_cbranch_scc1 .LBB87_3
; %bb.2:
	v_ashrrev_i32_e32 v3, 31, v2
	v_lshl_add_u64 v[6:7], s[6:7], 0, v[2:3]
	global_load_ubyte v3, v[6:7], off
	s_waitcnt vmcnt(0)
	v_and_b32_e32 v3, 1, v3
	v_cmp_eq_u32_e32 vcc, 1, v3
	s_xor_b64 s[6:7], vcc, -1
	s_orn2_b64 s[22:23], s[6:7], exec
	s_branch .LBB87_4
.LBB87_3:
	s_mov_b64 s[22:23], -1
.LBB87_4:
	v_lshlrev_b32_e32 v8, 6, v2
	v_mov_b32_e32 v6, s4
	v_mov_b32_e32 v7, s5
	v_ashrrev_i32_e32 v9, 31, v8
	v_and_b32_e32 v3, 15, v1
	v_lshl_add_u64 v[6:7], v[8:9], 2, v[6:7]
	v_mov_b32_e32 v9, 0
	v_lshlrev_b32_e32 v8, 4, v3
	v_lshl_add_u64 v[6:7], v[6:7], 0, v[8:9]
	global_load_dwordx4 v[6:9], v[6:7], off
	s_load_dwordx2 s[4:5], s[0:1], 0x4
	s_load_dwordx4 s[8:11], s[2:3], 0x40
	v_bfe_u32 v0, v0, 20, 10
	s_mov_b32 s16, 0x800000
	s_mov_b32 s13, 0x3f317217
	s_waitcnt lgkmcnt(0)
	s_lshr_b32 s0, s4, 16
	v_mul_u32_u24_e32 v4, s5, v4
	s_mul_i32 s0, s0, s5
	v_mad_u32_u24 v1, s0, v1, v4
	v_add_lshl_u32 v4, v1, v0, 4
	s_mov_b32 s14, 0x7f800000
	s_mov_b32 s12, 0x41a00000
	;; [unrolled: 1-line block ×3, first 2 shown]
	s_cmp_lg_u64 s[10:11], 0
	v_mov_b32_e32 v1, 0x260
	s_cselect_b64 s[6:7], -1, 0
	s_and_b64 s[0:1], exec, s[6:7]
	s_waitcnt vmcnt(0)
	ds_write_b128 v4, v[6:9]
	ds_read_b32 v8, v4
	v_mov_b32_e32 v6, 0x4f800000
	v_mov_b32_e32 v7, 0x41b17218
	s_waitcnt lgkmcnt(0)
	v_mul_f32_e32 v0, 0x3fb8aa3b, v8
	v_exp_f32_e32 v0, v0
	s_nop 0
	v_add_f32_e32 v0, 1.0, v0
	v_cmp_gt_f32_e32 vcc, s16, v0
	s_nop 1
	v_cndmask_b32_e32 v5, 1.0, v6, vcc
	v_mul_f32_e32 v0, v0, v5
	v_log_f32_e32 v9, v0
	v_cndmask_b32_e32 v10, 0, v7, vcc
	v_lshlrev_b32_e32 v5, 2, v3
	v_lshlrev_b32_e32 v0, 2, v5
	v_mul_f32_e32 v11, 0x3f317217, v9
	v_fma_f32 v11, v9, s13, -v11
	v_fmac_f32_e32 v11, 0x3377d1cf, v9
	v_fmac_f32_e32 v11, 0x3f317217, v9
	v_cmp_lt_f32_e64 vcc, |v9|, s14
	s_nop 1
	v_cndmask_b32_e32 v9, v9, v11, vcc
	v_sub_f32_e32 v9, v9, v10
	v_cmp_lt_f32_e32 vcc, s12, v8
	s_nop 1
	v_cndmask_b32_e32 v8, v9, v8, vcc
	v_mul_f32_e32 v9, 0x4f800000, v8
	v_cmp_gt_f32_e32 vcc, s15, v8
	s_nop 1
	v_cndmask_b32_e32 v8, v8, v9, vcc
	v_sqrt_f32_e32 v9, v8
	s_nop 0
	v_add_u32_e32 v10, -1, v9
	v_add_u32_e32 v11, 1, v9
	v_fma_f32 v12, -v10, v9, v8
	v_fma_f32 v13, -v11, v9, v8
	v_cmp_ge_f32_e64 s[4:5], 0, v12
	s_nop 1
	v_cndmask_b32_e64 v9, v9, v10, s[4:5]
	v_cmp_lt_f32_e64 s[4:5], 0, v13
	s_nop 1
	v_cndmask_b32_e64 v9, v9, v11, s[4:5]
	v_mul_f32_e32 v10, 0x37800000, v9
	v_cndmask_b32_e32 v9, v9, v10, vcc
	v_cmp_class_f32_e32 vcc, v8, v1
	s_nop 1
	v_cndmask_b32_e32 v8, v9, v8, vcc
	s_mov_b64 vcc, s[0:1]
	s_cbranch_vccz .LBB87_6
; %bb.5:
	global_load_dword v9, v0, s[10:11]
	s_waitcnt vmcnt(0)
	v_add_f32_e32 v8, v8, v9
.LBB87_6:
	ds_read_b32 v9, v4 offset:4
	ds_write_b32 v4, v8
	s_waitcnt lgkmcnt(1)
	v_mul_f32_e32 v10, 0x3fb8aa3b, v9
	v_exp_f32_e32 v10, v10
	s_nop 0
	v_add_f32_e32 v10, 1.0, v10
	v_cmp_gt_f32_e32 vcc, s16, v10
	s_nop 1
	v_cndmask_b32_e32 v6, 1.0, v6, vcc
	v_mul_f32_e32 v6, v10, v6
	v_log_f32_e32 v6, v6
	v_cndmask_b32_e32 v7, 0, v7, vcc
	v_mul_f32_e32 v8, 0x3f317217, v6
	v_fma_f32 v8, v6, s13, -v8
	v_fmac_f32_e32 v8, 0x3377d1cf, v6
	v_fmac_f32_e32 v8, 0x3f317217, v6
	v_cmp_lt_f32_e64 vcc, |v6|, s14
	s_nop 1
	v_cndmask_b32_e32 v6, v6, v8, vcc
	v_sub_f32_e32 v6, v6, v7
	v_cmp_lt_f32_e32 vcc, s12, v9
	v_cndmask_b32_e64 v8, 0, 1, s[6:7]
	v_cmp_ne_u32_e64 s[0:1], 1, v8
	v_cndmask_b32_e32 v6, v6, v9, vcc
	v_mul_f32_e32 v7, 0x4f800000, v6
	v_cmp_gt_f32_e64 s[4:5], s15, v6
	s_andn2_b64 vcc, exec, s[6:7]
	s_nop 0
	v_cndmask_b32_e64 v6, v6, v7, s[4:5]
	v_sqrt_f32_e32 v7, v6
	s_nop 0
	v_add_u32_e32 v8, -1, v7
	v_add_u32_e32 v9, 1, v7
	v_fma_f32 v10, -v8, v7, v6
	v_fma_f32 v11, -v9, v7, v6
	v_cmp_ge_f32_e64 s[6:7], 0, v10
	s_nop 1
	v_cndmask_b32_e64 v7, v7, v8, s[6:7]
	v_cmp_lt_f32_e64 s[6:7], 0, v11
	s_nop 1
	v_cndmask_b32_e64 v7, v7, v9, s[6:7]
	v_mul_f32_e32 v8, 0x37800000, v7
	v_cndmask_b32_e64 v7, v7, v8, s[4:5]
	v_cmp_class_f32_e64 s[4:5], v6, v1
	s_nop 1
	v_cndmask_b32_e64 v1, v7, v6, s[4:5]
	s_cbranch_vccnz .LBB87_8
; %bb.7:
	global_load_dword v6, v0, s[10:11] offset:4
	s_waitcnt vmcnt(0)
	v_add_f32_e32 v1, v1, v6
.LBB87_8:
	ds_read_b32 v8, v4 offset:8
	s_mov_b32 s12, 0x800000
	s_mov_b32 s7, 0x3f317217
	;; [unrolled: 1-line block ×4, first 2 shown]
	s_waitcnt lgkmcnt(0)
	v_mul_f32_e32 v6, 0x3fb8aa3b, v8
	v_exp_f32_e32 v7, v6
	v_mov_b32_e32 v6, 0x4f800000
	s_mov_b32 s14, 0xf800000
	ds_write_b32 v4, v1 offset:4
	v_add_f32_e32 v7, 1.0, v7
	v_cmp_gt_f32_e32 vcc, s12, v7
	s_nop 1
	v_cndmask_b32_e32 v9, 1.0, v6, vcc
	v_mul_f32_e32 v7, v7, v9
	v_log_f32_e32 v9, v7
	v_mov_b32_e32 v7, 0x41b17218
	v_cndmask_b32_e32 v10, 0, v7, vcc
	v_mul_f32_e32 v11, 0x3f317217, v9
	v_fma_f32 v11, v9, s7, -v11
	v_fmac_f32_e32 v11, 0x3377d1cf, v9
	v_fmac_f32_e32 v11, 0x3f317217, v9
	v_cmp_lt_f32_e64 vcc, |v9|, s13
	s_nop 1
	v_cndmask_b32_e32 v9, v9, v11, vcc
	v_sub_f32_e32 v9, v9, v10
	v_cmp_lt_f32_e32 vcc, s6, v8
	s_nop 1
	v_cndmask_b32_e32 v8, v9, v8, vcc
	v_mul_f32_e32 v9, 0x4f800000, v8
	v_cmp_gt_f32_e32 vcc, s14, v8
	s_nop 1
	v_cndmask_b32_e32 v8, v8, v9, vcc
	v_sqrt_f32_e32 v9, v8
	s_nop 0
	v_add_u32_e32 v1, -1, v9
	v_fma_f32 v10, -v1, v9, v8
	v_cmp_ge_f32_e64 s[4:5], 0, v10
	v_add_u32_e32 v10, 1, v9
	s_nop 0
	v_cndmask_b32_e64 v1, v9, v1, s[4:5]
	v_fma_f32 v9, -v10, v9, v8
	v_cmp_lt_f32_e64 s[4:5], 0, v9
	s_nop 1
	v_cndmask_b32_e64 v1, v1, v10, s[4:5]
	v_mul_f32_e32 v9, 0x37800000, v1
	v_cndmask_b32_e32 v9, v1, v9, vcc
	v_mov_b32_e32 v1, 0x260
	v_cmp_class_f32_e64 s[4:5], v8, v1
	s_and_b64 vcc, exec, s[0:1]
	s_nop 0
	v_cndmask_b32_e64 v8, v9, v8, s[4:5]
	s_cbranch_vccnz .LBB87_10
; %bb.9:
	global_load_dword v9, v0, s[10:11] offset:8
	s_waitcnt vmcnt(0)
	v_add_f32_e32 v8, v8, v9
.LBB87_10:
	ds_read_b32 v9, v4 offset:12
	ds_write_b32 v4, v8 offset:8
	s_waitcnt lgkmcnt(1)
	v_mul_f32_e32 v10, 0x3fb8aa3b, v9
	v_exp_f32_e32 v10, v10
	s_nop 0
	v_add_f32_e32 v10, 1.0, v10
	v_cmp_gt_f32_e32 vcc, s12, v10
	s_nop 1
	v_cndmask_b32_e32 v6, 1.0, v6, vcc
	v_mul_f32_e32 v6, v10, v6
	v_log_f32_e32 v6, v6
	v_cndmask_b32_e32 v7, 0, v7, vcc
	v_mul_f32_e32 v10, 0x3f317217, v6
	v_fma_f32 v10, v6, s7, -v10
	v_fmac_f32_e32 v10, 0x3377d1cf, v6
	v_fmac_f32_e32 v10, 0x3f317217, v6
	v_cmp_lt_f32_e64 vcc, |v6|, s13
	s_nop 1
	v_cndmask_b32_e32 v6, v6, v10, vcc
	v_sub_f32_e32 v6, v6, v7
	v_cmp_lt_f32_e32 vcc, s6, v9
	s_nop 1
	v_cndmask_b32_e32 v6, v6, v9, vcc
	v_mul_f32_e32 v7, 0x4f800000, v6
	v_cmp_gt_f32_e64 s[4:5], s14, v6
	s_and_b64 vcc, exec, s[0:1]
	s_nop 0
	v_cndmask_b32_e64 v6, v6, v7, s[4:5]
	v_sqrt_f32_e32 v7, v6
	s_nop 0
	v_add_u32_e32 v8, -1, v7
	v_add_u32_e32 v9, 1, v7
	v_fma_f32 v10, -v8, v7, v6
	v_fma_f32 v11, -v9, v7, v6
	v_cmp_ge_f32_e64 s[6:7], 0, v10
	s_nop 1
	v_cndmask_b32_e64 v7, v7, v8, s[6:7]
	v_cmp_lt_f32_e64 s[6:7], 0, v11
	s_nop 1
	v_cndmask_b32_e64 v7, v7, v9, s[6:7]
	v_mul_f32_e32 v8, 0x37800000, v7
	v_cndmask_b32_e64 v7, v7, v8, s[4:5]
	v_cmp_class_f32_e64 s[4:5], v6, v1
	s_nop 1
	v_cndmask_b32_e64 v1, v7, v6, s[4:5]
	s_cbranch_vccnz .LBB87_12
; %bb.11:
	global_load_dword v0, v0, s[10:11] offset:12
	s_waitcnt vmcnt(0)
	v_add_f32_e32 v1, v1, v0
.LBB87_12:
	s_load_dwordx4 s[12:15], s[2:3], 0x30
	s_mov_b32 s31, 0
	v_cmp_eq_u32_e64 s[6:7], 0, v3
	ds_write_b32 v4, v1 offset:12
	s_waitcnt lgkmcnt(0)
	s_bitcmp1_b32 s15, 0
	s_cselect_b64 s[4:5], -1, 0
	s_cmp_gt_i32 s12, 0
	s_cselect_b64 s[24:25], -1, 0
	s_and_b64 vcc, exec, s[24:25]
	s_cbranch_vccz .LBB87_37
; %bb.13:
	v_mbcnt_lo_u32_b32 v0, -1, 0
	v_mbcnt_hi_u32_b32 v0, -1, v0
	v_and_b32_e32 v1, 0x70, v0
	v_add_u32_e32 v1, 16, v1
	v_xor_b32_e32 v6, 8, v0
	v_cmp_lt_i32_e32 vcc, v6, v1
	s_load_dwordx4 s[16:19], s[2:3], 0x20
	v_mul_lo_u32 v7, v2, s12
	v_cndmask_b32_e32 v6, v0, v6, vcc
	v_lshlrev_b32_e32 v8, 2, v6
	v_xor_b32_e32 v6, 4, v0
	v_cmp_lt_i32_e32 vcc, v6, v1
	v_mov_b32_e32 v12, 0xc61c4000
	v_mov_b32_e32 v13, v2
	v_cndmask_b32_e32 v6, v0, v6, vcc
	v_lshlrev_b32_e32 v9, 2, v6
	v_xor_b32_e32 v6, 2, v0
	v_cmp_lt_i32_e32 vcc, v6, v1
	s_nop 1
	v_cndmask_b32_e32 v6, v0, v6, vcc
	v_lshlrev_b32_e32 v10, 2, v6
	v_xor_b32_e32 v6, 1, v0
	v_cmp_lt_i32_e32 vcc, v6, v1
	s_nop 1
	v_cndmask_b32_e32 v0, v0, v6, vcc
	v_lshlrev_b32_e32 v11, 2, v0
	v_mov_b32_e32 v6, 0
	s_branch .LBB87_15
.LBB87_14:                              ;   in Loop: Header=BB87_15 Depth=1
	s_or_b64 exec, exec, s[2:3]
	s_cmp_eq_u32 s12, s31
	v_add_u32_e32 v13, s30, v13
	s_cbranch_scc1 .LBB87_38
.LBB87_15:                              ; =>This Inner Loop Header: Depth=1
	ds_read_b128 v[14:17], v4
	s_waitcnt lgkmcnt(0)
	v_cmp_gt_f32_e32 vcc, v15, v14
	s_nop 1
	v_cndmask_b32_e32 v1, v14, v15, vcc
	v_cndmask_b32_e64 v0, 0, 1, vcc
	v_cmp_gt_f32_e32 vcc, v16, v1
	s_nop 1
	v_cndmask_b32_e32 v1, v1, v16, vcc
	v_cndmask_b32_e64 v0, v0, 2, vcc
	v_cmp_gt_f32_e32 vcc, v17, v1
	s_nop 1
	v_cndmask_b32_e64 v0, v0, 3, vcc
	v_cndmask_b32_e32 v14, v1, v17, vcc
	ds_bpermute_b32 v1, v8, v14
	v_or_b32_e32 v0, v5, v0
	ds_bpermute_b32 v15, v8, v0
	s_waitcnt lgkmcnt(1)
	v_cmp_lt_f32_e64 s[26:27], v14, v1
	v_cmp_nlt_f32_e32 vcc, v14, v1
	s_and_saveexec_b64 s[28:29], vcc
	s_cbranch_execz .LBB87_17
; %bb.16:                               ;   in Loop: Header=BB87_15 Depth=1
	v_cmp_eq_f32_e32 vcc, v14, v1
	s_waitcnt lgkmcnt(0)
	v_cmp_lt_i32_e64 s[2:3], v15, v0
	s_and_b64 s[2:3], vcc, s[2:3]
	s_andn2_b64 s[26:27], s[26:27], exec
	s_and_b64 s[2:3], s[2:3], exec
	s_or_b64 s[26:27], s[26:27], s[2:3]
.LBB87_17:                              ;   in Loop: Header=BB87_15 Depth=1
	s_or_b64 exec, exec, s[28:29]
	s_and_saveexec_b64 s[2:3], s[26:27]
	s_cbranch_execz .LBB87_19
; %bb.18:                               ;   in Loop: Header=BB87_15 Depth=1
	v_mov_b32_e32 v14, v1
	s_waitcnt lgkmcnt(0)
	v_mov_b32_e32 v0, v15
.LBB87_19:                              ;   in Loop: Header=BB87_15 Depth=1
	s_or_b64 exec, exec, s[2:3]
	ds_bpermute_b32 v1, v9, v14
	s_waitcnt lgkmcnt(1)
	ds_bpermute_b32 v15, v9, v0
	s_waitcnt lgkmcnt(1)
	v_cmp_lt_f32_e64 s[26:27], v14, v1
	v_cmp_nlt_f32_e32 vcc, v14, v1
	s_and_saveexec_b64 s[28:29], vcc
	s_cbranch_execz .LBB87_21
; %bb.20:                               ;   in Loop: Header=BB87_15 Depth=1
	v_cmp_eq_f32_e32 vcc, v14, v1
	s_waitcnt lgkmcnt(0)
	v_cmp_lt_i32_e64 s[2:3], v15, v0
	s_and_b64 s[2:3], vcc, s[2:3]
	s_andn2_b64 s[26:27], s[26:27], exec
	s_and_b64 s[2:3], s[2:3], exec
	s_or_b64 s[26:27], s[26:27], s[2:3]
.LBB87_21:                              ;   in Loop: Header=BB87_15 Depth=1
	s_or_b64 exec, exec, s[28:29]
	s_and_saveexec_b64 s[2:3], s[26:27]
	s_cbranch_execz .LBB87_23
; %bb.22:                               ;   in Loop: Header=BB87_15 Depth=1
	v_mov_b32_e32 v14, v1
	s_waitcnt lgkmcnt(0)
	v_mov_b32_e32 v0, v15
.LBB87_23:                              ;   in Loop: Header=BB87_15 Depth=1
	s_or_b64 exec, exec, s[2:3]
	ds_bpermute_b32 v1, v10, v14
	s_waitcnt lgkmcnt(1)
	;; [unrolled: 26-line block ×3, first 2 shown]
	ds_bpermute_b32 v15, v11, v0
	s_waitcnt lgkmcnt(1)
	v_cmp_lt_f32_e64 s[26:27], v14, v1
	v_cmp_nlt_f32_e32 vcc, v14, v1
	s_and_saveexec_b64 s[28:29], vcc
	s_cbranch_execnz .LBB87_30
; %bb.28:                               ;   in Loop: Header=BB87_15 Depth=1
	s_or_b64 exec, exec, s[28:29]
	s_and_saveexec_b64 s[2:3], s[26:27]
	s_cbranch_execnz .LBB87_31
.LBB87_29:                              ;   in Loop: Header=BB87_15 Depth=1
	s_or_b64 exec, exec, s[2:3]
	s_and_saveexec_b64 s[26:27], s[6:7]
	s_cbranch_execnz .LBB87_32
	s_branch .LBB87_35
.LBB87_30:                              ;   in Loop: Header=BB87_15 Depth=1
	v_cmp_eq_f32_e32 vcc, v14, v1
	s_waitcnt lgkmcnt(0)
	v_cmp_lt_i32_e64 s[2:3], v15, v0
	s_and_b64 s[2:3], vcc, s[2:3]
	s_andn2_b64 s[26:27], s[26:27], exec
	s_and_b64 s[2:3], s[2:3], exec
	s_or_b64 s[26:27], s[26:27], s[2:3]
	s_or_b64 exec, exec, s[28:29]
	s_and_saveexec_b64 s[2:3], s[26:27]
	s_cbranch_execz .LBB87_29
.LBB87_31:                              ;   in Loop: Header=BB87_15 Depth=1
	s_waitcnt lgkmcnt(0)
	v_mov_b32_e32 v0, v15
	v_mov_b32_e32 v14, v1
	s_or_b64 exec, exec, s[2:3]
	s_and_saveexec_b64 s[26:27], s[6:7]
	s_cbranch_execz .LBB87_35
.LBB87_32:                              ;   in Loop: Header=BB87_15 Depth=1
	s_and_b64 vcc, exec, s[0:1]
	s_cbranch_vccnz .LBB87_34
; %bb.33:                               ;   in Loop: Header=BB87_15 Depth=1
	v_ashrrev_i32_e32 v1, 31, v0
	v_lshl_add_u64 v[16:17], v[0:1], 2, s[10:11]
	global_load_dword v1, v[16:17], off
	s_waitcnt vmcnt(0)
	v_sub_f32_e32 v14, v14, v1
.LBB87_34:                              ;   in Loop: Header=BB87_15 Depth=1
	v_add_u32_e32 v16, s31, v7
	v_cmp_le_i32_e32 vcc, s13, v0
	v_cmp_gt_i32_e64 s[2:3], s14, v0
	v_ashrrev_i32_e32 v17, 31, v16
	s_and_b64 s[2:3], vcc, s[2:3]
	v_lshlrev_b64 v[16:17], 2, v[16:17]
	v_lshl_add_u64 v[18:19], s[20:21], 0, v[16:17]
	v_subrev_u32_e32 v1, s13, v0
	s_and_b64 vcc, s[22:23], s[2:3]
	global_store_dword v[18:19], v14, off
	v_cndmask_b32_e32 v1, 64, v1, vcc
	v_lshl_add_u64 v[18:19], s[16:17], 0, v[16:17]
	global_store_dword v[18:19], v1, off
	v_add_f32_e32 v1, v6, v14
	v_lshl_add_u64 v[16:17], s[18:19], 0, v[16:17]
	v_cndmask_b32_e64 v6, v6, v1, s[4:5]
	global_store_dword v[16:17], v13, off
.LBB87_35:                              ;   in Loop: Header=BB87_15 Depth=1
	s_or_b64 exec, exec, s[26:27]
	v_ashrrev_i32_e32 v14, 31, v0
	v_lshrrev_b32_e32 v1, 30, v14
	s_waitcnt lgkmcnt(0)
	v_add_u32_e32 v15, v0, v1
	v_ashrrev_i32_e32 v1, 2, v15
	v_ashrrev_i32_e32 v15, 31, v15
	v_lshrrev_b32_e32 v15, 28, v15
	v_add_u32_e32 v15, v1, v15
	s_add_i32 s31, s31, 1
	v_and_b32_e32 v15, -16, v15
	s_cmp_lt_i32 s31, s12
	v_sub_u32_e32 v15, v1, v15
	s_cselect_b64 s[2:3], -1, 0
	v_cmp_eq_u32_e32 vcc, v3, v15
	s_and_b64 s[26:27], s[2:3], vcc
	s_and_saveexec_b64 s[2:3], s[26:27]
	s_cbranch_execz .LBB87_14
; %bb.36:                               ;   in Loop: Header=BB87_15 Depth=1
	v_lshrrev_b32_e32 v14, 26, v14
	v_add_u32_e32 v14, v0, v14
	v_lshlrev_b32_e32 v1, 2, v1
	v_ashrrev_i32_e32 v14, 6, v14
	v_sub_u32_e32 v0, v0, v1
	v_lshl_add_u32 v0, v14, 2, v0
	v_lshl_add_u32 v0, v0, 2, v4
	ds_write_b32 v0, v12
	s_branch .LBB87_14
.LBB87_37:
	v_mov_b32_e32 v6, 0
.LBB87_38:
	v_cmp_eq_u32_e32 vcc, 0, v3
	s_and_b64 exec, exec, vcc
	s_cbranch_execz .LBB87_51
; %bb.39:
	s_andn2_b64 vcc, exec, s[4:5]
	v_cvt_f32_f64_e32 v0, s[8:9]
	s_cbranch_vccnz .LBB87_41
; %bb.40:
	v_cmp_lt_f32_e32 vcc, 0, v6
	s_nop 1
	v_cndmask_b32_e32 v1, 1.0, v6, vcc
	v_div_scale_f32 v3, s[0:1], v1, v1, v0
	v_rcp_f32_e32 v4, v3
	s_nop 0
	v_fma_f32 v5, -v3, v4, 1.0
	v_fmac_f32_e32 v4, v5, v4
	v_div_scale_f32 v5, vcc, v0, v1, v0
	v_mul_f32_e32 v6, v5, v4
	v_fma_f32 v7, -v3, v6, v5
	v_fmac_f32_e32 v6, v7, v4
	v_fma_f32 v3, -v3, v6, v5
	v_div_fmas_f32 v3, v3, v4, v6
	v_div_fixup_f32 v0, v3, v1, v0
.LBB87_41:
	s_andn2_b64 vcc, exec, s[24:25]
	s_cbranch_vccnz .LBB87_51
; %bb.42:
	v_mul_lo_u32 v2, v2, s12
	s_cmp_gt_u32 s12, 3
	v_ashrrev_i32_e32 v3, 31, v2
	s_cbranch_scc0 .LBB87_46
; %bb.43:
	s_and_b32 s0, s12, 0x7ffffffc
	v_lshl_add_u64 v[4:5], v[2:3], 2, s[20:21]
	v_mov_b32_e32 v1, v0
	v_lshl_add_u64 v[4:5], v[4:5], 0, 8
	s_mov_b32 s1, s0
.LBB87_44:                              ; =>This Inner Loop Header: Depth=1
	global_load_dwordx4 v[6:9], v[4:5], off offset:-8
	s_add_i32 s1, s1, -4
	s_cmp_lg_u32 s1, 0
	s_waitcnt vmcnt(0)
	v_pk_mul_f32 v[6:7], v[0:1], v[6:7]
	v_pk_mul_f32 v[8:9], v[0:1], v[8:9]
	global_store_dwordx4 v[4:5], v[6:9], off offset:-8
	v_lshl_add_u64 v[4:5], v[4:5], 0, 16
	s_cbranch_scc1 .LBB87_44
; %bb.45:
	s_cmp_lg_u32 s0, s12
	s_cselect_b64 s[2:3], -1, 0
	s_branch .LBB87_48
.LBB87_46:
	s_mov_b64 s[2:3], 0
                                        ; implicit-def: $sgpr0
	s_cbranch_execz .LBB87_48
; %bb.47:
	s_mov_b64 s[2:3], -1
	s_mov_b32 s0, 0
.LBB87_48:
	s_andn2_b64 vcc, exec, s[2:3]
	s_cbranch_vccnz .LBB87_51
; %bb.49:
	s_mov_b32 s1, 0
	v_lshl_add_u64 v[2:3], v[2:3], 0, s[0:1]
	s_sub_i32 s2, s12, s0
	v_lshl_add_u64 v[2:3], v[2:3], 2, s[20:21]
.LBB87_50:                              ; =>This Inner Loop Header: Depth=1
	global_load_dword v1, v[2:3], off
	s_add_i32 s2, s2, -1
	s_cmp_lg_u32 s2, 0
	s_waitcnt vmcnt(0)
	v_mul_f32_e32 v1, v0, v1
	global_store_dword v[2:3], v1, off
	v_lshl_add_u64 v[2:3], v[2:3], 0, 4
	s_cbranch_scc1 .LBB87_50
.LBB87_51:
	s_endpgm
	.section	.rodata,"a",@progbits
	.p2align	6, 0x0
	.amdhsa_kernel _ZN4vllm3moe22topkGatingSoftplusSqrtILi4ELi64ELi4ELi16ELi32ELb0EjfEEvPKT6_PKbPfiPT5_PiiiibdPKfPKS8_SE_
		.amdhsa_group_segment_fixed_size 2048
		.amdhsa_private_segment_fixed_size 0
		.amdhsa_kernarg_size 96
		.amdhsa_user_sgpr_count 4
		.amdhsa_user_sgpr_dispatch_ptr 1
		.amdhsa_user_sgpr_queue_ptr 0
		.amdhsa_user_sgpr_kernarg_segment_ptr 1
		.amdhsa_user_sgpr_dispatch_id 0
		.amdhsa_user_sgpr_kernarg_preload_length 0
		.amdhsa_user_sgpr_kernarg_preload_offset 0
		.amdhsa_user_sgpr_private_segment_size 0
		.amdhsa_uses_dynamic_stack 0
		.amdhsa_enable_private_segment 0
		.amdhsa_system_sgpr_workgroup_id_x 1
		.amdhsa_system_sgpr_workgroup_id_y 0
		.amdhsa_system_sgpr_workgroup_id_z 0
		.amdhsa_system_sgpr_workgroup_info 0
		.amdhsa_system_vgpr_workitem_id 2
		.amdhsa_next_free_vgpr 20
		.amdhsa_next_free_sgpr 32
		.amdhsa_accum_offset 20
		.amdhsa_reserve_vcc 1
		.amdhsa_float_round_mode_32 0
		.amdhsa_float_round_mode_16_64 0
		.amdhsa_float_denorm_mode_32 3
		.amdhsa_float_denorm_mode_16_64 3
		.amdhsa_dx10_clamp 1
		.amdhsa_ieee_mode 1
		.amdhsa_fp16_overflow 0
		.amdhsa_tg_split 0
		.amdhsa_exception_fp_ieee_invalid_op 0
		.amdhsa_exception_fp_denorm_src 0
		.amdhsa_exception_fp_ieee_div_zero 0
		.amdhsa_exception_fp_ieee_overflow 0
		.amdhsa_exception_fp_ieee_underflow 0
		.amdhsa_exception_fp_ieee_inexact 0
		.amdhsa_exception_int_div_zero 0
	.end_amdhsa_kernel
	.section	.text._ZN4vllm3moe22topkGatingSoftplusSqrtILi4ELi64ELi4ELi16ELi32ELb0EjfEEvPKT6_PKbPfiPT5_PiiiibdPKfPKS8_SE_,"axG",@progbits,_ZN4vllm3moe22topkGatingSoftplusSqrtILi4ELi64ELi4ELi16ELi32ELb0EjfEEvPKT6_PKbPfiPT5_PiiiibdPKfPKS8_SE_,comdat
.Lfunc_end87:
	.size	_ZN4vllm3moe22topkGatingSoftplusSqrtILi4ELi64ELi4ELi16ELi32ELb0EjfEEvPKT6_PKbPfiPT5_PiiiibdPKfPKS8_SE_, .Lfunc_end87-_ZN4vllm3moe22topkGatingSoftplusSqrtILi4ELi64ELi4ELi16ELi32ELb0EjfEEvPKT6_PKbPfiPT5_PiiiibdPKfPKS8_SE_
                                        ; -- End function
	.section	.AMDGPU.csdata,"",@progbits
; Kernel info:
; codeLenInByte = 2856
; NumSgprs: 38
; NumVgprs: 20
; NumAgprs: 0
; TotalNumVgprs: 20
; ScratchSize: 0
; MemoryBound: 0
; FloatMode: 240
; IeeeMode: 1
; LDSByteSize: 2048 bytes/workgroup (compile time only)
; SGPRBlocks: 4
; VGPRBlocks: 2
; NumSGPRsForWavesPerEU: 38
; NumVGPRsForWavesPerEU: 20
; AccumOffset: 20
; Occupancy: 8
; WaveLimiterHint : 0
; COMPUTE_PGM_RSRC2:SCRATCH_EN: 0
; COMPUTE_PGM_RSRC2:USER_SGPR: 4
; COMPUTE_PGM_RSRC2:TRAP_HANDLER: 0
; COMPUTE_PGM_RSRC2:TGID_X_EN: 1
; COMPUTE_PGM_RSRC2:TGID_Y_EN: 0
; COMPUTE_PGM_RSRC2:TGID_Z_EN: 0
; COMPUTE_PGM_RSRC2:TIDIG_COMP_CNT: 2
; COMPUTE_PGM_RSRC3_GFX90A:ACCUM_OFFSET: 4
; COMPUTE_PGM_RSRC3_GFX90A:TG_SPLIT: 0
	.section	.text._ZN4vllm3moe22topkGatingSoftplusSqrtILi4ELi128ELi4ELi16ELi64ELb1EjfEEvPKT6_PKbPfiPT5_PiiiibdPKfPKS8_SE_,"axG",@progbits,_ZN4vllm3moe22topkGatingSoftplusSqrtILi4ELi128ELi4ELi16ELi64ELb1EjfEEvPKT6_PKbPfiPT5_PiiiibdPKfPKS8_SE_,comdat
	.protected	_ZN4vllm3moe22topkGatingSoftplusSqrtILi4ELi128ELi4ELi16ELi64ELb1EjfEEvPKT6_PKbPfiPT5_PiiiibdPKfPKS8_SE_ ; -- Begin function _ZN4vllm3moe22topkGatingSoftplusSqrtILi4ELi128ELi4ELi16ELi64ELb1EjfEEvPKT6_PKbPfiPT5_PiiiibdPKfPKS8_SE_
	.globl	_ZN4vllm3moe22topkGatingSoftplusSqrtILi4ELi128ELi4ELi16ELi64ELb1EjfEEvPKT6_PKbPfiPT5_PiiiibdPKfPKS8_SE_
	.p2align	8
	.type	_ZN4vllm3moe22topkGatingSoftplusSqrtILi4ELi128ELi4ELi16ELi64ELb1EjfEEvPKT6_PKbPfiPT5_PiiiibdPKfPKS8_SE_,@function
_ZN4vllm3moe22topkGatingSoftplusSqrtILi4ELi128ELi4ELi16ELi64ELb1EjfEEvPKT6_PKbPfiPT5_PiiiibdPKfPKS8_SE_: ; @_ZN4vllm3moe22topkGatingSoftplusSqrtILi4ELi128ELi4ELi16ELi64ELb1EjfEEvPKT6_PKbPfiPT5_PiiiibdPKfPKS8_SE_
; %bb.0:
	s_load_dword s3, s[0:1], 0x18
	v_bfe_u32 v1, v0, 10, 10
	v_and_b32_e32 v6, 0x3ff, v0
	s_lshl_b32 s2, s2, 3
	v_lshlrev_b32_e32 v1, 1, v1
	v_lshrrev_b32_e32 v0, 5, v6
	v_add3_u32 v2, s2, v1, v0
	s_waitcnt lgkmcnt(0)
	v_cmp_gt_i32_e32 vcc, s3, v2
	s_and_saveexec_b64 s[2:3], vcc
	s_cbranch_execz .LBB88_80
; %bb.1:
	s_load_dwordx2 s[2:3], s[0:1], 0x0
	s_load_dword s20, s[0:1], 0x30
	v_lshlrev_b32_e32 v0, 7, v2
	v_lshlrev_b32_e32 v3, 2, v6
	v_ashrrev_i32_e32 v1, 31, v0
	v_and_b32_e32 v10, 0x7c, v3
	s_waitcnt lgkmcnt(0)
	v_lshl_add_u64 v[4:5], v[0:1], 2, s[2:3]
	v_lshlrev_b32_e32 v0, 2, v10
	v_mov_b32_e32 v1, 0
	v_lshl_add_u64 v[4:5], v[4:5], 0, v[0:1]
	global_load_dwordx4 v[12:15], v[4:5], off
	s_load_dwordx4 s[8:11], s[0:1], 0x50
	v_ashrrev_i32_e32 v3, 31, v2
	s_mov_b32 s6, 0x800000
	s_mov_b32 s12, 0x3f317217
	;; [unrolled: 1-line block ×3, first 2 shown]
	s_waitcnt lgkmcnt(0)
	v_mov_b32_e32 v4, s8
	v_mov_b32_e32 v5, s9
	v_lshl_add_u64 v[4:5], v[2:3], 2, v[4:5]
	global_load_dword v0, v[4:5], off
	v_mov_b32_e32 v3, 0x4f800000
	v_mov_b32_e32 v7, 0x41b17218
	s_mov_b32 s9, 0x41a00000
	s_mov_b32 s14, 0xf800000
	v_mov_b32_e32 v11, 0x260
	s_cmp_gt_i32 s20, 0
	s_mov_b32 s8, 0
	v_mul_lo_u32 v2, v2, s20
	s_waitcnt vmcnt(1)
	v_mul_f32_e32 v4, 0x3fb8aa3b, v12
	v_mul_f32_e32 v5, 0x3fb8aa3b, v13
	v_exp_f32_e32 v4, v4
	v_exp_f32_e32 v5, v5
	v_mul_f32_e32 v8, 0x3fb8aa3b, v14
	v_mul_f32_e32 v9, 0x3fb8aa3b, v15
	v_exp_f32_e32 v8, v8
	v_exp_f32_e32 v9, v9
	v_pk_add_f32 v[4:5], v[4:5], 1.0 op_sel_hi:[1,0]
	s_waitcnt vmcnt(0)
	v_mul_lo_u32 v0, v0, s20
	v_cmp_gt_f32_e32 vcc, s6, v5
	v_pk_add_f32 v[8:9], v[8:9], 1.0 op_sel_hi:[1,0]
	v_cmp_gt_f32_e64 s[2:3], s6, v4
	v_cndmask_b32_e32 v16, 1.0, v3, vcc
	v_cmp_gt_f32_e64 s[4:5], s6, v9
	v_cndmask_b32_e64 v17, 1.0, v3, s[2:3]
	v_mul_f32_e32 v5, v5, v16
	v_cndmask_b32_e64 v18, 1.0, v3, s[4:5]
	v_cmp_gt_f32_e64 s[6:7], s6, v8
	v_mul_f32_e32 v4, v4, v17
	v_log_f32_e32 v5, v5
	v_cndmask_b32_e64 v3, 1.0, v3, s[6:7]
	v_mul_f32_e32 v9, v9, v18
	v_log_f32_e32 v4, v4
	v_mul_f32_e32 v3, v8, v3
	v_log_f32_e32 v8, v9
	v_log_f32_e32 v3, v3
	v_mul_f32_e32 v9, 0x3f317217, v5
	v_mul_f32_e32 v19, 0x3f317217, v4
	v_fma_f32 v9, v5, s12, -v9
	v_mul_f32_e32 v20, 0x3f317217, v8
	v_fma_f32 v19, v4, s12, -v19
	v_fmac_f32_e32 v9, 0x3377d1cf, v5
	v_cndmask_b32_e32 v16, 0, v7, vcc
	v_mul_f32_e32 v21, 0x3f317217, v3
	v_fma_f32 v20, v8, s12, -v20
	v_fmac_f32_e32 v19, 0x3377d1cf, v4
	v_fmac_f32_e32 v9, 0x3f317217, v5
	v_cmp_lt_f32_e64 vcc, |v5|, s13
	v_fma_f32 v21, v3, s12, -v21
	v_fmac_f32_e32 v20, 0x3377d1cf, v8
	v_fmac_f32_e32 v19, 0x3f317217, v4
	v_cndmask_b32_e32 v5, v5, v9, vcc
	v_cmp_lt_f32_e64 vcc, |v4|, s13
	v_fmac_f32_e32 v21, 0x3377d1cf, v3
	v_fmac_f32_e32 v20, 0x3f317217, v8
	v_cndmask_b32_e32 v4, v4, v19, vcc
	v_cmp_lt_f32_e64 vcc, |v8|, s13
	v_cndmask_b32_e64 v17, 0, v7, s[2:3]
	v_fmac_f32_e32 v21, 0x3f317217, v3
	v_cndmask_b32_e32 v8, v8, v20, vcc
	v_cmp_lt_f32_e64 vcc, |v3|, s13
	v_sub_f32_e32 v4, v4, v17
	v_sub_f32_e32 v5, v5, v16
	v_cndmask_b32_e32 v3, v3, v21, vcc
	v_cmp_lt_f32_e32 vcc, s9, v12
	v_cndmask_b32_e64 v18, 0, v7, s[4:5]
	v_sub_f32_e32 v8, v8, v18
	v_cndmask_b32_e32 v4, v4, v12, vcc
	v_cmp_lt_f32_e32 vcc, s9, v13
	v_mul_f32_e32 v12, 0x4f800000, v4
	v_cmp_gt_f32_e64 s[2:3], s14, v4
	v_cndmask_b32_e32 v5, v5, v13, vcc
	v_mul_f32_e32 v9, 0x4f800000, v5
	v_cmp_gt_f32_e32 vcc, s14, v5
	v_cndmask_b32_e64 v4, v4, v12, s[2:3]
	v_sqrt_f32_e32 v12, v4
	v_cndmask_b32_e32 v5, v5, v9, vcc
	v_sqrt_f32_e32 v9, v5
	v_add_u32_e32 v17, -1, v12
	v_fma_f32 v21, -v17, v12, v4
	v_add_u32_e32 v13, -1, v9
	v_fma_f32 v19, -v13, v9, v5
	v_add_u32_e32 v16, 1, v9
	v_cmp_ge_f32_e64 s[4:5], 0, v19
	v_add_u32_e32 v18, 1, v12
	v_fma_f32 v20, -v16, v9, v5
	v_cndmask_b32_e64 v9, v9, v13, s[4:5]
	v_cmp_ge_f32_e64 s[4:5], 0, v21
	v_fma_f32 v22, -v18, v12, v4
	s_nop 0
	v_cndmask_b32_e64 v12, v12, v17, s[4:5]
	v_cmp_lt_f32_e64 s[4:5], 0, v20
	s_nop 1
	v_cndmask_b32_e64 v9, v9, v16, s[4:5]
	v_cmp_lt_f32_e64 s[4:5], 0, v22
	v_mul_f32_e32 v13, 0x37800000, v9
	v_cndmask_b32_e32 v9, v9, v13, vcc
	v_cndmask_b32_e64 v12, v12, v18, s[4:5]
	v_mul_f32_e32 v16, 0x37800000, v12
	v_cmp_class_f32_e32 vcc, v5, v11
	v_cndmask_b32_e64 v12, v12, v16, s[2:3]
	v_cmp_lt_f32_e64 s[2:3], s9, v14
	v_cndmask_b32_e32 v13, v9, v5, vcc
	v_cmp_class_f32_e32 vcc, v4, v11
	s_cselect_b64 s[4:5], -1, 0
	s_cmp_lt_i32 s20, 1
	v_cndmask_b32_e32 v12, v12, v4, vcc
	v_cmp_lt_f32_e32 vcc, s9, v15
	v_cndmask_b32_e64 v4, 0, v7, s[6:7]
	v_sub_f32_e32 v3, v3, v4
	v_cndmask_b32_e32 v5, v8, v15, vcc
	v_mul_f32_e32 v7, 0x4f800000, v5
	v_cmp_gt_f32_e32 vcc, s14, v5
	v_cndmask_b32_e64 v3, v3, v14, s[2:3]
	s_nop 0
	v_cndmask_b32_e32 v5, v5, v7, vcc
	v_sqrt_f32_e32 v7, v5
	s_nop 0
	v_add_u32_e32 v4, -1, v7
	v_fma_f32 v8, -v4, v7, v5
	v_cmp_ge_f32_e64 s[2:3], 0, v8
	v_add_u32_e32 v8, 1, v7
	s_nop 0
	v_cndmask_b32_e64 v4, v7, v4, s[2:3]
	v_fma_f32 v7, -v8, v7, v5
	v_cmp_lt_f32_e64 s[2:3], 0, v7
	s_nop 1
	v_cndmask_b32_e64 v4, v4, v8, s[2:3]
	v_mul_f32_e32 v8, 0x4f800000, v3
	v_cmp_gt_f32_e64 s[2:3], s14, v3
	v_mul_f32_e32 v7, 0x37800000, v4
	v_cndmask_b32_e32 v4, v4, v7, vcc
	v_cndmask_b32_e64 v3, v3, v8, s[2:3]
	v_sqrt_f32_e32 v8, v3
	v_cmp_class_f32_e32 vcc, v5, v11
	s_nop 1
	v_cndmask_b32_e32 v15, v4, v5, vcc
	v_add_u32_e32 v4, -1, v8
	v_fma_f32 v5, -v4, v8, v3
	v_cmp_ge_f32_e32 vcc, 0, v5
	v_add_u32_e32 v5, 1, v8
	v_fma_f32 v7, -v5, v8, v3
	v_cndmask_b32_e32 v4, v8, v4, vcc
	v_cmp_lt_f32_e32 vcc, 0, v7
	s_nop 1
	v_cndmask_b32_e32 v4, v4, v5, vcc
	v_mul_f32_e32 v5, 0x37800000, v4
	v_cndmask_b32_e64 v4, v4, v5, s[2:3]
	v_cmp_class_f32_e32 vcc, v3, v11
	s_nop 1
	v_cndmask_b32_e32 v14, v4, v3, vcc
	scratch_store_dwordx4 off, v[12:15], off
	v_lshl_add_u64 v[4:5], v[0:1], 2, s[10:11]
	s_nop 0
	v_mov_b32_e32 v12, v1
	s_cbranch_scc1 .LBB88_29
; %bb.2:
	s_load_dwordx2 s[6:7], s[0:1], 0x20
	s_cmp_lt_u32 s20, 4
	v_and_b32_e32 v11, 31, v6
	s_cbranch_scc1 .LBB88_21
; %bb.3:
	v_lshlrev_b32_e32 v6, 2, v11
	s_mov_b32 s13, 0
	s_and_b32 s8, s20, 0x7ffffffc
	v_ashrrev_i32_e32 v3, 31, v2
	v_sub_u32_e32 v13, 0, v6
	v_mov_b32_e32 v12, 0
	s_mov_b32 s12, s13
	s_branch .LBB88_5
.LBB88_4:                               ;   in Loop: Header=BB88_5 Depth=1
	s_or_b64 exec, exec, s[14:15]
	s_add_i32 s12, s12, 4
	s_cmp_eq_u32 s12, s8
	s_cbranch_scc1 .LBB88_22
.LBB88_5:                               ; =>This Loop Header: Depth=1
                                        ;     Child Loop BB88_7 Depth 2
                                        ;     Child Loop BB88_11 Depth 2
                                        ;     Child Loop BB88_15 Depth 2
                                        ;     Child Loop BB88_19 Depth 2
	v_lshl_add_u64 v[6:7], s[12:13], 2, v[4:5]
	global_load_dword v14, v[6:7], off
	v_add_u32_e32 v8, s12, v2
	v_ashrrev_i32_e32 v9, 31, v8
	v_mov_b32_e32 v15, 0
	s_mov_b64 s[14:15], 0
	s_waitcnt lgkmcnt(0)
	v_lshl_add_u64 v[8:9], v[8:9], 2, s[6:7]
	s_mov_b32 s9, 0
	s_waitcnt vmcnt(0)
	v_add_u32_e32 v16, v13, v14
	s_branch .LBB88_7
.LBB88_6:                               ;   in Loop: Header=BB88_7 Depth=2
	s_or_b64 exec, exec, s[16:17]
	s_add_i32 s18, s9, 1
	s_cmp_gt_u32 s9, 2
	s_cselect_b64 s[2:3], -1, 0
	s_xor_b64 s[16:17], vcc, -1
	s_or_b64 s[2:3], s[16:17], s[2:3]
	s_and_b64 s[2:3], exec, s[2:3]
	v_add_u32_e32 v15, 4, v15
	s_or_b64 s[14:15], s[2:3], s[14:15]
	s_mov_b32 s9, s18
	s_andn2_b64 exec, exec, s[14:15]
	s_cbranch_execz .LBB88_9
.LBB88_7:                               ;   Parent Loop BB88_5 Depth=1
                                        ; =>  This Inner Loop Header: Depth=2
	v_cmp_ne_u32_e32 vcc, s9, v16
	v_cmp_eq_u32_e64 s[2:3], s9, v16
	s_and_saveexec_b64 s[16:17], s[2:3]
	s_cbranch_execz .LBB88_6
; %bb.8:                                ;   in Loop: Header=BB88_7 Depth=2
	scratch_load_dword v17, v15, off
	s_waitcnt vmcnt(0)
	v_add_f32_e32 v12, v12, v17
	global_store_dword v[8:9], v14, off
	s_branch .LBB88_6
.LBB88_9:                               ;   in Loop: Header=BB88_5 Depth=1
	s_or_b64 exec, exec, s[14:15]
	global_load_dword v14, v[6:7], off offset:4
	s_ashr_i32 s3, s12, 31
	s_mov_b32 s2, s12
	v_lshl_add_u64 v[8:9], s[2:3], 0, v[2:3]
	v_mov_b32_e32 v15, 0
	s_mov_b32 s9, 0
	v_lshl_add_u64 v[8:9], v[8:9], 2, s[6:7]
	s_mov_b64 s[14:15], 0
	s_waitcnt vmcnt(0)
	v_add_u32_e32 v16, v13, v14
	s_branch .LBB88_11
.LBB88_10:                              ;   in Loop: Header=BB88_11 Depth=2
	s_or_b64 exec, exec, s[16:17]
	s_add_i32 s18, s9, 1
	s_cmp_gt_u32 s9, 2
	s_cselect_b64 s[2:3], -1, 0
	s_xor_b64 s[16:17], vcc, -1
	s_or_b64 s[2:3], s[16:17], s[2:3]
	s_and_b64 s[2:3], exec, s[2:3]
	v_add_u32_e32 v15, 4, v15
	s_or_b64 s[14:15], s[2:3], s[14:15]
	s_mov_b32 s9, s18
	s_andn2_b64 exec, exec, s[14:15]
	s_cbranch_execz .LBB88_13
.LBB88_11:                              ;   Parent Loop BB88_5 Depth=1
                                        ; =>  This Inner Loop Header: Depth=2
	v_cmp_ne_u32_e32 vcc, s9, v16
	v_cmp_eq_u32_e64 s[2:3], s9, v16
	s_and_saveexec_b64 s[16:17], s[2:3]
	s_cbranch_execz .LBB88_10
; %bb.12:                               ;   in Loop: Header=BB88_11 Depth=2
	scratch_load_dword v17, v15, off
	s_waitcnt vmcnt(0)
	v_add_f32_e32 v12, v12, v17
	global_store_dword v[8:9], v14, off offset:4
	s_branch .LBB88_10
.LBB88_13:                              ;   in Loop: Header=BB88_5 Depth=1
	s_or_b64 exec, exec, s[14:15]
	global_load_dword v14, v[6:7], off offset:8
	v_mov_b32_e32 v15, 0
	s_mov_b32 s9, 0
	s_mov_b64 s[14:15], 0
	s_waitcnt vmcnt(0)
	v_add_u32_e32 v16, v13, v14
	s_branch .LBB88_15
.LBB88_14:                              ;   in Loop: Header=BB88_15 Depth=2
	s_or_b64 exec, exec, s[16:17]
	s_add_i32 s18, s9, 1
	s_cmp_gt_u32 s9, 2
	s_cselect_b64 s[2:3], -1, 0
	s_xor_b64 s[16:17], vcc, -1
	s_or_b64 s[2:3], s[16:17], s[2:3]
	s_and_b64 s[2:3], exec, s[2:3]
	v_add_u32_e32 v15, 4, v15
	s_or_b64 s[14:15], s[2:3], s[14:15]
	s_mov_b32 s9, s18
	s_andn2_b64 exec, exec, s[14:15]
	s_cbranch_execz .LBB88_17
.LBB88_15:                              ;   Parent Loop BB88_5 Depth=1
                                        ; =>  This Inner Loop Header: Depth=2
	v_cmp_ne_u32_e32 vcc, s9, v16
	v_cmp_eq_u32_e64 s[2:3], s9, v16
	s_and_saveexec_b64 s[16:17], s[2:3]
	s_cbranch_execz .LBB88_14
; %bb.16:                               ;   in Loop: Header=BB88_15 Depth=2
	scratch_load_dword v17, v15, off
	s_waitcnt vmcnt(0)
	v_add_f32_e32 v12, v12, v17
	global_store_dword v[8:9], v14, off offset:8
	s_branch .LBB88_14
.LBB88_17:                              ;   in Loop: Header=BB88_5 Depth=1
	s_or_b64 exec, exec, s[14:15]
	global_load_dword v6, v[6:7], off offset:12
	v_mov_b32_e32 v7, 0
	s_mov_b32 s9, 0
	s_mov_b64 s[14:15], 0
	s_waitcnt vmcnt(0)
	v_add_u32_e32 v14, v13, v6
	s_branch .LBB88_19
.LBB88_18:                              ;   in Loop: Header=BB88_19 Depth=2
	s_or_b64 exec, exec, s[16:17]
	s_add_i32 s18, s9, 1
	s_cmp_gt_u32 s9, 2
	s_cselect_b64 s[2:3], -1, 0
	s_xor_b64 s[16:17], vcc, -1
	s_or_b64 s[2:3], s[16:17], s[2:3]
	s_and_b64 s[2:3], exec, s[2:3]
	v_add_u32_e32 v7, 4, v7
	s_or_b64 s[14:15], s[2:3], s[14:15]
	s_mov_b32 s9, s18
	s_andn2_b64 exec, exec, s[14:15]
	s_cbranch_execz .LBB88_4
.LBB88_19:                              ;   Parent Loop BB88_5 Depth=1
                                        ; =>  This Inner Loop Header: Depth=2
	v_cmp_ne_u32_e32 vcc, s9, v14
	v_cmp_eq_u32_e64 s[2:3], s9, v14
	s_and_saveexec_b64 s[16:17], s[2:3]
	s_cbranch_execz .LBB88_18
; %bb.20:                               ;   in Loop: Header=BB88_19 Depth=2
	scratch_load_dword v15, v7, off
	s_waitcnt vmcnt(0)
	v_add_f32_e32 v12, v12, v15
	global_store_dword v[8:9], v6, off offset:12
	s_branch .LBB88_18
.LBB88_21:
	v_mov_b32_e32 v12, 0
.LBB88_22:
	s_and_b32 s16, s20, 3
	s_cmp_eq_u32 s16, 0
	s_mov_b32 s9, 0
	s_cbranch_scc1 .LBB88_29
; %bb.23:
	v_lshlrev_b32_e32 v3, 2, v11
	v_sub_u32_e32 v3, 0, v3
	s_mov_b32 s17, s9
	s_branch .LBB88_25
.LBB88_24:                              ;   in Loop: Header=BB88_25 Depth=1
	s_or_b64 exec, exec, s[12:13]
	s_add_i32 s8, s8, 1
	s_add_i32 s17, s17, 1
	s_cmp_lg_u32 s17, s16
	s_cbranch_scc0 .LBB88_29
.LBB88_25:                              ; =>This Loop Header: Depth=1
                                        ;     Child Loop BB88_27 Depth 2
	v_lshl_add_u64 v[6:7], s[8:9], 2, v[4:5]
	global_load_dword v8, v[6:7], off
	v_add_u32_e32 v6, s8, v2
	v_ashrrev_i32_e32 v7, 31, v6
	v_mov_b32_e32 v9, 0
	s_mov_b32 s18, 0
	s_waitcnt lgkmcnt(0)
	v_lshl_add_u64 v[6:7], v[6:7], 2, s[6:7]
	s_mov_b64 s[12:13], 0
	s_waitcnt vmcnt(0)
	v_add_u32_e32 v11, v3, v8
	s_branch .LBB88_27
.LBB88_26:                              ;   in Loop: Header=BB88_27 Depth=2
	s_or_b64 exec, exec, s[14:15]
	s_add_i32 s19, s18, 1
	s_cmp_gt_u32 s18, 2
	s_cselect_b64 s[2:3], -1, 0
	s_xor_b64 s[14:15], vcc, -1
	s_or_b64 s[2:3], s[14:15], s[2:3]
	s_and_b64 s[2:3], exec, s[2:3]
	v_add_u32_e32 v9, 4, v9
	s_or_b64 s[12:13], s[2:3], s[12:13]
	s_mov_b32 s18, s19
	s_andn2_b64 exec, exec, s[12:13]
	s_cbranch_execz .LBB88_24
.LBB88_27:                              ;   Parent Loop BB88_25 Depth=1
                                        ; =>  This Inner Loop Header: Depth=2
	v_cmp_ne_u32_e32 vcc, s18, v11
	v_cmp_eq_u32_e64 s[2:3], s18, v11
	s_and_saveexec_b64 s[14:15], s[2:3]
	s_cbranch_execz .LBB88_26
; %bb.28:                               ;   in Loop: Header=BB88_27 Depth=2
	scratch_load_dword v13, v9, off
	s_waitcnt vmcnt(0)
	v_add_f32_e32 v12, v12, v13
	global_store_dword v[6:7], v8, off
	s_branch .LBB88_26
.LBB88_29:
	s_waitcnt lgkmcnt(0)
	s_load_dword s6, s[0:1], 0x3c
	s_waitcnt lgkmcnt(0)
	s_bitcmp1_b32 s6, 0
	s_cselect_b64 s[2:3], -1, 0
	s_bitcmp0_b32 s6, 0
	s_cbranch_scc0 .LBB88_32
; %bb.30:
	s_load_dwordx2 s[6:7], s[0:1], 0x40
	s_andn2_b64 vcc, exec, s[2:3]
	s_waitcnt lgkmcnt(0)
	v_cvt_f32_f64_e32 v11, s[6:7]
	s_cbranch_vccz .LBB88_33
.LBB88_31:
	s_andn2_b64 vcc, exec, s[4:5]
	s_cbranch_vccz .LBB88_34
	s_branch .LBB88_80
.LBB88_32:
	v_mbcnt_lo_u32_b32 v3, -1, 0
	v_mbcnt_hi_u32_b32 v3, -1, v3
	v_and_b32_e32 v6, 0x60, v3
	v_add_u32_e32 v6, 32, v6
	v_xor_b32_e32 v7, 16, v3
	v_cmp_lt_i32_e32 vcc, v7, v6
	v_xor_b32_e32 v8, 8, v3
	v_xor_b32_e32 v9, 4, v3
	v_cndmask_b32_e32 v7, v3, v7, vcc
	v_lshlrev_b32_e32 v7, 2, v7
	ds_bpermute_b32 v7, v7, v12
	v_cmp_lt_i32_e32 vcc, v8, v6
	s_waitcnt lgkmcnt(0)
	v_add_f32_e32 v7, v12, v7
	v_cndmask_b32_e32 v8, v3, v8, vcc
	v_lshlrev_b32_e32 v8, 2, v8
	ds_bpermute_b32 v8, v8, v7
	v_cmp_lt_i32_e32 vcc, v9, v6
	s_waitcnt lgkmcnt(0)
	v_add_f32_e32 v7, v7, v8
	v_cndmask_b32_e32 v8, v3, v9, vcc
	v_lshlrev_b32_e32 v8, 2, v8
	ds_bpermute_b32 v8, v8, v7
	v_xor_b32_e32 v9, 2, v3
	v_cmp_lt_i32_e32 vcc, v9, v6
	s_waitcnt lgkmcnt(0)
	v_add_f32_e32 v7, v7, v8
	v_cndmask_b32_e32 v8, v3, v9, vcc
	v_lshlrev_b32_e32 v8, 2, v8
	ds_bpermute_b32 v8, v8, v7
	v_xor_b32_e32 v9, 1, v3
	v_cmp_lt_i32_e32 vcc, v9, v6
	s_waitcnt lgkmcnt(0)
	v_add_f32_e32 v7, v7, v8
	v_cndmask_b32_e32 v3, v3, v9, vcc
	v_lshlrev_b32_e32 v3, 2, v3
	ds_bpermute_b32 v3, v3, v7
	s_waitcnt lgkmcnt(0)
	v_add_f32_e32 v12, v7, v3
	s_load_dwordx2 s[6:7], s[0:1], 0x40
	s_andn2_b64 vcc, exec, s[2:3]
	s_waitcnt lgkmcnt(0)
	v_cvt_f32_f64_e32 v11, s[6:7]
	s_cbranch_vccnz .LBB88_31
.LBB88_33:
	v_cmp_lt_f32_e32 vcc, 0, v12
	s_nop 1
	v_cndmask_b32_e32 v3, 1.0, v12, vcc
	v_div_scale_f32 v6, s[2:3], v3, v3, v11
	v_rcp_f32_e32 v7, v6
	s_nop 0
	v_fma_f32 v8, -v6, v7, 1.0
	v_fmac_f32_e32 v7, v8, v7
	v_div_scale_f32 v8, vcc, v11, v3, v11
	v_mul_f32_e32 v9, v8, v7
	v_fma_f32 v12, -v6, v9, v8
	v_fmac_f32_e32 v9, v12, v7
	v_fma_f32 v6, -v6, v9, v8
	v_div_fmas_f32 v6, v6, v7, v9
	v_div_fixup_f32 v11, v6, v3, v11
	s_andn2_b64 vcc, exec, s[4:5]
	s_cbranch_vccnz .LBB88_80
.LBB88_34:
	s_load_dwordx2 s[4:5], s[0:1], 0x10
	v_mov_b32_e32 v3, 0
	v_or_b32_e32 v12, 4, v3
	v_or_b32_e32 v13, 8, v3
	;; [unrolled: 1-line block ×6, first 2 shown]
	s_cmp_lt_u32 s20, 4
	s_mov_b32 s6, 0
	s_cbranch_scc1 .LBB88_69
; %bb.35:
	v_ashrrev_i32_e32 v3, 31, v2
	s_and_b32 s6, s20, 0x7ffffffc
	s_waitcnt lgkmcnt(0)
	v_lshl_add_u64 v[6:7], v[2:3], 2, s[4:5]
	s_mov_b32 s7, 0
	s_mov_b64 s[8:9], 0
	s_branch .LBB88_37
.LBB88_36:                              ;   in Loop: Header=BB88_37 Depth=1
	s_or_b64 exec, exec, s[2:3]
	s_add_i32 s7, s7, 4
	s_add_u32 s8, s8, 16
	s_addc_u32 s9, s9, 0
	s_cmp_eq_u32 s6, s7
	s_cbranch_scc1 .LBB88_69
.LBB88_37:                              ; =>This Inner Loop Header: Depth=1
	v_lshl_add_u64 v[8:9], v[4:5], 0, s[8:9]
	global_load_dword v18, v[8:9], off
	v_mov_b32_e32 v3, 0
	s_waitcnt vmcnt(0)
	v_cmp_eq_u32_e32 vcc, v18, v10
	v_cmp_ne_u32_e64 s[0:1], v18, v10
	s_and_saveexec_b64 s[12:13], s[0:1]
	s_cbranch_execz .LBB88_43
; %bb.38:                               ;   in Loop: Header=BB88_37 Depth=1
	v_cmp_eq_u32_e64 s[0:1], v18, v15
	v_cmp_ne_u32_e64 s[2:3], v18, v15
	v_mov_b32_e32 v3, v12
	s_and_saveexec_b64 s[14:15], s[2:3]
	s_cbranch_execz .LBB88_42
; %bb.39:                               ;   in Loop: Header=BB88_37 Depth=1
	v_cmp_eq_u32_e64 s[16:17], v18, v16
	v_cmp_ne_u32_e64 s[2:3], v18, v16
	v_mov_b32_e32 v3, v13
	s_and_saveexec_b64 s[18:19], s[2:3]
	s_xor_b64 s[18:19], exec, s[18:19]
; %bb.40:                               ;   in Loop: Header=BB88_37 Depth=1
	v_cmp_eq_u32_e64 s[2:3], v18, v17
	s_andn2_b64 s[16:17], s[16:17], exec
	s_and_b64 s[2:3], s[2:3], exec
	s_or_b64 s[16:17], s[16:17], s[2:3]
	v_mov_b32_e32 v3, v14
; %bb.41:                               ;   in Loop: Header=BB88_37 Depth=1
	s_or_b64 exec, exec, s[18:19]
	s_andn2_b64 s[0:1], s[0:1], exec
	s_and_b64 s[2:3], s[16:17], exec
	s_or_b64 s[0:1], s[0:1], s[2:3]
.LBB88_42:                              ;   in Loop: Header=BB88_37 Depth=1
	s_or_b64 exec, exec, s[14:15]
	s_andn2_b64 s[2:3], vcc, exec
	s_and_b64 s[0:1], s[0:1], exec
	s_or_b64 vcc, s[2:3], s[0:1]
.LBB88_43:                              ;   in Loop: Header=BB88_37 Depth=1
	s_or_b64 exec, exec, s[12:13]
	s_and_saveexec_b64 s[0:1], vcc
	s_cbranch_execz .LBB88_45
; %bb.44:                               ;   in Loop: Header=BB88_37 Depth=1
	scratch_load_dword v3, v3, off
	v_add_u32_e32 v18, s7, v2
	v_ashrrev_i32_e32 v19, 31, v18
	v_lshl_add_u64 v[18:19], v[18:19], 2, s[4:5]
	s_waitcnt vmcnt(0)
	v_mul_f32_e32 v3, v11, v3
	global_store_dword v[18:19], v3, off
.LBB88_45:                              ;   in Loop: Header=BB88_37 Depth=1
	s_or_b64 exec, exec, s[0:1]
	global_load_dword v18, v[8:9], off offset:4
	v_mov_b32_e32 v3, 0
	s_waitcnt vmcnt(0)
	v_cmp_eq_u32_e64 s[0:1], v18, v10
	v_cmp_ne_u32_e32 vcc, v18, v10
	s_and_saveexec_b64 s[2:3], vcc
	s_cbranch_execz .LBB88_51
; %bb.46:                               ;   in Loop: Header=BB88_37 Depth=1
	v_cmp_eq_u32_e64 s[12:13], v18, v15
	v_cmp_ne_u32_e32 vcc, v18, v15
	v_mov_b32_e32 v3, v12
	s_and_saveexec_b64 s[14:15], vcc
	s_cbranch_execz .LBB88_50
; %bb.47:                               ;   in Loop: Header=BB88_37 Depth=1
	v_cmp_eq_u32_e64 s[16:17], v18, v16
	v_cmp_ne_u32_e32 vcc, v18, v16
	v_mov_b32_e32 v3, v13
	s_and_saveexec_b64 s[18:19], vcc
; %bb.48:                               ;   in Loop: Header=BB88_37 Depth=1
	v_cmp_eq_u32_e32 vcc, v18, v17
	s_andn2_b64 s[16:17], s[16:17], exec
	s_and_b64 s[22:23], vcc, exec
	s_or_b64 s[16:17], s[16:17], s[22:23]
	v_mov_b32_e32 v3, v14
; %bb.49:                               ;   in Loop: Header=BB88_37 Depth=1
	s_or_b64 exec, exec, s[18:19]
	s_andn2_b64 s[12:13], s[12:13], exec
	s_and_b64 s[16:17], s[16:17], exec
	s_or_b64 s[12:13], s[12:13], s[16:17]
.LBB88_50:                              ;   in Loop: Header=BB88_37 Depth=1
	s_or_b64 exec, exec, s[14:15]
	s_andn2_b64 s[0:1], s[0:1], exec
	s_and_b64 s[12:13], s[12:13], exec
	s_or_b64 s[0:1], s[0:1], s[12:13]
.LBB88_51:                              ;   in Loop: Header=BB88_37 Depth=1
	s_or_b64 exec, exec, s[2:3]
	s_and_saveexec_b64 s[2:3], s[0:1]
	s_cbranch_execz .LBB88_53
; %bb.52:                               ;   in Loop: Header=BB88_37 Depth=1
	scratch_load_dword v3, v3, off
	v_lshl_add_u64 v[18:19], v[6:7], 0, s[8:9]
	s_waitcnt vmcnt(0)
	v_mul_f32_e32 v3, v11, v3
	global_store_dword v[18:19], v3, off offset:4
.LBB88_53:                              ;   in Loop: Header=BB88_37 Depth=1
	s_or_b64 exec, exec, s[2:3]
	global_load_dword v18, v[8:9], off offset:8
	v_mov_b32_e32 v3, 0
	s_waitcnt vmcnt(0)
	v_cmp_eq_u32_e64 s[0:1], v18, v10
	v_cmp_ne_u32_e32 vcc, v18, v10
	s_and_saveexec_b64 s[2:3], vcc
	s_cbranch_execz .LBB88_59
; %bb.54:                               ;   in Loop: Header=BB88_37 Depth=1
	v_cmp_eq_u32_e64 s[12:13], v18, v15
	v_cmp_ne_u32_e32 vcc, v18, v15
	v_mov_b32_e32 v3, v12
	s_and_saveexec_b64 s[14:15], vcc
	s_cbranch_execz .LBB88_58
; %bb.55:                               ;   in Loop: Header=BB88_37 Depth=1
	v_cmp_eq_u32_e64 s[16:17], v18, v16
	v_cmp_ne_u32_e32 vcc, v18, v16
	v_mov_b32_e32 v3, v13
	s_and_saveexec_b64 s[18:19], vcc
; %bb.56:                               ;   in Loop: Header=BB88_37 Depth=1
	v_cmp_eq_u32_e32 vcc, v18, v17
	s_andn2_b64 s[16:17], s[16:17], exec
	s_and_b64 s[22:23], vcc, exec
	s_or_b64 s[16:17], s[16:17], s[22:23]
	v_mov_b32_e32 v3, v14
; %bb.57:                               ;   in Loop: Header=BB88_37 Depth=1
	s_or_b64 exec, exec, s[18:19]
	s_andn2_b64 s[12:13], s[12:13], exec
	s_and_b64 s[16:17], s[16:17], exec
	s_or_b64 s[12:13], s[12:13], s[16:17]
.LBB88_58:                              ;   in Loop: Header=BB88_37 Depth=1
	s_or_b64 exec, exec, s[14:15]
	s_andn2_b64 s[0:1], s[0:1], exec
	s_and_b64 s[12:13], s[12:13], exec
	s_or_b64 s[0:1], s[0:1], s[12:13]
.LBB88_59:                              ;   in Loop: Header=BB88_37 Depth=1
	s_or_b64 exec, exec, s[2:3]
	s_and_saveexec_b64 s[2:3], s[0:1]
	s_cbranch_execz .LBB88_61
; %bb.60:                               ;   in Loop: Header=BB88_37 Depth=1
	scratch_load_dword v3, v3, off
	v_lshl_add_u64 v[18:19], v[6:7], 0, s[8:9]
	s_waitcnt vmcnt(0)
	v_mul_f32_e32 v3, v11, v3
	global_store_dword v[18:19], v3, off offset:8
.LBB88_61:                              ;   in Loop: Header=BB88_37 Depth=1
	s_or_b64 exec, exec, s[2:3]
	global_load_dword v8, v[8:9], off offset:12
	v_mov_b32_e32 v3, 0
	s_waitcnt vmcnt(0)
	v_cmp_eq_u32_e64 s[0:1], v8, v10
	v_cmp_ne_u32_e32 vcc, v8, v10
	s_and_saveexec_b64 s[2:3], vcc
	s_cbranch_execz .LBB88_67
; %bb.62:                               ;   in Loop: Header=BB88_37 Depth=1
	v_cmp_eq_u32_e64 s[12:13], v8, v15
	v_cmp_ne_u32_e32 vcc, v8, v15
	v_mov_b32_e32 v3, v12
	s_and_saveexec_b64 s[14:15], vcc
	s_cbranch_execz .LBB88_66
; %bb.63:                               ;   in Loop: Header=BB88_37 Depth=1
	v_cmp_eq_u32_e64 s[16:17], v8, v16
	v_cmp_ne_u32_e32 vcc, v8, v16
	v_mov_b32_e32 v3, v13
	s_and_saveexec_b64 s[18:19], vcc
; %bb.64:                               ;   in Loop: Header=BB88_37 Depth=1
	v_cmp_eq_u32_e32 vcc, v8, v17
	s_andn2_b64 s[16:17], s[16:17], exec
	s_and_b64 s[22:23], vcc, exec
	s_or_b64 s[16:17], s[16:17], s[22:23]
	v_mov_b32_e32 v3, v14
; %bb.65:                               ;   in Loop: Header=BB88_37 Depth=1
	s_or_b64 exec, exec, s[18:19]
	s_andn2_b64 s[12:13], s[12:13], exec
	s_and_b64 s[16:17], s[16:17], exec
	s_or_b64 s[12:13], s[12:13], s[16:17]
.LBB88_66:                              ;   in Loop: Header=BB88_37 Depth=1
	s_or_b64 exec, exec, s[14:15]
	s_andn2_b64 s[0:1], s[0:1], exec
	s_and_b64 s[12:13], s[12:13], exec
	s_or_b64 s[0:1], s[0:1], s[12:13]
.LBB88_67:                              ;   in Loop: Header=BB88_37 Depth=1
	s_or_b64 exec, exec, s[2:3]
	s_and_saveexec_b64 s[2:3], s[0:1]
	s_cbranch_execz .LBB88_36
; %bb.68:                               ;   in Loop: Header=BB88_37 Depth=1
	scratch_load_dword v3, v3, off
	v_lshl_add_u64 v[8:9], v[6:7], 0, s[8:9]
	s_waitcnt vmcnt(0)
	v_mul_f32_e32 v3, v11, v3
	global_store_dword v[8:9], v3, off offset:12
	s_branch .LBB88_36
.LBB88_69:
	s_and_b32 s14, s20, 3
	s_cmp_eq_u32 s14, 0
	s_mov_b32 s7, 0
	s_cbranch_scc1 .LBB88_80
; %bb.70:
	s_lshl_b64 s[0:1], s[6:7], 2
	s_add_u32 s0, s10, s0
	s_addc_u32 s1, s11, s1
	v_add_u32_e32 v2, s6, v2
	v_lshl_add_u64 v[0:1], v[0:1], 2, s[0:1]
	s_branch .LBB88_72
.LBB88_71:                              ;   in Loop: Header=BB88_72 Depth=1
	s_or_b64 exec, exec, s[2:3]
	s_add_i32 s14, s14, -1
	v_add_u32_e32 v2, 1, v2
	s_cmp_lg_u32 s14, 0
	v_lshl_add_u64 v[0:1], v[0:1], 0, 4
	s_cbranch_scc0 .LBB88_80
.LBB88_72:                              ; =>This Inner Loop Header: Depth=1
	global_load_dword v4, v[0:1], off
	v_mov_b32_e32 v3, 0
	s_waitcnt vmcnt(0)
	v_cmp_eq_u32_e64 s[0:1], v4, v10
	v_cmp_ne_u32_e32 vcc, v4, v10
	s_and_saveexec_b64 s[2:3], vcc
	s_cbranch_execz .LBB88_78
; %bb.73:                               ;   in Loop: Header=BB88_72 Depth=1
	v_cmp_eq_u32_e64 s[6:7], v4, v15
	v_cmp_ne_u32_e32 vcc, v4, v15
	v_mov_b32_e32 v3, v12
	s_and_saveexec_b64 s[8:9], vcc
	s_cbranch_execz .LBB88_77
; %bb.74:                               ;   in Loop: Header=BB88_72 Depth=1
	v_cmp_eq_u32_e64 s[10:11], v4, v16
	v_cmp_ne_u32_e32 vcc, v4, v16
	v_mov_b32_e32 v3, v13
	s_and_saveexec_b64 s[12:13], vcc
; %bb.75:                               ;   in Loop: Header=BB88_72 Depth=1
	v_cmp_eq_u32_e32 vcc, v4, v17
	s_andn2_b64 s[10:11], s[10:11], exec
	s_and_b64 s[16:17], vcc, exec
	s_or_b64 s[10:11], s[10:11], s[16:17]
	v_mov_b32_e32 v3, v14
; %bb.76:                               ;   in Loop: Header=BB88_72 Depth=1
	s_or_b64 exec, exec, s[12:13]
	s_andn2_b64 s[6:7], s[6:7], exec
	s_and_b64 s[10:11], s[10:11], exec
	s_or_b64 s[6:7], s[6:7], s[10:11]
.LBB88_77:                              ;   in Loop: Header=BB88_72 Depth=1
	s_or_b64 exec, exec, s[8:9]
	s_andn2_b64 s[0:1], s[0:1], exec
	s_and_b64 s[6:7], s[6:7], exec
	s_or_b64 s[0:1], s[0:1], s[6:7]
.LBB88_78:                              ;   in Loop: Header=BB88_72 Depth=1
	s_or_b64 exec, exec, s[2:3]
	s_and_saveexec_b64 s[2:3], s[0:1]
	s_cbranch_execz .LBB88_71
; %bb.79:                               ;   in Loop: Header=BB88_72 Depth=1
	scratch_load_dword v4, v3, off
	v_ashrrev_i32_e32 v3, 31, v2
	s_waitcnt vmcnt(0)
	v_mul_f32_e32 v6, v11, v4
	s_waitcnt lgkmcnt(0)
	v_lshl_add_u64 v[4:5], v[2:3], 2, s[4:5]
	global_store_dword v[4:5], v6, off
	s_branch .LBB88_71
.LBB88_80:
	s_endpgm
	.section	.rodata,"a",@progbits
	.p2align	6, 0x0
	.amdhsa_kernel _ZN4vllm3moe22topkGatingSoftplusSqrtILi4ELi128ELi4ELi16ELi64ELb1EjfEEvPKT6_PKbPfiPT5_PiiiibdPKfPKS8_SE_
		.amdhsa_group_segment_fixed_size 0
		.amdhsa_private_segment_fixed_size 32
		.amdhsa_kernarg_size 96
		.amdhsa_user_sgpr_count 2
		.amdhsa_user_sgpr_dispatch_ptr 0
		.amdhsa_user_sgpr_queue_ptr 0
		.amdhsa_user_sgpr_kernarg_segment_ptr 1
		.amdhsa_user_sgpr_dispatch_id 0
		.amdhsa_user_sgpr_kernarg_preload_length 0
		.amdhsa_user_sgpr_kernarg_preload_offset 0
		.amdhsa_user_sgpr_private_segment_size 0
		.amdhsa_uses_dynamic_stack 0
		.amdhsa_enable_private_segment 1
		.amdhsa_system_sgpr_workgroup_id_x 1
		.amdhsa_system_sgpr_workgroup_id_y 0
		.amdhsa_system_sgpr_workgroup_id_z 0
		.amdhsa_system_sgpr_workgroup_info 0
		.amdhsa_system_vgpr_workitem_id 1
		.amdhsa_next_free_vgpr 23
		.amdhsa_next_free_sgpr 24
		.amdhsa_accum_offset 24
		.amdhsa_reserve_vcc 1
		.amdhsa_float_round_mode_32 0
		.amdhsa_float_round_mode_16_64 0
		.amdhsa_float_denorm_mode_32 3
		.amdhsa_float_denorm_mode_16_64 3
		.amdhsa_dx10_clamp 1
		.amdhsa_ieee_mode 1
		.amdhsa_fp16_overflow 0
		.amdhsa_tg_split 0
		.amdhsa_exception_fp_ieee_invalid_op 0
		.amdhsa_exception_fp_denorm_src 0
		.amdhsa_exception_fp_ieee_div_zero 0
		.amdhsa_exception_fp_ieee_overflow 0
		.amdhsa_exception_fp_ieee_underflow 0
		.amdhsa_exception_fp_ieee_inexact 0
		.amdhsa_exception_int_div_zero 0
	.end_amdhsa_kernel
	.section	.text._ZN4vllm3moe22topkGatingSoftplusSqrtILi4ELi128ELi4ELi16ELi64ELb1EjfEEvPKT6_PKbPfiPT5_PiiiibdPKfPKS8_SE_,"axG",@progbits,_ZN4vllm3moe22topkGatingSoftplusSqrtILi4ELi128ELi4ELi16ELi64ELb1EjfEEvPKT6_PKbPfiPT5_PiiiibdPKfPKS8_SE_,comdat
.Lfunc_end88:
	.size	_ZN4vllm3moe22topkGatingSoftplusSqrtILi4ELi128ELi4ELi16ELi64ELb1EjfEEvPKT6_PKbPfiPT5_PiiiibdPKfPKS8_SE_, .Lfunc_end88-_ZN4vllm3moe22topkGatingSoftplusSqrtILi4ELi128ELi4ELi16ELi64ELb1EjfEEvPKT6_PKbPfiPT5_PiiiibdPKfPKS8_SE_
                                        ; -- End function
	.section	.AMDGPU.csdata,"",@progbits
; Kernel info:
; codeLenInByte = 3504
; NumSgprs: 30
; NumVgprs: 23
; NumAgprs: 0
; TotalNumVgprs: 23
; ScratchSize: 32
; MemoryBound: 0
; FloatMode: 240
; IeeeMode: 1
; LDSByteSize: 0 bytes/workgroup (compile time only)
; SGPRBlocks: 3
; VGPRBlocks: 2
; NumSGPRsForWavesPerEU: 30
; NumVGPRsForWavesPerEU: 23
; AccumOffset: 24
; Occupancy: 8
; WaveLimiterHint : 1
; COMPUTE_PGM_RSRC2:SCRATCH_EN: 1
; COMPUTE_PGM_RSRC2:USER_SGPR: 2
; COMPUTE_PGM_RSRC2:TRAP_HANDLER: 0
; COMPUTE_PGM_RSRC2:TGID_X_EN: 1
; COMPUTE_PGM_RSRC2:TGID_Y_EN: 0
; COMPUTE_PGM_RSRC2:TGID_Z_EN: 0
; COMPUTE_PGM_RSRC2:TIDIG_COMP_CNT: 1
; COMPUTE_PGM_RSRC3_GFX90A:ACCUM_OFFSET: 5
; COMPUTE_PGM_RSRC3_GFX90A:TG_SPLIT: 0
	.section	.text._ZN4vllm3moe22topkGatingSoftplusSqrtILi4ELi128ELi4ELi16ELi64ELb0EjfEEvPKT6_PKbPfiPT5_PiiiibdPKfPKS8_SE_,"axG",@progbits,_ZN4vllm3moe22topkGatingSoftplusSqrtILi4ELi128ELi4ELi16ELi64ELb0EjfEEvPKT6_PKbPfiPT5_PiiiibdPKfPKS8_SE_,comdat
	.protected	_ZN4vllm3moe22topkGatingSoftplusSqrtILi4ELi128ELi4ELi16ELi64ELb0EjfEEvPKT6_PKbPfiPT5_PiiiibdPKfPKS8_SE_ ; -- Begin function _ZN4vllm3moe22topkGatingSoftplusSqrtILi4ELi128ELi4ELi16ELi64ELb0EjfEEvPKT6_PKbPfiPT5_PiiiibdPKfPKS8_SE_
	.globl	_ZN4vllm3moe22topkGatingSoftplusSqrtILi4ELi128ELi4ELi16ELi64ELb0EjfEEvPKT6_PKbPfiPT5_PiiiibdPKfPKS8_SE_
	.p2align	8
	.type	_ZN4vllm3moe22topkGatingSoftplusSqrtILi4ELi128ELi4ELi16ELi64ELb0EjfEEvPKT6_PKbPfiPT5_PiiiibdPKfPKS8_SE_,@function
_ZN4vllm3moe22topkGatingSoftplusSqrtILi4ELi128ELi4ELi16ELi64ELb0EjfEEvPKT6_PKbPfiPT5_PiiiibdPKfPKS8_SE_: ; @_ZN4vllm3moe22topkGatingSoftplusSqrtILi4ELi128ELi4ELi16ELi64ELb0EjfEEvPKT6_PKbPfiPT5_PiiiibdPKfPKS8_SE_
; %bb.0:
	s_load_dword s30, s[2:3], 0x18
	v_and_b32_e32 v1, 0x3ff, v0
	v_bfe_u32 v4, v0, 10, 10
	s_lshl_b32 s4, s4, 3
	v_lshlrev_b32_e32 v2, 1, v4
	v_lshrrev_b32_e32 v3, 5, v1
	v_add3_u32 v2, s4, v2, v3
	s_waitcnt lgkmcnt(0)
	v_cmp_gt_i32_e32 vcc, s30, v2
	s_and_saveexec_b64 s[4:5], vcc
	s_cbranch_execz .LBB89_55
; %bb.1:
	s_load_dwordx4 s[4:7], s[2:3], 0x0
	s_load_dwordx2 s[20:21], s[2:3], 0x10
	s_waitcnt lgkmcnt(0)
	s_cmp_eq_u64 s[6:7], 0
	s_cbranch_scc1 .LBB89_3
; %bb.2:
	v_ashrrev_i32_e32 v3, 31, v2
	v_lshl_add_u64 v[6:7], s[6:7], 0, v[2:3]
	global_load_ubyte v3, v[6:7], off
	s_waitcnt vmcnt(0)
	v_and_b32_e32 v3, 1, v3
	v_cmp_eq_u32_e32 vcc, 1, v3
	s_xor_b64 s[6:7], vcc, -1
	s_orn2_b64 s[22:23], s[6:7], exec
	s_branch .LBB89_4
.LBB89_3:
	s_mov_b64 s[22:23], -1
.LBB89_4:
	v_lshlrev_b32_e32 v8, 7, v2
	v_mov_b32_e32 v6, s4
	v_mov_b32_e32 v7, s5
	v_ashrrev_i32_e32 v9, 31, v8
	v_and_b32_e32 v3, 31, v1
	v_lshl_add_u64 v[6:7], v[8:9], 2, v[6:7]
	v_mov_b32_e32 v9, 0
	v_lshlrev_b32_e32 v8, 4, v3
	v_lshl_add_u64 v[6:7], v[6:7], 0, v[8:9]
	global_load_dwordx4 v[6:9], v[6:7], off
	s_load_dwordx2 s[4:5], s[0:1], 0x4
	s_load_dwordx4 s[8:11], s[2:3], 0x40
	v_bfe_u32 v0, v0, 20, 10
	s_mov_b32 s16, 0x800000
	s_mov_b32 s13, 0x3f317217
	s_waitcnt lgkmcnt(0)
	s_lshr_b32 s0, s4, 16
	s_mul_i32 s0, s0, s5
	v_mul_lo_u32 v1, s0, v1
	v_mad_u32_u24 v1, v4, s5, v1
	v_add_lshl_u32 v4, v1, v0, 4
	s_mov_b32 s14, 0x7f800000
	s_mov_b32 s12, 0x41a00000
	;; [unrolled: 1-line block ×3, first 2 shown]
	s_cmp_lg_u64 s[10:11], 0
	v_mov_b32_e32 v1, 0x260
	s_cselect_b64 s[6:7], -1, 0
	s_and_b64 s[0:1], exec, s[6:7]
	s_waitcnt vmcnt(0)
	ds_write_b128 v4, v[6:9]
	ds_read_b32 v8, v4
	v_mov_b32_e32 v6, 0x4f800000
	v_mov_b32_e32 v7, 0x41b17218
	s_waitcnt lgkmcnt(0)
	v_mul_f32_e32 v0, 0x3fb8aa3b, v8
	v_exp_f32_e32 v0, v0
	s_nop 0
	v_add_f32_e32 v0, 1.0, v0
	v_cmp_gt_f32_e32 vcc, s16, v0
	s_nop 1
	v_cndmask_b32_e32 v5, 1.0, v6, vcc
	v_mul_f32_e32 v0, v0, v5
	v_log_f32_e32 v9, v0
	v_cndmask_b32_e32 v10, 0, v7, vcc
	v_lshlrev_b32_e32 v5, 2, v3
	v_lshlrev_b32_e32 v0, 2, v5
	v_mul_f32_e32 v11, 0x3f317217, v9
	v_fma_f32 v11, v9, s13, -v11
	v_fmac_f32_e32 v11, 0x3377d1cf, v9
	v_fmac_f32_e32 v11, 0x3f317217, v9
	v_cmp_lt_f32_e64 vcc, |v9|, s14
	s_nop 1
	v_cndmask_b32_e32 v9, v9, v11, vcc
	v_sub_f32_e32 v9, v9, v10
	v_cmp_lt_f32_e32 vcc, s12, v8
	s_nop 1
	v_cndmask_b32_e32 v8, v9, v8, vcc
	v_mul_f32_e32 v9, 0x4f800000, v8
	v_cmp_gt_f32_e32 vcc, s15, v8
	s_nop 1
	v_cndmask_b32_e32 v8, v8, v9, vcc
	v_sqrt_f32_e32 v9, v8
	s_nop 0
	v_add_u32_e32 v10, -1, v9
	v_add_u32_e32 v11, 1, v9
	v_fma_f32 v12, -v10, v9, v8
	v_fma_f32 v13, -v11, v9, v8
	v_cmp_ge_f32_e64 s[4:5], 0, v12
	s_nop 1
	v_cndmask_b32_e64 v9, v9, v10, s[4:5]
	v_cmp_lt_f32_e64 s[4:5], 0, v13
	s_nop 1
	v_cndmask_b32_e64 v9, v9, v11, s[4:5]
	v_mul_f32_e32 v10, 0x37800000, v9
	v_cndmask_b32_e32 v9, v9, v10, vcc
	v_cmp_class_f32_e32 vcc, v8, v1
	s_nop 1
	v_cndmask_b32_e32 v8, v9, v8, vcc
	s_mov_b64 vcc, s[0:1]
	s_cbranch_vccz .LBB89_6
; %bb.5:
	global_load_dword v9, v0, s[10:11]
	s_waitcnt vmcnt(0)
	v_add_f32_e32 v8, v8, v9
.LBB89_6:
	ds_read_b32 v9, v4 offset:4
	ds_write_b32 v4, v8
	s_waitcnt lgkmcnt(1)
	v_mul_f32_e32 v10, 0x3fb8aa3b, v9
	v_exp_f32_e32 v10, v10
	s_nop 0
	v_add_f32_e32 v10, 1.0, v10
	v_cmp_gt_f32_e32 vcc, s16, v10
	s_nop 1
	v_cndmask_b32_e32 v6, 1.0, v6, vcc
	v_mul_f32_e32 v6, v10, v6
	v_log_f32_e32 v6, v6
	v_cndmask_b32_e32 v7, 0, v7, vcc
	v_mul_f32_e32 v8, 0x3f317217, v6
	v_fma_f32 v8, v6, s13, -v8
	v_fmac_f32_e32 v8, 0x3377d1cf, v6
	v_fmac_f32_e32 v8, 0x3f317217, v6
	v_cmp_lt_f32_e64 vcc, |v6|, s14
	s_nop 1
	v_cndmask_b32_e32 v6, v6, v8, vcc
	v_sub_f32_e32 v6, v6, v7
	v_cmp_lt_f32_e32 vcc, s12, v9
	v_cndmask_b32_e64 v8, 0, 1, s[6:7]
	v_cmp_ne_u32_e64 s[0:1], 1, v8
	v_cndmask_b32_e32 v6, v6, v9, vcc
	v_mul_f32_e32 v7, 0x4f800000, v6
	v_cmp_gt_f32_e64 s[4:5], s15, v6
	s_andn2_b64 vcc, exec, s[6:7]
	s_nop 0
	v_cndmask_b32_e64 v6, v6, v7, s[4:5]
	v_sqrt_f32_e32 v7, v6
	s_nop 0
	v_add_u32_e32 v8, -1, v7
	v_add_u32_e32 v9, 1, v7
	v_fma_f32 v10, -v8, v7, v6
	v_fma_f32 v11, -v9, v7, v6
	v_cmp_ge_f32_e64 s[6:7], 0, v10
	s_nop 1
	v_cndmask_b32_e64 v7, v7, v8, s[6:7]
	v_cmp_lt_f32_e64 s[6:7], 0, v11
	s_nop 1
	v_cndmask_b32_e64 v7, v7, v9, s[6:7]
	v_mul_f32_e32 v8, 0x37800000, v7
	v_cndmask_b32_e64 v7, v7, v8, s[4:5]
	v_cmp_class_f32_e64 s[4:5], v6, v1
	s_nop 1
	v_cndmask_b32_e64 v1, v7, v6, s[4:5]
	s_cbranch_vccnz .LBB89_8
; %bb.7:
	global_load_dword v6, v0, s[10:11] offset:4
	s_waitcnt vmcnt(0)
	v_add_f32_e32 v1, v1, v6
.LBB89_8:
	ds_read_b32 v8, v4 offset:8
	s_mov_b32 s12, 0x800000
	s_mov_b32 s7, 0x3f317217
	;; [unrolled: 1-line block ×4, first 2 shown]
	s_waitcnt lgkmcnt(0)
	v_mul_f32_e32 v6, 0x3fb8aa3b, v8
	v_exp_f32_e32 v7, v6
	v_mov_b32_e32 v6, 0x4f800000
	s_mov_b32 s14, 0xf800000
	ds_write_b32 v4, v1 offset:4
	v_add_f32_e32 v7, 1.0, v7
	v_cmp_gt_f32_e32 vcc, s12, v7
	s_nop 1
	v_cndmask_b32_e32 v9, 1.0, v6, vcc
	v_mul_f32_e32 v7, v7, v9
	v_log_f32_e32 v9, v7
	v_mov_b32_e32 v7, 0x41b17218
	v_cndmask_b32_e32 v10, 0, v7, vcc
	v_mul_f32_e32 v11, 0x3f317217, v9
	v_fma_f32 v11, v9, s7, -v11
	v_fmac_f32_e32 v11, 0x3377d1cf, v9
	v_fmac_f32_e32 v11, 0x3f317217, v9
	v_cmp_lt_f32_e64 vcc, |v9|, s13
	s_nop 1
	v_cndmask_b32_e32 v9, v9, v11, vcc
	v_sub_f32_e32 v9, v9, v10
	v_cmp_lt_f32_e32 vcc, s6, v8
	s_nop 1
	v_cndmask_b32_e32 v8, v9, v8, vcc
	v_mul_f32_e32 v9, 0x4f800000, v8
	v_cmp_gt_f32_e32 vcc, s14, v8
	s_nop 1
	v_cndmask_b32_e32 v8, v8, v9, vcc
	v_sqrt_f32_e32 v9, v8
	s_nop 0
	v_add_u32_e32 v1, -1, v9
	v_fma_f32 v10, -v1, v9, v8
	v_cmp_ge_f32_e64 s[4:5], 0, v10
	v_add_u32_e32 v10, 1, v9
	s_nop 0
	v_cndmask_b32_e64 v1, v9, v1, s[4:5]
	v_fma_f32 v9, -v10, v9, v8
	v_cmp_lt_f32_e64 s[4:5], 0, v9
	s_nop 1
	v_cndmask_b32_e64 v1, v1, v10, s[4:5]
	v_mul_f32_e32 v9, 0x37800000, v1
	v_cndmask_b32_e32 v9, v1, v9, vcc
	v_mov_b32_e32 v1, 0x260
	v_cmp_class_f32_e64 s[4:5], v8, v1
	s_and_b64 vcc, exec, s[0:1]
	s_nop 0
	v_cndmask_b32_e64 v8, v9, v8, s[4:5]
	s_cbranch_vccnz .LBB89_10
; %bb.9:
	global_load_dword v9, v0, s[10:11] offset:8
	s_waitcnt vmcnt(0)
	v_add_f32_e32 v8, v8, v9
.LBB89_10:
	ds_read_b32 v9, v4 offset:12
	ds_write_b32 v4, v8 offset:8
	s_waitcnt lgkmcnt(1)
	v_mul_f32_e32 v10, 0x3fb8aa3b, v9
	v_exp_f32_e32 v10, v10
	s_nop 0
	v_add_f32_e32 v10, 1.0, v10
	v_cmp_gt_f32_e32 vcc, s12, v10
	s_nop 1
	v_cndmask_b32_e32 v6, 1.0, v6, vcc
	v_mul_f32_e32 v6, v10, v6
	v_log_f32_e32 v6, v6
	v_cndmask_b32_e32 v7, 0, v7, vcc
	v_mul_f32_e32 v10, 0x3f317217, v6
	v_fma_f32 v10, v6, s7, -v10
	v_fmac_f32_e32 v10, 0x3377d1cf, v6
	v_fmac_f32_e32 v10, 0x3f317217, v6
	v_cmp_lt_f32_e64 vcc, |v6|, s13
	s_nop 1
	v_cndmask_b32_e32 v6, v6, v10, vcc
	v_sub_f32_e32 v6, v6, v7
	v_cmp_lt_f32_e32 vcc, s6, v9
	s_nop 1
	v_cndmask_b32_e32 v6, v6, v9, vcc
	v_mul_f32_e32 v7, 0x4f800000, v6
	v_cmp_gt_f32_e64 s[4:5], s14, v6
	s_and_b64 vcc, exec, s[0:1]
	s_nop 0
	v_cndmask_b32_e64 v6, v6, v7, s[4:5]
	v_sqrt_f32_e32 v7, v6
	s_nop 0
	v_add_u32_e32 v8, -1, v7
	v_add_u32_e32 v9, 1, v7
	v_fma_f32 v10, -v8, v7, v6
	v_fma_f32 v11, -v9, v7, v6
	v_cmp_ge_f32_e64 s[6:7], 0, v10
	s_nop 1
	v_cndmask_b32_e64 v7, v7, v8, s[6:7]
	v_cmp_lt_f32_e64 s[6:7], 0, v11
	s_nop 1
	v_cndmask_b32_e64 v7, v7, v9, s[6:7]
	v_mul_f32_e32 v8, 0x37800000, v7
	v_cndmask_b32_e64 v7, v7, v8, s[4:5]
	v_cmp_class_f32_e64 s[4:5], v6, v1
	s_nop 1
	v_cndmask_b32_e64 v1, v7, v6, s[4:5]
	s_cbranch_vccnz .LBB89_12
; %bb.11:
	global_load_dword v0, v0, s[10:11] offset:12
	s_waitcnt vmcnt(0)
	v_add_f32_e32 v1, v1, v0
.LBB89_12:
	s_load_dwordx4 s[12:15], s[2:3], 0x30
	s_mov_b32 s31, 0
	v_cmp_eq_u32_e64 s[6:7], 0, v3
	ds_write_b32 v4, v1 offset:12
	s_waitcnt lgkmcnt(0)
	s_bitcmp1_b32 s15, 0
	s_cselect_b64 s[4:5], -1, 0
	s_cmp_gt_i32 s12, 0
	s_cselect_b64 s[24:25], -1, 0
	s_and_b64 vcc, exec, s[24:25]
	s_cbranch_vccz .LBB89_41
; %bb.13:
	v_mbcnt_lo_u32_b32 v0, -1, 0
	v_mbcnt_hi_u32_b32 v0, -1, v0
	v_and_b32_e32 v1, 0x60, v0
	v_add_u32_e32 v1, 32, v1
	v_xor_b32_e32 v6, 16, v0
	v_cmp_lt_i32_e32 vcc, v6, v1
	s_load_dwordx4 s[16:19], s[2:3], 0x20
	v_mul_lo_u32 v7, v2, s12
	v_cndmask_b32_e32 v6, v0, v6, vcc
	v_lshlrev_b32_e32 v8, 2, v6
	v_xor_b32_e32 v6, 8, v0
	v_cmp_lt_i32_e32 vcc, v6, v1
	v_mov_b32_e32 v13, 0xc61c4000
	v_mov_b32_e32 v14, 0x80
	v_cndmask_b32_e32 v6, v0, v6, vcc
	v_lshlrev_b32_e32 v9, 2, v6
	v_xor_b32_e32 v6, 4, v0
	v_cmp_lt_i32_e32 vcc, v6, v1
	v_mov_b32_e32 v15, v2
	s_nop 0
	v_cndmask_b32_e32 v6, v0, v6, vcc
	v_lshlrev_b32_e32 v10, 2, v6
	v_xor_b32_e32 v6, 2, v0
	v_cmp_lt_i32_e32 vcc, v6, v1
	s_nop 1
	v_cndmask_b32_e32 v6, v0, v6, vcc
	v_lshlrev_b32_e32 v11, 2, v6
	v_xor_b32_e32 v6, 1, v0
	v_cmp_lt_i32_e32 vcc, v6, v1
	s_nop 1
	v_cndmask_b32_e32 v0, v0, v6, vcc
	v_lshlrev_b32_e32 v12, 2, v0
	v_mov_b32_e32 v6, 0
	s_branch .LBB89_15
.LBB89_14:                              ;   in Loop: Header=BB89_15 Depth=1
	s_or_b64 exec, exec, s[2:3]
	s_cmp_eq_u32 s12, s31
	v_add_u32_e32 v15, s30, v15
	s_cbranch_scc1 .LBB89_42
.LBB89_15:                              ; =>This Inner Loop Header: Depth=1
	ds_read_b128 v[16:19], v4
	s_waitcnt lgkmcnt(0)
	v_cmp_gt_f32_e32 vcc, v17, v16
	s_nop 1
	v_cndmask_b32_e32 v1, v16, v17, vcc
	v_cndmask_b32_e64 v0, 0, 1, vcc
	v_cmp_gt_f32_e32 vcc, v18, v1
	s_nop 1
	v_cndmask_b32_e32 v1, v1, v18, vcc
	v_cndmask_b32_e64 v0, v0, 2, vcc
	v_cmp_gt_f32_e32 vcc, v19, v1
	s_nop 1
	v_cndmask_b32_e64 v0, v0, 3, vcc
	v_cndmask_b32_e32 v16, v1, v19, vcc
	ds_bpermute_b32 v1, v8, v16
	v_or_b32_e32 v0, v5, v0
	ds_bpermute_b32 v17, v8, v0
	s_waitcnt lgkmcnt(1)
	v_cmp_lt_f32_e64 s[26:27], v16, v1
	v_cmp_nlt_f32_e32 vcc, v16, v1
	s_and_saveexec_b64 s[28:29], vcc
	s_cbranch_execz .LBB89_17
; %bb.16:                               ;   in Loop: Header=BB89_15 Depth=1
	v_cmp_eq_f32_e32 vcc, v16, v1
	s_waitcnt lgkmcnt(0)
	v_cmp_lt_i32_e64 s[2:3], v17, v0
	s_and_b64 s[2:3], vcc, s[2:3]
	s_andn2_b64 s[26:27], s[26:27], exec
	s_and_b64 s[2:3], s[2:3], exec
	s_or_b64 s[26:27], s[26:27], s[2:3]
.LBB89_17:                              ;   in Loop: Header=BB89_15 Depth=1
	s_or_b64 exec, exec, s[28:29]
	s_and_saveexec_b64 s[2:3], s[26:27]
	s_cbranch_execz .LBB89_19
; %bb.18:                               ;   in Loop: Header=BB89_15 Depth=1
	v_mov_b32_e32 v16, v1
	s_waitcnt lgkmcnt(0)
	v_mov_b32_e32 v0, v17
.LBB89_19:                              ;   in Loop: Header=BB89_15 Depth=1
	s_or_b64 exec, exec, s[2:3]
	ds_bpermute_b32 v1, v9, v16
	s_waitcnt lgkmcnt(1)
	ds_bpermute_b32 v17, v9, v0
	s_waitcnt lgkmcnt(1)
	v_cmp_lt_f32_e64 s[26:27], v16, v1
	v_cmp_nlt_f32_e32 vcc, v16, v1
	s_and_saveexec_b64 s[28:29], vcc
	s_cbranch_execz .LBB89_21
; %bb.20:                               ;   in Loop: Header=BB89_15 Depth=1
	v_cmp_eq_f32_e32 vcc, v16, v1
	s_waitcnt lgkmcnt(0)
	v_cmp_lt_i32_e64 s[2:3], v17, v0
	s_and_b64 s[2:3], vcc, s[2:3]
	s_andn2_b64 s[26:27], s[26:27], exec
	s_and_b64 s[2:3], s[2:3], exec
	s_or_b64 s[26:27], s[26:27], s[2:3]
.LBB89_21:                              ;   in Loop: Header=BB89_15 Depth=1
	s_or_b64 exec, exec, s[28:29]
	s_and_saveexec_b64 s[2:3], s[26:27]
	s_cbranch_execz .LBB89_23
; %bb.22:                               ;   in Loop: Header=BB89_15 Depth=1
	v_mov_b32_e32 v16, v1
	s_waitcnt lgkmcnt(0)
	v_mov_b32_e32 v0, v17
.LBB89_23:                              ;   in Loop: Header=BB89_15 Depth=1
	s_or_b64 exec, exec, s[2:3]
	ds_bpermute_b32 v1, v10, v16
	s_waitcnt lgkmcnt(1)
	;; [unrolled: 26-line block ×4, first 2 shown]
	ds_bpermute_b32 v17, v12, v0
	s_waitcnt lgkmcnt(1)
	v_cmp_lt_f32_e64 s[26:27], v16, v1
	v_cmp_nlt_f32_e32 vcc, v16, v1
	s_and_saveexec_b64 s[28:29], vcc
	s_cbranch_execnz .LBB89_34
; %bb.32:                               ;   in Loop: Header=BB89_15 Depth=1
	s_or_b64 exec, exec, s[28:29]
	s_and_saveexec_b64 s[2:3], s[26:27]
	s_cbranch_execnz .LBB89_35
.LBB89_33:                              ;   in Loop: Header=BB89_15 Depth=1
	s_or_b64 exec, exec, s[2:3]
	s_and_saveexec_b64 s[26:27], s[6:7]
	s_cbranch_execnz .LBB89_36
	s_branch .LBB89_39
.LBB89_34:                              ;   in Loop: Header=BB89_15 Depth=1
	v_cmp_eq_f32_e32 vcc, v16, v1
	s_waitcnt lgkmcnt(0)
	v_cmp_lt_i32_e64 s[2:3], v17, v0
	s_and_b64 s[2:3], vcc, s[2:3]
	s_andn2_b64 s[26:27], s[26:27], exec
	s_and_b64 s[2:3], s[2:3], exec
	s_or_b64 s[26:27], s[26:27], s[2:3]
	s_or_b64 exec, exec, s[28:29]
	s_and_saveexec_b64 s[2:3], s[26:27]
	s_cbranch_execz .LBB89_33
.LBB89_35:                              ;   in Loop: Header=BB89_15 Depth=1
	s_waitcnt lgkmcnt(0)
	v_mov_b32_e32 v0, v17
	v_mov_b32_e32 v16, v1
	s_or_b64 exec, exec, s[2:3]
	s_and_saveexec_b64 s[26:27], s[6:7]
	s_cbranch_execz .LBB89_39
.LBB89_36:                              ;   in Loop: Header=BB89_15 Depth=1
	s_and_b64 vcc, exec, s[0:1]
	s_cbranch_vccnz .LBB89_38
; %bb.37:                               ;   in Loop: Header=BB89_15 Depth=1
	v_ashrrev_i32_e32 v1, 31, v0
	v_lshl_add_u64 v[18:19], v[0:1], 2, s[10:11]
	global_load_dword v1, v[18:19], off
	s_waitcnt vmcnt(0)
	v_sub_f32_e32 v16, v16, v1
.LBB89_38:                              ;   in Loop: Header=BB89_15 Depth=1
	v_add_u32_e32 v18, s31, v7
	v_cmp_le_i32_e32 vcc, s13, v0
	v_cmp_gt_i32_e64 s[2:3], s14, v0
	v_ashrrev_i32_e32 v19, 31, v18
	s_and_b64 s[2:3], vcc, s[2:3]
	v_lshlrev_b64 v[18:19], 2, v[18:19]
	v_lshl_add_u64 v[20:21], s[20:21], 0, v[18:19]
	v_subrev_u32_e32 v1, s13, v0
	s_and_b64 vcc, s[22:23], s[2:3]
	global_store_dword v[20:21], v16, off
	v_cndmask_b32_e32 v1, v14, v1, vcc
	v_lshl_add_u64 v[20:21], s[16:17], 0, v[18:19]
	global_store_dword v[20:21], v1, off
	v_add_f32_e32 v1, v6, v16
	v_lshl_add_u64 v[18:19], s[18:19], 0, v[18:19]
	v_cndmask_b32_e64 v6, v6, v1, s[4:5]
	global_store_dword v[18:19], v15, off
.LBB89_39:                              ;   in Loop: Header=BB89_15 Depth=1
	s_or_b64 exec, exec, s[26:27]
	v_ashrrev_i32_e32 v16, 31, v0
	v_lshrrev_b32_e32 v1, 30, v16
	s_waitcnt lgkmcnt(0)
	v_add_u32_e32 v17, v0, v1
	v_ashrrev_i32_e32 v1, 2, v17
	v_ashrrev_i32_e32 v17, 31, v17
	v_lshrrev_b32_e32 v17, 27, v17
	v_add_u32_e32 v17, v1, v17
	s_add_i32 s31, s31, 1
	v_and_b32_e32 v17, 0xffffffe0, v17
	s_cmp_lt_i32 s31, s12
	v_sub_u32_e32 v17, v1, v17
	s_cselect_b64 s[2:3], -1, 0
	v_cmp_eq_u32_e32 vcc, v3, v17
	s_and_b64 s[26:27], s[2:3], vcc
	s_and_saveexec_b64 s[2:3], s[26:27]
	s_cbranch_execz .LBB89_14
; %bb.40:                               ;   in Loop: Header=BB89_15 Depth=1
	v_lshrrev_b32_e32 v16, 25, v16
	v_add_u32_e32 v16, v0, v16
	v_lshlrev_b32_e32 v1, 2, v1
	v_ashrrev_i32_e32 v16, 7, v16
	v_sub_u32_e32 v0, v0, v1
	v_lshl_add_u32 v0, v16, 2, v0
	v_lshl_add_u32 v0, v0, 2, v4
	ds_write_b32 v0, v13
	s_branch .LBB89_14
.LBB89_41:
	v_mov_b32_e32 v6, 0
.LBB89_42:
	v_cmp_eq_u32_e32 vcc, 0, v3
	s_and_b64 exec, exec, vcc
	s_cbranch_execz .LBB89_55
; %bb.43:
	s_andn2_b64 vcc, exec, s[4:5]
	v_cvt_f32_f64_e32 v0, s[8:9]
	s_cbranch_vccnz .LBB89_45
; %bb.44:
	v_cmp_lt_f32_e32 vcc, 0, v6
	s_nop 1
	v_cndmask_b32_e32 v1, 1.0, v6, vcc
	v_div_scale_f32 v3, s[0:1], v1, v1, v0
	v_rcp_f32_e32 v4, v3
	s_nop 0
	v_fma_f32 v5, -v3, v4, 1.0
	v_fmac_f32_e32 v4, v5, v4
	v_div_scale_f32 v5, vcc, v0, v1, v0
	v_mul_f32_e32 v6, v5, v4
	v_fma_f32 v7, -v3, v6, v5
	v_fmac_f32_e32 v6, v7, v4
	v_fma_f32 v3, -v3, v6, v5
	v_div_fmas_f32 v3, v3, v4, v6
	v_div_fixup_f32 v0, v3, v1, v0
.LBB89_45:
	s_andn2_b64 vcc, exec, s[24:25]
	s_cbranch_vccnz .LBB89_55
; %bb.46:
	v_mul_lo_u32 v2, v2, s12
	s_cmp_gt_u32 s12, 3
	v_ashrrev_i32_e32 v3, 31, v2
	s_cbranch_scc0 .LBB89_50
; %bb.47:
	s_and_b32 s0, s12, 0x7ffffffc
	v_lshl_add_u64 v[4:5], v[2:3], 2, s[20:21]
	v_mov_b32_e32 v1, v0
	v_lshl_add_u64 v[4:5], v[4:5], 0, 8
	s_mov_b32 s1, s0
.LBB89_48:                              ; =>This Inner Loop Header: Depth=1
	global_load_dwordx4 v[6:9], v[4:5], off offset:-8
	s_add_i32 s1, s1, -4
	s_cmp_lg_u32 s1, 0
	s_waitcnt vmcnt(0)
	v_pk_mul_f32 v[6:7], v[0:1], v[6:7]
	v_pk_mul_f32 v[8:9], v[0:1], v[8:9]
	global_store_dwordx4 v[4:5], v[6:9], off offset:-8
	v_lshl_add_u64 v[4:5], v[4:5], 0, 16
	s_cbranch_scc1 .LBB89_48
; %bb.49:
	s_cmp_lg_u32 s0, s12
	s_cselect_b64 s[2:3], -1, 0
	s_branch .LBB89_52
.LBB89_50:
	s_mov_b64 s[2:3], 0
                                        ; implicit-def: $sgpr0
	s_cbranch_execz .LBB89_52
; %bb.51:
	s_mov_b64 s[2:3], -1
	s_mov_b32 s0, 0
.LBB89_52:
	s_andn2_b64 vcc, exec, s[2:3]
	s_cbranch_vccnz .LBB89_55
; %bb.53:
	s_mov_b32 s1, 0
	v_lshl_add_u64 v[2:3], v[2:3], 0, s[0:1]
	s_sub_i32 s2, s12, s0
	v_lshl_add_u64 v[2:3], v[2:3], 2, s[20:21]
.LBB89_54:                              ; =>This Inner Loop Header: Depth=1
	global_load_dword v1, v[2:3], off
	s_add_i32 s2, s2, -1
	s_cmp_lg_u32 s2, 0
	s_waitcnt vmcnt(0)
	v_mul_f32_e32 v1, v0, v1
	global_store_dword v[2:3], v1, off
	v_lshl_add_u64 v[2:3], v[2:3], 0, 4
	s_cbranch_scc1 .LBB89_54
.LBB89_55:
	s_endpgm
	.section	.rodata,"a",@progbits
	.p2align	6, 0x0
	.amdhsa_kernel _ZN4vllm3moe22topkGatingSoftplusSqrtILi4ELi128ELi4ELi16ELi64ELb0EjfEEvPKT6_PKbPfiPT5_PiiiibdPKfPKS8_SE_
		.amdhsa_group_segment_fixed_size 4096
		.amdhsa_private_segment_fixed_size 0
		.amdhsa_kernarg_size 96
		.amdhsa_user_sgpr_count 4
		.amdhsa_user_sgpr_dispatch_ptr 1
		.amdhsa_user_sgpr_queue_ptr 0
		.amdhsa_user_sgpr_kernarg_segment_ptr 1
		.amdhsa_user_sgpr_dispatch_id 0
		.amdhsa_user_sgpr_kernarg_preload_length 0
		.amdhsa_user_sgpr_kernarg_preload_offset 0
		.amdhsa_user_sgpr_private_segment_size 0
		.amdhsa_uses_dynamic_stack 0
		.amdhsa_enable_private_segment 0
		.amdhsa_system_sgpr_workgroup_id_x 1
		.amdhsa_system_sgpr_workgroup_id_y 0
		.amdhsa_system_sgpr_workgroup_id_z 0
		.amdhsa_system_sgpr_workgroup_info 0
		.amdhsa_system_vgpr_workitem_id 2
		.amdhsa_next_free_vgpr 22
		.amdhsa_next_free_sgpr 32
		.amdhsa_accum_offset 24
		.amdhsa_reserve_vcc 1
		.amdhsa_float_round_mode_32 0
		.amdhsa_float_round_mode_16_64 0
		.amdhsa_float_denorm_mode_32 3
		.amdhsa_float_denorm_mode_16_64 3
		.amdhsa_dx10_clamp 1
		.amdhsa_ieee_mode 1
		.amdhsa_fp16_overflow 0
		.amdhsa_tg_split 0
		.amdhsa_exception_fp_ieee_invalid_op 0
		.amdhsa_exception_fp_denorm_src 0
		.amdhsa_exception_fp_ieee_div_zero 0
		.amdhsa_exception_fp_ieee_overflow 0
		.amdhsa_exception_fp_ieee_underflow 0
		.amdhsa_exception_fp_ieee_inexact 0
		.amdhsa_exception_int_div_zero 0
	.end_amdhsa_kernel
	.section	.text._ZN4vllm3moe22topkGatingSoftplusSqrtILi4ELi128ELi4ELi16ELi64ELb0EjfEEvPKT6_PKbPfiPT5_PiiiibdPKfPKS8_SE_,"axG",@progbits,_ZN4vllm3moe22topkGatingSoftplusSqrtILi4ELi128ELi4ELi16ELi64ELb0EjfEEvPKT6_PKbPfiPT5_PiiiibdPKfPKS8_SE_,comdat
.Lfunc_end89:
	.size	_ZN4vllm3moe22topkGatingSoftplusSqrtILi4ELi128ELi4ELi16ELi64ELb0EjfEEvPKT6_PKbPfiPT5_PiiiibdPKfPKS8_SE_, .Lfunc_end89-_ZN4vllm3moe22topkGatingSoftplusSqrtILi4ELi128ELi4ELi16ELi64ELb0EjfEEvPKT6_PKbPfiPT5_PiiiibdPKfPKS8_SE_
                                        ; -- End function
	.section	.AMDGPU.csdata,"",@progbits
; Kernel info:
; codeLenInByte = 2996
; NumSgprs: 38
; NumVgprs: 22
; NumAgprs: 0
; TotalNumVgprs: 22
; ScratchSize: 0
; MemoryBound: 0
; FloatMode: 240
; IeeeMode: 1
; LDSByteSize: 4096 bytes/workgroup (compile time only)
; SGPRBlocks: 4
; VGPRBlocks: 2
; NumSGPRsForWavesPerEU: 38
; NumVGPRsForWavesPerEU: 22
; AccumOffset: 24
; Occupancy: 8
; WaveLimiterHint : 0
; COMPUTE_PGM_RSRC2:SCRATCH_EN: 0
; COMPUTE_PGM_RSRC2:USER_SGPR: 4
; COMPUTE_PGM_RSRC2:TRAP_HANDLER: 0
; COMPUTE_PGM_RSRC2:TGID_X_EN: 1
; COMPUTE_PGM_RSRC2:TGID_Y_EN: 0
; COMPUTE_PGM_RSRC2:TGID_Z_EN: 0
; COMPUTE_PGM_RSRC2:TIDIG_COMP_CNT: 2
; COMPUTE_PGM_RSRC3_GFX90A:ACCUM_OFFSET: 5
; COMPUTE_PGM_RSRC3_GFX90A:TG_SPLIT: 0
	.section	.text._ZN4vllm3moe22topkGatingSoftplusSqrtILi4ELi128ELi4ELi16ELi32ELb1EjfEEvPKT6_PKbPfiPT5_PiiiibdPKfPKS8_SE_,"axG",@progbits,_ZN4vllm3moe22topkGatingSoftplusSqrtILi4ELi128ELi4ELi16ELi32ELb1EjfEEvPKT6_PKbPfiPT5_PiiiibdPKfPKS8_SE_,comdat
	.protected	_ZN4vllm3moe22topkGatingSoftplusSqrtILi4ELi128ELi4ELi16ELi32ELb1EjfEEvPKT6_PKbPfiPT5_PiiiibdPKfPKS8_SE_ ; -- Begin function _ZN4vllm3moe22topkGatingSoftplusSqrtILi4ELi128ELi4ELi16ELi32ELb1EjfEEvPKT6_PKbPfiPT5_PiiiibdPKfPKS8_SE_
	.globl	_ZN4vllm3moe22topkGatingSoftplusSqrtILi4ELi128ELi4ELi16ELi32ELb1EjfEEvPKT6_PKbPfiPT5_PiiiibdPKfPKS8_SE_
	.p2align	8
	.type	_ZN4vllm3moe22topkGatingSoftplusSqrtILi4ELi128ELi4ELi16ELi32ELb1EjfEEvPKT6_PKbPfiPT5_PiiiibdPKfPKS8_SE_,@function
_ZN4vllm3moe22topkGatingSoftplusSqrtILi4ELi128ELi4ELi16ELi32ELb1EjfEEvPKT6_PKbPfiPT5_PiiiibdPKfPKS8_SE_: ; @_ZN4vllm3moe22topkGatingSoftplusSqrtILi4ELi128ELi4ELi16ELi32ELb1EjfEEvPKT6_PKbPfiPT5_PiiiibdPKfPKS8_SE_
; %bb.0:
	s_load_dword s3, s[0:1], 0x18
	v_and_b32_e32 v6, 0x3ff, v0
	s_lshl_b32 s2, s2, 2
	v_lshrrev_b32_e32 v1, 5, v6
	v_bfe_u32 v0, v0, 10, 10
	v_add3_u32 v2, s2, v0, v1
	s_waitcnt lgkmcnt(0)
	v_cmp_gt_i32_e32 vcc, s3, v2
	s_and_saveexec_b64 s[2:3], vcc
	s_cbranch_execz .LBB90_80
; %bb.1:
	s_load_dwordx2 s[2:3], s[0:1], 0x0
	s_load_dword s20, s[0:1], 0x30
	v_lshlrev_b32_e32 v0, 7, v2
	v_lshlrev_b32_e32 v3, 2, v6
	v_ashrrev_i32_e32 v1, 31, v0
	v_and_b32_e32 v10, 0x7c, v3
	s_waitcnt lgkmcnt(0)
	v_lshl_add_u64 v[4:5], v[0:1], 2, s[2:3]
	v_lshlrev_b32_e32 v0, 2, v10
	v_mov_b32_e32 v1, 0
	v_lshl_add_u64 v[4:5], v[4:5], 0, v[0:1]
	global_load_dwordx4 v[12:15], v[4:5], off
	s_load_dwordx4 s[8:11], s[0:1], 0x50
	v_ashrrev_i32_e32 v3, 31, v2
	s_mov_b32 s6, 0x800000
	s_mov_b32 s12, 0x3f317217
	;; [unrolled: 1-line block ×3, first 2 shown]
	s_waitcnt lgkmcnt(0)
	v_mov_b32_e32 v4, s8
	v_mov_b32_e32 v5, s9
	v_lshl_add_u64 v[4:5], v[2:3], 2, v[4:5]
	global_load_dword v0, v[4:5], off
	v_mov_b32_e32 v3, 0x4f800000
	v_mov_b32_e32 v7, 0x41b17218
	s_mov_b32 s9, 0x41a00000
	s_mov_b32 s14, 0xf800000
	v_mov_b32_e32 v11, 0x260
	s_cmp_gt_i32 s20, 0
	s_mov_b32 s8, 0
	v_mul_lo_u32 v2, v2, s20
	s_waitcnt vmcnt(1)
	v_mul_f32_e32 v4, 0x3fb8aa3b, v12
	v_mul_f32_e32 v5, 0x3fb8aa3b, v13
	v_exp_f32_e32 v4, v4
	v_exp_f32_e32 v5, v5
	v_mul_f32_e32 v8, 0x3fb8aa3b, v14
	v_mul_f32_e32 v9, 0x3fb8aa3b, v15
	v_exp_f32_e32 v8, v8
	v_exp_f32_e32 v9, v9
	v_pk_add_f32 v[4:5], v[4:5], 1.0 op_sel_hi:[1,0]
	s_waitcnt vmcnt(0)
	v_mul_lo_u32 v0, v0, s20
	v_cmp_gt_f32_e32 vcc, s6, v5
	v_pk_add_f32 v[8:9], v[8:9], 1.0 op_sel_hi:[1,0]
	v_cmp_gt_f32_e64 s[2:3], s6, v4
	v_cndmask_b32_e32 v16, 1.0, v3, vcc
	v_cmp_gt_f32_e64 s[4:5], s6, v9
	v_cndmask_b32_e64 v17, 1.0, v3, s[2:3]
	v_mul_f32_e32 v5, v5, v16
	v_cndmask_b32_e64 v18, 1.0, v3, s[4:5]
	v_cmp_gt_f32_e64 s[6:7], s6, v8
	v_mul_f32_e32 v4, v4, v17
	v_log_f32_e32 v5, v5
	v_cndmask_b32_e64 v3, 1.0, v3, s[6:7]
	v_mul_f32_e32 v9, v9, v18
	v_log_f32_e32 v4, v4
	v_mul_f32_e32 v3, v8, v3
	v_log_f32_e32 v8, v9
	v_log_f32_e32 v3, v3
	v_mul_f32_e32 v9, 0x3f317217, v5
	v_mul_f32_e32 v19, 0x3f317217, v4
	v_fma_f32 v9, v5, s12, -v9
	v_mul_f32_e32 v20, 0x3f317217, v8
	v_fma_f32 v19, v4, s12, -v19
	v_fmac_f32_e32 v9, 0x3377d1cf, v5
	v_cndmask_b32_e32 v16, 0, v7, vcc
	v_mul_f32_e32 v21, 0x3f317217, v3
	v_fma_f32 v20, v8, s12, -v20
	v_fmac_f32_e32 v19, 0x3377d1cf, v4
	v_fmac_f32_e32 v9, 0x3f317217, v5
	v_cmp_lt_f32_e64 vcc, |v5|, s13
	v_fma_f32 v21, v3, s12, -v21
	v_fmac_f32_e32 v20, 0x3377d1cf, v8
	v_fmac_f32_e32 v19, 0x3f317217, v4
	v_cndmask_b32_e32 v5, v5, v9, vcc
	v_cmp_lt_f32_e64 vcc, |v4|, s13
	v_fmac_f32_e32 v21, 0x3377d1cf, v3
	v_fmac_f32_e32 v20, 0x3f317217, v8
	v_cndmask_b32_e32 v4, v4, v19, vcc
	v_cmp_lt_f32_e64 vcc, |v8|, s13
	v_cndmask_b32_e64 v17, 0, v7, s[2:3]
	v_fmac_f32_e32 v21, 0x3f317217, v3
	v_cndmask_b32_e32 v8, v8, v20, vcc
	v_cmp_lt_f32_e64 vcc, |v3|, s13
	v_sub_f32_e32 v4, v4, v17
	v_sub_f32_e32 v5, v5, v16
	v_cndmask_b32_e32 v3, v3, v21, vcc
	v_cmp_lt_f32_e32 vcc, s9, v12
	v_cndmask_b32_e64 v18, 0, v7, s[4:5]
	v_sub_f32_e32 v8, v8, v18
	v_cndmask_b32_e32 v4, v4, v12, vcc
	v_cmp_lt_f32_e32 vcc, s9, v13
	v_mul_f32_e32 v12, 0x4f800000, v4
	v_cmp_gt_f32_e64 s[2:3], s14, v4
	v_cndmask_b32_e32 v5, v5, v13, vcc
	v_mul_f32_e32 v9, 0x4f800000, v5
	v_cmp_gt_f32_e32 vcc, s14, v5
	v_cndmask_b32_e64 v4, v4, v12, s[2:3]
	v_sqrt_f32_e32 v12, v4
	v_cndmask_b32_e32 v5, v5, v9, vcc
	v_sqrt_f32_e32 v9, v5
	v_add_u32_e32 v17, -1, v12
	v_fma_f32 v21, -v17, v12, v4
	v_add_u32_e32 v13, -1, v9
	v_fma_f32 v19, -v13, v9, v5
	v_add_u32_e32 v16, 1, v9
	v_cmp_ge_f32_e64 s[4:5], 0, v19
	v_add_u32_e32 v18, 1, v12
	v_fma_f32 v20, -v16, v9, v5
	v_cndmask_b32_e64 v9, v9, v13, s[4:5]
	v_cmp_ge_f32_e64 s[4:5], 0, v21
	v_fma_f32 v22, -v18, v12, v4
	s_nop 0
	v_cndmask_b32_e64 v12, v12, v17, s[4:5]
	v_cmp_lt_f32_e64 s[4:5], 0, v20
	s_nop 1
	v_cndmask_b32_e64 v9, v9, v16, s[4:5]
	v_cmp_lt_f32_e64 s[4:5], 0, v22
	v_mul_f32_e32 v13, 0x37800000, v9
	v_cndmask_b32_e32 v9, v9, v13, vcc
	v_cndmask_b32_e64 v12, v12, v18, s[4:5]
	v_mul_f32_e32 v16, 0x37800000, v12
	v_cmp_class_f32_e32 vcc, v5, v11
	v_cndmask_b32_e64 v12, v12, v16, s[2:3]
	v_cmp_lt_f32_e64 s[2:3], s9, v14
	v_cndmask_b32_e32 v13, v9, v5, vcc
	v_cmp_class_f32_e32 vcc, v4, v11
	s_cselect_b64 s[4:5], -1, 0
	s_cmp_lt_i32 s20, 1
	v_cndmask_b32_e32 v12, v12, v4, vcc
	v_cmp_lt_f32_e32 vcc, s9, v15
	v_cndmask_b32_e64 v4, 0, v7, s[6:7]
	v_sub_f32_e32 v3, v3, v4
	v_cndmask_b32_e32 v5, v8, v15, vcc
	v_mul_f32_e32 v7, 0x4f800000, v5
	v_cmp_gt_f32_e32 vcc, s14, v5
	v_cndmask_b32_e64 v3, v3, v14, s[2:3]
	s_nop 0
	v_cndmask_b32_e32 v5, v5, v7, vcc
	v_sqrt_f32_e32 v7, v5
	s_nop 0
	v_add_u32_e32 v4, -1, v7
	v_fma_f32 v8, -v4, v7, v5
	v_cmp_ge_f32_e64 s[2:3], 0, v8
	v_add_u32_e32 v8, 1, v7
	s_nop 0
	v_cndmask_b32_e64 v4, v7, v4, s[2:3]
	v_fma_f32 v7, -v8, v7, v5
	v_cmp_lt_f32_e64 s[2:3], 0, v7
	s_nop 1
	v_cndmask_b32_e64 v4, v4, v8, s[2:3]
	v_mul_f32_e32 v8, 0x4f800000, v3
	v_cmp_gt_f32_e64 s[2:3], s14, v3
	v_mul_f32_e32 v7, 0x37800000, v4
	v_cndmask_b32_e32 v4, v4, v7, vcc
	v_cndmask_b32_e64 v3, v3, v8, s[2:3]
	v_sqrt_f32_e32 v8, v3
	v_cmp_class_f32_e32 vcc, v5, v11
	s_nop 1
	v_cndmask_b32_e32 v15, v4, v5, vcc
	v_add_u32_e32 v4, -1, v8
	v_fma_f32 v5, -v4, v8, v3
	v_cmp_ge_f32_e32 vcc, 0, v5
	v_add_u32_e32 v5, 1, v8
	v_fma_f32 v7, -v5, v8, v3
	v_cndmask_b32_e32 v4, v8, v4, vcc
	v_cmp_lt_f32_e32 vcc, 0, v7
	s_nop 1
	v_cndmask_b32_e32 v4, v4, v5, vcc
	v_mul_f32_e32 v5, 0x37800000, v4
	v_cndmask_b32_e64 v4, v4, v5, s[2:3]
	v_cmp_class_f32_e32 vcc, v3, v11
	s_nop 1
	v_cndmask_b32_e32 v14, v4, v3, vcc
	scratch_store_dwordx4 off, v[12:15], off
	v_lshl_add_u64 v[4:5], v[0:1], 2, s[10:11]
	s_nop 0
	v_mov_b32_e32 v12, v1
	s_cbranch_scc1 .LBB90_29
; %bb.2:
	s_load_dwordx2 s[6:7], s[0:1], 0x20
	s_cmp_lt_u32 s20, 4
	v_and_b32_e32 v11, 31, v6
	s_cbranch_scc1 .LBB90_21
; %bb.3:
	v_lshlrev_b32_e32 v6, 2, v11
	s_mov_b32 s13, 0
	s_and_b32 s8, s20, 0x7ffffffc
	v_ashrrev_i32_e32 v3, 31, v2
	v_sub_u32_e32 v13, 0, v6
	v_mov_b32_e32 v12, 0
	s_mov_b32 s12, s13
	s_branch .LBB90_5
.LBB90_4:                               ;   in Loop: Header=BB90_5 Depth=1
	s_or_b64 exec, exec, s[14:15]
	s_add_i32 s12, s12, 4
	s_cmp_eq_u32 s12, s8
	s_cbranch_scc1 .LBB90_22
.LBB90_5:                               ; =>This Loop Header: Depth=1
                                        ;     Child Loop BB90_7 Depth 2
                                        ;     Child Loop BB90_11 Depth 2
	;; [unrolled: 1-line block ×4, first 2 shown]
	v_lshl_add_u64 v[6:7], s[12:13], 2, v[4:5]
	global_load_dword v14, v[6:7], off
	v_add_u32_e32 v8, s12, v2
	v_ashrrev_i32_e32 v9, 31, v8
	v_mov_b32_e32 v15, 0
	s_mov_b64 s[14:15], 0
	s_waitcnt lgkmcnt(0)
	v_lshl_add_u64 v[8:9], v[8:9], 2, s[6:7]
	s_mov_b32 s9, 0
	s_waitcnt vmcnt(0)
	v_add_u32_e32 v16, v13, v14
	s_branch .LBB90_7
.LBB90_6:                               ;   in Loop: Header=BB90_7 Depth=2
	s_or_b64 exec, exec, s[16:17]
	s_add_i32 s18, s9, 1
	s_cmp_gt_u32 s9, 2
	s_cselect_b64 s[2:3], -1, 0
	s_xor_b64 s[16:17], vcc, -1
	s_or_b64 s[2:3], s[16:17], s[2:3]
	s_and_b64 s[2:3], exec, s[2:3]
	v_add_u32_e32 v15, 4, v15
	s_or_b64 s[14:15], s[2:3], s[14:15]
	s_mov_b32 s9, s18
	s_andn2_b64 exec, exec, s[14:15]
	s_cbranch_execz .LBB90_9
.LBB90_7:                               ;   Parent Loop BB90_5 Depth=1
                                        ; =>  This Inner Loop Header: Depth=2
	v_cmp_ne_u32_e32 vcc, s9, v16
	v_cmp_eq_u32_e64 s[2:3], s9, v16
	s_and_saveexec_b64 s[16:17], s[2:3]
	s_cbranch_execz .LBB90_6
; %bb.8:                                ;   in Loop: Header=BB90_7 Depth=2
	scratch_load_dword v17, v15, off
	s_waitcnt vmcnt(0)
	v_add_f32_e32 v12, v12, v17
	global_store_dword v[8:9], v14, off
	s_branch .LBB90_6
.LBB90_9:                               ;   in Loop: Header=BB90_5 Depth=1
	s_or_b64 exec, exec, s[14:15]
	global_load_dword v14, v[6:7], off offset:4
	s_ashr_i32 s3, s12, 31
	s_mov_b32 s2, s12
	v_lshl_add_u64 v[8:9], s[2:3], 0, v[2:3]
	v_mov_b32_e32 v15, 0
	s_mov_b32 s9, 0
	v_lshl_add_u64 v[8:9], v[8:9], 2, s[6:7]
	s_mov_b64 s[14:15], 0
	s_waitcnt vmcnt(0)
	v_add_u32_e32 v16, v13, v14
	s_branch .LBB90_11
.LBB90_10:                              ;   in Loop: Header=BB90_11 Depth=2
	s_or_b64 exec, exec, s[16:17]
	s_add_i32 s18, s9, 1
	s_cmp_gt_u32 s9, 2
	s_cselect_b64 s[2:3], -1, 0
	s_xor_b64 s[16:17], vcc, -1
	s_or_b64 s[2:3], s[16:17], s[2:3]
	s_and_b64 s[2:3], exec, s[2:3]
	v_add_u32_e32 v15, 4, v15
	s_or_b64 s[14:15], s[2:3], s[14:15]
	s_mov_b32 s9, s18
	s_andn2_b64 exec, exec, s[14:15]
	s_cbranch_execz .LBB90_13
.LBB90_11:                              ;   Parent Loop BB90_5 Depth=1
                                        ; =>  This Inner Loop Header: Depth=2
	v_cmp_ne_u32_e32 vcc, s9, v16
	v_cmp_eq_u32_e64 s[2:3], s9, v16
	s_and_saveexec_b64 s[16:17], s[2:3]
	s_cbranch_execz .LBB90_10
; %bb.12:                               ;   in Loop: Header=BB90_11 Depth=2
	scratch_load_dword v17, v15, off
	s_waitcnt vmcnt(0)
	v_add_f32_e32 v12, v12, v17
	global_store_dword v[8:9], v14, off offset:4
	s_branch .LBB90_10
.LBB90_13:                              ;   in Loop: Header=BB90_5 Depth=1
	s_or_b64 exec, exec, s[14:15]
	global_load_dword v14, v[6:7], off offset:8
	v_mov_b32_e32 v15, 0
	s_mov_b32 s9, 0
	s_mov_b64 s[14:15], 0
	s_waitcnt vmcnt(0)
	v_add_u32_e32 v16, v13, v14
	s_branch .LBB90_15
.LBB90_14:                              ;   in Loop: Header=BB90_15 Depth=2
	s_or_b64 exec, exec, s[16:17]
	s_add_i32 s18, s9, 1
	s_cmp_gt_u32 s9, 2
	s_cselect_b64 s[2:3], -1, 0
	s_xor_b64 s[16:17], vcc, -1
	s_or_b64 s[2:3], s[16:17], s[2:3]
	s_and_b64 s[2:3], exec, s[2:3]
	v_add_u32_e32 v15, 4, v15
	s_or_b64 s[14:15], s[2:3], s[14:15]
	s_mov_b32 s9, s18
	s_andn2_b64 exec, exec, s[14:15]
	s_cbranch_execz .LBB90_17
.LBB90_15:                              ;   Parent Loop BB90_5 Depth=1
                                        ; =>  This Inner Loop Header: Depth=2
	v_cmp_ne_u32_e32 vcc, s9, v16
	v_cmp_eq_u32_e64 s[2:3], s9, v16
	s_and_saveexec_b64 s[16:17], s[2:3]
	s_cbranch_execz .LBB90_14
; %bb.16:                               ;   in Loop: Header=BB90_15 Depth=2
	scratch_load_dword v17, v15, off
	s_waitcnt vmcnt(0)
	v_add_f32_e32 v12, v12, v17
	global_store_dword v[8:9], v14, off offset:8
	s_branch .LBB90_14
.LBB90_17:                              ;   in Loop: Header=BB90_5 Depth=1
	s_or_b64 exec, exec, s[14:15]
	global_load_dword v6, v[6:7], off offset:12
	v_mov_b32_e32 v7, 0
	s_mov_b32 s9, 0
	s_mov_b64 s[14:15], 0
	s_waitcnt vmcnt(0)
	v_add_u32_e32 v14, v13, v6
	s_branch .LBB90_19
.LBB90_18:                              ;   in Loop: Header=BB90_19 Depth=2
	s_or_b64 exec, exec, s[16:17]
	s_add_i32 s18, s9, 1
	s_cmp_gt_u32 s9, 2
	s_cselect_b64 s[2:3], -1, 0
	s_xor_b64 s[16:17], vcc, -1
	s_or_b64 s[2:3], s[16:17], s[2:3]
	s_and_b64 s[2:3], exec, s[2:3]
	v_add_u32_e32 v7, 4, v7
	s_or_b64 s[14:15], s[2:3], s[14:15]
	s_mov_b32 s9, s18
	s_andn2_b64 exec, exec, s[14:15]
	s_cbranch_execz .LBB90_4
.LBB90_19:                              ;   Parent Loop BB90_5 Depth=1
                                        ; =>  This Inner Loop Header: Depth=2
	v_cmp_ne_u32_e32 vcc, s9, v14
	v_cmp_eq_u32_e64 s[2:3], s9, v14
	s_and_saveexec_b64 s[16:17], s[2:3]
	s_cbranch_execz .LBB90_18
; %bb.20:                               ;   in Loop: Header=BB90_19 Depth=2
	scratch_load_dword v15, v7, off
	s_waitcnt vmcnt(0)
	v_add_f32_e32 v12, v12, v15
	global_store_dword v[8:9], v6, off offset:12
	s_branch .LBB90_18
.LBB90_21:
	v_mov_b32_e32 v12, 0
.LBB90_22:
	s_and_b32 s16, s20, 3
	s_cmp_eq_u32 s16, 0
	s_mov_b32 s9, 0
	s_cbranch_scc1 .LBB90_29
; %bb.23:
	v_lshlrev_b32_e32 v3, 2, v11
	v_sub_u32_e32 v3, 0, v3
	s_mov_b32 s17, s9
	s_branch .LBB90_25
.LBB90_24:                              ;   in Loop: Header=BB90_25 Depth=1
	s_or_b64 exec, exec, s[12:13]
	s_add_i32 s8, s8, 1
	s_add_i32 s17, s17, 1
	s_cmp_lg_u32 s17, s16
	s_cbranch_scc0 .LBB90_29
.LBB90_25:                              ; =>This Loop Header: Depth=1
                                        ;     Child Loop BB90_27 Depth 2
	v_lshl_add_u64 v[6:7], s[8:9], 2, v[4:5]
	global_load_dword v8, v[6:7], off
	v_add_u32_e32 v6, s8, v2
	v_ashrrev_i32_e32 v7, 31, v6
	v_mov_b32_e32 v9, 0
	s_mov_b32 s18, 0
	s_waitcnt lgkmcnt(0)
	v_lshl_add_u64 v[6:7], v[6:7], 2, s[6:7]
	s_mov_b64 s[12:13], 0
	s_waitcnt vmcnt(0)
	v_add_u32_e32 v11, v3, v8
	s_branch .LBB90_27
.LBB90_26:                              ;   in Loop: Header=BB90_27 Depth=2
	s_or_b64 exec, exec, s[14:15]
	s_add_i32 s19, s18, 1
	s_cmp_gt_u32 s18, 2
	s_cselect_b64 s[2:3], -1, 0
	s_xor_b64 s[14:15], vcc, -1
	s_or_b64 s[2:3], s[14:15], s[2:3]
	s_and_b64 s[2:3], exec, s[2:3]
	v_add_u32_e32 v9, 4, v9
	s_or_b64 s[12:13], s[2:3], s[12:13]
	s_mov_b32 s18, s19
	s_andn2_b64 exec, exec, s[12:13]
	s_cbranch_execz .LBB90_24
.LBB90_27:                              ;   Parent Loop BB90_25 Depth=1
                                        ; =>  This Inner Loop Header: Depth=2
	v_cmp_ne_u32_e32 vcc, s18, v11
	v_cmp_eq_u32_e64 s[2:3], s18, v11
	s_and_saveexec_b64 s[14:15], s[2:3]
	s_cbranch_execz .LBB90_26
; %bb.28:                               ;   in Loop: Header=BB90_27 Depth=2
	scratch_load_dword v13, v9, off
	s_waitcnt vmcnt(0)
	v_add_f32_e32 v12, v12, v13
	global_store_dword v[6:7], v8, off
	s_branch .LBB90_26
.LBB90_29:
	s_waitcnt lgkmcnt(0)
	s_load_dword s6, s[0:1], 0x3c
	s_waitcnt lgkmcnt(0)
	s_bitcmp1_b32 s6, 0
	s_cselect_b64 s[2:3], -1, 0
	s_bitcmp0_b32 s6, 0
	s_cbranch_scc0 .LBB90_32
; %bb.30:
	s_load_dwordx2 s[6:7], s[0:1], 0x40
	s_andn2_b64 vcc, exec, s[2:3]
	s_waitcnt lgkmcnt(0)
	v_cvt_f32_f64_e32 v11, s[6:7]
	s_cbranch_vccz .LBB90_33
.LBB90_31:
	s_andn2_b64 vcc, exec, s[4:5]
	s_cbranch_vccz .LBB90_34
	s_branch .LBB90_80
.LBB90_32:
	v_mbcnt_lo_u32_b32 v3, -1, 0
	v_mbcnt_hi_u32_b32 v3, -1, v3
	v_and_b32_e32 v6, 0x60, v3
	v_add_u32_e32 v6, 32, v6
	v_xor_b32_e32 v7, 16, v3
	v_cmp_lt_i32_e32 vcc, v7, v6
	v_xor_b32_e32 v8, 8, v3
	v_xor_b32_e32 v9, 4, v3
	v_cndmask_b32_e32 v7, v3, v7, vcc
	v_lshlrev_b32_e32 v7, 2, v7
	ds_bpermute_b32 v7, v7, v12
	v_cmp_lt_i32_e32 vcc, v8, v6
	s_waitcnt lgkmcnt(0)
	v_add_f32_e32 v7, v12, v7
	v_cndmask_b32_e32 v8, v3, v8, vcc
	v_lshlrev_b32_e32 v8, 2, v8
	ds_bpermute_b32 v8, v8, v7
	v_cmp_lt_i32_e32 vcc, v9, v6
	s_waitcnt lgkmcnt(0)
	v_add_f32_e32 v7, v7, v8
	v_cndmask_b32_e32 v8, v3, v9, vcc
	v_lshlrev_b32_e32 v8, 2, v8
	ds_bpermute_b32 v8, v8, v7
	v_xor_b32_e32 v9, 2, v3
	v_cmp_lt_i32_e32 vcc, v9, v6
	s_waitcnt lgkmcnt(0)
	v_add_f32_e32 v7, v7, v8
	v_cndmask_b32_e32 v8, v3, v9, vcc
	v_lshlrev_b32_e32 v8, 2, v8
	ds_bpermute_b32 v8, v8, v7
	v_xor_b32_e32 v9, 1, v3
	v_cmp_lt_i32_e32 vcc, v9, v6
	s_waitcnt lgkmcnt(0)
	v_add_f32_e32 v7, v7, v8
	v_cndmask_b32_e32 v3, v3, v9, vcc
	v_lshlrev_b32_e32 v3, 2, v3
	ds_bpermute_b32 v3, v3, v7
	s_waitcnt lgkmcnt(0)
	v_add_f32_e32 v12, v7, v3
	s_load_dwordx2 s[6:7], s[0:1], 0x40
	s_andn2_b64 vcc, exec, s[2:3]
	s_waitcnt lgkmcnt(0)
	v_cvt_f32_f64_e32 v11, s[6:7]
	s_cbranch_vccnz .LBB90_31
.LBB90_33:
	v_cmp_lt_f32_e32 vcc, 0, v12
	s_nop 1
	v_cndmask_b32_e32 v3, 1.0, v12, vcc
	v_div_scale_f32 v6, s[2:3], v3, v3, v11
	v_rcp_f32_e32 v7, v6
	s_nop 0
	v_fma_f32 v8, -v6, v7, 1.0
	v_fmac_f32_e32 v7, v8, v7
	v_div_scale_f32 v8, vcc, v11, v3, v11
	v_mul_f32_e32 v9, v8, v7
	v_fma_f32 v12, -v6, v9, v8
	v_fmac_f32_e32 v9, v12, v7
	v_fma_f32 v6, -v6, v9, v8
	v_div_fmas_f32 v6, v6, v7, v9
	v_div_fixup_f32 v11, v6, v3, v11
	s_andn2_b64 vcc, exec, s[4:5]
	s_cbranch_vccnz .LBB90_80
.LBB90_34:
	s_load_dwordx2 s[4:5], s[0:1], 0x10
	v_mov_b32_e32 v3, 0
	v_or_b32_e32 v12, 4, v3
	v_or_b32_e32 v13, 8, v3
	;; [unrolled: 1-line block ×6, first 2 shown]
	s_cmp_lt_u32 s20, 4
	s_mov_b32 s6, 0
	s_cbranch_scc1 .LBB90_69
; %bb.35:
	v_ashrrev_i32_e32 v3, 31, v2
	s_and_b32 s6, s20, 0x7ffffffc
	s_waitcnt lgkmcnt(0)
	v_lshl_add_u64 v[6:7], v[2:3], 2, s[4:5]
	s_mov_b32 s7, 0
	s_mov_b64 s[8:9], 0
	s_branch .LBB90_37
.LBB90_36:                              ;   in Loop: Header=BB90_37 Depth=1
	s_or_b64 exec, exec, s[2:3]
	s_add_i32 s7, s7, 4
	s_add_u32 s8, s8, 16
	s_addc_u32 s9, s9, 0
	s_cmp_eq_u32 s6, s7
	s_cbranch_scc1 .LBB90_69
.LBB90_37:                              ; =>This Inner Loop Header: Depth=1
	v_lshl_add_u64 v[8:9], v[4:5], 0, s[8:9]
	global_load_dword v18, v[8:9], off
	v_mov_b32_e32 v3, 0
	s_waitcnt vmcnt(0)
	v_cmp_eq_u32_e32 vcc, v18, v10
	v_cmp_ne_u32_e64 s[0:1], v18, v10
	s_and_saveexec_b64 s[12:13], s[0:1]
	s_cbranch_execz .LBB90_43
; %bb.38:                               ;   in Loop: Header=BB90_37 Depth=1
	v_cmp_eq_u32_e64 s[0:1], v18, v15
	v_cmp_ne_u32_e64 s[2:3], v18, v15
	v_mov_b32_e32 v3, v12
	s_and_saveexec_b64 s[14:15], s[2:3]
	s_cbranch_execz .LBB90_42
; %bb.39:                               ;   in Loop: Header=BB90_37 Depth=1
	v_cmp_eq_u32_e64 s[16:17], v18, v16
	v_cmp_ne_u32_e64 s[2:3], v18, v16
	v_mov_b32_e32 v3, v13
	s_and_saveexec_b64 s[18:19], s[2:3]
	s_xor_b64 s[18:19], exec, s[18:19]
; %bb.40:                               ;   in Loop: Header=BB90_37 Depth=1
	v_cmp_eq_u32_e64 s[2:3], v18, v17
	s_andn2_b64 s[16:17], s[16:17], exec
	s_and_b64 s[2:3], s[2:3], exec
	s_or_b64 s[16:17], s[16:17], s[2:3]
	v_mov_b32_e32 v3, v14
; %bb.41:                               ;   in Loop: Header=BB90_37 Depth=1
	s_or_b64 exec, exec, s[18:19]
	s_andn2_b64 s[0:1], s[0:1], exec
	s_and_b64 s[2:3], s[16:17], exec
	s_or_b64 s[0:1], s[0:1], s[2:3]
.LBB90_42:                              ;   in Loop: Header=BB90_37 Depth=1
	s_or_b64 exec, exec, s[14:15]
	s_andn2_b64 s[2:3], vcc, exec
	s_and_b64 s[0:1], s[0:1], exec
	s_or_b64 vcc, s[2:3], s[0:1]
.LBB90_43:                              ;   in Loop: Header=BB90_37 Depth=1
	s_or_b64 exec, exec, s[12:13]
	s_and_saveexec_b64 s[0:1], vcc
	s_cbranch_execz .LBB90_45
; %bb.44:                               ;   in Loop: Header=BB90_37 Depth=1
	scratch_load_dword v3, v3, off
	v_add_u32_e32 v18, s7, v2
	v_ashrrev_i32_e32 v19, 31, v18
	v_lshl_add_u64 v[18:19], v[18:19], 2, s[4:5]
	s_waitcnt vmcnt(0)
	v_mul_f32_e32 v3, v11, v3
	global_store_dword v[18:19], v3, off
.LBB90_45:                              ;   in Loop: Header=BB90_37 Depth=1
	s_or_b64 exec, exec, s[0:1]
	global_load_dword v18, v[8:9], off offset:4
	v_mov_b32_e32 v3, 0
	s_waitcnt vmcnt(0)
	v_cmp_eq_u32_e64 s[0:1], v18, v10
	v_cmp_ne_u32_e32 vcc, v18, v10
	s_and_saveexec_b64 s[2:3], vcc
	s_cbranch_execz .LBB90_51
; %bb.46:                               ;   in Loop: Header=BB90_37 Depth=1
	v_cmp_eq_u32_e64 s[12:13], v18, v15
	v_cmp_ne_u32_e32 vcc, v18, v15
	v_mov_b32_e32 v3, v12
	s_and_saveexec_b64 s[14:15], vcc
	s_cbranch_execz .LBB90_50
; %bb.47:                               ;   in Loop: Header=BB90_37 Depth=1
	v_cmp_eq_u32_e64 s[16:17], v18, v16
	v_cmp_ne_u32_e32 vcc, v18, v16
	v_mov_b32_e32 v3, v13
	s_and_saveexec_b64 s[18:19], vcc
; %bb.48:                               ;   in Loop: Header=BB90_37 Depth=1
	v_cmp_eq_u32_e32 vcc, v18, v17
	s_andn2_b64 s[16:17], s[16:17], exec
	s_and_b64 s[22:23], vcc, exec
	s_or_b64 s[16:17], s[16:17], s[22:23]
	v_mov_b32_e32 v3, v14
; %bb.49:                               ;   in Loop: Header=BB90_37 Depth=1
	s_or_b64 exec, exec, s[18:19]
	s_andn2_b64 s[12:13], s[12:13], exec
	s_and_b64 s[16:17], s[16:17], exec
	s_or_b64 s[12:13], s[12:13], s[16:17]
.LBB90_50:                              ;   in Loop: Header=BB90_37 Depth=1
	s_or_b64 exec, exec, s[14:15]
	s_andn2_b64 s[0:1], s[0:1], exec
	s_and_b64 s[12:13], s[12:13], exec
	s_or_b64 s[0:1], s[0:1], s[12:13]
.LBB90_51:                              ;   in Loop: Header=BB90_37 Depth=1
	s_or_b64 exec, exec, s[2:3]
	s_and_saveexec_b64 s[2:3], s[0:1]
	s_cbranch_execz .LBB90_53
; %bb.52:                               ;   in Loop: Header=BB90_37 Depth=1
	scratch_load_dword v3, v3, off
	v_lshl_add_u64 v[18:19], v[6:7], 0, s[8:9]
	s_waitcnt vmcnt(0)
	v_mul_f32_e32 v3, v11, v3
	global_store_dword v[18:19], v3, off offset:4
.LBB90_53:                              ;   in Loop: Header=BB90_37 Depth=1
	s_or_b64 exec, exec, s[2:3]
	global_load_dword v18, v[8:9], off offset:8
	v_mov_b32_e32 v3, 0
	s_waitcnt vmcnt(0)
	v_cmp_eq_u32_e64 s[0:1], v18, v10
	v_cmp_ne_u32_e32 vcc, v18, v10
	s_and_saveexec_b64 s[2:3], vcc
	s_cbranch_execz .LBB90_59
; %bb.54:                               ;   in Loop: Header=BB90_37 Depth=1
	v_cmp_eq_u32_e64 s[12:13], v18, v15
	v_cmp_ne_u32_e32 vcc, v18, v15
	v_mov_b32_e32 v3, v12
	s_and_saveexec_b64 s[14:15], vcc
	s_cbranch_execz .LBB90_58
; %bb.55:                               ;   in Loop: Header=BB90_37 Depth=1
	v_cmp_eq_u32_e64 s[16:17], v18, v16
	v_cmp_ne_u32_e32 vcc, v18, v16
	v_mov_b32_e32 v3, v13
	s_and_saveexec_b64 s[18:19], vcc
; %bb.56:                               ;   in Loop: Header=BB90_37 Depth=1
	v_cmp_eq_u32_e32 vcc, v18, v17
	s_andn2_b64 s[16:17], s[16:17], exec
	s_and_b64 s[22:23], vcc, exec
	s_or_b64 s[16:17], s[16:17], s[22:23]
	v_mov_b32_e32 v3, v14
; %bb.57:                               ;   in Loop: Header=BB90_37 Depth=1
	s_or_b64 exec, exec, s[18:19]
	s_andn2_b64 s[12:13], s[12:13], exec
	s_and_b64 s[16:17], s[16:17], exec
	s_or_b64 s[12:13], s[12:13], s[16:17]
.LBB90_58:                              ;   in Loop: Header=BB90_37 Depth=1
	s_or_b64 exec, exec, s[14:15]
	s_andn2_b64 s[0:1], s[0:1], exec
	s_and_b64 s[12:13], s[12:13], exec
	s_or_b64 s[0:1], s[0:1], s[12:13]
.LBB90_59:                              ;   in Loop: Header=BB90_37 Depth=1
	s_or_b64 exec, exec, s[2:3]
	s_and_saveexec_b64 s[2:3], s[0:1]
	s_cbranch_execz .LBB90_61
; %bb.60:                               ;   in Loop: Header=BB90_37 Depth=1
	scratch_load_dword v3, v3, off
	v_lshl_add_u64 v[18:19], v[6:7], 0, s[8:9]
	s_waitcnt vmcnt(0)
	v_mul_f32_e32 v3, v11, v3
	global_store_dword v[18:19], v3, off offset:8
.LBB90_61:                              ;   in Loop: Header=BB90_37 Depth=1
	s_or_b64 exec, exec, s[2:3]
	global_load_dword v8, v[8:9], off offset:12
	v_mov_b32_e32 v3, 0
	s_waitcnt vmcnt(0)
	v_cmp_eq_u32_e64 s[0:1], v8, v10
	v_cmp_ne_u32_e32 vcc, v8, v10
	s_and_saveexec_b64 s[2:3], vcc
	s_cbranch_execz .LBB90_67
; %bb.62:                               ;   in Loop: Header=BB90_37 Depth=1
	v_cmp_eq_u32_e64 s[12:13], v8, v15
	v_cmp_ne_u32_e32 vcc, v8, v15
	v_mov_b32_e32 v3, v12
	s_and_saveexec_b64 s[14:15], vcc
	s_cbranch_execz .LBB90_66
; %bb.63:                               ;   in Loop: Header=BB90_37 Depth=1
	v_cmp_eq_u32_e64 s[16:17], v8, v16
	v_cmp_ne_u32_e32 vcc, v8, v16
	v_mov_b32_e32 v3, v13
	s_and_saveexec_b64 s[18:19], vcc
; %bb.64:                               ;   in Loop: Header=BB90_37 Depth=1
	v_cmp_eq_u32_e32 vcc, v8, v17
	s_andn2_b64 s[16:17], s[16:17], exec
	s_and_b64 s[22:23], vcc, exec
	s_or_b64 s[16:17], s[16:17], s[22:23]
	v_mov_b32_e32 v3, v14
; %bb.65:                               ;   in Loop: Header=BB90_37 Depth=1
	s_or_b64 exec, exec, s[18:19]
	s_andn2_b64 s[12:13], s[12:13], exec
	s_and_b64 s[16:17], s[16:17], exec
	s_or_b64 s[12:13], s[12:13], s[16:17]
.LBB90_66:                              ;   in Loop: Header=BB90_37 Depth=1
	s_or_b64 exec, exec, s[14:15]
	s_andn2_b64 s[0:1], s[0:1], exec
	s_and_b64 s[12:13], s[12:13], exec
	s_or_b64 s[0:1], s[0:1], s[12:13]
.LBB90_67:                              ;   in Loop: Header=BB90_37 Depth=1
	s_or_b64 exec, exec, s[2:3]
	s_and_saveexec_b64 s[2:3], s[0:1]
	s_cbranch_execz .LBB90_36
; %bb.68:                               ;   in Loop: Header=BB90_37 Depth=1
	scratch_load_dword v3, v3, off
	v_lshl_add_u64 v[8:9], v[6:7], 0, s[8:9]
	s_waitcnt vmcnt(0)
	v_mul_f32_e32 v3, v11, v3
	global_store_dword v[8:9], v3, off offset:12
	s_branch .LBB90_36
.LBB90_69:
	s_and_b32 s14, s20, 3
	s_cmp_eq_u32 s14, 0
	s_mov_b32 s7, 0
	s_cbranch_scc1 .LBB90_80
; %bb.70:
	s_lshl_b64 s[0:1], s[6:7], 2
	s_add_u32 s0, s10, s0
	s_addc_u32 s1, s11, s1
	v_add_u32_e32 v2, s6, v2
	v_lshl_add_u64 v[0:1], v[0:1], 2, s[0:1]
	s_branch .LBB90_72
.LBB90_71:                              ;   in Loop: Header=BB90_72 Depth=1
	s_or_b64 exec, exec, s[2:3]
	s_add_i32 s14, s14, -1
	v_add_u32_e32 v2, 1, v2
	s_cmp_lg_u32 s14, 0
	v_lshl_add_u64 v[0:1], v[0:1], 0, 4
	s_cbranch_scc0 .LBB90_80
.LBB90_72:                              ; =>This Inner Loop Header: Depth=1
	global_load_dword v4, v[0:1], off
	v_mov_b32_e32 v3, 0
	s_waitcnt vmcnt(0)
	v_cmp_eq_u32_e64 s[0:1], v4, v10
	v_cmp_ne_u32_e32 vcc, v4, v10
	s_and_saveexec_b64 s[2:3], vcc
	s_cbranch_execz .LBB90_78
; %bb.73:                               ;   in Loop: Header=BB90_72 Depth=1
	v_cmp_eq_u32_e64 s[6:7], v4, v15
	v_cmp_ne_u32_e32 vcc, v4, v15
	v_mov_b32_e32 v3, v12
	s_and_saveexec_b64 s[8:9], vcc
	s_cbranch_execz .LBB90_77
; %bb.74:                               ;   in Loop: Header=BB90_72 Depth=1
	v_cmp_eq_u32_e64 s[10:11], v4, v16
	v_cmp_ne_u32_e32 vcc, v4, v16
	v_mov_b32_e32 v3, v13
	s_and_saveexec_b64 s[12:13], vcc
; %bb.75:                               ;   in Loop: Header=BB90_72 Depth=1
	v_cmp_eq_u32_e32 vcc, v4, v17
	s_andn2_b64 s[10:11], s[10:11], exec
	s_and_b64 s[16:17], vcc, exec
	s_or_b64 s[10:11], s[10:11], s[16:17]
	v_mov_b32_e32 v3, v14
; %bb.76:                               ;   in Loop: Header=BB90_72 Depth=1
	s_or_b64 exec, exec, s[12:13]
	s_andn2_b64 s[6:7], s[6:7], exec
	s_and_b64 s[10:11], s[10:11], exec
	s_or_b64 s[6:7], s[6:7], s[10:11]
.LBB90_77:                              ;   in Loop: Header=BB90_72 Depth=1
	s_or_b64 exec, exec, s[8:9]
	s_andn2_b64 s[0:1], s[0:1], exec
	s_and_b64 s[6:7], s[6:7], exec
	s_or_b64 s[0:1], s[0:1], s[6:7]
.LBB90_78:                              ;   in Loop: Header=BB90_72 Depth=1
	s_or_b64 exec, exec, s[2:3]
	s_and_saveexec_b64 s[2:3], s[0:1]
	s_cbranch_execz .LBB90_71
; %bb.79:                               ;   in Loop: Header=BB90_72 Depth=1
	scratch_load_dword v4, v3, off
	v_ashrrev_i32_e32 v3, 31, v2
	s_waitcnt vmcnt(0)
	v_mul_f32_e32 v6, v11, v4
	s_waitcnt lgkmcnt(0)
	v_lshl_add_u64 v[4:5], v[2:3], 2, s[4:5]
	global_store_dword v[4:5], v6, off
	s_branch .LBB90_71
.LBB90_80:
	s_endpgm
	.section	.rodata,"a",@progbits
	.p2align	6, 0x0
	.amdhsa_kernel _ZN4vllm3moe22topkGatingSoftplusSqrtILi4ELi128ELi4ELi16ELi32ELb1EjfEEvPKT6_PKbPfiPT5_PiiiibdPKfPKS8_SE_
		.amdhsa_group_segment_fixed_size 0
		.amdhsa_private_segment_fixed_size 32
		.amdhsa_kernarg_size 96
		.amdhsa_user_sgpr_count 2
		.amdhsa_user_sgpr_dispatch_ptr 0
		.amdhsa_user_sgpr_queue_ptr 0
		.amdhsa_user_sgpr_kernarg_segment_ptr 1
		.amdhsa_user_sgpr_dispatch_id 0
		.amdhsa_user_sgpr_kernarg_preload_length 0
		.amdhsa_user_sgpr_kernarg_preload_offset 0
		.amdhsa_user_sgpr_private_segment_size 0
		.amdhsa_uses_dynamic_stack 0
		.amdhsa_enable_private_segment 1
		.amdhsa_system_sgpr_workgroup_id_x 1
		.amdhsa_system_sgpr_workgroup_id_y 0
		.amdhsa_system_sgpr_workgroup_id_z 0
		.amdhsa_system_sgpr_workgroup_info 0
		.amdhsa_system_vgpr_workitem_id 1
		.amdhsa_next_free_vgpr 23
		.amdhsa_next_free_sgpr 24
		.amdhsa_accum_offset 24
		.amdhsa_reserve_vcc 1
		.amdhsa_float_round_mode_32 0
		.amdhsa_float_round_mode_16_64 0
		.amdhsa_float_denorm_mode_32 3
		.amdhsa_float_denorm_mode_16_64 3
		.amdhsa_dx10_clamp 1
		.amdhsa_ieee_mode 1
		.amdhsa_fp16_overflow 0
		.amdhsa_tg_split 0
		.amdhsa_exception_fp_ieee_invalid_op 0
		.amdhsa_exception_fp_denorm_src 0
		.amdhsa_exception_fp_ieee_div_zero 0
		.amdhsa_exception_fp_ieee_overflow 0
		.amdhsa_exception_fp_ieee_underflow 0
		.amdhsa_exception_fp_ieee_inexact 0
		.amdhsa_exception_int_div_zero 0
	.end_amdhsa_kernel
	.section	.text._ZN4vllm3moe22topkGatingSoftplusSqrtILi4ELi128ELi4ELi16ELi32ELb1EjfEEvPKT6_PKbPfiPT5_PiiiibdPKfPKS8_SE_,"axG",@progbits,_ZN4vllm3moe22topkGatingSoftplusSqrtILi4ELi128ELi4ELi16ELi32ELb1EjfEEvPKT6_PKbPfiPT5_PiiiibdPKfPKS8_SE_,comdat
.Lfunc_end90:
	.size	_ZN4vllm3moe22topkGatingSoftplusSqrtILi4ELi128ELi4ELi16ELi32ELb1EjfEEvPKT6_PKbPfiPT5_PiiiibdPKfPKS8_SE_, .Lfunc_end90-_ZN4vllm3moe22topkGatingSoftplusSqrtILi4ELi128ELi4ELi16ELi32ELb1EjfEEvPKT6_PKbPfiPT5_PiiiibdPKfPKS8_SE_
                                        ; -- End function
	.section	.AMDGPU.csdata,"",@progbits
; Kernel info:
; codeLenInByte = 3500
; NumSgprs: 30
; NumVgprs: 23
; NumAgprs: 0
; TotalNumVgprs: 23
; ScratchSize: 32
; MemoryBound: 0
; FloatMode: 240
; IeeeMode: 1
; LDSByteSize: 0 bytes/workgroup (compile time only)
; SGPRBlocks: 3
; VGPRBlocks: 2
; NumSGPRsForWavesPerEU: 30
; NumVGPRsForWavesPerEU: 23
; AccumOffset: 24
; Occupancy: 8
; WaveLimiterHint : 1
; COMPUTE_PGM_RSRC2:SCRATCH_EN: 1
; COMPUTE_PGM_RSRC2:USER_SGPR: 2
; COMPUTE_PGM_RSRC2:TRAP_HANDLER: 0
; COMPUTE_PGM_RSRC2:TGID_X_EN: 1
; COMPUTE_PGM_RSRC2:TGID_Y_EN: 0
; COMPUTE_PGM_RSRC2:TGID_Z_EN: 0
; COMPUTE_PGM_RSRC2:TIDIG_COMP_CNT: 1
; COMPUTE_PGM_RSRC3_GFX90A:ACCUM_OFFSET: 5
; COMPUTE_PGM_RSRC3_GFX90A:TG_SPLIT: 0
	.section	.text._ZN4vllm3moe22topkGatingSoftplusSqrtILi4ELi128ELi4ELi16ELi32ELb0EjfEEvPKT6_PKbPfiPT5_PiiiibdPKfPKS8_SE_,"axG",@progbits,_ZN4vllm3moe22topkGatingSoftplusSqrtILi4ELi128ELi4ELi16ELi32ELb0EjfEEvPKT6_PKbPfiPT5_PiiiibdPKfPKS8_SE_,comdat
	.protected	_ZN4vllm3moe22topkGatingSoftplusSqrtILi4ELi128ELi4ELi16ELi32ELb0EjfEEvPKT6_PKbPfiPT5_PiiiibdPKfPKS8_SE_ ; -- Begin function _ZN4vllm3moe22topkGatingSoftplusSqrtILi4ELi128ELi4ELi16ELi32ELb0EjfEEvPKT6_PKbPfiPT5_PiiiibdPKfPKS8_SE_
	.globl	_ZN4vllm3moe22topkGatingSoftplusSqrtILi4ELi128ELi4ELi16ELi32ELb0EjfEEvPKT6_PKbPfiPT5_PiiiibdPKfPKS8_SE_
	.p2align	8
	.type	_ZN4vllm3moe22topkGatingSoftplusSqrtILi4ELi128ELi4ELi16ELi32ELb0EjfEEvPKT6_PKbPfiPT5_PiiiibdPKfPKS8_SE_,@function
_ZN4vllm3moe22topkGatingSoftplusSqrtILi4ELi128ELi4ELi16ELi32ELb0EjfEEvPKT6_PKbPfiPT5_PiiiibdPKfPKS8_SE_: ; @_ZN4vllm3moe22topkGatingSoftplusSqrtILi4ELi128ELi4ELi16ELi32ELb0EjfEEvPKT6_PKbPfiPT5_PiiiibdPKfPKS8_SE_
; %bb.0:
	s_load_dword s30, s[2:3], 0x18
	v_and_b32_e32 v1, 0x3ff, v0
	v_bfe_u32 v4, v0, 10, 10
	s_lshl_b32 s4, s4, 2
	v_lshrrev_b32_e32 v2, 5, v1
	v_add3_u32 v2, s4, v4, v2
	s_waitcnt lgkmcnt(0)
	v_cmp_gt_i32_e32 vcc, s30, v2
	s_and_saveexec_b64 s[4:5], vcc
	s_cbranch_execz .LBB91_55
; %bb.1:
	s_load_dwordx4 s[4:7], s[2:3], 0x0
	s_load_dwordx2 s[20:21], s[2:3], 0x10
	s_waitcnt lgkmcnt(0)
	s_cmp_eq_u64 s[6:7], 0
	s_cbranch_scc1 .LBB91_3
; %bb.2:
	v_ashrrev_i32_e32 v3, 31, v2
	v_lshl_add_u64 v[6:7], s[6:7], 0, v[2:3]
	global_load_ubyte v3, v[6:7], off
	s_waitcnt vmcnt(0)
	v_and_b32_e32 v3, 1, v3
	v_cmp_eq_u32_e32 vcc, 1, v3
	s_xor_b64 s[6:7], vcc, -1
	s_orn2_b64 s[22:23], s[6:7], exec
	s_branch .LBB91_4
.LBB91_3:
	s_mov_b64 s[22:23], -1
.LBB91_4:
	v_lshlrev_b32_e32 v8, 7, v2
	v_mov_b32_e32 v6, s4
	v_mov_b32_e32 v7, s5
	v_ashrrev_i32_e32 v9, 31, v8
	v_and_b32_e32 v3, 31, v1
	v_lshl_add_u64 v[6:7], v[8:9], 2, v[6:7]
	v_mov_b32_e32 v9, 0
	v_lshlrev_b32_e32 v8, 4, v3
	v_lshl_add_u64 v[6:7], v[6:7], 0, v[8:9]
	global_load_dwordx4 v[6:9], v[6:7], off
	s_load_dwordx2 s[4:5], s[0:1], 0x4
	s_load_dwordx4 s[8:11], s[2:3], 0x40
	v_bfe_u32 v0, v0, 20, 10
	s_mov_b32 s16, 0x800000
	s_mov_b32 s13, 0x3f317217
	s_waitcnt lgkmcnt(0)
	s_lshr_b32 s0, s4, 16
	v_mul_u32_u24_e32 v4, s5, v4
	s_mul_i32 s0, s0, s5
	v_mad_u32_u24 v1, s0, v1, v4
	v_add_lshl_u32 v4, v1, v0, 4
	s_mov_b32 s14, 0x7f800000
	s_mov_b32 s12, 0x41a00000
	;; [unrolled: 1-line block ×3, first 2 shown]
	s_cmp_lg_u64 s[10:11], 0
	v_mov_b32_e32 v1, 0x260
	s_cselect_b64 s[6:7], -1, 0
	s_and_b64 s[0:1], exec, s[6:7]
	s_waitcnt vmcnt(0)
	ds_write_b128 v4, v[6:9]
	ds_read_b32 v8, v4
	v_mov_b32_e32 v6, 0x4f800000
	v_mov_b32_e32 v7, 0x41b17218
	s_waitcnt lgkmcnt(0)
	v_mul_f32_e32 v0, 0x3fb8aa3b, v8
	v_exp_f32_e32 v0, v0
	s_nop 0
	v_add_f32_e32 v0, 1.0, v0
	v_cmp_gt_f32_e32 vcc, s16, v0
	s_nop 1
	v_cndmask_b32_e32 v5, 1.0, v6, vcc
	v_mul_f32_e32 v0, v0, v5
	v_log_f32_e32 v9, v0
	v_cndmask_b32_e32 v10, 0, v7, vcc
	v_lshlrev_b32_e32 v5, 2, v3
	v_lshlrev_b32_e32 v0, 2, v5
	v_mul_f32_e32 v11, 0x3f317217, v9
	v_fma_f32 v11, v9, s13, -v11
	v_fmac_f32_e32 v11, 0x3377d1cf, v9
	v_fmac_f32_e32 v11, 0x3f317217, v9
	v_cmp_lt_f32_e64 vcc, |v9|, s14
	s_nop 1
	v_cndmask_b32_e32 v9, v9, v11, vcc
	v_sub_f32_e32 v9, v9, v10
	v_cmp_lt_f32_e32 vcc, s12, v8
	s_nop 1
	v_cndmask_b32_e32 v8, v9, v8, vcc
	v_mul_f32_e32 v9, 0x4f800000, v8
	v_cmp_gt_f32_e32 vcc, s15, v8
	s_nop 1
	v_cndmask_b32_e32 v8, v8, v9, vcc
	v_sqrt_f32_e32 v9, v8
	s_nop 0
	v_add_u32_e32 v10, -1, v9
	v_add_u32_e32 v11, 1, v9
	v_fma_f32 v12, -v10, v9, v8
	v_fma_f32 v13, -v11, v9, v8
	v_cmp_ge_f32_e64 s[4:5], 0, v12
	s_nop 1
	v_cndmask_b32_e64 v9, v9, v10, s[4:5]
	v_cmp_lt_f32_e64 s[4:5], 0, v13
	s_nop 1
	v_cndmask_b32_e64 v9, v9, v11, s[4:5]
	v_mul_f32_e32 v10, 0x37800000, v9
	v_cndmask_b32_e32 v9, v9, v10, vcc
	v_cmp_class_f32_e32 vcc, v8, v1
	s_nop 1
	v_cndmask_b32_e32 v8, v9, v8, vcc
	s_mov_b64 vcc, s[0:1]
	s_cbranch_vccz .LBB91_6
; %bb.5:
	global_load_dword v9, v0, s[10:11]
	s_waitcnt vmcnt(0)
	v_add_f32_e32 v8, v8, v9
.LBB91_6:
	ds_read_b32 v9, v4 offset:4
	ds_write_b32 v4, v8
	s_waitcnt lgkmcnt(1)
	v_mul_f32_e32 v10, 0x3fb8aa3b, v9
	v_exp_f32_e32 v10, v10
	s_nop 0
	v_add_f32_e32 v10, 1.0, v10
	v_cmp_gt_f32_e32 vcc, s16, v10
	s_nop 1
	v_cndmask_b32_e32 v6, 1.0, v6, vcc
	v_mul_f32_e32 v6, v10, v6
	v_log_f32_e32 v6, v6
	v_cndmask_b32_e32 v7, 0, v7, vcc
	v_mul_f32_e32 v8, 0x3f317217, v6
	v_fma_f32 v8, v6, s13, -v8
	v_fmac_f32_e32 v8, 0x3377d1cf, v6
	v_fmac_f32_e32 v8, 0x3f317217, v6
	v_cmp_lt_f32_e64 vcc, |v6|, s14
	s_nop 1
	v_cndmask_b32_e32 v6, v6, v8, vcc
	v_sub_f32_e32 v6, v6, v7
	v_cmp_lt_f32_e32 vcc, s12, v9
	v_cndmask_b32_e64 v8, 0, 1, s[6:7]
	v_cmp_ne_u32_e64 s[0:1], 1, v8
	v_cndmask_b32_e32 v6, v6, v9, vcc
	v_mul_f32_e32 v7, 0x4f800000, v6
	v_cmp_gt_f32_e64 s[4:5], s15, v6
	s_andn2_b64 vcc, exec, s[6:7]
	s_nop 0
	v_cndmask_b32_e64 v6, v6, v7, s[4:5]
	v_sqrt_f32_e32 v7, v6
	s_nop 0
	v_add_u32_e32 v8, -1, v7
	v_add_u32_e32 v9, 1, v7
	v_fma_f32 v10, -v8, v7, v6
	v_fma_f32 v11, -v9, v7, v6
	v_cmp_ge_f32_e64 s[6:7], 0, v10
	s_nop 1
	v_cndmask_b32_e64 v7, v7, v8, s[6:7]
	v_cmp_lt_f32_e64 s[6:7], 0, v11
	s_nop 1
	v_cndmask_b32_e64 v7, v7, v9, s[6:7]
	v_mul_f32_e32 v8, 0x37800000, v7
	v_cndmask_b32_e64 v7, v7, v8, s[4:5]
	v_cmp_class_f32_e64 s[4:5], v6, v1
	s_nop 1
	v_cndmask_b32_e64 v1, v7, v6, s[4:5]
	s_cbranch_vccnz .LBB91_8
; %bb.7:
	global_load_dword v6, v0, s[10:11] offset:4
	s_waitcnt vmcnt(0)
	v_add_f32_e32 v1, v1, v6
.LBB91_8:
	ds_read_b32 v8, v4 offset:8
	s_mov_b32 s12, 0x800000
	s_mov_b32 s7, 0x3f317217
	;; [unrolled: 1-line block ×4, first 2 shown]
	s_waitcnt lgkmcnt(0)
	v_mul_f32_e32 v6, 0x3fb8aa3b, v8
	v_exp_f32_e32 v7, v6
	v_mov_b32_e32 v6, 0x4f800000
	s_mov_b32 s14, 0xf800000
	ds_write_b32 v4, v1 offset:4
	v_add_f32_e32 v7, 1.0, v7
	v_cmp_gt_f32_e32 vcc, s12, v7
	s_nop 1
	v_cndmask_b32_e32 v9, 1.0, v6, vcc
	v_mul_f32_e32 v7, v7, v9
	v_log_f32_e32 v9, v7
	v_mov_b32_e32 v7, 0x41b17218
	v_cndmask_b32_e32 v10, 0, v7, vcc
	v_mul_f32_e32 v11, 0x3f317217, v9
	v_fma_f32 v11, v9, s7, -v11
	v_fmac_f32_e32 v11, 0x3377d1cf, v9
	v_fmac_f32_e32 v11, 0x3f317217, v9
	v_cmp_lt_f32_e64 vcc, |v9|, s13
	s_nop 1
	v_cndmask_b32_e32 v9, v9, v11, vcc
	v_sub_f32_e32 v9, v9, v10
	v_cmp_lt_f32_e32 vcc, s6, v8
	s_nop 1
	v_cndmask_b32_e32 v8, v9, v8, vcc
	v_mul_f32_e32 v9, 0x4f800000, v8
	v_cmp_gt_f32_e32 vcc, s14, v8
	s_nop 1
	v_cndmask_b32_e32 v8, v8, v9, vcc
	v_sqrt_f32_e32 v9, v8
	s_nop 0
	v_add_u32_e32 v1, -1, v9
	v_fma_f32 v10, -v1, v9, v8
	v_cmp_ge_f32_e64 s[4:5], 0, v10
	v_add_u32_e32 v10, 1, v9
	s_nop 0
	v_cndmask_b32_e64 v1, v9, v1, s[4:5]
	v_fma_f32 v9, -v10, v9, v8
	v_cmp_lt_f32_e64 s[4:5], 0, v9
	s_nop 1
	v_cndmask_b32_e64 v1, v1, v10, s[4:5]
	v_mul_f32_e32 v9, 0x37800000, v1
	v_cndmask_b32_e32 v9, v1, v9, vcc
	v_mov_b32_e32 v1, 0x260
	v_cmp_class_f32_e64 s[4:5], v8, v1
	s_and_b64 vcc, exec, s[0:1]
	s_nop 0
	v_cndmask_b32_e64 v8, v9, v8, s[4:5]
	s_cbranch_vccnz .LBB91_10
; %bb.9:
	global_load_dword v9, v0, s[10:11] offset:8
	s_waitcnt vmcnt(0)
	v_add_f32_e32 v8, v8, v9
.LBB91_10:
	ds_read_b32 v9, v4 offset:12
	ds_write_b32 v4, v8 offset:8
	s_waitcnt lgkmcnt(1)
	v_mul_f32_e32 v10, 0x3fb8aa3b, v9
	v_exp_f32_e32 v10, v10
	s_nop 0
	v_add_f32_e32 v10, 1.0, v10
	v_cmp_gt_f32_e32 vcc, s12, v10
	s_nop 1
	v_cndmask_b32_e32 v6, 1.0, v6, vcc
	v_mul_f32_e32 v6, v10, v6
	v_log_f32_e32 v6, v6
	v_cndmask_b32_e32 v7, 0, v7, vcc
	v_mul_f32_e32 v10, 0x3f317217, v6
	v_fma_f32 v10, v6, s7, -v10
	v_fmac_f32_e32 v10, 0x3377d1cf, v6
	v_fmac_f32_e32 v10, 0x3f317217, v6
	v_cmp_lt_f32_e64 vcc, |v6|, s13
	s_nop 1
	v_cndmask_b32_e32 v6, v6, v10, vcc
	v_sub_f32_e32 v6, v6, v7
	v_cmp_lt_f32_e32 vcc, s6, v9
	s_nop 1
	v_cndmask_b32_e32 v6, v6, v9, vcc
	v_mul_f32_e32 v7, 0x4f800000, v6
	v_cmp_gt_f32_e64 s[4:5], s14, v6
	s_and_b64 vcc, exec, s[0:1]
	s_nop 0
	v_cndmask_b32_e64 v6, v6, v7, s[4:5]
	v_sqrt_f32_e32 v7, v6
	s_nop 0
	v_add_u32_e32 v8, -1, v7
	v_add_u32_e32 v9, 1, v7
	v_fma_f32 v10, -v8, v7, v6
	v_fma_f32 v11, -v9, v7, v6
	v_cmp_ge_f32_e64 s[6:7], 0, v10
	s_nop 1
	v_cndmask_b32_e64 v7, v7, v8, s[6:7]
	v_cmp_lt_f32_e64 s[6:7], 0, v11
	s_nop 1
	v_cndmask_b32_e64 v7, v7, v9, s[6:7]
	v_mul_f32_e32 v8, 0x37800000, v7
	v_cndmask_b32_e64 v7, v7, v8, s[4:5]
	v_cmp_class_f32_e64 s[4:5], v6, v1
	s_nop 1
	v_cndmask_b32_e64 v1, v7, v6, s[4:5]
	s_cbranch_vccnz .LBB91_12
; %bb.11:
	global_load_dword v0, v0, s[10:11] offset:12
	s_waitcnt vmcnt(0)
	v_add_f32_e32 v1, v1, v0
.LBB91_12:
	s_load_dwordx4 s[12:15], s[2:3], 0x30
	s_mov_b32 s31, 0
	v_cmp_eq_u32_e64 s[6:7], 0, v3
	ds_write_b32 v4, v1 offset:12
	s_waitcnt lgkmcnt(0)
	s_bitcmp1_b32 s15, 0
	s_cselect_b64 s[4:5], -1, 0
	s_cmp_gt_i32 s12, 0
	s_cselect_b64 s[24:25], -1, 0
	s_and_b64 vcc, exec, s[24:25]
	s_cbranch_vccz .LBB91_41
; %bb.13:
	v_mbcnt_lo_u32_b32 v0, -1, 0
	v_mbcnt_hi_u32_b32 v0, -1, v0
	v_and_b32_e32 v1, 0x60, v0
	v_add_u32_e32 v1, 32, v1
	v_xor_b32_e32 v6, 16, v0
	v_cmp_lt_i32_e32 vcc, v6, v1
	s_load_dwordx4 s[16:19], s[2:3], 0x20
	v_mul_lo_u32 v7, v2, s12
	v_cndmask_b32_e32 v6, v0, v6, vcc
	v_lshlrev_b32_e32 v8, 2, v6
	v_xor_b32_e32 v6, 8, v0
	v_cmp_lt_i32_e32 vcc, v6, v1
	v_mov_b32_e32 v13, 0xc61c4000
	v_mov_b32_e32 v14, 0x80
	v_cndmask_b32_e32 v6, v0, v6, vcc
	v_lshlrev_b32_e32 v9, 2, v6
	v_xor_b32_e32 v6, 4, v0
	v_cmp_lt_i32_e32 vcc, v6, v1
	v_mov_b32_e32 v15, v2
	s_nop 0
	v_cndmask_b32_e32 v6, v0, v6, vcc
	v_lshlrev_b32_e32 v10, 2, v6
	v_xor_b32_e32 v6, 2, v0
	v_cmp_lt_i32_e32 vcc, v6, v1
	s_nop 1
	v_cndmask_b32_e32 v6, v0, v6, vcc
	v_lshlrev_b32_e32 v11, 2, v6
	v_xor_b32_e32 v6, 1, v0
	v_cmp_lt_i32_e32 vcc, v6, v1
	s_nop 1
	v_cndmask_b32_e32 v0, v0, v6, vcc
	v_lshlrev_b32_e32 v12, 2, v0
	v_mov_b32_e32 v6, 0
	s_branch .LBB91_15
.LBB91_14:                              ;   in Loop: Header=BB91_15 Depth=1
	s_or_b64 exec, exec, s[2:3]
	s_cmp_eq_u32 s12, s31
	v_add_u32_e32 v15, s30, v15
	s_cbranch_scc1 .LBB91_42
.LBB91_15:                              ; =>This Inner Loop Header: Depth=1
	ds_read_b128 v[16:19], v4
	s_waitcnt lgkmcnt(0)
	v_cmp_gt_f32_e32 vcc, v17, v16
	s_nop 1
	v_cndmask_b32_e32 v1, v16, v17, vcc
	v_cndmask_b32_e64 v0, 0, 1, vcc
	v_cmp_gt_f32_e32 vcc, v18, v1
	s_nop 1
	v_cndmask_b32_e32 v1, v1, v18, vcc
	v_cndmask_b32_e64 v0, v0, 2, vcc
	v_cmp_gt_f32_e32 vcc, v19, v1
	s_nop 1
	v_cndmask_b32_e64 v0, v0, 3, vcc
	v_cndmask_b32_e32 v16, v1, v19, vcc
	ds_bpermute_b32 v1, v8, v16
	v_or_b32_e32 v0, v5, v0
	ds_bpermute_b32 v17, v8, v0
	s_waitcnt lgkmcnt(1)
	v_cmp_lt_f32_e64 s[26:27], v16, v1
	v_cmp_nlt_f32_e32 vcc, v16, v1
	s_and_saveexec_b64 s[28:29], vcc
	s_cbranch_execz .LBB91_17
; %bb.16:                               ;   in Loop: Header=BB91_15 Depth=1
	v_cmp_eq_f32_e32 vcc, v16, v1
	s_waitcnt lgkmcnt(0)
	v_cmp_lt_i32_e64 s[2:3], v17, v0
	s_and_b64 s[2:3], vcc, s[2:3]
	s_andn2_b64 s[26:27], s[26:27], exec
	s_and_b64 s[2:3], s[2:3], exec
	s_or_b64 s[26:27], s[26:27], s[2:3]
.LBB91_17:                              ;   in Loop: Header=BB91_15 Depth=1
	s_or_b64 exec, exec, s[28:29]
	s_and_saveexec_b64 s[2:3], s[26:27]
	s_cbranch_execz .LBB91_19
; %bb.18:                               ;   in Loop: Header=BB91_15 Depth=1
	v_mov_b32_e32 v16, v1
	s_waitcnt lgkmcnt(0)
	v_mov_b32_e32 v0, v17
.LBB91_19:                              ;   in Loop: Header=BB91_15 Depth=1
	s_or_b64 exec, exec, s[2:3]
	ds_bpermute_b32 v1, v9, v16
	s_waitcnt lgkmcnt(1)
	ds_bpermute_b32 v17, v9, v0
	s_waitcnt lgkmcnt(1)
	v_cmp_lt_f32_e64 s[26:27], v16, v1
	v_cmp_nlt_f32_e32 vcc, v16, v1
	s_and_saveexec_b64 s[28:29], vcc
	s_cbranch_execz .LBB91_21
; %bb.20:                               ;   in Loop: Header=BB91_15 Depth=1
	v_cmp_eq_f32_e32 vcc, v16, v1
	s_waitcnt lgkmcnt(0)
	v_cmp_lt_i32_e64 s[2:3], v17, v0
	s_and_b64 s[2:3], vcc, s[2:3]
	s_andn2_b64 s[26:27], s[26:27], exec
	s_and_b64 s[2:3], s[2:3], exec
	s_or_b64 s[26:27], s[26:27], s[2:3]
.LBB91_21:                              ;   in Loop: Header=BB91_15 Depth=1
	s_or_b64 exec, exec, s[28:29]
	s_and_saveexec_b64 s[2:3], s[26:27]
	s_cbranch_execz .LBB91_23
; %bb.22:                               ;   in Loop: Header=BB91_15 Depth=1
	v_mov_b32_e32 v16, v1
	s_waitcnt lgkmcnt(0)
	v_mov_b32_e32 v0, v17
.LBB91_23:                              ;   in Loop: Header=BB91_15 Depth=1
	s_or_b64 exec, exec, s[2:3]
	ds_bpermute_b32 v1, v10, v16
	s_waitcnt lgkmcnt(1)
	ds_bpermute_b32 v17, v10, v0
	s_waitcnt lgkmcnt(1)
	v_cmp_lt_f32_e64 s[26:27], v16, v1
	v_cmp_nlt_f32_e32 vcc, v16, v1
	s_and_saveexec_b64 s[28:29], vcc
	s_cbranch_execz .LBB91_25
; %bb.24:                               ;   in Loop: Header=BB91_15 Depth=1
	v_cmp_eq_f32_e32 vcc, v16, v1
	s_waitcnt lgkmcnt(0)
	v_cmp_lt_i32_e64 s[2:3], v17, v0
	s_and_b64 s[2:3], vcc, s[2:3]
	s_andn2_b64 s[26:27], s[26:27], exec
	s_and_b64 s[2:3], s[2:3], exec
	s_or_b64 s[26:27], s[26:27], s[2:3]
.LBB91_25:                              ;   in Loop: Header=BB91_15 Depth=1
	s_or_b64 exec, exec, s[28:29]
	s_and_saveexec_b64 s[2:3], s[26:27]
	s_cbranch_execz .LBB91_27
; %bb.26:                               ;   in Loop: Header=BB91_15 Depth=1
	v_mov_b32_e32 v16, v1
	s_waitcnt lgkmcnt(0)
	v_mov_b32_e32 v0, v17
.LBB91_27:                              ;   in Loop: Header=BB91_15 Depth=1
	s_or_b64 exec, exec, s[2:3]
	ds_bpermute_b32 v1, v11, v16
	s_waitcnt lgkmcnt(1)
	ds_bpermute_b32 v17, v11, v0
	s_waitcnt lgkmcnt(1)
	v_cmp_lt_f32_e64 s[26:27], v16, v1
	v_cmp_nlt_f32_e32 vcc, v16, v1
	s_and_saveexec_b64 s[28:29], vcc
	s_cbranch_execz .LBB91_29
; %bb.28:                               ;   in Loop: Header=BB91_15 Depth=1
	v_cmp_eq_f32_e32 vcc, v16, v1
	s_waitcnt lgkmcnt(0)
	v_cmp_lt_i32_e64 s[2:3], v17, v0
	s_and_b64 s[2:3], vcc, s[2:3]
	s_andn2_b64 s[26:27], s[26:27], exec
	s_and_b64 s[2:3], s[2:3], exec
	s_or_b64 s[26:27], s[26:27], s[2:3]
.LBB91_29:                              ;   in Loop: Header=BB91_15 Depth=1
	s_or_b64 exec, exec, s[28:29]
	s_and_saveexec_b64 s[2:3], s[26:27]
	s_cbranch_execz .LBB91_31
; %bb.30:                               ;   in Loop: Header=BB91_15 Depth=1
	v_mov_b32_e32 v16, v1
	s_waitcnt lgkmcnt(0)
	v_mov_b32_e32 v0, v17
.LBB91_31:                              ;   in Loop: Header=BB91_15 Depth=1
	s_or_b64 exec, exec, s[2:3]
	ds_bpermute_b32 v1, v12, v16
	s_waitcnt lgkmcnt(1)
	ds_bpermute_b32 v17, v12, v0
	s_waitcnt lgkmcnt(1)
	v_cmp_lt_f32_e64 s[26:27], v16, v1
	v_cmp_nlt_f32_e32 vcc, v16, v1
	s_and_saveexec_b64 s[28:29], vcc
	s_cbranch_execnz .LBB91_34
; %bb.32:                               ;   in Loop: Header=BB91_15 Depth=1
	s_or_b64 exec, exec, s[28:29]
	s_and_saveexec_b64 s[2:3], s[26:27]
	s_cbranch_execnz .LBB91_35
.LBB91_33:                              ;   in Loop: Header=BB91_15 Depth=1
	s_or_b64 exec, exec, s[2:3]
	s_and_saveexec_b64 s[26:27], s[6:7]
	s_cbranch_execnz .LBB91_36
	s_branch .LBB91_39
.LBB91_34:                              ;   in Loop: Header=BB91_15 Depth=1
	v_cmp_eq_f32_e32 vcc, v16, v1
	s_waitcnt lgkmcnt(0)
	v_cmp_lt_i32_e64 s[2:3], v17, v0
	s_and_b64 s[2:3], vcc, s[2:3]
	s_andn2_b64 s[26:27], s[26:27], exec
	s_and_b64 s[2:3], s[2:3], exec
	s_or_b64 s[26:27], s[26:27], s[2:3]
	s_or_b64 exec, exec, s[28:29]
	s_and_saveexec_b64 s[2:3], s[26:27]
	s_cbranch_execz .LBB91_33
.LBB91_35:                              ;   in Loop: Header=BB91_15 Depth=1
	s_waitcnt lgkmcnt(0)
	v_mov_b32_e32 v0, v17
	v_mov_b32_e32 v16, v1
	s_or_b64 exec, exec, s[2:3]
	s_and_saveexec_b64 s[26:27], s[6:7]
	s_cbranch_execz .LBB91_39
.LBB91_36:                              ;   in Loop: Header=BB91_15 Depth=1
	s_and_b64 vcc, exec, s[0:1]
	s_cbranch_vccnz .LBB91_38
; %bb.37:                               ;   in Loop: Header=BB91_15 Depth=1
	v_ashrrev_i32_e32 v1, 31, v0
	v_lshl_add_u64 v[18:19], v[0:1], 2, s[10:11]
	global_load_dword v1, v[18:19], off
	s_waitcnt vmcnt(0)
	v_sub_f32_e32 v16, v16, v1
.LBB91_38:                              ;   in Loop: Header=BB91_15 Depth=1
	v_add_u32_e32 v18, s31, v7
	v_cmp_le_i32_e32 vcc, s13, v0
	v_cmp_gt_i32_e64 s[2:3], s14, v0
	v_ashrrev_i32_e32 v19, 31, v18
	s_and_b64 s[2:3], vcc, s[2:3]
	v_lshlrev_b64 v[18:19], 2, v[18:19]
	v_lshl_add_u64 v[20:21], s[20:21], 0, v[18:19]
	v_subrev_u32_e32 v1, s13, v0
	s_and_b64 vcc, s[22:23], s[2:3]
	global_store_dword v[20:21], v16, off
	v_cndmask_b32_e32 v1, v14, v1, vcc
	v_lshl_add_u64 v[20:21], s[16:17], 0, v[18:19]
	global_store_dword v[20:21], v1, off
	v_add_f32_e32 v1, v6, v16
	v_lshl_add_u64 v[18:19], s[18:19], 0, v[18:19]
	v_cndmask_b32_e64 v6, v6, v1, s[4:5]
	global_store_dword v[18:19], v15, off
.LBB91_39:                              ;   in Loop: Header=BB91_15 Depth=1
	s_or_b64 exec, exec, s[26:27]
	v_ashrrev_i32_e32 v16, 31, v0
	v_lshrrev_b32_e32 v1, 30, v16
	s_waitcnt lgkmcnt(0)
	v_add_u32_e32 v17, v0, v1
	v_ashrrev_i32_e32 v1, 2, v17
	v_ashrrev_i32_e32 v17, 31, v17
	v_lshrrev_b32_e32 v17, 27, v17
	v_add_u32_e32 v17, v1, v17
	s_add_i32 s31, s31, 1
	v_and_b32_e32 v17, 0xffffffe0, v17
	s_cmp_lt_i32 s31, s12
	v_sub_u32_e32 v17, v1, v17
	s_cselect_b64 s[2:3], -1, 0
	v_cmp_eq_u32_e32 vcc, v3, v17
	s_and_b64 s[26:27], s[2:3], vcc
	s_and_saveexec_b64 s[2:3], s[26:27]
	s_cbranch_execz .LBB91_14
; %bb.40:                               ;   in Loop: Header=BB91_15 Depth=1
	v_lshrrev_b32_e32 v16, 25, v16
	v_add_u32_e32 v16, v0, v16
	v_lshlrev_b32_e32 v1, 2, v1
	v_ashrrev_i32_e32 v16, 7, v16
	v_sub_u32_e32 v0, v0, v1
	v_lshl_add_u32 v0, v16, 2, v0
	v_lshl_add_u32 v0, v0, 2, v4
	ds_write_b32 v0, v13
	s_branch .LBB91_14
.LBB91_41:
	v_mov_b32_e32 v6, 0
.LBB91_42:
	v_cmp_eq_u32_e32 vcc, 0, v3
	s_and_b64 exec, exec, vcc
	s_cbranch_execz .LBB91_55
; %bb.43:
	s_andn2_b64 vcc, exec, s[4:5]
	v_cvt_f32_f64_e32 v0, s[8:9]
	s_cbranch_vccnz .LBB91_45
; %bb.44:
	v_cmp_lt_f32_e32 vcc, 0, v6
	s_nop 1
	v_cndmask_b32_e32 v1, 1.0, v6, vcc
	v_div_scale_f32 v3, s[0:1], v1, v1, v0
	v_rcp_f32_e32 v4, v3
	s_nop 0
	v_fma_f32 v5, -v3, v4, 1.0
	v_fmac_f32_e32 v4, v5, v4
	v_div_scale_f32 v5, vcc, v0, v1, v0
	v_mul_f32_e32 v6, v5, v4
	v_fma_f32 v7, -v3, v6, v5
	v_fmac_f32_e32 v6, v7, v4
	v_fma_f32 v3, -v3, v6, v5
	v_div_fmas_f32 v3, v3, v4, v6
	v_div_fixup_f32 v0, v3, v1, v0
.LBB91_45:
	s_andn2_b64 vcc, exec, s[24:25]
	s_cbranch_vccnz .LBB91_55
; %bb.46:
	v_mul_lo_u32 v2, v2, s12
	s_cmp_gt_u32 s12, 3
	v_ashrrev_i32_e32 v3, 31, v2
	s_cbranch_scc0 .LBB91_50
; %bb.47:
	s_and_b32 s0, s12, 0x7ffffffc
	v_lshl_add_u64 v[4:5], v[2:3], 2, s[20:21]
	v_mov_b32_e32 v1, v0
	v_lshl_add_u64 v[4:5], v[4:5], 0, 8
	s_mov_b32 s1, s0
.LBB91_48:                              ; =>This Inner Loop Header: Depth=1
	global_load_dwordx4 v[6:9], v[4:5], off offset:-8
	s_add_i32 s1, s1, -4
	s_cmp_lg_u32 s1, 0
	s_waitcnt vmcnt(0)
	v_pk_mul_f32 v[6:7], v[0:1], v[6:7]
	v_pk_mul_f32 v[8:9], v[0:1], v[8:9]
	global_store_dwordx4 v[4:5], v[6:9], off offset:-8
	v_lshl_add_u64 v[4:5], v[4:5], 0, 16
	s_cbranch_scc1 .LBB91_48
; %bb.49:
	s_cmp_lg_u32 s0, s12
	s_cselect_b64 s[2:3], -1, 0
	s_branch .LBB91_52
.LBB91_50:
	s_mov_b64 s[2:3], 0
                                        ; implicit-def: $sgpr0
	s_cbranch_execz .LBB91_52
; %bb.51:
	s_mov_b64 s[2:3], -1
	s_mov_b32 s0, 0
.LBB91_52:
	s_andn2_b64 vcc, exec, s[2:3]
	s_cbranch_vccnz .LBB91_55
; %bb.53:
	s_mov_b32 s1, 0
	v_lshl_add_u64 v[2:3], v[2:3], 0, s[0:1]
	s_sub_i32 s2, s12, s0
	v_lshl_add_u64 v[2:3], v[2:3], 2, s[20:21]
.LBB91_54:                              ; =>This Inner Loop Header: Depth=1
	global_load_dword v1, v[2:3], off
	s_add_i32 s2, s2, -1
	s_cmp_lg_u32 s2, 0
	s_waitcnt vmcnt(0)
	v_mul_f32_e32 v1, v0, v1
	global_store_dword v[2:3], v1, off
	v_lshl_add_u64 v[2:3], v[2:3], 0, 4
	s_cbranch_scc1 .LBB91_54
.LBB91_55:
	s_endpgm
	.section	.rodata,"a",@progbits
	.p2align	6, 0x0
	.amdhsa_kernel _ZN4vllm3moe22topkGatingSoftplusSqrtILi4ELi128ELi4ELi16ELi32ELb0EjfEEvPKT6_PKbPfiPT5_PiiiibdPKfPKS8_SE_
		.amdhsa_group_segment_fixed_size 2048
		.amdhsa_private_segment_fixed_size 0
		.amdhsa_kernarg_size 96
		.amdhsa_user_sgpr_count 4
		.amdhsa_user_sgpr_dispatch_ptr 1
		.amdhsa_user_sgpr_queue_ptr 0
		.amdhsa_user_sgpr_kernarg_segment_ptr 1
		.amdhsa_user_sgpr_dispatch_id 0
		.amdhsa_user_sgpr_kernarg_preload_length 0
		.amdhsa_user_sgpr_kernarg_preload_offset 0
		.amdhsa_user_sgpr_private_segment_size 0
		.amdhsa_uses_dynamic_stack 0
		.amdhsa_enable_private_segment 0
		.amdhsa_system_sgpr_workgroup_id_x 1
		.amdhsa_system_sgpr_workgroup_id_y 0
		.amdhsa_system_sgpr_workgroup_id_z 0
		.amdhsa_system_sgpr_workgroup_info 0
		.amdhsa_system_vgpr_workitem_id 2
		.amdhsa_next_free_vgpr 22
		.amdhsa_next_free_sgpr 32
		.amdhsa_accum_offset 24
		.amdhsa_reserve_vcc 1
		.amdhsa_float_round_mode_32 0
		.amdhsa_float_round_mode_16_64 0
		.amdhsa_float_denorm_mode_32 3
		.amdhsa_float_denorm_mode_16_64 3
		.amdhsa_dx10_clamp 1
		.amdhsa_ieee_mode 1
		.amdhsa_fp16_overflow 0
		.amdhsa_tg_split 0
		.amdhsa_exception_fp_ieee_invalid_op 0
		.amdhsa_exception_fp_denorm_src 0
		.amdhsa_exception_fp_ieee_div_zero 0
		.amdhsa_exception_fp_ieee_overflow 0
		.amdhsa_exception_fp_ieee_underflow 0
		.amdhsa_exception_fp_ieee_inexact 0
		.amdhsa_exception_int_div_zero 0
	.end_amdhsa_kernel
	.section	.text._ZN4vllm3moe22topkGatingSoftplusSqrtILi4ELi128ELi4ELi16ELi32ELb0EjfEEvPKT6_PKbPfiPT5_PiiiibdPKfPKS8_SE_,"axG",@progbits,_ZN4vllm3moe22topkGatingSoftplusSqrtILi4ELi128ELi4ELi16ELi32ELb0EjfEEvPKT6_PKbPfiPT5_PiiiibdPKfPKS8_SE_,comdat
.Lfunc_end91:
	.size	_ZN4vllm3moe22topkGatingSoftplusSqrtILi4ELi128ELi4ELi16ELi32ELb0EjfEEvPKT6_PKbPfiPT5_PiiiibdPKfPKS8_SE_, .Lfunc_end91-_ZN4vllm3moe22topkGatingSoftplusSqrtILi4ELi128ELi4ELi16ELi32ELb0EjfEEvPKT6_PKbPfiPT5_PiiiibdPKfPKS8_SE_
                                        ; -- End function
	.section	.AMDGPU.csdata,"",@progbits
; Kernel info:
; codeLenInByte = 2988
; NumSgprs: 38
; NumVgprs: 22
; NumAgprs: 0
; TotalNumVgprs: 22
; ScratchSize: 0
; MemoryBound: 0
; FloatMode: 240
; IeeeMode: 1
; LDSByteSize: 2048 bytes/workgroup (compile time only)
; SGPRBlocks: 4
; VGPRBlocks: 2
; NumSGPRsForWavesPerEU: 38
; NumVGPRsForWavesPerEU: 22
; AccumOffset: 24
; Occupancy: 8
; WaveLimiterHint : 0
; COMPUTE_PGM_RSRC2:SCRATCH_EN: 0
; COMPUTE_PGM_RSRC2:USER_SGPR: 4
; COMPUTE_PGM_RSRC2:TRAP_HANDLER: 0
; COMPUTE_PGM_RSRC2:TGID_X_EN: 1
; COMPUTE_PGM_RSRC2:TGID_Y_EN: 0
; COMPUTE_PGM_RSRC2:TGID_Z_EN: 0
; COMPUTE_PGM_RSRC2:TIDIG_COMP_CNT: 2
; COMPUTE_PGM_RSRC3_GFX90A:ACCUM_OFFSET: 5
; COMPUTE_PGM_RSRC3_GFX90A:TG_SPLIT: 0
	.section	.text._ZN4vllm3moe22topkGatingSoftplusSqrtILi4ELi256ELi4ELi16ELi64ELb1EjfEEvPKT6_PKbPfiPT5_PiiiibdPKfPKS8_SE_,"axG",@progbits,_ZN4vllm3moe22topkGatingSoftplusSqrtILi4ELi256ELi4ELi16ELi64ELb1EjfEEvPKT6_PKbPfiPT5_PiiiibdPKfPKS8_SE_,comdat
	.protected	_ZN4vllm3moe22topkGatingSoftplusSqrtILi4ELi256ELi4ELi16ELi64ELb1EjfEEvPKT6_PKbPfiPT5_PiiiibdPKfPKS8_SE_ ; -- Begin function _ZN4vllm3moe22topkGatingSoftplusSqrtILi4ELi256ELi4ELi16ELi64ELb1EjfEEvPKT6_PKbPfiPT5_PiiiibdPKfPKS8_SE_
	.globl	_ZN4vllm3moe22topkGatingSoftplusSqrtILi4ELi256ELi4ELi16ELi64ELb1EjfEEvPKT6_PKbPfiPT5_PiiiibdPKfPKS8_SE_
	.p2align	8
	.type	_ZN4vllm3moe22topkGatingSoftplusSqrtILi4ELi256ELi4ELi16ELi64ELb1EjfEEvPKT6_PKbPfiPT5_PiiiibdPKfPKS8_SE_,@function
_ZN4vllm3moe22topkGatingSoftplusSqrtILi4ELi256ELi4ELi16ELi64ELb1EjfEEvPKT6_PKbPfiPT5_PiiiibdPKfPKS8_SE_: ; @_ZN4vllm3moe22topkGatingSoftplusSqrtILi4ELi256ELi4ELi16ELi64ELb1EjfEEvPKT6_PKbPfiPT5_PiiiibdPKfPKS8_SE_
; %bb.0:
	s_load_dword s3, s[0:1], 0x18
	v_and_b32_e32 v6, 0x3ff, v0
	s_lshl_b32 s2, s2, 2
	v_lshrrev_b32_e32 v1, 6, v6
	v_bfe_u32 v0, v0, 10, 10
	v_add3_u32 v2, s2, v0, v1
	s_waitcnt lgkmcnt(0)
	v_cmp_gt_i32_e32 vcc, s3, v2
	s_and_saveexec_b64 s[2:3], vcc
	s_cbranch_execz .LBB92_80
; %bb.1:
	s_load_dwordx2 s[2:3], s[0:1], 0x0
	s_load_dword s20, s[0:1], 0x30
	v_lshlrev_b32_e32 v0, 8, v2
	v_lshlrev_b32_e32 v3, 2, v6
	v_ashrrev_i32_e32 v1, 31, v0
	v_and_b32_e32 v10, 0xfc, v3
	s_waitcnt lgkmcnt(0)
	v_lshl_add_u64 v[4:5], v[0:1], 2, s[2:3]
	v_lshlrev_b32_e32 v0, 2, v10
	v_mov_b32_e32 v1, 0
	v_lshl_add_u64 v[4:5], v[4:5], 0, v[0:1]
	global_load_dwordx4 v[12:15], v[4:5], off
	s_load_dwordx4 s[8:11], s[0:1], 0x50
	v_ashrrev_i32_e32 v3, 31, v2
	s_mov_b32 s6, 0x800000
	s_mov_b32 s12, 0x3f317217
	;; [unrolled: 1-line block ×3, first 2 shown]
	s_waitcnt lgkmcnt(0)
	v_mov_b32_e32 v4, s8
	v_mov_b32_e32 v5, s9
	v_lshl_add_u64 v[4:5], v[2:3], 2, v[4:5]
	global_load_dword v0, v[4:5], off
	v_mov_b32_e32 v3, 0x4f800000
	v_mov_b32_e32 v7, 0x41b17218
	s_mov_b32 s9, 0x41a00000
	s_mov_b32 s14, 0xf800000
	v_mov_b32_e32 v11, 0x260
	s_cmp_gt_i32 s20, 0
	s_mov_b32 s8, 0
	v_mul_lo_u32 v2, v2, s20
	s_waitcnt vmcnt(1)
	v_mul_f32_e32 v4, 0x3fb8aa3b, v12
	v_mul_f32_e32 v5, 0x3fb8aa3b, v13
	v_exp_f32_e32 v4, v4
	v_exp_f32_e32 v5, v5
	v_mul_f32_e32 v8, 0x3fb8aa3b, v14
	v_mul_f32_e32 v9, 0x3fb8aa3b, v15
	v_exp_f32_e32 v8, v8
	v_exp_f32_e32 v9, v9
	v_pk_add_f32 v[4:5], v[4:5], 1.0 op_sel_hi:[1,0]
	s_waitcnt vmcnt(0)
	v_mul_lo_u32 v0, v0, s20
	v_cmp_gt_f32_e32 vcc, s6, v5
	v_pk_add_f32 v[8:9], v[8:9], 1.0 op_sel_hi:[1,0]
	v_cmp_gt_f32_e64 s[2:3], s6, v4
	v_cndmask_b32_e32 v16, 1.0, v3, vcc
	v_cmp_gt_f32_e64 s[4:5], s6, v9
	v_cndmask_b32_e64 v17, 1.0, v3, s[2:3]
	v_mul_f32_e32 v5, v5, v16
	v_cndmask_b32_e64 v18, 1.0, v3, s[4:5]
	v_cmp_gt_f32_e64 s[6:7], s6, v8
	v_mul_f32_e32 v4, v4, v17
	v_log_f32_e32 v5, v5
	v_cndmask_b32_e64 v3, 1.0, v3, s[6:7]
	v_mul_f32_e32 v9, v9, v18
	v_log_f32_e32 v4, v4
	v_mul_f32_e32 v3, v8, v3
	v_log_f32_e32 v8, v9
	v_log_f32_e32 v3, v3
	v_mul_f32_e32 v9, 0x3f317217, v5
	v_mul_f32_e32 v19, 0x3f317217, v4
	v_fma_f32 v9, v5, s12, -v9
	v_mul_f32_e32 v20, 0x3f317217, v8
	v_fma_f32 v19, v4, s12, -v19
	v_fmac_f32_e32 v9, 0x3377d1cf, v5
	v_cndmask_b32_e32 v16, 0, v7, vcc
	v_mul_f32_e32 v21, 0x3f317217, v3
	v_fma_f32 v20, v8, s12, -v20
	v_fmac_f32_e32 v19, 0x3377d1cf, v4
	v_fmac_f32_e32 v9, 0x3f317217, v5
	v_cmp_lt_f32_e64 vcc, |v5|, s13
	v_fma_f32 v21, v3, s12, -v21
	v_fmac_f32_e32 v20, 0x3377d1cf, v8
	v_fmac_f32_e32 v19, 0x3f317217, v4
	v_cndmask_b32_e32 v5, v5, v9, vcc
	v_cmp_lt_f32_e64 vcc, |v4|, s13
	v_fmac_f32_e32 v21, 0x3377d1cf, v3
	v_fmac_f32_e32 v20, 0x3f317217, v8
	v_cndmask_b32_e32 v4, v4, v19, vcc
	v_cmp_lt_f32_e64 vcc, |v8|, s13
	v_cndmask_b32_e64 v17, 0, v7, s[2:3]
	v_fmac_f32_e32 v21, 0x3f317217, v3
	v_cndmask_b32_e32 v8, v8, v20, vcc
	v_cmp_lt_f32_e64 vcc, |v3|, s13
	v_sub_f32_e32 v4, v4, v17
	v_sub_f32_e32 v5, v5, v16
	v_cndmask_b32_e32 v3, v3, v21, vcc
	v_cmp_lt_f32_e32 vcc, s9, v12
	v_cndmask_b32_e64 v18, 0, v7, s[4:5]
	v_sub_f32_e32 v8, v8, v18
	v_cndmask_b32_e32 v4, v4, v12, vcc
	v_cmp_lt_f32_e32 vcc, s9, v13
	v_mul_f32_e32 v12, 0x4f800000, v4
	v_cmp_gt_f32_e64 s[2:3], s14, v4
	v_cndmask_b32_e32 v5, v5, v13, vcc
	v_mul_f32_e32 v9, 0x4f800000, v5
	v_cmp_gt_f32_e32 vcc, s14, v5
	v_cndmask_b32_e64 v4, v4, v12, s[2:3]
	v_sqrt_f32_e32 v12, v4
	v_cndmask_b32_e32 v5, v5, v9, vcc
	v_sqrt_f32_e32 v9, v5
	v_add_u32_e32 v17, -1, v12
	v_fma_f32 v21, -v17, v12, v4
	v_add_u32_e32 v13, -1, v9
	v_fma_f32 v19, -v13, v9, v5
	v_add_u32_e32 v16, 1, v9
	v_cmp_ge_f32_e64 s[4:5], 0, v19
	v_add_u32_e32 v18, 1, v12
	v_fma_f32 v20, -v16, v9, v5
	v_cndmask_b32_e64 v9, v9, v13, s[4:5]
	v_cmp_ge_f32_e64 s[4:5], 0, v21
	v_fma_f32 v22, -v18, v12, v4
	s_nop 0
	v_cndmask_b32_e64 v12, v12, v17, s[4:5]
	v_cmp_lt_f32_e64 s[4:5], 0, v20
	s_nop 1
	v_cndmask_b32_e64 v9, v9, v16, s[4:5]
	v_cmp_lt_f32_e64 s[4:5], 0, v22
	v_mul_f32_e32 v13, 0x37800000, v9
	v_cndmask_b32_e32 v9, v9, v13, vcc
	v_cndmask_b32_e64 v12, v12, v18, s[4:5]
	v_mul_f32_e32 v16, 0x37800000, v12
	v_cmp_class_f32_e32 vcc, v5, v11
	v_cndmask_b32_e64 v12, v12, v16, s[2:3]
	v_cmp_lt_f32_e64 s[2:3], s9, v14
	v_cndmask_b32_e32 v13, v9, v5, vcc
	v_cmp_class_f32_e32 vcc, v4, v11
	s_cselect_b64 s[4:5], -1, 0
	s_cmp_lt_i32 s20, 1
	v_cndmask_b32_e32 v12, v12, v4, vcc
	v_cmp_lt_f32_e32 vcc, s9, v15
	v_cndmask_b32_e64 v4, 0, v7, s[6:7]
	v_sub_f32_e32 v3, v3, v4
	v_cndmask_b32_e32 v5, v8, v15, vcc
	v_mul_f32_e32 v7, 0x4f800000, v5
	v_cmp_gt_f32_e32 vcc, s14, v5
	v_cndmask_b32_e64 v3, v3, v14, s[2:3]
	s_nop 0
	v_cndmask_b32_e32 v5, v5, v7, vcc
	v_sqrt_f32_e32 v7, v5
	s_nop 0
	v_add_u32_e32 v4, -1, v7
	v_fma_f32 v8, -v4, v7, v5
	v_cmp_ge_f32_e64 s[2:3], 0, v8
	v_add_u32_e32 v8, 1, v7
	s_nop 0
	v_cndmask_b32_e64 v4, v7, v4, s[2:3]
	v_fma_f32 v7, -v8, v7, v5
	v_cmp_lt_f32_e64 s[2:3], 0, v7
	s_nop 1
	v_cndmask_b32_e64 v4, v4, v8, s[2:3]
	v_mul_f32_e32 v8, 0x4f800000, v3
	v_cmp_gt_f32_e64 s[2:3], s14, v3
	v_mul_f32_e32 v7, 0x37800000, v4
	v_cndmask_b32_e32 v4, v4, v7, vcc
	v_cndmask_b32_e64 v3, v3, v8, s[2:3]
	v_sqrt_f32_e32 v8, v3
	v_cmp_class_f32_e32 vcc, v5, v11
	s_nop 1
	v_cndmask_b32_e32 v15, v4, v5, vcc
	v_add_u32_e32 v4, -1, v8
	v_fma_f32 v5, -v4, v8, v3
	v_cmp_ge_f32_e32 vcc, 0, v5
	v_add_u32_e32 v5, 1, v8
	v_fma_f32 v7, -v5, v8, v3
	v_cndmask_b32_e32 v4, v8, v4, vcc
	v_cmp_lt_f32_e32 vcc, 0, v7
	s_nop 1
	v_cndmask_b32_e32 v4, v4, v5, vcc
	v_mul_f32_e32 v5, 0x37800000, v4
	v_cndmask_b32_e64 v4, v4, v5, s[2:3]
	v_cmp_class_f32_e32 vcc, v3, v11
	s_nop 1
	v_cndmask_b32_e32 v14, v4, v3, vcc
	scratch_store_dwordx4 off, v[12:15], off
	v_lshl_add_u64 v[4:5], v[0:1], 2, s[10:11]
	s_nop 0
	v_mov_b32_e32 v12, v1
	s_cbranch_scc1 .LBB92_29
; %bb.2:
	s_load_dwordx2 s[6:7], s[0:1], 0x20
	s_cmp_lt_u32 s20, 4
	v_and_b32_e32 v11, 63, v6
	s_cbranch_scc1 .LBB92_21
; %bb.3:
	v_lshlrev_b32_e32 v6, 2, v11
	s_mov_b32 s13, 0
	s_and_b32 s8, s20, 0x7ffffffc
	v_ashrrev_i32_e32 v3, 31, v2
	v_sub_u32_e32 v13, 0, v6
	v_mov_b32_e32 v12, 0
	s_mov_b32 s12, s13
	s_branch .LBB92_5
.LBB92_4:                               ;   in Loop: Header=BB92_5 Depth=1
	s_or_b64 exec, exec, s[14:15]
	s_add_i32 s12, s12, 4
	s_cmp_eq_u32 s12, s8
	s_cbranch_scc1 .LBB92_22
.LBB92_5:                               ; =>This Loop Header: Depth=1
                                        ;     Child Loop BB92_7 Depth 2
                                        ;     Child Loop BB92_11 Depth 2
	;; [unrolled: 1-line block ×4, first 2 shown]
	v_lshl_add_u64 v[6:7], s[12:13], 2, v[4:5]
	global_load_dword v14, v[6:7], off
	v_add_u32_e32 v8, s12, v2
	v_ashrrev_i32_e32 v9, 31, v8
	v_mov_b32_e32 v15, 0
	s_mov_b64 s[14:15], 0
	s_waitcnt lgkmcnt(0)
	v_lshl_add_u64 v[8:9], v[8:9], 2, s[6:7]
	s_mov_b32 s9, 0
	s_waitcnt vmcnt(0)
	v_add_u32_e32 v16, v13, v14
	s_branch .LBB92_7
.LBB92_6:                               ;   in Loop: Header=BB92_7 Depth=2
	s_or_b64 exec, exec, s[16:17]
	s_add_i32 s18, s9, 1
	s_cmp_gt_u32 s9, 2
	s_cselect_b64 s[2:3], -1, 0
	s_xor_b64 s[16:17], vcc, -1
	s_or_b64 s[2:3], s[16:17], s[2:3]
	s_and_b64 s[2:3], exec, s[2:3]
	v_add_u32_e32 v15, 4, v15
	s_or_b64 s[14:15], s[2:3], s[14:15]
	s_mov_b32 s9, s18
	s_andn2_b64 exec, exec, s[14:15]
	s_cbranch_execz .LBB92_9
.LBB92_7:                               ;   Parent Loop BB92_5 Depth=1
                                        ; =>  This Inner Loop Header: Depth=2
	v_cmp_ne_u32_e32 vcc, s9, v16
	v_cmp_eq_u32_e64 s[2:3], s9, v16
	s_and_saveexec_b64 s[16:17], s[2:3]
	s_cbranch_execz .LBB92_6
; %bb.8:                                ;   in Loop: Header=BB92_7 Depth=2
	scratch_load_dword v17, v15, off
	s_waitcnt vmcnt(0)
	v_add_f32_e32 v12, v12, v17
	global_store_dword v[8:9], v14, off
	s_branch .LBB92_6
.LBB92_9:                               ;   in Loop: Header=BB92_5 Depth=1
	s_or_b64 exec, exec, s[14:15]
	global_load_dword v14, v[6:7], off offset:4
	s_ashr_i32 s3, s12, 31
	s_mov_b32 s2, s12
	v_lshl_add_u64 v[8:9], s[2:3], 0, v[2:3]
	v_mov_b32_e32 v15, 0
	s_mov_b32 s9, 0
	v_lshl_add_u64 v[8:9], v[8:9], 2, s[6:7]
	s_mov_b64 s[14:15], 0
	s_waitcnt vmcnt(0)
	v_add_u32_e32 v16, v13, v14
	s_branch .LBB92_11
.LBB92_10:                              ;   in Loop: Header=BB92_11 Depth=2
	s_or_b64 exec, exec, s[16:17]
	s_add_i32 s18, s9, 1
	s_cmp_gt_u32 s9, 2
	s_cselect_b64 s[2:3], -1, 0
	s_xor_b64 s[16:17], vcc, -1
	s_or_b64 s[2:3], s[16:17], s[2:3]
	s_and_b64 s[2:3], exec, s[2:3]
	v_add_u32_e32 v15, 4, v15
	s_or_b64 s[14:15], s[2:3], s[14:15]
	s_mov_b32 s9, s18
	s_andn2_b64 exec, exec, s[14:15]
	s_cbranch_execz .LBB92_13
.LBB92_11:                              ;   Parent Loop BB92_5 Depth=1
                                        ; =>  This Inner Loop Header: Depth=2
	v_cmp_ne_u32_e32 vcc, s9, v16
	v_cmp_eq_u32_e64 s[2:3], s9, v16
	s_and_saveexec_b64 s[16:17], s[2:3]
	s_cbranch_execz .LBB92_10
; %bb.12:                               ;   in Loop: Header=BB92_11 Depth=2
	scratch_load_dword v17, v15, off
	s_waitcnt vmcnt(0)
	v_add_f32_e32 v12, v12, v17
	global_store_dword v[8:9], v14, off offset:4
	s_branch .LBB92_10
.LBB92_13:                              ;   in Loop: Header=BB92_5 Depth=1
	s_or_b64 exec, exec, s[14:15]
	global_load_dword v14, v[6:7], off offset:8
	v_mov_b32_e32 v15, 0
	s_mov_b32 s9, 0
	s_mov_b64 s[14:15], 0
	s_waitcnt vmcnt(0)
	v_add_u32_e32 v16, v13, v14
	s_branch .LBB92_15
.LBB92_14:                              ;   in Loop: Header=BB92_15 Depth=2
	s_or_b64 exec, exec, s[16:17]
	s_add_i32 s18, s9, 1
	s_cmp_gt_u32 s9, 2
	s_cselect_b64 s[2:3], -1, 0
	s_xor_b64 s[16:17], vcc, -1
	s_or_b64 s[2:3], s[16:17], s[2:3]
	s_and_b64 s[2:3], exec, s[2:3]
	v_add_u32_e32 v15, 4, v15
	s_or_b64 s[14:15], s[2:3], s[14:15]
	s_mov_b32 s9, s18
	s_andn2_b64 exec, exec, s[14:15]
	s_cbranch_execz .LBB92_17
.LBB92_15:                              ;   Parent Loop BB92_5 Depth=1
                                        ; =>  This Inner Loop Header: Depth=2
	v_cmp_ne_u32_e32 vcc, s9, v16
	v_cmp_eq_u32_e64 s[2:3], s9, v16
	s_and_saveexec_b64 s[16:17], s[2:3]
	s_cbranch_execz .LBB92_14
; %bb.16:                               ;   in Loop: Header=BB92_15 Depth=2
	scratch_load_dword v17, v15, off
	s_waitcnt vmcnt(0)
	v_add_f32_e32 v12, v12, v17
	global_store_dword v[8:9], v14, off offset:8
	s_branch .LBB92_14
.LBB92_17:                              ;   in Loop: Header=BB92_5 Depth=1
	s_or_b64 exec, exec, s[14:15]
	global_load_dword v6, v[6:7], off offset:12
	v_mov_b32_e32 v7, 0
	s_mov_b32 s9, 0
	s_mov_b64 s[14:15], 0
	s_waitcnt vmcnt(0)
	v_add_u32_e32 v14, v13, v6
	s_branch .LBB92_19
.LBB92_18:                              ;   in Loop: Header=BB92_19 Depth=2
	s_or_b64 exec, exec, s[16:17]
	s_add_i32 s18, s9, 1
	s_cmp_gt_u32 s9, 2
	s_cselect_b64 s[2:3], -1, 0
	s_xor_b64 s[16:17], vcc, -1
	s_or_b64 s[2:3], s[16:17], s[2:3]
	s_and_b64 s[2:3], exec, s[2:3]
	v_add_u32_e32 v7, 4, v7
	s_or_b64 s[14:15], s[2:3], s[14:15]
	s_mov_b32 s9, s18
	s_andn2_b64 exec, exec, s[14:15]
	s_cbranch_execz .LBB92_4
.LBB92_19:                              ;   Parent Loop BB92_5 Depth=1
                                        ; =>  This Inner Loop Header: Depth=2
	v_cmp_ne_u32_e32 vcc, s9, v14
	v_cmp_eq_u32_e64 s[2:3], s9, v14
	s_and_saveexec_b64 s[16:17], s[2:3]
	s_cbranch_execz .LBB92_18
; %bb.20:                               ;   in Loop: Header=BB92_19 Depth=2
	scratch_load_dword v15, v7, off
	s_waitcnt vmcnt(0)
	v_add_f32_e32 v12, v12, v15
	global_store_dword v[8:9], v6, off offset:12
	s_branch .LBB92_18
.LBB92_21:
	v_mov_b32_e32 v12, 0
.LBB92_22:
	s_and_b32 s16, s20, 3
	s_cmp_eq_u32 s16, 0
	s_mov_b32 s9, 0
	s_cbranch_scc1 .LBB92_29
; %bb.23:
	v_lshlrev_b32_e32 v3, 2, v11
	v_sub_u32_e32 v3, 0, v3
	s_mov_b32 s17, s9
	s_branch .LBB92_25
.LBB92_24:                              ;   in Loop: Header=BB92_25 Depth=1
	s_or_b64 exec, exec, s[12:13]
	s_add_i32 s8, s8, 1
	s_add_i32 s17, s17, 1
	s_cmp_lg_u32 s17, s16
	s_cbranch_scc0 .LBB92_29
.LBB92_25:                              ; =>This Loop Header: Depth=1
                                        ;     Child Loop BB92_27 Depth 2
	v_lshl_add_u64 v[6:7], s[8:9], 2, v[4:5]
	global_load_dword v8, v[6:7], off
	v_add_u32_e32 v6, s8, v2
	v_ashrrev_i32_e32 v7, 31, v6
	v_mov_b32_e32 v9, 0
	s_mov_b32 s18, 0
	s_waitcnt lgkmcnt(0)
	v_lshl_add_u64 v[6:7], v[6:7], 2, s[6:7]
	s_mov_b64 s[12:13], 0
	s_waitcnt vmcnt(0)
	v_add_u32_e32 v11, v3, v8
	s_branch .LBB92_27
.LBB92_26:                              ;   in Loop: Header=BB92_27 Depth=2
	s_or_b64 exec, exec, s[14:15]
	s_add_i32 s19, s18, 1
	s_cmp_gt_u32 s18, 2
	s_cselect_b64 s[2:3], -1, 0
	s_xor_b64 s[14:15], vcc, -1
	s_or_b64 s[2:3], s[14:15], s[2:3]
	s_and_b64 s[2:3], exec, s[2:3]
	v_add_u32_e32 v9, 4, v9
	s_or_b64 s[12:13], s[2:3], s[12:13]
	s_mov_b32 s18, s19
	s_andn2_b64 exec, exec, s[12:13]
	s_cbranch_execz .LBB92_24
.LBB92_27:                              ;   Parent Loop BB92_25 Depth=1
                                        ; =>  This Inner Loop Header: Depth=2
	v_cmp_ne_u32_e32 vcc, s18, v11
	v_cmp_eq_u32_e64 s[2:3], s18, v11
	s_and_saveexec_b64 s[14:15], s[2:3]
	s_cbranch_execz .LBB92_26
; %bb.28:                               ;   in Loop: Header=BB92_27 Depth=2
	scratch_load_dword v13, v9, off
	s_waitcnt vmcnt(0)
	v_add_f32_e32 v12, v12, v13
	global_store_dword v[6:7], v8, off
	s_branch .LBB92_26
.LBB92_29:
	s_waitcnt lgkmcnt(0)
	s_load_dword s6, s[0:1], 0x3c
	s_waitcnt lgkmcnt(0)
	s_bitcmp1_b32 s6, 0
	s_cselect_b64 s[2:3], -1, 0
	s_bitcmp0_b32 s6, 0
	s_cbranch_scc0 .LBB92_32
; %bb.30:
	s_load_dwordx2 s[6:7], s[0:1], 0x40
	s_andn2_b64 vcc, exec, s[2:3]
	s_waitcnt lgkmcnt(0)
	v_cvt_f32_f64_e32 v11, s[6:7]
	s_cbranch_vccz .LBB92_33
.LBB92_31:
	s_andn2_b64 vcc, exec, s[4:5]
	s_cbranch_vccz .LBB92_34
	s_branch .LBB92_80
.LBB92_32:
	v_mbcnt_lo_u32_b32 v3, -1, 0
	v_mbcnt_hi_u32_b32 v3, -1, v3
	v_and_b32_e32 v6, 64, v3
	v_add_u32_e32 v6, 64, v6
	v_xor_b32_e32 v7, 32, v3
	v_cmp_lt_i32_e32 vcc, v7, v6
	v_xor_b32_e32 v8, 16, v3
	v_xor_b32_e32 v9, 8, v3
	v_cndmask_b32_e32 v7, v3, v7, vcc
	v_lshlrev_b32_e32 v7, 2, v7
	ds_bpermute_b32 v7, v7, v12
	v_cmp_lt_i32_e32 vcc, v8, v6
	s_waitcnt lgkmcnt(0)
	v_add_f32_e32 v7, v12, v7
	v_cndmask_b32_e32 v8, v3, v8, vcc
	v_lshlrev_b32_e32 v8, 2, v8
	ds_bpermute_b32 v8, v8, v7
	v_cmp_lt_i32_e32 vcc, v9, v6
	s_waitcnt lgkmcnt(0)
	v_add_f32_e32 v7, v7, v8
	v_cndmask_b32_e32 v8, v3, v9, vcc
	v_lshlrev_b32_e32 v8, 2, v8
	ds_bpermute_b32 v8, v8, v7
	v_xor_b32_e32 v9, 4, v3
	v_cmp_lt_i32_e32 vcc, v9, v6
	s_waitcnt lgkmcnt(0)
	v_add_f32_e32 v7, v7, v8
	v_cndmask_b32_e32 v8, v3, v9, vcc
	v_lshlrev_b32_e32 v8, 2, v8
	ds_bpermute_b32 v8, v8, v7
	v_xor_b32_e32 v9, 2, v3
	v_cmp_lt_i32_e32 vcc, v9, v6
	s_waitcnt lgkmcnt(0)
	v_add_f32_e32 v7, v7, v8
	v_cndmask_b32_e32 v8, v3, v9, vcc
	v_lshlrev_b32_e32 v8, 2, v8
	ds_bpermute_b32 v8, v8, v7
	v_xor_b32_e32 v9, 1, v3
	v_cmp_lt_i32_e32 vcc, v9, v6
	s_waitcnt lgkmcnt(0)
	v_add_f32_e32 v7, v7, v8
	v_cndmask_b32_e32 v3, v3, v9, vcc
	v_lshlrev_b32_e32 v3, 2, v3
	ds_bpermute_b32 v3, v3, v7
	s_waitcnt lgkmcnt(0)
	v_add_f32_e32 v12, v7, v3
	s_load_dwordx2 s[6:7], s[0:1], 0x40
	s_andn2_b64 vcc, exec, s[2:3]
	s_waitcnt lgkmcnt(0)
	v_cvt_f32_f64_e32 v11, s[6:7]
	s_cbranch_vccnz .LBB92_31
.LBB92_33:
	v_cmp_lt_f32_e32 vcc, 0, v12
	s_nop 1
	v_cndmask_b32_e32 v3, 1.0, v12, vcc
	v_div_scale_f32 v6, s[2:3], v3, v3, v11
	v_rcp_f32_e32 v7, v6
	s_nop 0
	v_fma_f32 v8, -v6, v7, 1.0
	v_fmac_f32_e32 v7, v8, v7
	v_div_scale_f32 v8, vcc, v11, v3, v11
	v_mul_f32_e32 v9, v8, v7
	v_fma_f32 v12, -v6, v9, v8
	v_fmac_f32_e32 v9, v12, v7
	v_fma_f32 v6, -v6, v9, v8
	v_div_fmas_f32 v6, v6, v7, v9
	v_div_fixup_f32 v11, v6, v3, v11
	s_andn2_b64 vcc, exec, s[4:5]
	s_cbranch_vccnz .LBB92_80
.LBB92_34:
	s_load_dwordx2 s[4:5], s[0:1], 0x10
	v_mov_b32_e32 v3, 0
	v_or_b32_e32 v12, 4, v3
	v_or_b32_e32 v13, 8, v3
	;; [unrolled: 1-line block ×6, first 2 shown]
	s_cmp_lt_u32 s20, 4
	s_mov_b32 s6, 0
	s_cbranch_scc1 .LBB92_69
; %bb.35:
	v_ashrrev_i32_e32 v3, 31, v2
	s_and_b32 s6, s20, 0x7ffffffc
	s_waitcnt lgkmcnt(0)
	v_lshl_add_u64 v[6:7], v[2:3], 2, s[4:5]
	s_mov_b32 s7, 0
	s_mov_b64 s[8:9], 0
	s_branch .LBB92_37
.LBB92_36:                              ;   in Loop: Header=BB92_37 Depth=1
	s_or_b64 exec, exec, s[2:3]
	s_add_i32 s7, s7, 4
	s_add_u32 s8, s8, 16
	s_addc_u32 s9, s9, 0
	s_cmp_eq_u32 s6, s7
	s_cbranch_scc1 .LBB92_69
.LBB92_37:                              ; =>This Inner Loop Header: Depth=1
	v_lshl_add_u64 v[8:9], v[4:5], 0, s[8:9]
	global_load_dword v18, v[8:9], off
	v_mov_b32_e32 v3, 0
	s_waitcnt vmcnt(0)
	v_cmp_eq_u32_e32 vcc, v18, v10
	v_cmp_ne_u32_e64 s[0:1], v18, v10
	s_and_saveexec_b64 s[12:13], s[0:1]
	s_cbranch_execz .LBB92_43
; %bb.38:                               ;   in Loop: Header=BB92_37 Depth=1
	v_cmp_eq_u32_e64 s[0:1], v18, v15
	v_cmp_ne_u32_e64 s[2:3], v18, v15
	v_mov_b32_e32 v3, v12
	s_and_saveexec_b64 s[14:15], s[2:3]
	s_cbranch_execz .LBB92_42
; %bb.39:                               ;   in Loop: Header=BB92_37 Depth=1
	v_cmp_eq_u32_e64 s[16:17], v18, v16
	v_cmp_ne_u32_e64 s[2:3], v18, v16
	v_mov_b32_e32 v3, v13
	s_and_saveexec_b64 s[18:19], s[2:3]
	s_xor_b64 s[18:19], exec, s[18:19]
; %bb.40:                               ;   in Loop: Header=BB92_37 Depth=1
	v_cmp_eq_u32_e64 s[2:3], v18, v17
	s_andn2_b64 s[16:17], s[16:17], exec
	s_and_b64 s[2:3], s[2:3], exec
	s_or_b64 s[16:17], s[16:17], s[2:3]
	v_mov_b32_e32 v3, v14
; %bb.41:                               ;   in Loop: Header=BB92_37 Depth=1
	s_or_b64 exec, exec, s[18:19]
	s_andn2_b64 s[0:1], s[0:1], exec
	s_and_b64 s[2:3], s[16:17], exec
	s_or_b64 s[0:1], s[0:1], s[2:3]
.LBB92_42:                              ;   in Loop: Header=BB92_37 Depth=1
	s_or_b64 exec, exec, s[14:15]
	s_andn2_b64 s[2:3], vcc, exec
	s_and_b64 s[0:1], s[0:1], exec
	s_or_b64 vcc, s[2:3], s[0:1]
.LBB92_43:                              ;   in Loop: Header=BB92_37 Depth=1
	s_or_b64 exec, exec, s[12:13]
	s_and_saveexec_b64 s[0:1], vcc
	s_cbranch_execz .LBB92_45
; %bb.44:                               ;   in Loop: Header=BB92_37 Depth=1
	scratch_load_dword v3, v3, off
	v_add_u32_e32 v18, s7, v2
	v_ashrrev_i32_e32 v19, 31, v18
	v_lshl_add_u64 v[18:19], v[18:19], 2, s[4:5]
	s_waitcnt vmcnt(0)
	v_mul_f32_e32 v3, v11, v3
	global_store_dword v[18:19], v3, off
.LBB92_45:                              ;   in Loop: Header=BB92_37 Depth=1
	s_or_b64 exec, exec, s[0:1]
	global_load_dword v18, v[8:9], off offset:4
	v_mov_b32_e32 v3, 0
	s_waitcnt vmcnt(0)
	v_cmp_eq_u32_e64 s[0:1], v18, v10
	v_cmp_ne_u32_e32 vcc, v18, v10
	s_and_saveexec_b64 s[2:3], vcc
	s_cbranch_execz .LBB92_51
; %bb.46:                               ;   in Loop: Header=BB92_37 Depth=1
	v_cmp_eq_u32_e64 s[12:13], v18, v15
	v_cmp_ne_u32_e32 vcc, v18, v15
	v_mov_b32_e32 v3, v12
	s_and_saveexec_b64 s[14:15], vcc
	s_cbranch_execz .LBB92_50
; %bb.47:                               ;   in Loop: Header=BB92_37 Depth=1
	v_cmp_eq_u32_e64 s[16:17], v18, v16
	v_cmp_ne_u32_e32 vcc, v18, v16
	v_mov_b32_e32 v3, v13
	s_and_saveexec_b64 s[18:19], vcc
; %bb.48:                               ;   in Loop: Header=BB92_37 Depth=1
	v_cmp_eq_u32_e32 vcc, v18, v17
	s_andn2_b64 s[16:17], s[16:17], exec
	s_and_b64 s[22:23], vcc, exec
	s_or_b64 s[16:17], s[16:17], s[22:23]
	v_mov_b32_e32 v3, v14
; %bb.49:                               ;   in Loop: Header=BB92_37 Depth=1
	s_or_b64 exec, exec, s[18:19]
	s_andn2_b64 s[12:13], s[12:13], exec
	s_and_b64 s[16:17], s[16:17], exec
	s_or_b64 s[12:13], s[12:13], s[16:17]
.LBB92_50:                              ;   in Loop: Header=BB92_37 Depth=1
	s_or_b64 exec, exec, s[14:15]
	s_andn2_b64 s[0:1], s[0:1], exec
	s_and_b64 s[12:13], s[12:13], exec
	s_or_b64 s[0:1], s[0:1], s[12:13]
.LBB92_51:                              ;   in Loop: Header=BB92_37 Depth=1
	s_or_b64 exec, exec, s[2:3]
	s_and_saveexec_b64 s[2:3], s[0:1]
	s_cbranch_execz .LBB92_53
; %bb.52:                               ;   in Loop: Header=BB92_37 Depth=1
	scratch_load_dword v3, v3, off
	v_lshl_add_u64 v[18:19], v[6:7], 0, s[8:9]
	s_waitcnt vmcnt(0)
	v_mul_f32_e32 v3, v11, v3
	global_store_dword v[18:19], v3, off offset:4
.LBB92_53:                              ;   in Loop: Header=BB92_37 Depth=1
	s_or_b64 exec, exec, s[2:3]
	global_load_dword v18, v[8:9], off offset:8
	v_mov_b32_e32 v3, 0
	s_waitcnt vmcnt(0)
	v_cmp_eq_u32_e64 s[0:1], v18, v10
	v_cmp_ne_u32_e32 vcc, v18, v10
	s_and_saveexec_b64 s[2:3], vcc
	s_cbranch_execz .LBB92_59
; %bb.54:                               ;   in Loop: Header=BB92_37 Depth=1
	v_cmp_eq_u32_e64 s[12:13], v18, v15
	v_cmp_ne_u32_e32 vcc, v18, v15
	v_mov_b32_e32 v3, v12
	s_and_saveexec_b64 s[14:15], vcc
	s_cbranch_execz .LBB92_58
; %bb.55:                               ;   in Loop: Header=BB92_37 Depth=1
	v_cmp_eq_u32_e64 s[16:17], v18, v16
	v_cmp_ne_u32_e32 vcc, v18, v16
	v_mov_b32_e32 v3, v13
	s_and_saveexec_b64 s[18:19], vcc
; %bb.56:                               ;   in Loop: Header=BB92_37 Depth=1
	v_cmp_eq_u32_e32 vcc, v18, v17
	s_andn2_b64 s[16:17], s[16:17], exec
	s_and_b64 s[22:23], vcc, exec
	s_or_b64 s[16:17], s[16:17], s[22:23]
	v_mov_b32_e32 v3, v14
; %bb.57:                               ;   in Loop: Header=BB92_37 Depth=1
	s_or_b64 exec, exec, s[18:19]
	s_andn2_b64 s[12:13], s[12:13], exec
	s_and_b64 s[16:17], s[16:17], exec
	s_or_b64 s[12:13], s[12:13], s[16:17]
.LBB92_58:                              ;   in Loop: Header=BB92_37 Depth=1
	s_or_b64 exec, exec, s[14:15]
	s_andn2_b64 s[0:1], s[0:1], exec
	s_and_b64 s[12:13], s[12:13], exec
	s_or_b64 s[0:1], s[0:1], s[12:13]
.LBB92_59:                              ;   in Loop: Header=BB92_37 Depth=1
	s_or_b64 exec, exec, s[2:3]
	s_and_saveexec_b64 s[2:3], s[0:1]
	s_cbranch_execz .LBB92_61
; %bb.60:                               ;   in Loop: Header=BB92_37 Depth=1
	scratch_load_dword v3, v3, off
	v_lshl_add_u64 v[18:19], v[6:7], 0, s[8:9]
	s_waitcnt vmcnt(0)
	v_mul_f32_e32 v3, v11, v3
	global_store_dword v[18:19], v3, off offset:8
.LBB92_61:                              ;   in Loop: Header=BB92_37 Depth=1
	s_or_b64 exec, exec, s[2:3]
	global_load_dword v8, v[8:9], off offset:12
	v_mov_b32_e32 v3, 0
	s_waitcnt vmcnt(0)
	v_cmp_eq_u32_e64 s[0:1], v8, v10
	v_cmp_ne_u32_e32 vcc, v8, v10
	s_and_saveexec_b64 s[2:3], vcc
	s_cbranch_execz .LBB92_67
; %bb.62:                               ;   in Loop: Header=BB92_37 Depth=1
	v_cmp_eq_u32_e64 s[12:13], v8, v15
	v_cmp_ne_u32_e32 vcc, v8, v15
	v_mov_b32_e32 v3, v12
	s_and_saveexec_b64 s[14:15], vcc
	s_cbranch_execz .LBB92_66
; %bb.63:                               ;   in Loop: Header=BB92_37 Depth=1
	v_cmp_eq_u32_e64 s[16:17], v8, v16
	v_cmp_ne_u32_e32 vcc, v8, v16
	v_mov_b32_e32 v3, v13
	s_and_saveexec_b64 s[18:19], vcc
; %bb.64:                               ;   in Loop: Header=BB92_37 Depth=1
	v_cmp_eq_u32_e32 vcc, v8, v17
	s_andn2_b64 s[16:17], s[16:17], exec
	s_and_b64 s[22:23], vcc, exec
	s_or_b64 s[16:17], s[16:17], s[22:23]
	v_mov_b32_e32 v3, v14
; %bb.65:                               ;   in Loop: Header=BB92_37 Depth=1
	s_or_b64 exec, exec, s[18:19]
	s_andn2_b64 s[12:13], s[12:13], exec
	s_and_b64 s[16:17], s[16:17], exec
	s_or_b64 s[12:13], s[12:13], s[16:17]
.LBB92_66:                              ;   in Loop: Header=BB92_37 Depth=1
	s_or_b64 exec, exec, s[14:15]
	s_andn2_b64 s[0:1], s[0:1], exec
	s_and_b64 s[12:13], s[12:13], exec
	s_or_b64 s[0:1], s[0:1], s[12:13]
.LBB92_67:                              ;   in Loop: Header=BB92_37 Depth=1
	s_or_b64 exec, exec, s[2:3]
	s_and_saveexec_b64 s[2:3], s[0:1]
	s_cbranch_execz .LBB92_36
; %bb.68:                               ;   in Loop: Header=BB92_37 Depth=1
	scratch_load_dword v3, v3, off
	v_lshl_add_u64 v[8:9], v[6:7], 0, s[8:9]
	s_waitcnt vmcnt(0)
	v_mul_f32_e32 v3, v11, v3
	global_store_dword v[8:9], v3, off offset:12
	s_branch .LBB92_36
.LBB92_69:
	s_and_b32 s14, s20, 3
	s_cmp_eq_u32 s14, 0
	s_mov_b32 s7, 0
	s_cbranch_scc1 .LBB92_80
; %bb.70:
	s_lshl_b64 s[0:1], s[6:7], 2
	s_add_u32 s0, s10, s0
	s_addc_u32 s1, s11, s1
	v_add_u32_e32 v2, s6, v2
	v_lshl_add_u64 v[0:1], v[0:1], 2, s[0:1]
	s_branch .LBB92_72
.LBB92_71:                              ;   in Loop: Header=BB92_72 Depth=1
	s_or_b64 exec, exec, s[2:3]
	s_add_i32 s14, s14, -1
	v_add_u32_e32 v2, 1, v2
	s_cmp_lg_u32 s14, 0
	v_lshl_add_u64 v[0:1], v[0:1], 0, 4
	s_cbranch_scc0 .LBB92_80
.LBB92_72:                              ; =>This Inner Loop Header: Depth=1
	global_load_dword v4, v[0:1], off
	v_mov_b32_e32 v3, 0
	s_waitcnt vmcnt(0)
	v_cmp_eq_u32_e64 s[0:1], v4, v10
	v_cmp_ne_u32_e32 vcc, v4, v10
	s_and_saveexec_b64 s[2:3], vcc
	s_cbranch_execz .LBB92_78
; %bb.73:                               ;   in Loop: Header=BB92_72 Depth=1
	v_cmp_eq_u32_e64 s[6:7], v4, v15
	v_cmp_ne_u32_e32 vcc, v4, v15
	v_mov_b32_e32 v3, v12
	s_and_saveexec_b64 s[8:9], vcc
	s_cbranch_execz .LBB92_77
; %bb.74:                               ;   in Loop: Header=BB92_72 Depth=1
	v_cmp_eq_u32_e64 s[10:11], v4, v16
	v_cmp_ne_u32_e32 vcc, v4, v16
	v_mov_b32_e32 v3, v13
	s_and_saveexec_b64 s[12:13], vcc
; %bb.75:                               ;   in Loop: Header=BB92_72 Depth=1
	v_cmp_eq_u32_e32 vcc, v4, v17
	s_andn2_b64 s[10:11], s[10:11], exec
	s_and_b64 s[16:17], vcc, exec
	s_or_b64 s[10:11], s[10:11], s[16:17]
	v_mov_b32_e32 v3, v14
; %bb.76:                               ;   in Loop: Header=BB92_72 Depth=1
	s_or_b64 exec, exec, s[12:13]
	s_andn2_b64 s[6:7], s[6:7], exec
	s_and_b64 s[10:11], s[10:11], exec
	s_or_b64 s[6:7], s[6:7], s[10:11]
.LBB92_77:                              ;   in Loop: Header=BB92_72 Depth=1
	s_or_b64 exec, exec, s[8:9]
	s_andn2_b64 s[0:1], s[0:1], exec
	s_and_b64 s[6:7], s[6:7], exec
	s_or_b64 s[0:1], s[0:1], s[6:7]
.LBB92_78:                              ;   in Loop: Header=BB92_72 Depth=1
	s_or_b64 exec, exec, s[2:3]
	s_and_saveexec_b64 s[2:3], s[0:1]
	s_cbranch_execz .LBB92_71
; %bb.79:                               ;   in Loop: Header=BB92_72 Depth=1
	scratch_load_dword v4, v3, off
	v_ashrrev_i32_e32 v3, 31, v2
	s_waitcnt vmcnt(0)
	v_mul_f32_e32 v6, v11, v4
	s_waitcnt lgkmcnt(0)
	v_lshl_add_u64 v[4:5], v[2:3], 2, s[4:5]
	global_store_dword v[4:5], v6, off
	s_branch .LBB92_71
.LBB92_80:
	s_endpgm
	.section	.rodata,"a",@progbits
	.p2align	6, 0x0
	.amdhsa_kernel _ZN4vllm3moe22topkGatingSoftplusSqrtILi4ELi256ELi4ELi16ELi64ELb1EjfEEvPKT6_PKbPfiPT5_PiiiibdPKfPKS8_SE_
		.amdhsa_group_segment_fixed_size 0
		.amdhsa_private_segment_fixed_size 32
		.amdhsa_kernarg_size 96
		.amdhsa_user_sgpr_count 2
		.amdhsa_user_sgpr_dispatch_ptr 0
		.amdhsa_user_sgpr_queue_ptr 0
		.amdhsa_user_sgpr_kernarg_segment_ptr 1
		.amdhsa_user_sgpr_dispatch_id 0
		.amdhsa_user_sgpr_kernarg_preload_length 0
		.amdhsa_user_sgpr_kernarg_preload_offset 0
		.amdhsa_user_sgpr_private_segment_size 0
		.amdhsa_uses_dynamic_stack 0
		.amdhsa_enable_private_segment 1
		.amdhsa_system_sgpr_workgroup_id_x 1
		.amdhsa_system_sgpr_workgroup_id_y 0
		.amdhsa_system_sgpr_workgroup_id_z 0
		.amdhsa_system_sgpr_workgroup_info 0
		.amdhsa_system_vgpr_workitem_id 1
		.amdhsa_next_free_vgpr 23
		.amdhsa_next_free_sgpr 24
		.amdhsa_accum_offset 24
		.amdhsa_reserve_vcc 1
		.amdhsa_float_round_mode_32 0
		.amdhsa_float_round_mode_16_64 0
		.amdhsa_float_denorm_mode_32 3
		.amdhsa_float_denorm_mode_16_64 3
		.amdhsa_dx10_clamp 1
		.amdhsa_ieee_mode 1
		.amdhsa_fp16_overflow 0
		.amdhsa_tg_split 0
		.amdhsa_exception_fp_ieee_invalid_op 0
		.amdhsa_exception_fp_denorm_src 0
		.amdhsa_exception_fp_ieee_div_zero 0
		.amdhsa_exception_fp_ieee_overflow 0
		.amdhsa_exception_fp_ieee_underflow 0
		.amdhsa_exception_fp_ieee_inexact 0
		.amdhsa_exception_int_div_zero 0
	.end_amdhsa_kernel
	.section	.text._ZN4vllm3moe22topkGatingSoftplusSqrtILi4ELi256ELi4ELi16ELi64ELb1EjfEEvPKT6_PKbPfiPT5_PiiiibdPKfPKS8_SE_,"axG",@progbits,_ZN4vllm3moe22topkGatingSoftplusSqrtILi4ELi256ELi4ELi16ELi64ELb1EjfEEvPKT6_PKbPfiPT5_PiiiibdPKfPKS8_SE_,comdat
.Lfunc_end92:
	.size	_ZN4vllm3moe22topkGatingSoftplusSqrtILi4ELi256ELi4ELi16ELi64ELb1EjfEEvPKT6_PKbPfiPT5_PiiiibdPKfPKS8_SE_, .Lfunc_end92-_ZN4vllm3moe22topkGatingSoftplusSqrtILi4ELi256ELi4ELi16ELi64ELb1EjfEEvPKT6_PKbPfiPT5_PiiiibdPKfPKS8_SE_
                                        ; -- End function
	.section	.AMDGPU.csdata,"",@progbits
; Kernel info:
; codeLenInByte = 3528
; NumSgprs: 30
; NumVgprs: 23
; NumAgprs: 0
; TotalNumVgprs: 23
; ScratchSize: 32
; MemoryBound: 0
; FloatMode: 240
; IeeeMode: 1
; LDSByteSize: 0 bytes/workgroup (compile time only)
; SGPRBlocks: 3
; VGPRBlocks: 2
; NumSGPRsForWavesPerEU: 30
; NumVGPRsForWavesPerEU: 23
; AccumOffset: 24
; Occupancy: 8
; WaveLimiterHint : 1
; COMPUTE_PGM_RSRC2:SCRATCH_EN: 1
; COMPUTE_PGM_RSRC2:USER_SGPR: 2
; COMPUTE_PGM_RSRC2:TRAP_HANDLER: 0
; COMPUTE_PGM_RSRC2:TGID_X_EN: 1
; COMPUTE_PGM_RSRC2:TGID_Y_EN: 0
; COMPUTE_PGM_RSRC2:TGID_Z_EN: 0
; COMPUTE_PGM_RSRC2:TIDIG_COMP_CNT: 1
; COMPUTE_PGM_RSRC3_GFX90A:ACCUM_OFFSET: 5
; COMPUTE_PGM_RSRC3_GFX90A:TG_SPLIT: 0
	.section	.text._ZN4vllm3moe22topkGatingSoftplusSqrtILi4ELi256ELi4ELi16ELi64ELb0EjfEEvPKT6_PKbPfiPT5_PiiiibdPKfPKS8_SE_,"axG",@progbits,_ZN4vllm3moe22topkGatingSoftplusSqrtILi4ELi256ELi4ELi16ELi64ELb0EjfEEvPKT6_PKbPfiPT5_PiiiibdPKfPKS8_SE_,comdat
	.protected	_ZN4vllm3moe22topkGatingSoftplusSqrtILi4ELi256ELi4ELi16ELi64ELb0EjfEEvPKT6_PKbPfiPT5_PiiiibdPKfPKS8_SE_ ; -- Begin function _ZN4vllm3moe22topkGatingSoftplusSqrtILi4ELi256ELi4ELi16ELi64ELb0EjfEEvPKT6_PKbPfiPT5_PiiiibdPKfPKS8_SE_
	.globl	_ZN4vllm3moe22topkGatingSoftplusSqrtILi4ELi256ELi4ELi16ELi64ELb0EjfEEvPKT6_PKbPfiPT5_PiiiibdPKfPKS8_SE_
	.p2align	8
	.type	_ZN4vllm3moe22topkGatingSoftplusSqrtILi4ELi256ELi4ELi16ELi64ELb0EjfEEvPKT6_PKbPfiPT5_PiiiibdPKfPKS8_SE_,@function
_ZN4vllm3moe22topkGatingSoftplusSqrtILi4ELi256ELi4ELi16ELi64ELb0EjfEEvPKT6_PKbPfiPT5_PiiiibdPKfPKS8_SE_: ; @_ZN4vllm3moe22topkGatingSoftplusSqrtILi4ELi256ELi4ELi16ELi64ELb0EjfEEvPKT6_PKbPfiPT5_PiiiibdPKfPKS8_SE_
; %bb.0:
	s_load_dword s30, s[2:3], 0x18
	v_and_b32_e32 v1, 0x3ff, v0
	v_bfe_u32 v4, v0, 10, 10
	s_lshl_b32 s4, s4, 2
	v_lshrrev_b32_e32 v2, 6, v1
	v_add3_u32 v2, s4, v4, v2
	s_waitcnt lgkmcnt(0)
	v_cmp_gt_i32_e32 vcc, s30, v2
	s_and_saveexec_b64 s[4:5], vcc
	s_cbranch_execz .LBB93_59
; %bb.1:
	s_load_dwordx4 s[4:7], s[2:3], 0x0
	s_load_dwordx2 s[20:21], s[2:3], 0x10
	s_waitcnt lgkmcnt(0)
	s_cmp_eq_u64 s[6:7], 0
	s_cbranch_scc1 .LBB93_3
; %bb.2:
	v_ashrrev_i32_e32 v3, 31, v2
	v_lshl_add_u64 v[6:7], s[6:7], 0, v[2:3]
	global_load_ubyte v3, v[6:7], off
	s_waitcnt vmcnt(0)
	v_and_b32_e32 v3, 1, v3
	v_cmp_eq_u32_e32 vcc, 1, v3
	s_xor_b64 s[6:7], vcc, -1
	s_orn2_b64 s[22:23], s[6:7], exec
	s_branch .LBB93_4
.LBB93_3:
	s_mov_b64 s[22:23], -1
.LBB93_4:
	v_lshlrev_b32_e32 v8, 8, v2
	v_mov_b32_e32 v6, s4
	v_mov_b32_e32 v7, s5
	v_ashrrev_i32_e32 v9, 31, v8
	v_and_b32_e32 v3, 63, v1
	v_lshl_add_u64 v[6:7], v[8:9], 2, v[6:7]
	v_mov_b32_e32 v9, 0
	v_lshlrev_b32_e32 v8, 4, v3
	v_lshl_add_u64 v[6:7], v[6:7], 0, v[8:9]
	global_load_dwordx4 v[6:9], v[6:7], off
	s_load_dwordx2 s[4:5], s[0:1], 0x4
	s_load_dwordx4 s[8:11], s[2:3], 0x40
	v_bfe_u32 v0, v0, 20, 10
	s_mov_b32 s16, 0x800000
	s_mov_b32 s13, 0x3f317217
	s_waitcnt lgkmcnt(0)
	s_lshr_b32 s0, s4, 16
	s_mul_i32 s0, s0, s5
	v_mul_lo_u32 v1, s0, v1
	v_mad_u32_u24 v1, v4, s5, v1
	v_add_lshl_u32 v4, v1, v0, 4
	s_mov_b32 s14, 0x7f800000
	s_mov_b32 s12, 0x41a00000
	;; [unrolled: 1-line block ×3, first 2 shown]
	s_cmp_lg_u64 s[10:11], 0
	v_mov_b32_e32 v1, 0x260
	s_cselect_b64 s[6:7], -1, 0
	s_and_b64 s[0:1], exec, s[6:7]
	s_waitcnt vmcnt(0)
	ds_write_b128 v4, v[6:9]
	ds_read_b32 v8, v4
	v_mov_b32_e32 v6, 0x4f800000
	v_mov_b32_e32 v7, 0x41b17218
	s_waitcnt lgkmcnt(0)
	v_mul_f32_e32 v0, 0x3fb8aa3b, v8
	v_exp_f32_e32 v0, v0
	s_nop 0
	v_add_f32_e32 v0, 1.0, v0
	v_cmp_gt_f32_e32 vcc, s16, v0
	s_nop 1
	v_cndmask_b32_e32 v5, 1.0, v6, vcc
	v_mul_f32_e32 v0, v0, v5
	v_log_f32_e32 v9, v0
	v_cndmask_b32_e32 v10, 0, v7, vcc
	v_lshlrev_b32_e32 v5, 2, v3
	v_lshlrev_b32_e32 v0, 2, v5
	v_mul_f32_e32 v11, 0x3f317217, v9
	v_fma_f32 v11, v9, s13, -v11
	v_fmac_f32_e32 v11, 0x3377d1cf, v9
	v_fmac_f32_e32 v11, 0x3f317217, v9
	v_cmp_lt_f32_e64 vcc, |v9|, s14
	s_nop 1
	v_cndmask_b32_e32 v9, v9, v11, vcc
	v_sub_f32_e32 v9, v9, v10
	v_cmp_lt_f32_e32 vcc, s12, v8
	s_nop 1
	v_cndmask_b32_e32 v8, v9, v8, vcc
	v_mul_f32_e32 v9, 0x4f800000, v8
	v_cmp_gt_f32_e32 vcc, s15, v8
	s_nop 1
	v_cndmask_b32_e32 v8, v8, v9, vcc
	v_sqrt_f32_e32 v9, v8
	s_nop 0
	v_add_u32_e32 v10, -1, v9
	v_add_u32_e32 v11, 1, v9
	v_fma_f32 v12, -v10, v9, v8
	v_fma_f32 v13, -v11, v9, v8
	v_cmp_ge_f32_e64 s[4:5], 0, v12
	s_nop 1
	v_cndmask_b32_e64 v9, v9, v10, s[4:5]
	v_cmp_lt_f32_e64 s[4:5], 0, v13
	s_nop 1
	v_cndmask_b32_e64 v9, v9, v11, s[4:5]
	v_mul_f32_e32 v10, 0x37800000, v9
	v_cndmask_b32_e32 v9, v9, v10, vcc
	v_cmp_class_f32_e32 vcc, v8, v1
	s_nop 1
	v_cndmask_b32_e32 v8, v9, v8, vcc
	s_mov_b64 vcc, s[0:1]
	s_cbranch_vccz .LBB93_6
; %bb.5:
	global_load_dword v9, v0, s[10:11]
	s_waitcnt vmcnt(0)
	v_add_f32_e32 v8, v8, v9
.LBB93_6:
	ds_read_b32 v9, v4 offset:4
	ds_write_b32 v4, v8
	s_waitcnt lgkmcnt(1)
	v_mul_f32_e32 v10, 0x3fb8aa3b, v9
	v_exp_f32_e32 v10, v10
	s_nop 0
	v_add_f32_e32 v10, 1.0, v10
	v_cmp_gt_f32_e32 vcc, s16, v10
	s_nop 1
	v_cndmask_b32_e32 v6, 1.0, v6, vcc
	v_mul_f32_e32 v6, v10, v6
	v_log_f32_e32 v6, v6
	v_cndmask_b32_e32 v7, 0, v7, vcc
	v_mul_f32_e32 v8, 0x3f317217, v6
	v_fma_f32 v8, v6, s13, -v8
	v_fmac_f32_e32 v8, 0x3377d1cf, v6
	v_fmac_f32_e32 v8, 0x3f317217, v6
	v_cmp_lt_f32_e64 vcc, |v6|, s14
	s_nop 1
	v_cndmask_b32_e32 v6, v6, v8, vcc
	v_sub_f32_e32 v6, v6, v7
	v_cmp_lt_f32_e32 vcc, s12, v9
	v_cndmask_b32_e64 v8, 0, 1, s[6:7]
	v_cmp_ne_u32_e64 s[0:1], 1, v8
	v_cndmask_b32_e32 v6, v6, v9, vcc
	v_mul_f32_e32 v7, 0x4f800000, v6
	v_cmp_gt_f32_e64 s[4:5], s15, v6
	s_andn2_b64 vcc, exec, s[6:7]
	s_nop 0
	v_cndmask_b32_e64 v6, v6, v7, s[4:5]
	v_sqrt_f32_e32 v7, v6
	s_nop 0
	v_add_u32_e32 v8, -1, v7
	v_add_u32_e32 v9, 1, v7
	v_fma_f32 v10, -v8, v7, v6
	v_fma_f32 v11, -v9, v7, v6
	v_cmp_ge_f32_e64 s[6:7], 0, v10
	s_nop 1
	v_cndmask_b32_e64 v7, v7, v8, s[6:7]
	v_cmp_lt_f32_e64 s[6:7], 0, v11
	s_nop 1
	v_cndmask_b32_e64 v7, v7, v9, s[6:7]
	v_mul_f32_e32 v8, 0x37800000, v7
	v_cndmask_b32_e64 v7, v7, v8, s[4:5]
	v_cmp_class_f32_e64 s[4:5], v6, v1
	s_nop 1
	v_cndmask_b32_e64 v1, v7, v6, s[4:5]
	s_cbranch_vccnz .LBB93_8
; %bb.7:
	global_load_dword v6, v0, s[10:11] offset:4
	s_waitcnt vmcnt(0)
	v_add_f32_e32 v1, v1, v6
.LBB93_8:
	ds_read_b32 v8, v4 offset:8
	s_mov_b32 s12, 0x800000
	s_mov_b32 s7, 0x3f317217
	;; [unrolled: 1-line block ×4, first 2 shown]
	s_waitcnt lgkmcnt(0)
	v_mul_f32_e32 v6, 0x3fb8aa3b, v8
	v_exp_f32_e32 v7, v6
	v_mov_b32_e32 v6, 0x4f800000
	s_mov_b32 s14, 0xf800000
	ds_write_b32 v4, v1 offset:4
	v_add_f32_e32 v7, 1.0, v7
	v_cmp_gt_f32_e32 vcc, s12, v7
	s_nop 1
	v_cndmask_b32_e32 v9, 1.0, v6, vcc
	v_mul_f32_e32 v7, v7, v9
	v_log_f32_e32 v9, v7
	v_mov_b32_e32 v7, 0x41b17218
	v_cndmask_b32_e32 v10, 0, v7, vcc
	v_mul_f32_e32 v11, 0x3f317217, v9
	v_fma_f32 v11, v9, s7, -v11
	v_fmac_f32_e32 v11, 0x3377d1cf, v9
	v_fmac_f32_e32 v11, 0x3f317217, v9
	v_cmp_lt_f32_e64 vcc, |v9|, s13
	s_nop 1
	v_cndmask_b32_e32 v9, v9, v11, vcc
	v_sub_f32_e32 v9, v9, v10
	v_cmp_lt_f32_e32 vcc, s6, v8
	s_nop 1
	v_cndmask_b32_e32 v8, v9, v8, vcc
	v_mul_f32_e32 v9, 0x4f800000, v8
	v_cmp_gt_f32_e32 vcc, s14, v8
	s_nop 1
	v_cndmask_b32_e32 v8, v8, v9, vcc
	v_sqrt_f32_e32 v9, v8
	s_nop 0
	v_add_u32_e32 v1, -1, v9
	v_fma_f32 v10, -v1, v9, v8
	v_cmp_ge_f32_e64 s[4:5], 0, v10
	v_add_u32_e32 v10, 1, v9
	s_nop 0
	v_cndmask_b32_e64 v1, v9, v1, s[4:5]
	v_fma_f32 v9, -v10, v9, v8
	v_cmp_lt_f32_e64 s[4:5], 0, v9
	s_nop 1
	v_cndmask_b32_e64 v1, v1, v10, s[4:5]
	v_mul_f32_e32 v9, 0x37800000, v1
	v_cndmask_b32_e32 v9, v1, v9, vcc
	v_mov_b32_e32 v1, 0x260
	v_cmp_class_f32_e64 s[4:5], v8, v1
	s_and_b64 vcc, exec, s[0:1]
	s_nop 0
	v_cndmask_b32_e64 v8, v9, v8, s[4:5]
	s_cbranch_vccnz .LBB93_10
; %bb.9:
	global_load_dword v9, v0, s[10:11] offset:8
	s_waitcnt vmcnt(0)
	v_add_f32_e32 v8, v8, v9
.LBB93_10:
	ds_read_b32 v9, v4 offset:12
	ds_write_b32 v4, v8 offset:8
	s_waitcnt lgkmcnt(1)
	v_mul_f32_e32 v10, 0x3fb8aa3b, v9
	v_exp_f32_e32 v10, v10
	s_nop 0
	v_add_f32_e32 v10, 1.0, v10
	v_cmp_gt_f32_e32 vcc, s12, v10
	s_nop 1
	v_cndmask_b32_e32 v6, 1.0, v6, vcc
	v_mul_f32_e32 v6, v10, v6
	v_log_f32_e32 v6, v6
	v_cndmask_b32_e32 v7, 0, v7, vcc
	v_mul_f32_e32 v10, 0x3f317217, v6
	v_fma_f32 v10, v6, s7, -v10
	v_fmac_f32_e32 v10, 0x3377d1cf, v6
	v_fmac_f32_e32 v10, 0x3f317217, v6
	v_cmp_lt_f32_e64 vcc, |v6|, s13
	s_nop 1
	v_cndmask_b32_e32 v6, v6, v10, vcc
	v_sub_f32_e32 v6, v6, v7
	v_cmp_lt_f32_e32 vcc, s6, v9
	s_nop 1
	v_cndmask_b32_e32 v6, v6, v9, vcc
	v_mul_f32_e32 v7, 0x4f800000, v6
	v_cmp_gt_f32_e64 s[4:5], s14, v6
	s_and_b64 vcc, exec, s[0:1]
	s_nop 0
	v_cndmask_b32_e64 v6, v6, v7, s[4:5]
	v_sqrt_f32_e32 v7, v6
	s_nop 0
	v_add_u32_e32 v8, -1, v7
	v_add_u32_e32 v9, 1, v7
	v_fma_f32 v10, -v8, v7, v6
	v_fma_f32 v11, -v9, v7, v6
	v_cmp_ge_f32_e64 s[6:7], 0, v10
	s_nop 1
	v_cndmask_b32_e64 v7, v7, v8, s[6:7]
	v_cmp_lt_f32_e64 s[6:7], 0, v11
	s_nop 1
	v_cndmask_b32_e64 v7, v7, v9, s[6:7]
	v_mul_f32_e32 v8, 0x37800000, v7
	v_cndmask_b32_e64 v7, v7, v8, s[4:5]
	v_cmp_class_f32_e64 s[4:5], v6, v1
	s_nop 1
	v_cndmask_b32_e64 v1, v7, v6, s[4:5]
	s_cbranch_vccnz .LBB93_12
; %bb.11:
	global_load_dword v0, v0, s[10:11] offset:12
	s_waitcnt vmcnt(0)
	v_add_f32_e32 v1, v1, v0
.LBB93_12:
	s_load_dwordx4 s[12:15], s[2:3], 0x30
	s_mov_b32 s31, 0
	v_cmp_eq_u32_e64 s[4:5], 0, v3
	ds_write_b32 v4, v1 offset:12
	s_waitcnt lgkmcnt(0)
	s_bitcmp1_b32 s15, 0
	s_cselect_b64 s[6:7], -1, 0
	s_cmp_gt_i32 s12, 0
	s_cselect_b64 s[24:25], -1, 0
	s_and_b64 vcc, exec, s[24:25]
	s_cbranch_vccz .LBB93_45
; %bb.13:
	v_mbcnt_lo_u32_b32 v0, -1, 0
	v_mbcnt_hi_u32_b32 v0, -1, v0
	v_and_b32_e32 v1, 64, v0
	v_add_u32_e32 v1, 64, v1
	v_xor_b32_e32 v6, 32, v0
	v_cmp_lt_i32_e32 vcc, v6, v1
	s_load_dwordx4 s[16:19], s[2:3], 0x20
	v_mul_lo_u32 v7, v2, s12
	v_cndmask_b32_e32 v6, v0, v6, vcc
	v_lshlrev_b32_e32 v8, 2, v6
	v_xor_b32_e32 v6, 16, v0
	v_cmp_lt_i32_e32 vcc, v6, v1
	v_mov_b32_e32 v14, 0xc61c4000
	v_mov_b32_e32 v15, 0x100
	v_cndmask_b32_e32 v6, v0, v6, vcc
	v_lshlrev_b32_e32 v9, 2, v6
	v_xor_b32_e32 v6, 8, v0
	v_cmp_lt_i32_e32 vcc, v6, v1
	v_mov_b32_e32 v16, v2
	s_nop 0
	v_cndmask_b32_e32 v6, v0, v6, vcc
	v_lshlrev_b32_e32 v10, 2, v6
	v_xor_b32_e32 v6, 4, v0
	v_cmp_lt_i32_e32 vcc, v6, v1
	s_nop 1
	v_cndmask_b32_e32 v6, v0, v6, vcc
	v_lshlrev_b32_e32 v11, 2, v6
	v_xor_b32_e32 v6, 2, v0
	v_cmp_lt_i32_e32 vcc, v6, v1
	;; [unrolled: 5-line block ×3, first 2 shown]
	s_nop 1
	v_cndmask_b32_e32 v0, v0, v6, vcc
	v_lshlrev_b32_e32 v13, 2, v0
	v_mov_b32_e32 v6, 0
	s_branch .LBB93_15
.LBB93_14:                              ;   in Loop: Header=BB93_15 Depth=1
	s_or_b64 exec, exec, s[2:3]
	s_cmp_eq_u32 s12, s31
	v_add_u32_e32 v16, s30, v16
	s_cbranch_scc1 .LBB93_46
.LBB93_15:                              ; =>This Inner Loop Header: Depth=1
	ds_read_b128 v[18:21], v4
	s_waitcnt lgkmcnt(0)
	v_cmp_gt_f32_e32 vcc, v19, v18
	s_nop 1
	v_cndmask_b32_e32 v1, v18, v19, vcc
	v_cndmask_b32_e64 v0, 0, 1, vcc
	v_cmp_gt_f32_e32 vcc, v20, v1
	s_nop 1
	v_cndmask_b32_e32 v1, v1, v20, vcc
	v_cndmask_b32_e64 v0, v0, 2, vcc
	v_cmp_gt_f32_e32 vcc, v21, v1
	s_nop 1
	v_cndmask_b32_e64 v0, v0, 3, vcc
	v_cndmask_b32_e32 v17, v1, v21, vcc
	ds_bpermute_b32 v1, v8, v17
	v_or_b32_e32 v0, v5, v0
	ds_bpermute_b32 v18, v8, v0
	s_waitcnt lgkmcnt(1)
	v_cmp_lt_f32_e64 s[26:27], v17, v1
	v_cmp_nlt_f32_e32 vcc, v17, v1
	s_and_saveexec_b64 s[28:29], vcc
	s_cbranch_execz .LBB93_17
; %bb.16:                               ;   in Loop: Header=BB93_15 Depth=1
	v_cmp_eq_f32_e32 vcc, v17, v1
	s_waitcnt lgkmcnt(0)
	v_cmp_lt_i32_e64 s[2:3], v18, v0
	s_and_b64 s[2:3], vcc, s[2:3]
	s_andn2_b64 s[26:27], s[26:27], exec
	s_and_b64 s[2:3], s[2:3], exec
	s_or_b64 s[26:27], s[26:27], s[2:3]
.LBB93_17:                              ;   in Loop: Header=BB93_15 Depth=1
	s_or_b64 exec, exec, s[28:29]
	s_and_saveexec_b64 s[2:3], s[26:27]
	s_cbranch_execz .LBB93_19
; %bb.18:                               ;   in Loop: Header=BB93_15 Depth=1
	v_mov_b32_e32 v17, v1
	s_waitcnt lgkmcnt(0)
	v_mov_b32_e32 v0, v18
.LBB93_19:                              ;   in Loop: Header=BB93_15 Depth=1
	s_or_b64 exec, exec, s[2:3]
	ds_bpermute_b32 v1, v9, v17
	s_waitcnt lgkmcnt(1)
	ds_bpermute_b32 v18, v9, v0
	s_waitcnt lgkmcnt(1)
	v_cmp_lt_f32_e64 s[26:27], v17, v1
	v_cmp_nlt_f32_e32 vcc, v17, v1
	s_and_saveexec_b64 s[28:29], vcc
	s_cbranch_execz .LBB93_21
; %bb.20:                               ;   in Loop: Header=BB93_15 Depth=1
	v_cmp_eq_f32_e32 vcc, v17, v1
	s_waitcnt lgkmcnt(0)
	v_cmp_lt_i32_e64 s[2:3], v18, v0
	s_and_b64 s[2:3], vcc, s[2:3]
	s_andn2_b64 s[26:27], s[26:27], exec
	s_and_b64 s[2:3], s[2:3], exec
	s_or_b64 s[26:27], s[26:27], s[2:3]
.LBB93_21:                              ;   in Loop: Header=BB93_15 Depth=1
	s_or_b64 exec, exec, s[28:29]
	s_and_saveexec_b64 s[2:3], s[26:27]
	s_cbranch_execz .LBB93_23
; %bb.22:                               ;   in Loop: Header=BB93_15 Depth=1
	v_mov_b32_e32 v17, v1
	s_waitcnt lgkmcnt(0)
	v_mov_b32_e32 v0, v18
.LBB93_23:                              ;   in Loop: Header=BB93_15 Depth=1
	s_or_b64 exec, exec, s[2:3]
	ds_bpermute_b32 v1, v10, v17
	s_waitcnt lgkmcnt(1)
	;; [unrolled: 26-line block ×5, first 2 shown]
	ds_bpermute_b32 v18, v13, v0
	s_waitcnt lgkmcnt(1)
	v_cmp_lt_f32_e64 s[26:27], v17, v1
	v_cmp_nlt_f32_e32 vcc, v17, v1
	s_and_saveexec_b64 s[28:29], vcc
	s_cbranch_execnz .LBB93_38
; %bb.36:                               ;   in Loop: Header=BB93_15 Depth=1
	s_or_b64 exec, exec, s[28:29]
	s_and_saveexec_b64 s[2:3], s[26:27]
	s_cbranch_execnz .LBB93_39
.LBB93_37:                              ;   in Loop: Header=BB93_15 Depth=1
	s_or_b64 exec, exec, s[2:3]
	s_and_saveexec_b64 s[26:27], s[4:5]
	s_cbranch_execnz .LBB93_40
	s_branch .LBB93_43
.LBB93_38:                              ;   in Loop: Header=BB93_15 Depth=1
	v_cmp_eq_f32_e32 vcc, v17, v1
	s_waitcnt lgkmcnt(0)
	v_cmp_lt_i32_e64 s[2:3], v18, v0
	s_and_b64 s[2:3], vcc, s[2:3]
	s_andn2_b64 s[26:27], s[26:27], exec
	s_and_b64 s[2:3], s[2:3], exec
	s_or_b64 s[26:27], s[26:27], s[2:3]
	s_or_b64 exec, exec, s[28:29]
	s_and_saveexec_b64 s[2:3], s[26:27]
	s_cbranch_execz .LBB93_37
.LBB93_39:                              ;   in Loop: Header=BB93_15 Depth=1
	s_waitcnt lgkmcnt(0)
	v_mov_b32_e32 v0, v18
	v_mov_b32_e32 v17, v1
	s_or_b64 exec, exec, s[2:3]
	s_and_saveexec_b64 s[26:27], s[4:5]
	s_cbranch_execz .LBB93_43
.LBB93_40:                              ;   in Loop: Header=BB93_15 Depth=1
	s_and_b64 vcc, exec, s[0:1]
	s_cbranch_vccnz .LBB93_42
; %bb.41:                               ;   in Loop: Header=BB93_15 Depth=1
	v_ashrrev_i32_e32 v1, 31, v0
	s_waitcnt lgkmcnt(0)
	v_lshl_add_u64 v[18:19], v[0:1], 2, s[10:11]
	global_load_dword v1, v[18:19], off
	s_waitcnt vmcnt(0)
	v_sub_f32_e32 v17, v17, v1
.LBB93_42:                              ;   in Loop: Header=BB93_15 Depth=1
	s_waitcnt lgkmcnt(0)
	v_add_u32_e32 v18, s31, v7
	v_cmp_le_i32_e32 vcc, s13, v0
	v_cmp_gt_i32_e64 s[2:3], s14, v0
	v_ashrrev_i32_e32 v19, 31, v18
	s_and_b64 s[2:3], vcc, s[2:3]
	v_lshlrev_b64 v[18:19], 2, v[18:19]
	v_lshl_add_u64 v[20:21], s[20:21], 0, v[18:19]
	v_subrev_u32_e32 v1, s13, v0
	s_and_b64 vcc, s[22:23], s[2:3]
	global_store_dword v[20:21], v17, off
	v_cndmask_b32_e32 v1, v15, v1, vcc
	v_lshl_add_u64 v[20:21], s[16:17], 0, v[18:19]
	global_store_dword v[20:21], v1, off
	v_add_f32_e32 v1, v6, v17
	v_lshl_add_u64 v[18:19], s[18:19], 0, v[18:19]
	v_cndmask_b32_e64 v6, v6, v1, s[6:7]
	global_store_dword v[18:19], v16, off
.LBB93_43:                              ;   in Loop: Header=BB93_15 Depth=1
	s_or_b64 exec, exec, s[26:27]
	v_ashrrev_i32_e32 v1, 31, v0
	v_lshrrev_b32_e32 v17, 30, v1
	s_waitcnt lgkmcnt(0)
	v_add_u32_e32 v18, v0, v17
	v_ashrrev_i32_e32 v17, 2, v18
	v_ashrrev_i32_e32 v18, 31, v18
	v_lshrrev_b32_e32 v18, 26, v18
	v_add_u32_e32 v18, v17, v18
	s_add_i32 s31, s31, 1
	v_and_b32_e32 v18, 0xffffffc0, v18
	s_cmp_lt_i32 s31, s12
	v_sub_u32_e32 v18, v17, v18
	s_cselect_b64 s[2:3], -1, 0
	v_cmp_eq_u32_e32 vcc, v3, v18
	s_and_b64 s[26:27], s[2:3], vcc
	s_and_saveexec_b64 s[2:3], s[26:27]
	s_cbranch_execz .LBB93_14
; %bb.44:                               ;   in Loop: Header=BB93_15 Depth=1
	v_add_u32_sdwa v1, v0, v1 dst_sel:DWORD dst_unused:UNUSED_PAD src0_sel:DWORD src1_sel:BYTE_3
	v_lshlrev_b32_e32 v17, 2, v17
	v_ashrrev_i32_e32 v1, 8, v1
	v_sub_u32_e32 v0, v0, v17
	v_lshl_add_u32 v0, v1, 2, v0
	v_lshl_add_u32 v0, v0, 2, v4
	ds_write_b32 v0, v14
	s_branch .LBB93_14
.LBB93_45:
	v_mov_b32_e32 v6, 0
.LBB93_46:
	v_cmp_eq_u32_e32 vcc, 0, v3
	s_and_b64 exec, exec, vcc
	s_cbranch_execz .LBB93_59
; %bb.47:
	s_andn2_b64 vcc, exec, s[6:7]
	v_cvt_f32_f64_e32 v0, s[8:9]
	s_cbranch_vccnz .LBB93_49
; %bb.48:
	v_cmp_lt_f32_e32 vcc, 0, v6
	s_nop 1
	v_cndmask_b32_e32 v1, 1.0, v6, vcc
	v_div_scale_f32 v3, s[0:1], v1, v1, v0
	v_rcp_f32_e32 v4, v3
	s_nop 0
	v_fma_f32 v5, -v3, v4, 1.0
	v_fmac_f32_e32 v4, v5, v4
	v_div_scale_f32 v5, vcc, v0, v1, v0
	v_mul_f32_e32 v6, v5, v4
	v_fma_f32 v7, -v3, v6, v5
	v_fmac_f32_e32 v6, v7, v4
	v_fma_f32 v3, -v3, v6, v5
	v_div_fmas_f32 v3, v3, v4, v6
	v_div_fixup_f32 v0, v3, v1, v0
.LBB93_49:
	s_andn2_b64 vcc, exec, s[24:25]
	s_cbranch_vccnz .LBB93_59
; %bb.50:
	v_mul_lo_u32 v2, v2, s12
	s_cmp_gt_u32 s12, 3
	v_ashrrev_i32_e32 v3, 31, v2
	s_cbranch_scc0 .LBB93_54
; %bb.51:
	s_and_b32 s0, s12, 0x7ffffffc
	v_lshl_add_u64 v[4:5], v[2:3], 2, s[20:21]
	v_mov_b32_e32 v1, v0
	v_lshl_add_u64 v[4:5], v[4:5], 0, 8
	s_mov_b32 s1, s0
.LBB93_52:                              ; =>This Inner Loop Header: Depth=1
	global_load_dwordx4 v[6:9], v[4:5], off offset:-8
	s_add_i32 s1, s1, -4
	s_cmp_lg_u32 s1, 0
	s_waitcnt vmcnt(0)
	v_pk_mul_f32 v[6:7], v[0:1], v[6:7]
	v_pk_mul_f32 v[8:9], v[0:1], v[8:9]
	global_store_dwordx4 v[4:5], v[6:9], off offset:-8
	v_lshl_add_u64 v[4:5], v[4:5], 0, 16
	s_cbranch_scc1 .LBB93_52
; %bb.53:
	s_cmp_lg_u32 s0, s12
	s_cselect_b64 s[2:3], -1, 0
	s_branch .LBB93_56
.LBB93_54:
	s_mov_b64 s[2:3], 0
                                        ; implicit-def: $sgpr0
	s_cbranch_execz .LBB93_56
; %bb.55:
	s_mov_b64 s[2:3], -1
	s_mov_b32 s0, 0
.LBB93_56:
	s_andn2_b64 vcc, exec, s[2:3]
	s_cbranch_vccnz .LBB93_59
; %bb.57:
	s_mov_b32 s1, 0
	v_lshl_add_u64 v[2:3], v[2:3], 0, s[0:1]
	s_sub_i32 s2, s12, s0
	v_lshl_add_u64 v[2:3], v[2:3], 2, s[20:21]
.LBB93_58:                              ; =>This Inner Loop Header: Depth=1
	global_load_dword v1, v[2:3], off
	s_add_i32 s2, s2, -1
	s_cmp_lg_u32 s2, 0
	s_waitcnt vmcnt(0)
	v_mul_f32_e32 v1, v0, v1
	global_store_dword v[2:3], v1, off
	v_lshl_add_u64 v[2:3], v[2:3], 0, 4
	s_cbranch_scc1 .LBB93_58
.LBB93_59:
	s_endpgm
	.section	.rodata,"a",@progbits
	.p2align	6, 0x0
	.amdhsa_kernel _ZN4vllm3moe22topkGatingSoftplusSqrtILi4ELi256ELi4ELi16ELi64ELb0EjfEEvPKT6_PKbPfiPT5_PiiiibdPKfPKS8_SE_
		.amdhsa_group_segment_fixed_size 4096
		.amdhsa_private_segment_fixed_size 0
		.amdhsa_kernarg_size 96
		.amdhsa_user_sgpr_count 4
		.amdhsa_user_sgpr_dispatch_ptr 1
		.amdhsa_user_sgpr_queue_ptr 0
		.amdhsa_user_sgpr_kernarg_segment_ptr 1
		.amdhsa_user_sgpr_dispatch_id 0
		.amdhsa_user_sgpr_kernarg_preload_length 0
		.amdhsa_user_sgpr_kernarg_preload_offset 0
		.amdhsa_user_sgpr_private_segment_size 0
		.amdhsa_uses_dynamic_stack 0
		.amdhsa_enable_private_segment 0
		.amdhsa_system_sgpr_workgroup_id_x 1
		.amdhsa_system_sgpr_workgroup_id_y 0
		.amdhsa_system_sgpr_workgroup_id_z 0
		.amdhsa_system_sgpr_workgroup_info 0
		.amdhsa_system_vgpr_workitem_id 2
		.amdhsa_next_free_vgpr 22
		.amdhsa_next_free_sgpr 32
		.amdhsa_accum_offset 24
		.amdhsa_reserve_vcc 1
		.amdhsa_float_round_mode_32 0
		.amdhsa_float_round_mode_16_64 0
		.amdhsa_float_denorm_mode_32 3
		.amdhsa_float_denorm_mode_16_64 3
		.amdhsa_dx10_clamp 1
		.amdhsa_ieee_mode 1
		.amdhsa_fp16_overflow 0
		.amdhsa_tg_split 0
		.amdhsa_exception_fp_ieee_invalid_op 0
		.amdhsa_exception_fp_denorm_src 0
		.amdhsa_exception_fp_ieee_div_zero 0
		.amdhsa_exception_fp_ieee_overflow 0
		.amdhsa_exception_fp_ieee_underflow 0
		.amdhsa_exception_fp_ieee_inexact 0
		.amdhsa_exception_int_div_zero 0
	.end_amdhsa_kernel
	.section	.text._ZN4vllm3moe22topkGatingSoftplusSqrtILi4ELi256ELi4ELi16ELi64ELb0EjfEEvPKT6_PKbPfiPT5_PiiiibdPKfPKS8_SE_,"axG",@progbits,_ZN4vllm3moe22topkGatingSoftplusSqrtILi4ELi256ELi4ELi16ELi64ELb0EjfEEvPKT6_PKbPfiPT5_PiiiibdPKfPKS8_SE_,comdat
.Lfunc_end93:
	.size	_ZN4vllm3moe22topkGatingSoftplusSqrtILi4ELi256ELi4ELi16ELi64ELb0EjfEEvPKT6_PKbPfiPT5_PiiiibdPKfPKS8_SE_, .Lfunc_end93-_ZN4vllm3moe22topkGatingSoftplusSqrtILi4ELi256ELi4ELi16ELi64ELb0EjfEEvPKT6_PKbPfiPT5_PiiiibdPKfPKS8_SE_
                                        ; -- End function
	.section	.AMDGPU.csdata,"",@progbits
; Kernel info:
; codeLenInByte = 3120
; NumSgprs: 38
; NumVgprs: 22
; NumAgprs: 0
; TotalNumVgprs: 22
; ScratchSize: 0
; MemoryBound: 0
; FloatMode: 240
; IeeeMode: 1
; LDSByteSize: 4096 bytes/workgroup (compile time only)
; SGPRBlocks: 4
; VGPRBlocks: 2
; NumSGPRsForWavesPerEU: 38
; NumVGPRsForWavesPerEU: 22
; AccumOffset: 24
; Occupancy: 8
; WaveLimiterHint : 0
; COMPUTE_PGM_RSRC2:SCRATCH_EN: 0
; COMPUTE_PGM_RSRC2:USER_SGPR: 4
; COMPUTE_PGM_RSRC2:TRAP_HANDLER: 0
; COMPUTE_PGM_RSRC2:TGID_X_EN: 1
; COMPUTE_PGM_RSRC2:TGID_Y_EN: 0
; COMPUTE_PGM_RSRC2:TGID_Z_EN: 0
; COMPUTE_PGM_RSRC2:TIDIG_COMP_CNT: 2
; COMPUTE_PGM_RSRC3_GFX90A:ACCUM_OFFSET: 5
; COMPUTE_PGM_RSRC3_GFX90A:TG_SPLIT: 0
	.section	.text._ZN4vllm3moe22topkGatingSoftplusSqrtILi8ELi256ELi4ELi16ELi32ELb1EjfEEvPKT6_PKbPfiPT5_PiiiibdPKfPKS8_SE_,"axG",@progbits,_ZN4vllm3moe22topkGatingSoftplusSqrtILi8ELi256ELi4ELi16ELi32ELb1EjfEEvPKT6_PKbPfiPT5_PiiiibdPKfPKS8_SE_,comdat
	.protected	_ZN4vllm3moe22topkGatingSoftplusSqrtILi8ELi256ELi4ELi16ELi32ELb1EjfEEvPKT6_PKbPfiPT5_PiiiibdPKfPKS8_SE_ ; -- Begin function _ZN4vllm3moe22topkGatingSoftplusSqrtILi8ELi256ELi4ELi16ELi32ELb1EjfEEvPKT6_PKbPfiPT5_PiiiibdPKfPKS8_SE_
	.globl	_ZN4vllm3moe22topkGatingSoftplusSqrtILi8ELi256ELi4ELi16ELi32ELb1EjfEEvPKT6_PKbPfiPT5_PiiiibdPKfPKS8_SE_
	.p2align	8
	.type	_ZN4vllm3moe22topkGatingSoftplusSqrtILi8ELi256ELi4ELi16ELi32ELb1EjfEEvPKT6_PKbPfiPT5_PiiiibdPKfPKS8_SE_,@function
_ZN4vllm3moe22topkGatingSoftplusSqrtILi8ELi256ELi4ELi16ELi32ELb1EjfEEvPKT6_PKbPfiPT5_PiiiibdPKfPKS8_SE_: ; @_ZN4vllm3moe22topkGatingSoftplusSqrtILi8ELi256ELi4ELi16ELi32ELb1EjfEEvPKT6_PKbPfiPT5_PiiiibdPKfPKS8_SE_
; %bb.0:
	s_load_dword s3, s[0:1], 0x18
	v_and_b32_e32 v1, 0x3ff, v0
	s_lshl_b32 s2, s2, 2
	v_lshrrev_b32_e32 v2, 5, v1
	v_bfe_u32 v0, v0, 10, 10
	v_add3_u32 v6, s2, v0, v2
	s_waitcnt lgkmcnt(0)
	v_cmp_gt_i32_e32 vcc, s3, v6
	s_and_saveexec_b64 s[2:3], vcc
	s_cbranch_execz .LBB94_32
; %bb.1:
	s_load_dwordx2 s[2:3], s[0:1], 0x0
	s_load_dword s33, s[0:1], 0x30
	v_lshlrev_b32_e32 v0, 8, v6
	v_lshlrev_b32_e32 v2, 2, v1
	v_ashrrev_i32_e32 v1, 31, v0
	v_and_b32_e32 v10, 0x7c, v2
	s_waitcnt lgkmcnt(0)
	v_lshl_add_u64 v[0:1], v[0:1], 2, s[2:3]
	v_lshlrev_b32_e32 v4, 2, v10
	v_mov_b32_e32 v5, 0
	v_lshl_add_u64 v[0:1], v[0:1], 0, v[4:5]
	global_load_dwordx4 v[12:15], v[0:1], off
	s_load_dwordx4 s[8:11], s[0:1], 0x50
	v_ashrrev_i32_e32 v7, 31, v6
	s_mov_b32 s15, 0x800000
	s_mov_b32 s13, 0x3f317217
	;; [unrolled: 1-line block ×3, first 2 shown]
	s_waitcnt lgkmcnt(0)
	v_mov_b32_e32 v2, s8
	v_mov_b32_e32 v3, s9
	v_lshl_add_u64 v[2:3], v[6:7], 2, v[2:3]
	global_load_dword v4, v[2:3], off
	v_mov_b32_e32 v7, 0x4f800000
	global_load_dwordx4 v[0:3], v[0:1], off offset:512
	v_mov_b32_e32 v18, 0x41b17218
	s_mov_b32 s9, 0x41a00000
	s_mov_b32 s12, 0xf800000
	v_mov_b32_e32 v19, 0x260
	s_cmp_gt_i32 s33, 0
	v_mov_b32_e32 v11, 0
	s_mov_b32 s8, 0
	s_waitcnt vmcnt(2)
	v_mul_f32_e32 v8, 0x3fb8aa3b, v12
	v_mul_f32_e32 v9, 0x3fb8aa3b, v13
	v_exp_f32_e32 v8, v8
	v_exp_f32_e32 v9, v9
	v_mul_f32_e32 v16, 0x3fb8aa3b, v14
	v_mul_f32_e32 v17, 0x3fb8aa3b, v15
	v_exp_f32_e32 v16, v16
	v_exp_f32_e32 v17, v17
	v_pk_add_f32 v[8:9], v[8:9], 1.0 op_sel_hi:[1,0]
	s_waitcnt vmcnt(1)
	v_mul_lo_u32 v4, v4, s33
	v_cmp_gt_f32_e32 vcc, s15, v9
	v_pk_add_f32 v[16:17], v[16:17], 1.0 op_sel_hi:[1,0]
	v_cmp_gt_f32_e64 s[2:3], s15, v8
	v_cndmask_b32_e32 v20, 1.0, v7, vcc
	v_cmp_gt_f32_e64 s[4:5], s15, v17
	v_cndmask_b32_e64 v21, 1.0, v7, s[2:3]
	v_mul_f32_e32 v9, v9, v20
	v_cndmask_b32_e64 v22, 1.0, v7, s[4:5]
	v_mul_f32_e32 v8, v8, v21
	v_log_f32_e32 v9, v9
	v_mul_f32_e32 v17, v17, v22
	v_log_f32_e32 v8, v8
	v_cmp_gt_f32_e64 s[6:7], s15, v16
	v_log_f32_e32 v17, v17
	v_cndmask_b32_e32 v20, 0, v18, vcc
	v_cndmask_b32_e64 v23, 1.0, v7, s[6:7]
	v_mul_f32_e32 v16, v16, v23
	v_mul_f32_e32 v23, 0x3f317217, v9
	;; [unrolled: 1-line block ×3, first 2 shown]
	v_fma_f32 v23, v9, s13, -v23
	v_mul_f32_e32 v25, 0x3f317217, v17
	v_fma_f32 v24, v8, s13, -v24
	v_fmac_f32_e32 v23, 0x3377d1cf, v9
	v_fma_f32 v25, v17, s13, -v25
	v_fmac_f32_e32 v24, 0x3377d1cf, v8
	v_fmac_f32_e32 v23, 0x3f317217, v9
	v_cmp_lt_f32_e64 vcc, |v9|, s14
	v_fmac_f32_e32 v25, 0x3377d1cf, v17
	v_fmac_f32_e32 v24, 0x3f317217, v8
	v_cndmask_b32_e32 v9, v9, v23, vcc
	v_cmp_lt_f32_e64 vcc, |v8|, s14
	v_cndmask_b32_e64 v21, 0, v18, s[2:3]
	v_fmac_f32_e32 v25, 0x3f317217, v17
	v_cndmask_b32_e32 v8, v8, v24, vcc
	v_cmp_lt_f32_e64 vcc, |v17|, s14
	v_sub_f32_e32 v8, v8, v21
	v_sub_f32_e32 v9, v9, v20
	v_cndmask_b32_e32 v17, v17, v25, vcc
	v_cmp_lt_f32_e32 vcc, s9, v12
	v_cndmask_b32_e64 v22, 0, v18, s[4:5]
	v_sub_f32_e32 v17, v17, v22
	v_cndmask_b32_e32 v8, v8, v12, vcc
	v_cmp_lt_f32_e32 vcc, s9, v13
	v_cmp_gt_f32_e64 s[2:3], s12, v8
	v_log_f32_e32 v16, v16
	v_cndmask_b32_e32 v9, v9, v13, vcc
	v_mul_f32_e32 v12, 0x4f800000, v9
	v_cmp_gt_f32_e32 vcc, s12, v9
	v_mul_f32_e32 v13, 0x4f800000, v8
	v_cndmask_b32_e64 v8, v8, v13, s[2:3]
	v_cndmask_b32_e32 v9, v9, v12, vcc
	v_sqrt_f32_e32 v12, v9
	v_sqrt_f32_e32 v13, v8
	v_mul_f32_e32 v26, 0x3f317217, v16
	v_fma_f32 v26, v16, s13, -v26
	v_add_u32_e32 v20, -1, v12
	v_add_u32_e32 v22, -1, v13
	v_fma_f32 v24, -v20, v12, v9
	v_add_u32_e32 v21, 1, v12
	v_fma_f32 v27, -v22, v13, v8
	v_cmp_ge_f32_e64 s[4:5], 0, v24
	v_add_u32_e32 v23, 1, v13
	v_fma_f32 v25, -v21, v12, v9
	v_cndmask_b32_e64 v12, v12, v20, s[4:5]
	v_cmp_ge_f32_e64 s[4:5], 0, v27
	v_fma_f32 v28, -v23, v13, v8
	v_fmac_f32_e32 v26, 0x3377d1cf, v16
	v_cndmask_b32_e64 v13, v13, v22, s[4:5]
	v_cmp_lt_f32_e64 s[4:5], 0, v25
	v_fmac_f32_e32 v26, 0x3f317217, v16
	s_nop 0
	v_cndmask_b32_e64 v12, v12, v21, s[4:5]
	v_cmp_lt_f32_e64 s[4:5], 0, v28
	v_mul_f32_e32 v20, 0x37800000, v12
	v_cndmask_b32_e32 v12, v12, v20, vcc
	v_cndmask_b32_e64 v13, v13, v23, s[4:5]
	v_mul_f32_e32 v21, 0x37800000, v13
	v_cmp_class_f32_e32 vcc, v9, v19
	v_cndmask_b32_e64 v20, v13, v21, s[2:3]
	v_cmp_lt_f32_e64 s[2:3], s9, v14
	v_cndmask_b32_e32 v13, v12, v9, vcc
	v_cmp_class_f32_e32 vcc, v8, v19
	v_cndmask_b32_e64 v9, 0, v18, s[6:7]
	s_nop 0
	v_cndmask_b32_e32 v12, v20, v8, vcc
	v_cmp_lt_f32_e64 vcc, |v16|, s14
	s_nop 1
	v_cndmask_b32_e32 v8, v16, v26, vcc
	v_cmp_lt_f32_e32 vcc, s9, v15
	v_sub_f32_e32 v8, v8, v9
	v_cndmask_b32_e64 v8, v8, v14, s[2:3]
	v_cndmask_b32_e32 v15, v17, v15, vcc
	v_mul_f32_e32 v16, 0x4f800000, v15
	v_cmp_gt_f32_e32 vcc, s12, v15
	s_nop 1
	v_cndmask_b32_e32 v15, v15, v16, vcc
	v_sqrt_f32_e32 v16, v15
	s_nop 0
	v_add_u32_e32 v9, -1, v16
	v_fma_f32 v14, -v9, v16, v15
	v_cmp_ge_f32_e64 s[2:3], 0, v14
	v_add_u32_e32 v14, 1, v16
	s_nop 0
	v_cndmask_b32_e64 v9, v16, v9, s[2:3]
	v_fma_f32 v16, -v14, v16, v15
	v_cmp_lt_f32_e64 s[2:3], 0, v16
	v_mul_f32_e32 v16, 0x4f800000, v8
	s_nop 0
	v_cndmask_b32_e64 v9, v9, v14, s[2:3]
	v_cmp_gt_f32_e64 s[2:3], s12, v8
	v_mul_f32_e32 v14, 0x37800000, v9
	v_cndmask_b32_e32 v9, v9, v14, vcc
	v_cndmask_b32_e64 v16, v8, v16, s[2:3]
	v_sqrt_f32_e32 v8, v16
	v_cmp_class_f32_e32 vcc, v15, v19
	v_add_u32_e32 v17, 1, v8
	s_nop 0
	v_cndmask_b32_e32 v15, v9, v15, vcc
	v_add_u32_e32 v9, -1, v8
	v_fma_f32 v14, -v9, v8, v16
	v_cmp_ge_f32_e32 vcc, 0, v14
	v_fma_f32 v20, -v17, v8, v16
	s_nop 0
	v_cndmask_b32_e32 v14, v8, v9, vcc
	s_waitcnt vmcnt(0)
	v_mul_f32_e32 v8, 0x3fb8aa3b, v0
	v_mul_f32_e32 v9, 0x3fb8aa3b, v1
	v_exp_f32_e32 v8, v8
	v_exp_f32_e32 v9, v9
	v_cmp_lt_f32_e32 vcc, 0, v20
	v_pk_add_f32 v[8:9], v[8:9], 1.0 op_sel_hi:[1,0]
	s_nop 0
	v_cndmask_b32_e32 v14, v14, v17, vcc
	v_mul_f32_e32 v17, 0x37800000, v14
	v_cmp_gt_f32_e32 vcc, s15, v9
	v_cndmask_b32_e64 v14, v14, v17, s[2:3]
	v_cmp_class_f32_e64 s[2:3], v16, v19
	v_cndmask_b32_e32 v17, 1.0, v7, vcc
	v_mul_f32_e32 v9, v9, v17
	v_log_f32_e32 v9, v9
	v_cndmask_b32_e64 v14, v14, v16, s[2:3]
	v_cmp_gt_f32_e64 s[2:3], s15, v8
	scratch_store_dwordx4 off, v[12:15], off
	v_cmp_lt_f32_e64 s[4:5], |v9|, s14
	s_nop 0
	v_cndmask_b32_e64 v13, 1.0, v7, s[2:3]
	v_mul_f32_e32 v12, 0x3f317217, v9
	v_mul_f32_e32 v8, v8, v13
	v_fma_f32 v12, v9, s13, -v12
	v_log_f32_e32 v8, v8
	v_fmac_f32_e32 v12, 0x3377d1cf, v9
	v_fmac_f32_e32 v12, 0x3f317217, v9
	v_cndmask_b32_e64 v9, v9, v12, s[4:5]
	v_cndmask_b32_e32 v12, 0, v18, vcc
	v_sub_f32_e32 v9, v9, v12
	v_mul_f32_e32 v12, 0x3f317217, v8
	v_fma_f32 v12, v8, s13, -v12
	v_fmac_f32_e32 v12, 0x3377d1cf, v8
	v_fmac_f32_e32 v12, 0x3f317217, v8
	v_cmp_lt_f32_e64 vcc, |v8|, s14
	s_nop 1
	v_cndmask_b32_e32 v8, v8, v12, vcc
	v_cmp_lt_f32_e32 vcc, s9, v1
	v_cndmask_b32_e64 v12, 0, v18, s[2:3]
	v_sub_f32_e32 v8, v8, v12
	v_cndmask_b32_e32 v1, v9, v1, vcc
	v_mul_f32_e32 v9, 0x4f800000, v1
	v_cmp_gt_f32_e32 vcc, s12, v1
	v_cmp_lt_f32_e64 s[2:3], s9, v0
	s_nop 0
	v_cndmask_b32_e32 v1, v1, v9, vcc
	v_sqrt_f32_e32 v9, v1
	v_cndmask_b32_e64 v0, v8, v0, s[2:3]
	v_add_u32_e32 v8, -1, v9
	v_fma_f32 v12, -v8, v9, v1
	v_cmp_ge_f32_e64 s[2:3], 0, v12
	v_add_u32_e32 v12, 1, v9
	s_nop 0
	v_cndmask_b32_e64 v8, v9, v8, s[2:3]
	v_fma_f32 v9, -v12, v9, v1
	v_cmp_lt_f32_e64 s[2:3], 0, v9
	s_nop 1
	v_cndmask_b32_e64 v8, v8, v12, s[2:3]
	v_mul_f32_e32 v12, 0x4f800000, v0
	v_cmp_gt_f32_e64 s[2:3], s12, v0
	v_mul_f32_e32 v9, 0x37800000, v8
	v_cndmask_b32_e32 v8, v8, v9, vcc
	v_cndmask_b32_e64 v0, v0, v12, s[2:3]
	v_sqrt_f32_e32 v12, v0
	v_cmp_class_f32_e32 vcc, v1, v19
	v_add_u32_e32 v14, 1, v12
	s_nop 0
	v_cndmask_b32_e32 v1, v8, v1, vcc
	v_add_u32_e32 v8, -1, v12
	v_fma_f32 v9, -v8, v12, v0
	v_cmp_ge_f32_e32 vcc, 0, v9
	v_mul_f32_e32 v9, 0x3fb8aa3b, v3
	v_exp_f32_e32 v9, v9
	v_cndmask_b32_e32 v13, v12, v8, vcc
	v_mul_f32_e32 v8, 0x3fb8aa3b, v2
	v_exp_f32_e32 v8, v8
	v_fma_f32 v12, -v14, v12, v0
	v_cmp_lt_f32_e32 vcc, 0, v12
	v_pk_add_f32 v[8:9], v[8:9], 1.0 op_sel_hi:[1,0]
	s_nop 0
	v_cndmask_b32_e32 v12, v13, v14, vcc
	v_cmp_gt_f32_e32 vcc, s15, v9
	v_mul_f32_e32 v13, 0x37800000, v12
	v_cndmask_b32_e64 v12, v12, v13, s[2:3]
	v_cndmask_b32_e32 v14, 1.0, v7, vcc
	v_mul_f32_e32 v9, v9, v14
	v_log_f32_e32 v9, v9
	v_cmp_class_f32_e64 s[2:3], v0, v19
	v_cmp_lt_f32_e64 s[4:5], |v9|, s14
	s_nop 0
	v_cndmask_b32_e64 v0, v12, v0, s[2:3]
	v_cmp_gt_f32_e64 s[2:3], s15, v8
	v_mul_f32_e32 v12, 0x3f317217, v9
	v_fma_f32 v12, v9, s13, -v12
	v_cndmask_b32_e64 v7, 1.0, v7, s[2:3]
	v_mul_f32_e32 v7, v8, v7
	v_log_f32_e32 v7, v7
	v_fmac_f32_e32 v12, 0x3377d1cf, v9
	v_fmac_f32_e32 v12, 0x3f317217, v9
	v_cndmask_b32_e64 v8, v9, v12, s[4:5]
	v_cndmask_b32_e32 v9, 0, v18, vcc
	v_sub_f32_e32 v8, v8, v9
	v_mul_f32_e32 v9, 0x3f317217, v7
	v_fma_f32 v9, v7, s13, -v9
	v_fmac_f32_e32 v9, 0x3377d1cf, v7
	v_fmac_f32_e32 v9, 0x3f317217, v7
	v_cmp_lt_f32_e64 vcc, |v7|, s14
	s_cselect_b64 s[4:5], -1, 0
	s_cmp_lt_i32 s33, 1
	v_cndmask_b32_e32 v7, v7, v9, vcc
	v_cmp_lt_f32_e32 vcc, s9, v3
	v_cndmask_b32_e64 v9, 0, v18, s[2:3]
	v_sub_f32_e32 v7, v7, v9
	v_cndmask_b32_e32 v3, v8, v3, vcc
	v_mul_f32_e32 v8, 0x4f800000, v3
	v_cmp_gt_f32_e32 vcc, s12, v3
	v_cmp_lt_f32_e64 s[2:3], s9, v2
	s_nop 0
	v_cndmask_b32_e32 v3, v3, v8, vcc
	v_sqrt_f32_e32 v8, v3
	v_cndmask_b32_e64 v2, v7, v2, s[2:3]
	v_add_u32_e32 v7, -1, v8
	v_fma_f32 v9, -v7, v8, v3
	v_cmp_ge_f32_e64 s[2:3], 0, v9
	v_add_u32_e32 v9, 1, v8
	s_nop 0
	v_cndmask_b32_e64 v7, v8, v7, s[2:3]
	v_fma_f32 v8, -v9, v8, v3
	v_cmp_lt_f32_e64 s[2:3], 0, v8
	s_nop 1
	v_cndmask_b32_e64 v7, v7, v9, s[2:3]
	v_mul_f32_e32 v9, 0x4f800000, v2
	v_cmp_gt_f32_e64 s[2:3], s12, v2
	v_mul_f32_e32 v8, 0x37800000, v7
	v_cndmask_b32_e32 v7, v7, v8, vcc
	v_cndmask_b32_e64 v2, v2, v9, s[2:3]
	v_sqrt_f32_e32 v9, v2
	v_cmp_class_f32_e32 vcc, v3, v19
	s_nop 1
	v_cndmask_b32_e32 v3, v7, v3, vcc
	v_add_u32_e32 v7, -1, v9
	v_fma_f32 v8, -v7, v9, v2
	v_cmp_ge_f32_e32 vcc, 0, v8
	v_add_u32_e32 v8, 1, v9
	s_nop 0
	v_cndmask_b32_e32 v7, v9, v7, vcc
	v_fma_f32 v9, -v8, v9, v2
	v_cmp_lt_f32_e32 vcc, 0, v9
	s_nop 1
	v_cndmask_b32_e32 v7, v7, v8, vcc
	v_mul_f32_e32 v8, 0x37800000, v7
	v_cndmask_b32_e64 v7, v7, v8, s[2:3]
	v_cmp_class_f32_e32 vcc, v2, v19
	s_nop 1
	v_cndmask_b32_e32 v2, v7, v2, vcc
	scratch_store_dwordx4 off, v[0:3], off offset:16
	s_nop 1
	v_lshl_add_u64 v[2:3], v[4:5], 2, s[10:11]
	v_mul_lo_u32 v0, v6, s33
	s_cbranch_scc1 .LBB94_29
; %bb.2:
	s_load_dwordx2 s[6:7], s[0:1], 0x20
	s_cmp_lt_u32 s33, 4
	s_cbranch_scc1 .LBB94_21
; %bb.3:
	s_mov_b32 s11, 0
	s_and_b32 s8, s33, 0x7ffffffc
	v_ashrrev_i32_e32 v1, 31, v0
	v_mov_b32_e32 v5, 0
	s_mov_b32 s10, s11
	s_branch .LBB94_5
.LBB94_4:                               ;   in Loop: Header=BB94_5 Depth=1
	s_or_b64 exec, exec, s[12:13]
	s_add_i32 s10, s10, 4
	s_cmp_eq_u32 s10, s8
	s_cbranch_scc1 .LBB94_22
.LBB94_5:                               ; =>This Loop Header: Depth=1
                                        ;     Child Loop BB94_7 Depth 2
                                        ;     Child Loop BB94_11 Depth 2
	;; [unrolled: 1-line block ×4, first 2 shown]
	v_lshl_add_u64 v[6:7], s[10:11], 2, v[2:3]
	global_load_dword v4, v[6:7], off
	v_add_u32_e32 v8, s10, v0
	v_ashrrev_i32_e32 v9, 31, v8
	s_waitcnt lgkmcnt(0)
	v_lshl_add_u64 v[8:9], v[8:9], 2, s[6:7]
	v_mov_b32_e32 v12, 0
	s_mov_b64 s[12:13], 0
	s_mov_b32 s9, 0
	s_mov_b32 s16, 0
	s_branch .LBB94_7
.LBB94_6:                               ;   in Loop: Header=BB94_7 Depth=2
	s_or_b64 exec, exec, s[14:15]
	s_add_i32 s17, s16, 1
	s_cmp_gt_u32 s16, 6
	s_cselect_b64 s[2:3], -1, 0
	s_xor_b64 s[14:15], vcc, -1
	s_or_b64 s[2:3], s[14:15], s[2:3]
	s_add_i32 s9, s9, 32
	s_and_b64 s[2:3], exec, s[2:3]
	v_add_u32_e32 v12, 4, v12
	s_or_b64 s[12:13], s[2:3], s[12:13]
	s_mov_b32 s16, s17
	s_andn2_b64 exec, exec, s[12:13]
	s_cbranch_execz .LBB94_9
.LBB94_7:                               ;   Parent Loop BB94_5 Depth=1
                                        ; =>  This Inner Loop Header: Depth=2
	s_and_b32 s2, s16, 3
	s_and_b32 s3, s9, 0x80
	s_or_b32 s2, s2, s3
	v_or_b32_e32 v13, s2, v10
	s_waitcnt vmcnt(0)
	v_cmp_ne_u32_e32 vcc, v4, v13
	v_cmp_eq_u32_e64 s[2:3], v4, v13
	s_and_saveexec_b64 s[14:15], s[2:3]
	s_cbranch_execz .LBB94_6
; %bb.8:                                ;   in Loop: Header=BB94_7 Depth=2
	scratch_load_dword v13, v12, off
	s_waitcnt vmcnt(0)
	v_add_f32_e32 v5, v5, v13
	global_store_dword v[8:9], v4, off
	s_branch .LBB94_6
.LBB94_9:                               ;   in Loop: Header=BB94_5 Depth=1
	s_or_b64 exec, exec, s[12:13]
	global_load_dword v4, v[6:7], off offset:4
	s_ashr_i32 s3, s10, 31
	s_mov_b32 s2, s10
	v_lshl_add_u64 v[8:9], s[2:3], 0, v[0:1]
	v_lshl_add_u64 v[8:9], v[8:9], 2, s[6:7]
	v_mov_b32_e32 v12, 0
	s_mov_b32 s9, 0
	s_mov_b64 s[12:13], 0
	s_mov_b32 s16, 0
	s_branch .LBB94_11
.LBB94_10:                              ;   in Loop: Header=BB94_11 Depth=2
	s_or_b64 exec, exec, s[14:15]
	s_add_i32 s17, s16, 1
	s_cmp_gt_u32 s16, 6
	s_cselect_b64 s[2:3], -1, 0
	s_xor_b64 s[14:15], vcc, -1
	s_or_b64 s[2:3], s[14:15], s[2:3]
	s_add_i32 s9, s9, 32
	s_and_b64 s[2:3], exec, s[2:3]
	v_add_u32_e32 v12, 4, v12
	s_or_b64 s[12:13], s[2:3], s[12:13]
	s_mov_b32 s16, s17
	s_andn2_b64 exec, exec, s[12:13]
	s_cbranch_execz .LBB94_13
.LBB94_11:                              ;   Parent Loop BB94_5 Depth=1
                                        ; =>  This Inner Loop Header: Depth=2
	s_and_b32 s2, s16, 3
	s_and_b32 s3, s9, 0x80
	s_or_b32 s2, s2, s3
	v_or_b32_e32 v13, s2, v10
	s_waitcnt vmcnt(0)
	v_cmp_ne_u32_e32 vcc, v4, v13
	v_cmp_eq_u32_e64 s[2:3], v4, v13
	s_and_saveexec_b64 s[14:15], s[2:3]
	s_cbranch_execz .LBB94_10
; %bb.12:                               ;   in Loop: Header=BB94_11 Depth=2
	scratch_load_dword v13, v12, off
	s_waitcnt vmcnt(0)
	v_add_f32_e32 v5, v5, v13
	global_store_dword v[8:9], v4, off offset:4
	s_branch .LBB94_10
.LBB94_13:                              ;   in Loop: Header=BB94_5 Depth=1
	s_or_b64 exec, exec, s[12:13]
	global_load_dword v4, v[6:7], off offset:8
	v_mov_b32_e32 v12, 0
	s_mov_b32 s9, 0
	s_mov_b64 s[12:13], 0
	s_mov_b32 s16, 0
	s_branch .LBB94_15
.LBB94_14:                              ;   in Loop: Header=BB94_15 Depth=2
	s_or_b64 exec, exec, s[14:15]
	s_add_i32 s17, s16, 1
	s_cmp_gt_u32 s16, 6
	s_cselect_b64 s[2:3], -1, 0
	s_xor_b64 s[14:15], vcc, -1
	s_or_b64 s[2:3], s[14:15], s[2:3]
	s_add_i32 s9, s9, 32
	s_and_b64 s[2:3], exec, s[2:3]
	v_add_u32_e32 v12, 4, v12
	s_or_b64 s[12:13], s[2:3], s[12:13]
	s_mov_b32 s16, s17
	s_andn2_b64 exec, exec, s[12:13]
	s_cbranch_execz .LBB94_17
.LBB94_15:                              ;   Parent Loop BB94_5 Depth=1
                                        ; =>  This Inner Loop Header: Depth=2
	s_and_b32 s2, s16, 3
	s_and_b32 s3, s9, 0x80
	s_or_b32 s2, s2, s3
	v_or_b32_e32 v13, s2, v10
	s_waitcnt vmcnt(0)
	v_cmp_ne_u32_e32 vcc, v4, v13
	v_cmp_eq_u32_e64 s[2:3], v4, v13
	s_and_saveexec_b64 s[14:15], s[2:3]
	s_cbranch_execz .LBB94_14
; %bb.16:                               ;   in Loop: Header=BB94_15 Depth=2
	scratch_load_dword v13, v12, off
	s_waitcnt vmcnt(0)
	v_add_f32_e32 v5, v5, v13
	global_store_dword v[8:9], v4, off offset:8
	s_branch .LBB94_14
.LBB94_17:                              ;   in Loop: Header=BB94_5 Depth=1
	s_or_b64 exec, exec, s[12:13]
	global_load_dword v4, v[6:7], off offset:12
	v_mov_b32_e32 v6, 0
	s_mov_b32 s9, 0
	s_mov_b64 s[12:13], 0
	s_mov_b32 s16, 0
	s_branch .LBB94_19
.LBB94_18:                              ;   in Loop: Header=BB94_19 Depth=2
	s_or_b64 exec, exec, s[14:15]
	s_add_i32 s17, s16, 1
	s_cmp_gt_u32 s16, 6
	s_cselect_b64 s[2:3], -1, 0
	s_xor_b64 s[14:15], vcc, -1
	s_or_b64 s[2:3], s[14:15], s[2:3]
	s_add_i32 s9, s9, 32
	s_and_b64 s[2:3], exec, s[2:3]
	v_add_u32_e32 v6, 4, v6
	s_or_b64 s[12:13], s[2:3], s[12:13]
	s_mov_b32 s16, s17
	s_andn2_b64 exec, exec, s[12:13]
	s_cbranch_execz .LBB94_4
.LBB94_19:                              ;   Parent Loop BB94_5 Depth=1
                                        ; =>  This Inner Loop Header: Depth=2
	s_and_b32 s2, s16, 3
	s_and_b32 s3, s9, 0x80
	s_or_b32 s2, s2, s3
	v_or_b32_e32 v7, s2, v10
	s_waitcnt vmcnt(0)
	v_cmp_ne_u32_e32 vcc, v4, v7
	v_cmp_eq_u32_e64 s[2:3], v4, v7
	s_and_saveexec_b64 s[14:15], s[2:3]
	s_cbranch_execz .LBB94_18
; %bb.20:                               ;   in Loop: Header=BB94_19 Depth=2
	scratch_load_dword v7, v6, off
	s_waitcnt vmcnt(0)
	v_add_f32_e32 v5, v5, v7
	global_store_dword v[8:9], v4, off offset:12
	s_branch .LBB94_18
.LBB94_21:
	v_mov_b32_e32 v5, 0
.LBB94_22:
	s_and_b32 s14, s33, 3
	s_cmp_eq_u32 s14, 0
	s_mov_b32 s9, 0
	s_cbranch_scc1 .LBB94_29
; %bb.23:
	s_mov_b32 s15, s9
	s_branch .LBB94_25
.LBB94_24:                              ;   in Loop: Header=BB94_25 Depth=1
	s_or_b64 exec, exec, s[10:11]
	s_add_i32 s8, s8, 1
	s_add_i32 s15, s15, 1
	s_cmp_lg_u32 s15, s14
	s_cbranch_scc0 .LBB94_29
.LBB94_25:                              ; =>This Loop Header: Depth=1
                                        ;     Child Loop BB94_27 Depth 2
	v_lshl_add_u64 v[6:7], s[8:9], 2, v[2:3]
	global_load_dword v1, v[6:7], off
	v_add_u32_e32 v6, s8, v0
	v_ashrrev_i32_e32 v7, 31, v6
	s_waitcnt lgkmcnt(0)
	v_lshl_add_u64 v[6:7], v[6:7], 2, s[6:7]
	v_mov_b32_e32 v4, 0
	s_mov_b32 s16, 0
	s_mov_b64 s[10:11], 0
	s_mov_b32 s17, 0
	s_branch .LBB94_27
.LBB94_26:                              ;   in Loop: Header=BB94_27 Depth=2
	s_or_b64 exec, exec, s[12:13]
	s_add_i32 s18, s17, 1
	s_cmp_gt_u32 s17, 6
	s_cselect_b64 s[2:3], -1, 0
	s_xor_b64 s[12:13], vcc, -1
	s_or_b64 s[2:3], s[12:13], s[2:3]
	s_add_i32 s16, s16, 32
	s_and_b64 s[2:3], exec, s[2:3]
	v_add_u32_e32 v4, 4, v4
	s_or_b64 s[10:11], s[2:3], s[10:11]
	s_mov_b32 s17, s18
	s_andn2_b64 exec, exec, s[10:11]
	s_cbranch_execz .LBB94_24
.LBB94_27:                              ;   Parent Loop BB94_25 Depth=1
                                        ; =>  This Inner Loop Header: Depth=2
	s_and_b32 s2, s17, 3
	s_and_b32 s3, s16, 0x80
	s_or_b32 s2, s2, s3
	v_or_b32_e32 v8, s2, v10
	s_waitcnt vmcnt(0)
	v_cmp_ne_u32_e32 vcc, v1, v8
	v_cmp_eq_u32_e64 s[2:3], v1, v8
	s_and_saveexec_b64 s[12:13], s[2:3]
	s_cbranch_execz .LBB94_26
; %bb.28:                               ;   in Loop: Header=BB94_27 Depth=2
	scratch_load_dword v8, v4, off
	s_waitcnt vmcnt(0)
	v_add_f32_e32 v5, v5, v8
	global_store_dword v[6:7], v1, off
	s_branch .LBB94_26
.LBB94_29:
	s_waitcnt lgkmcnt(0)
	s_load_dword s6, s[0:1], 0x3c
	v_add_u32_e32 v9, 16, v11
	s_waitcnt lgkmcnt(0)
	s_bitcmp1_b32 s6, 0
	s_cselect_b64 s[2:3], -1, 0
	s_bitcmp0_b32 s6, 0
	s_cbranch_scc0 .LBB94_33
; %bb.30:
	s_load_dwordx2 s[6:7], s[0:1], 0x40
	s_andn2_b64 vcc, exec, s[2:3]
	s_waitcnt lgkmcnt(0)
	v_cvt_f32_f64_e32 v8, s[6:7]
	s_cbranch_vccz .LBB94_34
.LBB94_31:
	s_andn2_b64 vcc, exec, s[4:5]
	s_cbranch_vccz .LBB94_35
.LBB94_32:
	s_endpgm
.LBB94_33:
	v_mbcnt_lo_u32_b32 v1, -1, 0
	v_mbcnt_hi_u32_b32 v1, -1, v1
	v_and_b32_e32 v4, 0x60, v1
	v_add_u32_e32 v4, 32, v4
	v_xor_b32_e32 v6, 16, v1
	v_cmp_lt_i32_e32 vcc, v6, v4
	v_xor_b32_e32 v7, 8, v1
	s_nop 0
	v_cndmask_b32_e32 v6, v1, v6, vcc
	v_lshlrev_b32_e32 v6, 2, v6
	ds_bpermute_b32 v6, v6, v5
	v_cmp_lt_i32_e32 vcc, v7, v4
	s_waitcnt lgkmcnt(0)
	v_add_f32_e32 v5, v5, v6
	v_cndmask_b32_e32 v6, v1, v7, vcc
	v_lshlrev_b32_e32 v6, 2, v6
	ds_bpermute_b32 v6, v6, v5
	v_xor_b32_e32 v7, 4, v1
	v_cmp_lt_i32_e32 vcc, v7, v4
	s_waitcnt lgkmcnt(0)
	v_add_f32_e32 v5, v5, v6
	v_cndmask_b32_e32 v6, v1, v7, vcc
	v_lshlrev_b32_e32 v6, 2, v6
	ds_bpermute_b32 v6, v6, v5
	v_xor_b32_e32 v7, 2, v1
	;; [unrolled: 7-line block ×3, first 2 shown]
	v_cmp_lt_i32_e32 vcc, v7, v4
	s_waitcnt lgkmcnt(0)
	v_add_f32_e32 v5, v5, v6
	v_cndmask_b32_e32 v1, v1, v7, vcc
	v_lshlrev_b32_e32 v1, 2, v1
	ds_bpermute_b32 v1, v1, v5
	s_waitcnt lgkmcnt(0)
	v_add_f32_e32 v5, v5, v1
	s_load_dwordx2 s[6:7], s[0:1], 0x40
	s_andn2_b64 vcc, exec, s[2:3]
	s_waitcnt lgkmcnt(0)
	v_cvt_f32_f64_e32 v8, s[6:7]
	s_cbranch_vccnz .LBB94_31
.LBB94_34:
	v_cmp_lt_f32_e32 vcc, 0, v5
	s_nop 1
	v_cndmask_b32_e32 v1, 1.0, v5, vcc
	v_div_scale_f32 v4, s[2:3], v1, v1, v8
	v_rcp_f32_e32 v5, v4
	s_nop 0
	v_fma_f32 v6, -v4, v5, 1.0
	v_fmac_f32_e32 v5, v6, v5
	v_div_scale_f32 v6, vcc, v8, v1, v8
	v_mul_f32_e32 v7, v6, v5
	v_fma_f32 v11, -v4, v7, v6
	v_fmac_f32_e32 v7, v11, v5
	v_fma_f32 v4, -v4, v7, v6
	v_div_fmas_f32 v4, v4, v5, v7
	v_div_fixup_f32 v8, v4, v1, v8
	s_andn2_b64 vcc, exec, s[4:5]
	s_cbranch_vccnz .LBB94_32
.LBB94_35:
	s_load_dwordx2 s[12:13], s[0:1], 0x10
	v_mov_b32_e32 v1, 0
	v_or_b32_e32 v20, 4, v1
	v_or_b32_e32 v18, 8, v1
	;; [unrolled: 1-line block ×3, first 2 shown]
	v_add_u32_e32 v13, 20, v1
	v_add_u32_e32 v11, 24, v1
	;; [unrolled: 1-line block ×3, first 2 shown]
	v_or_b32_e32 v23, 1, v10
	v_or_b32_e32 v22, 2, v10
	;; [unrolled: 1-line block ×7, first 2 shown]
	s_cmp_eq_u32 s33, 1
	s_mov_b32 s14, 0
	s_cbranch_scc1 .LBB94_70
; %bb.36:
	v_ashrrev_i32_e32 v1, 31, v0
	s_waitcnt lgkmcnt(0)
	v_lshl_add_u64 v[4:5], v[0:1], 2, s[12:13]
	s_and_b32 s14, s33, 0x7ffffffe
	v_lshl_add_u64 v[4:5], v[4:5], 0, 4
	v_lshl_add_u64 v[6:7], v[2:3], 0, 4
	s_mov_b32 s15, 0
	s_branch .LBB94_38
.LBB94_37:                              ;   in Loop: Header=BB94_38 Depth=1
	s_or_b64 exec, exec, s[0:1]
	s_add_i32 s15, s15, 2
	v_lshl_add_u64 v[4:5], v[4:5], 0, 8
	s_cmp_eq_u32 s14, s15
	v_lshl_add_u64 v[6:7], v[6:7], 0, 8
	s_cbranch_scc1 .LBB94_70
.LBB94_38:                              ; =>This Inner Loop Header: Depth=1
	global_load_dword v24, v[6:7], off offset:-4
	v_mov_b32_e32 v1, 0
	s_waitcnt vmcnt(0)
	v_cmp_eq_u32_e32 vcc, v24, v10
	v_cmp_ne_u32_e64 s[0:1], v24, v10
	s_and_saveexec_b64 s[16:17], s[0:1]
	s_cbranch_execz .LBB94_52
; %bb.39:                               ;   in Loop: Header=BB94_38 Depth=1
	v_cmp_eq_u32_e64 s[0:1], v24, v23
	v_cmp_ne_u32_e64 s[2:3], v24, v23
	v_mov_b32_e32 v1, v20
	s_and_saveexec_b64 s[18:19], s[2:3]
	s_cbranch_execz .LBB94_51
; %bb.40:                               ;   in Loop: Header=BB94_38 Depth=1
	v_cmp_eq_u32_e64 s[2:3], v24, v22
	v_cmp_ne_u32_e64 s[4:5], v24, v22
	v_mov_b32_e32 v1, v18
	;; [unrolled: 6-line block ×6, first 2 shown]
	s_and_saveexec_b64 s[30:31], s[10:11]
	s_xor_b64 s[30:31], exec, s[30:31]
; %bb.45:                               ;   in Loop: Header=BB94_38 Depth=1
	v_cmp_eq_u32_e64 s[10:11], v24, v14
	s_andn2_b64 s[28:29], s[28:29], exec
	s_and_b64 s[10:11], s[10:11], exec
	s_or_b64 s[28:29], s[28:29], s[10:11]
	v_mov_b32_e32 v1, v12
; %bb.46:                               ;   in Loop: Header=BB94_38 Depth=1
	s_or_b64 exec, exec, s[30:31]
	s_andn2_b64 s[8:9], s[8:9], exec
	s_and_b64 s[10:11], s[28:29], exec
	s_or_b64 s[8:9], s[8:9], s[10:11]
.LBB94_47:                              ;   in Loop: Header=BB94_38 Depth=1
	s_or_b64 exec, exec, s[26:27]
	s_andn2_b64 s[6:7], s[6:7], exec
	s_and_b64 s[8:9], s[8:9], exec
	s_or_b64 s[6:7], s[6:7], s[8:9]
.LBB94_48:                              ;   in Loop: Header=BB94_38 Depth=1
	s_or_b64 exec, exec, s[24:25]
	s_andn2_b64 s[4:5], s[4:5], exec
	s_and_b64 s[6:7], s[6:7], exec
	s_or_b64 s[4:5], s[4:5], s[6:7]
.LBB94_49:                              ;   in Loop: Header=BB94_38 Depth=1
	s_or_b64 exec, exec, s[22:23]
	s_andn2_b64 s[2:3], s[2:3], exec
	s_and_b64 s[4:5], s[4:5], exec
	s_or_b64 s[2:3], s[2:3], s[4:5]
.LBB94_50:                              ;   in Loop: Header=BB94_38 Depth=1
	s_or_b64 exec, exec, s[20:21]
	s_andn2_b64 s[0:1], s[0:1], exec
	s_and_b64 s[2:3], s[2:3], exec
	s_or_b64 s[0:1], s[0:1], s[2:3]
.LBB94_51:                              ;   in Loop: Header=BB94_38 Depth=1
	s_or_b64 exec, exec, s[18:19]
	s_andn2_b64 s[2:3], vcc, exec
	s_and_b64 s[0:1], s[0:1], exec
	s_or_b64 vcc, s[2:3], s[0:1]
.LBB94_52:                              ;   in Loop: Header=BB94_38 Depth=1
	s_or_b64 exec, exec, s[16:17]
	s_and_saveexec_b64 s[0:1], vcc
	s_cbranch_execz .LBB94_54
; %bb.53:                               ;   in Loop: Header=BB94_38 Depth=1
	scratch_load_dword v1, v1, off
	v_add_u32_e32 v24, s15, v0
	v_ashrrev_i32_e32 v25, 31, v24
	v_lshl_add_u64 v[24:25], v[24:25], 2, s[12:13]
	s_waitcnt vmcnt(0)
	v_mul_f32_e32 v1, v8, v1
	global_store_dword v[24:25], v1, off
.LBB94_54:                              ;   in Loop: Header=BB94_38 Depth=1
	s_or_b64 exec, exec, s[0:1]
	global_load_dword v24, v[6:7], off
	v_mov_b32_e32 v1, 0
	s_waitcnt vmcnt(0)
	v_cmp_eq_u32_e64 s[8:9], v24, v10
	v_cmp_ne_u32_e32 vcc, v24, v10
	s_and_saveexec_b64 s[10:11], vcc
	s_cbranch_execz .LBB94_68
; %bb.55:                               ;   in Loop: Header=BB94_38 Depth=1
	v_cmp_eq_u32_e32 vcc, v24, v23
	v_cmp_ne_u32_e64 s[0:1], v24, v23
	v_mov_b32_e32 v1, v20
	s_and_saveexec_b64 s[16:17], s[0:1]
	s_cbranch_execz .LBB94_67
; %bb.56:                               ;   in Loop: Header=BB94_38 Depth=1
	v_cmp_eq_u32_e64 s[0:1], v24, v22
	v_cmp_ne_u32_e64 s[2:3], v24, v22
	v_mov_b32_e32 v1, v18
	s_and_saveexec_b64 s[18:19], s[2:3]
	s_cbranch_execz .LBB94_66
; %bb.57:                               ;   in Loop: Header=BB94_38 Depth=1
	v_cmp_eq_u32_e64 s[2:3], v24, v21
	;; [unrolled: 6-line block ×5, first 2 shown]
	v_cmp_ne_u32_e64 s[6:7], v24, v15
	v_mov_b32_e32 v1, v11
	s_and_saveexec_b64 s[30:31], s[6:7]
; %bb.61:                               ;   in Loop: Header=BB94_38 Depth=1
	v_cmp_eq_u32_e64 s[6:7], v24, v14
	s_andn2_b64 s[28:29], s[28:29], exec
	s_and_b64 s[6:7], s[6:7], exec
	s_or_b64 s[28:29], s[28:29], s[6:7]
	v_mov_b32_e32 v1, v12
; %bb.62:                               ;   in Loop: Header=BB94_38 Depth=1
	s_or_b64 exec, exec, s[30:31]
	s_andn2_b64 s[6:7], s[24:25], exec
	s_and_b64 s[24:25], s[28:29], exec
	s_or_b64 s[24:25], s[6:7], s[24:25]
.LBB94_63:                              ;   in Loop: Header=BB94_38 Depth=1
	s_or_b64 exec, exec, s[26:27]
	s_andn2_b64 s[4:5], s[4:5], exec
	s_and_b64 s[6:7], s[24:25], exec
	s_or_b64 s[4:5], s[4:5], s[6:7]
.LBB94_64:                              ;   in Loop: Header=BB94_38 Depth=1
	s_or_b64 exec, exec, s[22:23]
	s_andn2_b64 s[2:3], s[2:3], exec
	s_and_b64 s[4:5], s[4:5], exec
	s_or_b64 s[2:3], s[2:3], s[4:5]
.LBB94_65:                              ;   in Loop: Header=BB94_38 Depth=1
	s_or_b64 exec, exec, s[20:21]
	s_andn2_b64 s[0:1], s[0:1], exec
	s_and_b64 s[2:3], s[2:3], exec
	s_or_b64 s[0:1], s[0:1], s[2:3]
.LBB94_66:                              ;   in Loop: Header=BB94_38 Depth=1
	s_or_b64 exec, exec, s[18:19]
	s_andn2_b64 s[2:3], vcc, exec
	s_and_b64 s[0:1], s[0:1], exec
	s_or_b64 vcc, s[2:3], s[0:1]
.LBB94_67:                              ;   in Loop: Header=BB94_38 Depth=1
	s_or_b64 exec, exec, s[16:17]
	s_andn2_b64 s[0:1], s[8:9], exec
	s_and_b64 s[2:3], vcc, exec
	s_or_b64 s[8:9], s[0:1], s[2:3]
.LBB94_68:                              ;   in Loop: Header=BB94_38 Depth=1
	s_or_b64 exec, exec, s[10:11]
	s_and_saveexec_b64 s[0:1], s[8:9]
	s_cbranch_execz .LBB94_37
; %bb.69:                               ;   in Loop: Header=BB94_38 Depth=1
	scratch_load_dword v1, v1, off
	s_waitcnt vmcnt(0)
	v_mul_f32_e32 v1, v8, v1
	global_store_dword v[4:5], v1, off
	s_branch .LBB94_37
.LBB94_70:
	s_bitcmp0_b32 s33, 0
	s_mov_b32 s15, 0
	s_cbranch_scc1 .LBB94_32
; %bb.71:
	v_lshl_add_u64 v[2:3], s[14:15], 2, v[2:3]
	global_load_dword v1, v[2:3], off
	v_mov_b32_e32 v2, 0
	s_waitcnt vmcnt(0)
	v_cmp_eq_u32_e64 s[8:9], v1, v10
	v_cmp_ne_u32_e32 vcc, v1, v10
	s_and_saveexec_b64 s[10:11], vcc
	s_cbranch_execz .LBB94_85
; %bb.72:
	v_cmp_eq_u32_e32 vcc, v1, v23
	v_cmp_ne_u32_e64 s[0:1], v1, v23
	s_and_saveexec_b64 s[16:17], s[0:1]
	s_cbranch_execz .LBB94_84
; %bb.73:
	v_cmp_eq_u32_e64 s[0:1], v1, v22
	v_cmp_ne_u32_e64 s[2:3], v1, v22
	s_and_saveexec_b64 s[18:19], s[2:3]
	s_cbranch_execz .LBB94_83
; %bb.74:
	v_cmp_eq_u32_e64 s[2:3], v1, v21
	;; [unrolled: 5-line block ×5, first 2 shown]
	v_cmp_ne_u32_e64 s[6:7], v1, v15
	s_and_saveexec_b64 s[30:31], s[6:7]
; %bb.78:
	v_cmp_eq_u32_e64 s[6:7], v1, v14
	s_andn2_b64 s[28:29], s[28:29], exec
	s_and_b64 s[6:7], s[6:7], exec
	s_or_b64 s[28:29], s[28:29], s[6:7]
	v_mov_b32_e32 v11, v12
; %bb.79:
	s_or_b64 exec, exec, s[30:31]
	s_andn2_b64 s[6:7], s[24:25], exec
	s_and_b64 s[24:25], s[28:29], exec
	s_or_b64 s[24:25], s[6:7], s[24:25]
	v_mov_b32_e32 v13, v11
.LBB94_80:
	s_or_b64 exec, exec, s[26:27]
	s_andn2_b64 s[4:5], s[4:5], exec
	s_and_b64 s[6:7], s[24:25], exec
	s_or_b64 s[4:5], s[4:5], s[6:7]
	v_mov_b32_e32 v9, v13
.LBB94_81:
	s_or_b64 exec, exec, s[22:23]
	s_andn2_b64 s[2:3], s[2:3], exec
	s_and_b64 s[4:5], s[4:5], exec
	s_or_b64 s[2:3], s[2:3], s[4:5]
	v_mov_b32_e32 v16, v9
.LBB94_82:
	s_or_b64 exec, exec, s[20:21]
	s_andn2_b64 s[0:1], s[0:1], exec
	s_and_b64 s[2:3], s[2:3], exec
	s_or_b64 s[0:1], s[0:1], s[2:3]
	v_mov_b32_e32 v18, v16
.LBB94_83:
	s_or_b64 exec, exec, s[18:19]
	s_andn2_b64 s[2:3], vcc, exec
	s_and_b64 s[0:1], s[0:1], exec
	s_or_b64 vcc, s[2:3], s[0:1]
	v_mov_b32_e32 v20, v18
.LBB94_84:
	s_or_b64 exec, exec, s[16:17]
	s_andn2_b64 s[0:1], s[8:9], exec
	s_and_b64 s[2:3], vcc, exec
	s_or_b64 s[8:9], s[0:1], s[2:3]
	v_mov_b32_e32 v2, v20
.LBB94_85:
	s_or_b64 exec, exec, s[10:11]
	s_and_b64 exec, exec, s[8:9]
	s_cbranch_execz .LBB94_32
; %bb.86:
	scratch_load_dword v2, v2, off
	v_add_u32_e32 v0, s14, v0
	v_ashrrev_i32_e32 v1, 31, v0
	s_waitcnt lgkmcnt(0)
	v_lshl_add_u64 v[0:1], v[0:1], 2, s[12:13]
	s_waitcnt vmcnt(0)
	v_mul_f32_e32 v2, v8, v2
	global_store_dword v[0:1], v2, off
	s_endpgm
	.section	.rodata,"a",@progbits
	.p2align	6, 0x0
	.amdhsa_kernel _ZN4vllm3moe22topkGatingSoftplusSqrtILi8ELi256ELi4ELi16ELi32ELb1EjfEEvPKT6_PKbPfiPT5_PiiiibdPKfPKS8_SE_
		.amdhsa_group_segment_fixed_size 0
		.amdhsa_private_segment_fixed_size 48
		.amdhsa_kernarg_size 96
		.amdhsa_user_sgpr_count 2
		.amdhsa_user_sgpr_dispatch_ptr 0
		.amdhsa_user_sgpr_queue_ptr 0
		.amdhsa_user_sgpr_kernarg_segment_ptr 1
		.amdhsa_user_sgpr_dispatch_id 0
		.amdhsa_user_sgpr_kernarg_preload_length 0
		.amdhsa_user_sgpr_kernarg_preload_offset 0
		.amdhsa_user_sgpr_private_segment_size 0
		.amdhsa_uses_dynamic_stack 0
		.amdhsa_enable_private_segment 1
		.amdhsa_system_sgpr_workgroup_id_x 1
		.amdhsa_system_sgpr_workgroup_id_y 0
		.amdhsa_system_sgpr_workgroup_id_z 0
		.amdhsa_system_sgpr_workgroup_info 0
		.amdhsa_system_vgpr_workitem_id 1
		.amdhsa_next_free_vgpr 29
		.amdhsa_next_free_sgpr 34
		.amdhsa_accum_offset 32
		.amdhsa_reserve_vcc 1
		.amdhsa_float_round_mode_32 0
		.amdhsa_float_round_mode_16_64 0
		.amdhsa_float_denorm_mode_32 3
		.amdhsa_float_denorm_mode_16_64 3
		.amdhsa_dx10_clamp 1
		.amdhsa_ieee_mode 1
		.amdhsa_fp16_overflow 0
		.amdhsa_tg_split 0
		.amdhsa_exception_fp_ieee_invalid_op 0
		.amdhsa_exception_fp_denorm_src 0
		.amdhsa_exception_fp_ieee_div_zero 0
		.amdhsa_exception_fp_ieee_overflow 0
		.amdhsa_exception_fp_ieee_underflow 0
		.amdhsa_exception_fp_ieee_inexact 0
		.amdhsa_exception_int_div_zero 0
	.end_amdhsa_kernel
	.section	.text._ZN4vllm3moe22topkGatingSoftplusSqrtILi8ELi256ELi4ELi16ELi32ELb1EjfEEvPKT6_PKbPfiPT5_PiiiibdPKfPKS8_SE_,"axG",@progbits,_ZN4vllm3moe22topkGatingSoftplusSqrtILi8ELi256ELi4ELi16ELi32ELb1EjfEEvPKT6_PKbPfiPT5_PiiiibdPKfPKS8_SE_,comdat
.Lfunc_end94:
	.size	_ZN4vllm3moe22topkGatingSoftplusSqrtILi8ELi256ELi4ELi16ELi32ELb1EjfEEvPKT6_PKbPfiPT5_PiiiibdPKfPKS8_SE_, .Lfunc_end94-_ZN4vllm3moe22topkGatingSoftplusSqrtILi8ELi256ELi4ELi16ELi32ELb1EjfEEvPKT6_PKbPfiPT5_PiiiibdPKfPKS8_SE_
                                        ; -- End function
	.section	.AMDGPU.csdata,"",@progbits
; Kernel info:
; codeLenInByte = 4680
; NumSgprs: 40
; NumVgprs: 29
; NumAgprs: 0
; TotalNumVgprs: 29
; ScratchSize: 48
; MemoryBound: 0
; FloatMode: 240
; IeeeMode: 1
; LDSByteSize: 0 bytes/workgroup (compile time only)
; SGPRBlocks: 4
; VGPRBlocks: 3
; NumSGPRsForWavesPerEU: 40
; NumVGPRsForWavesPerEU: 29
; AccumOffset: 32
; Occupancy: 8
; WaveLimiterHint : 1
; COMPUTE_PGM_RSRC2:SCRATCH_EN: 1
; COMPUTE_PGM_RSRC2:USER_SGPR: 2
; COMPUTE_PGM_RSRC2:TRAP_HANDLER: 0
; COMPUTE_PGM_RSRC2:TGID_X_EN: 1
; COMPUTE_PGM_RSRC2:TGID_Y_EN: 0
; COMPUTE_PGM_RSRC2:TGID_Z_EN: 0
; COMPUTE_PGM_RSRC2:TIDIG_COMP_CNT: 1
; COMPUTE_PGM_RSRC3_GFX90A:ACCUM_OFFSET: 7
; COMPUTE_PGM_RSRC3_GFX90A:TG_SPLIT: 0
	.section	.text._ZN4vllm3moe22topkGatingSoftplusSqrtILi8ELi256ELi4ELi16ELi32ELb0EjfEEvPKT6_PKbPfiPT5_PiiiibdPKfPKS8_SE_,"axG",@progbits,_ZN4vllm3moe22topkGatingSoftplusSqrtILi8ELi256ELi4ELi16ELi32ELb0EjfEEvPKT6_PKbPfiPT5_PiiiibdPKfPKS8_SE_,comdat
	.protected	_ZN4vllm3moe22topkGatingSoftplusSqrtILi8ELi256ELi4ELi16ELi32ELb0EjfEEvPKT6_PKbPfiPT5_PiiiibdPKfPKS8_SE_ ; -- Begin function _ZN4vllm3moe22topkGatingSoftplusSqrtILi8ELi256ELi4ELi16ELi32ELb0EjfEEvPKT6_PKbPfiPT5_PiiiibdPKfPKS8_SE_
	.globl	_ZN4vllm3moe22topkGatingSoftplusSqrtILi8ELi256ELi4ELi16ELi32ELb0EjfEEvPKT6_PKbPfiPT5_PiiiibdPKfPKS8_SE_
	.p2align	8
	.type	_ZN4vllm3moe22topkGatingSoftplusSqrtILi8ELi256ELi4ELi16ELi32ELb0EjfEEvPKT6_PKbPfiPT5_PiiiibdPKfPKS8_SE_,@function
_ZN4vllm3moe22topkGatingSoftplusSqrtILi8ELi256ELi4ELi16ELi32ELb0EjfEEvPKT6_PKbPfiPT5_PiiiibdPKfPKS8_SE_: ; @_ZN4vllm3moe22topkGatingSoftplusSqrtILi8ELi256ELi4ELi16ELi32ELb0EjfEEvPKT6_PKbPfiPT5_PiiiibdPKfPKS8_SE_
; %bb.0:
	s_load_dword s30, s[2:3], 0x18
	v_and_b32_e32 v1, 0x3ff, v0
	v_bfe_u32 v4, v0, 10, 10
	s_lshl_b32 s4, s4, 2
	v_lshrrev_b32_e32 v2, 5, v1
	v_add3_u32 v2, s4, v4, v2
	s_waitcnt lgkmcnt(0)
	v_cmp_gt_i32_e32 vcc, s30, v2
	s_and_saveexec_b64 s[4:5], vcc
	s_cbranch_execz .LBB95_63
; %bb.1:
	s_load_dwordx4 s[4:7], s[2:3], 0x0
	s_load_dwordx2 s[20:21], s[2:3], 0x10
	s_waitcnt lgkmcnt(0)
	s_cmp_eq_u64 s[6:7], 0
	s_cbranch_scc1 .LBB95_3
; %bb.2:
	v_ashrrev_i32_e32 v3, 31, v2
	v_lshl_add_u64 v[6:7], s[6:7], 0, v[2:3]
	global_load_ubyte v3, v[6:7], off
	s_waitcnt vmcnt(0)
	v_and_b32_e32 v3, 1, v3
	v_cmp_eq_u32_e32 vcc, 1, v3
	s_xor_b64 s[6:7], vcc, -1
	s_orn2_b64 s[22:23], s[6:7], exec
	s_branch .LBB95_4
.LBB95_3:
	s_mov_b64 s[22:23], -1
.LBB95_4:
	v_lshlrev_b32_e32 v8, 8, v2
	v_mov_b32_e32 v6, s4
	v_mov_b32_e32 v7, s5
	v_ashrrev_i32_e32 v9, 31, v8
	v_and_b32_e32 v3, 31, v1
	v_lshl_add_u64 v[6:7], v[8:9], 2, v[6:7]
	v_mov_b32_e32 v9, 0
	v_lshlrev_b32_e32 v8, 4, v3
	v_lshl_add_u64 v[14:15], v[6:7], 0, v[8:9]
	global_load_dwordx4 v[6:9], v[14:15], off
	global_load_dwordx4 v[10:13], v[14:15], off offset:512
	s_load_dwordx2 s[4:5], s[0:1], 0x4
	s_load_dwordx4 s[8:11], s[2:3], 0x40
	v_bfe_u32 v0, v0, 20, 10
	s_mov_b32 s14, 0x800000
	s_mov_b32 s13, 0x3f317217
	s_waitcnt lgkmcnt(0)
	s_lshr_b32 s0, s4, 16
	v_mul_u32_u24_e32 v4, s5, v4
	s_mul_i32 s0, s0, s5
	v_mad_u32_u24 v1, s0, v1, v4
	v_add_lshl_u32 v4, v1, v0, 5
	s_mov_b32 s15, 0x7f800000
	s_mov_b32 s12, 0x41a00000
	;; [unrolled: 1-line block ×3, first 2 shown]
	s_cmp_lg_u64 s[10:11], 0
	v_mov_b32_e32 v1, 0x260
	s_cselect_b64 s[6:7], -1, 0
	v_lshlrev_b32_e32 v5, 2, v3
	s_and_b64 s[0:1], exec, s[6:7]
	s_waitcnt vmcnt(1)
	ds_write_b128 v4, v[6:9]
	ds_read_b32 v8, v4
	v_mov_b32_e32 v6, 0x4f800000
	v_mov_b32_e32 v7, 0x41b17218
	s_waitcnt vmcnt(0)
	ds_write_b128 v4, v[10:13] offset:16
	s_waitcnt lgkmcnt(1)
	v_mul_f32_e32 v0, 0x3fb8aa3b, v8
	v_exp_f32_e32 v0, v0
	s_nop 0
	v_add_f32_e32 v0, 1.0, v0
	v_cmp_gt_f32_e32 vcc, s14, v0
	s_nop 1
	v_cndmask_b32_e32 v9, 1.0, v6, vcc
	v_mul_f32_e32 v0, v0, v9
	v_log_f32_e32 v9, v0
	v_cndmask_b32_e32 v14, 0, v7, vcc
	v_lshlrev_b32_e32 v0, 2, v5
	v_mul_f32_e32 v15, 0x3f317217, v9
	v_fma_f32 v15, v9, s13, -v15
	v_fmac_f32_e32 v15, 0x3377d1cf, v9
	v_fmac_f32_e32 v15, 0x3f317217, v9
	v_cmp_lt_f32_e64 vcc, |v9|, s15
	s_nop 1
	v_cndmask_b32_e32 v9, v9, v15, vcc
	v_sub_f32_e32 v9, v9, v14
	v_cmp_lt_f32_e32 vcc, s12, v8
	s_nop 1
	v_cndmask_b32_e32 v8, v9, v8, vcc
	v_mul_f32_e32 v9, 0x4f800000, v8
	v_cmp_gt_f32_e32 vcc, s16, v8
	s_nop 1
	v_cndmask_b32_e32 v8, v8, v9, vcc
	v_sqrt_f32_e32 v9, v8
	s_nop 0
	v_add_u32_e32 v10, -1, v9
	v_add_u32_e32 v11, 1, v9
	v_fma_f32 v12, -v10, v9, v8
	v_fma_f32 v13, -v11, v9, v8
	v_cmp_ge_f32_e64 s[4:5], 0, v12
	s_nop 1
	v_cndmask_b32_e64 v9, v9, v10, s[4:5]
	v_cmp_lt_f32_e64 s[4:5], 0, v13
	s_nop 1
	v_cndmask_b32_e64 v9, v9, v11, s[4:5]
	v_mul_f32_e32 v10, 0x37800000, v9
	v_cndmask_b32_e32 v9, v9, v10, vcc
	v_cmp_class_f32_e32 vcc, v8, v1
	s_nop 1
	v_cndmask_b32_e32 v8, v9, v8, vcc
	s_mov_b64 vcc, s[0:1]
	s_cbranch_vccz .LBB95_6
; %bb.5:
	global_load_dword v9, v0, s[10:11]
	s_waitcnt vmcnt(0)
	v_add_f32_e32 v8, v8, v9
.LBB95_6:
	ds_read_b32 v9, v4 offset:4
	ds_write_b32 v4, v8
	s_waitcnt lgkmcnt(1)
	v_mul_f32_e32 v10, 0x3fb8aa3b, v9
	v_exp_f32_e32 v10, v10
	s_nop 0
	v_add_f32_e32 v10, 1.0, v10
	v_cmp_gt_f32_e32 vcc, s14, v10
	s_nop 1
	v_cndmask_b32_e32 v6, 1.0, v6, vcc
	v_mul_f32_e32 v6, v10, v6
	v_log_f32_e32 v6, v6
	v_cndmask_b32_e32 v7, 0, v7, vcc
	v_mul_f32_e32 v8, 0x3f317217, v6
	v_fma_f32 v8, v6, s13, -v8
	v_fmac_f32_e32 v8, 0x3377d1cf, v6
	v_fmac_f32_e32 v8, 0x3f317217, v6
	v_cmp_lt_f32_e64 vcc, |v6|, s15
	s_nop 1
	v_cndmask_b32_e32 v6, v6, v8, vcc
	v_sub_f32_e32 v6, v6, v7
	v_cmp_lt_f32_e32 vcc, s12, v9
	v_cndmask_b32_e64 v8, 0, 1, s[6:7]
	v_cmp_ne_u32_e64 s[0:1], 1, v8
	v_cndmask_b32_e32 v6, v6, v9, vcc
	v_mul_f32_e32 v7, 0x4f800000, v6
	v_cmp_gt_f32_e64 s[4:5], s16, v6
	s_andn2_b64 vcc, exec, s[6:7]
	s_nop 0
	v_cndmask_b32_e64 v6, v6, v7, s[4:5]
	v_sqrt_f32_e32 v7, v6
	s_nop 0
	v_add_u32_e32 v8, -1, v7
	v_add_u32_e32 v9, 1, v7
	v_fma_f32 v10, -v8, v7, v6
	v_fma_f32 v11, -v9, v7, v6
	v_cmp_ge_f32_e64 s[6:7], 0, v10
	s_nop 1
	v_cndmask_b32_e64 v7, v7, v8, s[6:7]
	v_cmp_lt_f32_e64 s[6:7], 0, v11
	s_nop 1
	v_cndmask_b32_e64 v7, v7, v9, s[6:7]
	v_mul_f32_e32 v8, 0x37800000, v7
	v_cndmask_b32_e64 v7, v7, v8, s[4:5]
	v_cmp_class_f32_e64 s[4:5], v6, v1
	s_nop 1
	v_cndmask_b32_e64 v1, v7, v6, s[4:5]
	s_cbranch_vccnz .LBB95_8
; %bb.7:
	global_load_dword v6, v0, s[10:11] offset:4
	s_waitcnt vmcnt(0)
	v_add_f32_e32 v1, v1, v6
.LBB95_8:
	ds_read_b32 v8, v4 offset:8
	s_mov_b32 s12, 0x800000
	s_mov_b32 s7, 0x3f317217
	;; [unrolled: 1-line block ×4, first 2 shown]
	s_waitcnt lgkmcnt(0)
	v_mul_f32_e32 v6, 0x3fb8aa3b, v8
	v_exp_f32_e32 v7, v6
	v_mov_b32_e32 v6, 0x4f800000
	s_mov_b32 s14, 0xf800000
	ds_write_b32 v4, v1 offset:4
	v_add_f32_e32 v7, 1.0, v7
	v_cmp_gt_f32_e32 vcc, s12, v7
	s_nop 1
	v_cndmask_b32_e32 v9, 1.0, v6, vcc
	v_mul_f32_e32 v7, v7, v9
	v_log_f32_e32 v9, v7
	v_mov_b32_e32 v7, 0x41b17218
	v_cndmask_b32_e32 v10, 0, v7, vcc
	v_mul_f32_e32 v11, 0x3f317217, v9
	v_fma_f32 v11, v9, s7, -v11
	v_fmac_f32_e32 v11, 0x3377d1cf, v9
	v_fmac_f32_e32 v11, 0x3f317217, v9
	v_cmp_lt_f32_e64 vcc, |v9|, s13
	s_nop 1
	v_cndmask_b32_e32 v9, v9, v11, vcc
	v_sub_f32_e32 v9, v9, v10
	v_cmp_lt_f32_e32 vcc, s6, v8
	s_nop 1
	v_cndmask_b32_e32 v8, v9, v8, vcc
	v_mul_f32_e32 v9, 0x4f800000, v8
	v_cmp_gt_f32_e32 vcc, s14, v8
	s_nop 1
	v_cndmask_b32_e32 v8, v8, v9, vcc
	v_sqrt_f32_e32 v9, v8
	s_nop 0
	v_add_u32_e32 v1, -1, v9
	v_fma_f32 v10, -v1, v9, v8
	v_cmp_ge_f32_e64 s[4:5], 0, v10
	v_add_u32_e32 v10, 1, v9
	s_nop 0
	v_cndmask_b32_e64 v1, v9, v1, s[4:5]
	v_fma_f32 v9, -v10, v9, v8
	v_cmp_lt_f32_e64 s[4:5], 0, v9
	s_nop 1
	v_cndmask_b32_e64 v1, v1, v10, s[4:5]
	v_mul_f32_e32 v9, 0x37800000, v1
	v_cndmask_b32_e32 v9, v1, v9, vcc
	v_mov_b32_e32 v1, 0x260
	v_cmp_class_f32_e64 s[4:5], v8, v1
	s_and_b64 vcc, exec, s[0:1]
	s_nop 0
	v_cndmask_b32_e64 v8, v9, v8, s[4:5]
	s_cbranch_vccnz .LBB95_10
; %bb.9:
	global_load_dword v9, v0, s[10:11] offset:8
	s_waitcnt vmcnt(0)
	v_add_f32_e32 v8, v8, v9
.LBB95_10:
	ds_read_b32 v9, v4 offset:12
	ds_write_b32 v4, v8 offset:8
	s_waitcnt lgkmcnt(1)
	v_mul_f32_e32 v10, 0x3fb8aa3b, v9
	v_exp_f32_e32 v10, v10
	s_nop 0
	v_add_f32_e32 v10, 1.0, v10
	v_cmp_gt_f32_e32 vcc, s12, v10
	s_nop 1
	v_cndmask_b32_e32 v6, 1.0, v6, vcc
	v_mul_f32_e32 v6, v10, v6
	v_log_f32_e32 v6, v6
	v_cndmask_b32_e32 v7, 0, v7, vcc
	v_mul_f32_e32 v10, 0x3f317217, v6
	v_fma_f32 v10, v6, s7, -v10
	v_fmac_f32_e32 v10, 0x3377d1cf, v6
	v_fmac_f32_e32 v10, 0x3f317217, v6
	v_cmp_lt_f32_e64 vcc, |v6|, s13
	s_nop 1
	v_cndmask_b32_e32 v6, v6, v10, vcc
	v_sub_f32_e32 v6, v6, v7
	v_cmp_lt_f32_e32 vcc, s6, v9
	s_nop 1
	v_cndmask_b32_e32 v6, v6, v9, vcc
	v_mul_f32_e32 v7, 0x4f800000, v6
	v_cmp_gt_f32_e64 s[4:5], s14, v6
	s_and_b64 vcc, exec, s[0:1]
	s_nop 0
	v_cndmask_b32_e64 v6, v6, v7, s[4:5]
	v_sqrt_f32_e32 v7, v6
	s_nop 0
	v_add_u32_e32 v8, -1, v7
	v_add_u32_e32 v9, 1, v7
	v_fma_f32 v10, -v8, v7, v6
	v_fma_f32 v11, -v9, v7, v6
	v_cmp_ge_f32_e64 s[6:7], 0, v10
	s_nop 1
	v_cndmask_b32_e64 v7, v7, v8, s[6:7]
	v_cmp_lt_f32_e64 s[6:7], 0, v11
	s_nop 1
	v_cndmask_b32_e64 v7, v7, v9, s[6:7]
	v_mul_f32_e32 v8, 0x37800000, v7
	v_cndmask_b32_e64 v7, v7, v8, s[4:5]
	v_cmp_class_f32_e64 s[4:5], v6, v1
	s_nop 1
	v_cndmask_b32_e64 v1, v7, v6, s[4:5]
	s_cbranch_vccnz .LBB95_12
; %bb.11:
	global_load_dword v6, v0, s[10:11] offset:12
	s_waitcnt vmcnt(0)
	v_add_f32_e32 v1, v1, v6
.LBB95_12:
	ds_read_b32 v8, v4 offset:16
	s_mov_b32 s7, 0x3f317217
	s_mov_b32 s6, 0x41a00000
	ds_write_b32 v4, v1 offset:12
	s_waitcnt lgkmcnt(1)
	v_mul_f32_e32 v6, 0x3fb8aa3b, v8
	v_exp_f32_e32 v7, v6
	v_mov_b32_e32 v6, 0x4f800000
	v_add_f32_e32 v7, 1.0, v7
	v_cmp_gt_f32_e32 vcc, s12, v7
	s_nop 1
	v_cndmask_b32_e32 v9, 1.0, v6, vcc
	v_mul_f32_e32 v7, v7, v9
	v_log_f32_e32 v9, v7
	v_mov_b32_e32 v7, 0x41b17218
	v_cndmask_b32_e32 v10, 0, v7, vcc
	v_mul_f32_e32 v11, 0x3f317217, v9
	v_fma_f32 v11, v9, s7, -v11
	v_fmac_f32_e32 v11, 0x3377d1cf, v9
	v_fmac_f32_e32 v11, 0x3f317217, v9
	v_cmp_lt_f32_e64 vcc, |v9|, s13
	s_nop 1
	v_cndmask_b32_e32 v9, v9, v11, vcc
	v_sub_f32_e32 v9, v9, v10
	v_cmp_lt_f32_e32 vcc, s6, v8
	s_nop 1
	v_cndmask_b32_e32 v8, v9, v8, vcc
	v_mul_f32_e32 v9, 0x4f800000, v8
	v_cmp_gt_f32_e32 vcc, s14, v8
	s_nop 1
	v_cndmask_b32_e32 v8, v8, v9, vcc
	v_sqrt_f32_e32 v9, v8
	s_nop 0
	v_add_u32_e32 v1, -1, v9
	v_fma_f32 v10, -v1, v9, v8
	v_cmp_ge_f32_e64 s[4:5], 0, v10
	v_add_u32_e32 v10, 1, v9
	s_nop 0
	v_cndmask_b32_e64 v1, v9, v1, s[4:5]
	v_fma_f32 v9, -v10, v9, v8
	v_cmp_lt_f32_e64 s[4:5], 0, v9
	s_nop 1
	v_cndmask_b32_e64 v1, v1, v10, s[4:5]
	v_mul_f32_e32 v9, 0x37800000, v1
	v_cndmask_b32_e32 v9, v1, v9, vcc
	v_mov_b32_e32 v1, 0x260
	v_cmp_class_f32_e64 s[4:5], v8, v1
	s_and_b64 vcc, exec, s[0:1]
	s_nop 0
	v_cndmask_b32_e64 v8, v9, v8, s[4:5]
	s_cbranch_vccnz .LBB95_14
; %bb.13:
	global_load_dword v9, v0, s[10:11] offset:512
	s_waitcnt vmcnt(0)
	v_add_f32_e32 v8, v8, v9
.LBB95_14:
	ds_read_b32 v9, v4 offset:20
	ds_write_b32 v4, v8 offset:16
	s_waitcnt lgkmcnt(1)
	v_mul_f32_e32 v10, 0x3fb8aa3b, v9
	v_exp_f32_e32 v10, v10
	s_nop 0
	v_add_f32_e32 v10, 1.0, v10
	v_cmp_gt_f32_e32 vcc, s12, v10
	s_nop 1
	v_cndmask_b32_e32 v6, 1.0, v6, vcc
	v_mul_f32_e32 v6, v10, v6
	v_log_f32_e32 v6, v6
	v_cndmask_b32_e32 v7, 0, v7, vcc
	v_mul_f32_e32 v10, 0x3f317217, v6
	v_fma_f32 v10, v6, s7, -v10
	v_fmac_f32_e32 v10, 0x3377d1cf, v6
	v_fmac_f32_e32 v10, 0x3f317217, v6
	v_cmp_lt_f32_e64 vcc, |v6|, s13
	s_nop 1
	v_cndmask_b32_e32 v6, v6, v10, vcc
	v_sub_f32_e32 v6, v6, v7
	v_cmp_lt_f32_e32 vcc, s6, v9
	s_nop 1
	v_cndmask_b32_e32 v6, v6, v9, vcc
	v_mul_f32_e32 v7, 0x4f800000, v6
	v_cmp_gt_f32_e64 s[4:5], s14, v6
	s_and_b64 vcc, exec, s[0:1]
	s_nop 0
	v_cndmask_b32_e64 v6, v6, v7, s[4:5]
	v_sqrt_f32_e32 v7, v6
	s_nop 0
	v_add_u32_e32 v8, -1, v7
	v_add_u32_e32 v9, 1, v7
	v_fma_f32 v10, -v8, v7, v6
	v_fma_f32 v11, -v9, v7, v6
	v_cmp_ge_f32_e64 s[6:7], 0, v10
	s_nop 1
	v_cndmask_b32_e64 v7, v7, v8, s[6:7]
	v_cmp_lt_f32_e64 s[6:7], 0, v11
	s_nop 1
	v_cndmask_b32_e64 v7, v7, v9, s[6:7]
	v_mul_f32_e32 v8, 0x37800000, v7
	v_cndmask_b32_e64 v7, v7, v8, s[4:5]
	v_cmp_class_f32_e64 s[4:5], v6, v1
	s_nop 1
	v_cndmask_b32_e64 v1, v7, v6, s[4:5]
	s_cbranch_vccnz .LBB95_16
; %bb.15:
	global_load_dword v6, v0, s[10:11] offset:516
	s_waitcnt vmcnt(0)
	v_add_f32_e32 v1, v1, v6
.LBB95_16:
	ds_read_b32 v8, v4 offset:24
	s_mov_b32 s7, 0x3f317217
	s_mov_b32 s6, 0x41a00000
	ds_write_b32 v4, v1 offset:20
	s_waitcnt lgkmcnt(1)
	v_mul_f32_e32 v6, 0x3fb8aa3b, v8
	v_exp_f32_e32 v7, v6
	v_mov_b32_e32 v6, 0x4f800000
	v_add_f32_e32 v7, 1.0, v7
	v_cmp_gt_f32_e32 vcc, s12, v7
	s_nop 1
	v_cndmask_b32_e32 v9, 1.0, v6, vcc
	v_mul_f32_e32 v7, v7, v9
	v_log_f32_e32 v9, v7
	v_mov_b32_e32 v7, 0x41b17218
	v_cndmask_b32_e32 v10, 0, v7, vcc
	v_mul_f32_e32 v11, 0x3f317217, v9
	v_fma_f32 v11, v9, s7, -v11
	v_fmac_f32_e32 v11, 0x3377d1cf, v9
	v_fmac_f32_e32 v11, 0x3f317217, v9
	v_cmp_lt_f32_e64 vcc, |v9|, s13
	s_nop 1
	v_cndmask_b32_e32 v9, v9, v11, vcc
	v_sub_f32_e32 v9, v9, v10
	v_cmp_lt_f32_e32 vcc, s6, v8
	s_nop 1
	v_cndmask_b32_e32 v8, v9, v8, vcc
	v_mul_f32_e32 v9, 0x4f800000, v8
	v_cmp_gt_f32_e32 vcc, s14, v8
	s_nop 1
	v_cndmask_b32_e32 v8, v8, v9, vcc
	v_sqrt_f32_e32 v9, v8
	s_nop 0
	v_add_u32_e32 v1, -1, v9
	v_fma_f32 v10, -v1, v9, v8
	v_cmp_ge_f32_e64 s[4:5], 0, v10
	v_add_u32_e32 v10, 1, v9
	s_nop 0
	v_cndmask_b32_e64 v1, v9, v1, s[4:5]
	v_fma_f32 v9, -v10, v9, v8
	v_cmp_lt_f32_e64 s[4:5], 0, v9
	s_nop 1
	v_cndmask_b32_e64 v1, v1, v10, s[4:5]
	v_mul_f32_e32 v9, 0x37800000, v1
	v_cndmask_b32_e32 v9, v1, v9, vcc
	v_mov_b32_e32 v1, 0x260
	v_cmp_class_f32_e64 s[4:5], v8, v1
	s_and_b64 vcc, exec, s[0:1]
	s_nop 0
	v_cndmask_b32_e64 v8, v9, v8, s[4:5]
	s_cbranch_vccnz .LBB95_18
; %bb.17:
	global_load_dword v9, v0, s[10:11] offset:520
	s_waitcnt vmcnt(0)
	v_add_f32_e32 v8, v8, v9
.LBB95_18:
	ds_read_b32 v9, v4 offset:28
	ds_write_b32 v4, v8 offset:24
	s_waitcnt lgkmcnt(1)
	v_mul_f32_e32 v10, 0x3fb8aa3b, v9
	v_exp_f32_e32 v10, v10
	s_nop 0
	v_add_f32_e32 v10, 1.0, v10
	v_cmp_gt_f32_e32 vcc, s12, v10
	s_nop 1
	v_cndmask_b32_e32 v6, 1.0, v6, vcc
	v_mul_f32_e32 v6, v10, v6
	v_log_f32_e32 v6, v6
	v_cndmask_b32_e32 v7, 0, v7, vcc
	v_mul_f32_e32 v10, 0x3f317217, v6
	v_fma_f32 v10, v6, s7, -v10
	v_fmac_f32_e32 v10, 0x3377d1cf, v6
	v_fmac_f32_e32 v10, 0x3f317217, v6
	v_cmp_lt_f32_e64 vcc, |v6|, s13
	s_nop 1
	v_cndmask_b32_e32 v6, v6, v10, vcc
	v_sub_f32_e32 v6, v6, v7
	v_cmp_lt_f32_e32 vcc, s6, v9
	s_nop 1
	v_cndmask_b32_e32 v6, v6, v9, vcc
	v_mul_f32_e32 v7, 0x4f800000, v6
	v_cmp_gt_f32_e64 s[4:5], s14, v6
	s_and_b64 vcc, exec, s[0:1]
	s_nop 0
	v_cndmask_b32_e64 v6, v6, v7, s[4:5]
	v_sqrt_f32_e32 v7, v6
	s_nop 0
	v_add_u32_e32 v8, -1, v7
	v_add_u32_e32 v9, 1, v7
	v_fma_f32 v10, -v8, v7, v6
	v_fma_f32 v11, -v9, v7, v6
	v_cmp_ge_f32_e64 s[6:7], 0, v10
	s_nop 1
	v_cndmask_b32_e64 v7, v7, v8, s[6:7]
	v_cmp_lt_f32_e64 s[6:7], 0, v11
	s_nop 1
	v_cndmask_b32_e64 v7, v7, v9, s[6:7]
	v_mul_f32_e32 v8, 0x37800000, v7
	v_cndmask_b32_e64 v7, v7, v8, s[4:5]
	v_cmp_class_f32_e64 s[4:5], v6, v1
	s_nop 1
	v_cndmask_b32_e64 v1, v7, v6, s[4:5]
	s_cbranch_vccnz .LBB95_20
; %bb.19:
	global_load_dword v0, v0, s[10:11] offset:524
	s_waitcnt vmcnt(0)
	v_add_f32_e32 v1, v1, v0
.LBB95_20:
	s_load_dwordx4 s[12:15], s[2:3], 0x30
	s_mov_b32 s31, 0
	v_cmp_eq_u32_e64 s[6:7], 0, v3
	ds_write_b32 v4, v1 offset:28
	s_waitcnt lgkmcnt(0)
	s_bitcmp1_b32 s15, 0
	s_cselect_b64 s[4:5], -1, 0
	s_cmp_gt_i32 s12, 0
	s_cselect_b64 s[24:25], -1, 0
	s_and_b64 vcc, exec, s[24:25]
	s_cbranch_vccz .LBB95_49
; %bb.21:
	v_mbcnt_lo_u32_b32 v0, -1, 0
	v_mbcnt_hi_u32_b32 v0, -1, v0
	v_and_b32_e32 v1, 0x60, v0
	v_add_u32_e32 v1, 32, v1
	v_xor_b32_e32 v6, 16, v0
	v_cmp_lt_i32_e32 vcc, v6, v1
	s_load_dwordx4 s[16:19], s[2:3], 0x20
	v_mul_lo_u32 v7, v2, s12
	v_cndmask_b32_e32 v6, v0, v6, vcc
	v_lshlrev_b32_e32 v8, 2, v6
	v_xor_b32_e32 v6, 8, v0
	v_cmp_lt_i32_e32 vcc, v6, v1
	v_mov_b32_e32 v13, 0x80
	v_mov_b32_e32 v14, 0x81
	v_cndmask_b32_e32 v6, v0, v6, vcc
	v_lshlrev_b32_e32 v9, 2, v6
	v_xor_b32_e32 v6, 4, v0
	v_cmp_lt_i32_e32 vcc, v6, v1
	v_mov_b32_e32 v15, 0x82
	v_mov_b32_e32 v16, 0x83
	;; [unrolled: 6-line block ×3, first 2 shown]
	v_cndmask_b32_e32 v6, v0, v6, vcc
	v_lshlrev_b32_e32 v11, 2, v6
	v_xor_b32_e32 v6, 1, v0
	v_cmp_lt_i32_e32 vcc, v6, v1
	v_mov_b32_e32 v19, v2
	s_nop 0
	v_cndmask_b32_e32 v0, v0, v6, vcc
	v_lshlrev_b32_e32 v12, 2, v0
	v_mov_b32_e32 v6, 0
	s_branch .LBB95_23
.LBB95_22:                              ;   in Loop: Header=BB95_23 Depth=1
	s_or_b64 exec, exec, s[2:3]
	s_cmp_eq_u32 s12, s31
	v_add_u32_e32 v19, s30, v19
	s_cbranch_scc1 .LBB95_50
.LBB95_23:                              ; =>This Inner Loop Header: Depth=1
	ds_read_b128 v[20:23], v4
	ds_read_b128 v[24:27], v4 offset:16
	s_waitcnt lgkmcnt(0)
	v_cmp_gt_f32_e32 vcc, v21, v20
	s_nop 1
	v_cndmask_b32_e32 v1, v20, v21, vcc
	v_cndmask_b32_e64 v0, 0, 1, vcc
	v_cmp_gt_f32_e32 vcc, v22, v1
	s_nop 1
	v_cndmask_b32_e32 v1, v1, v22, vcc
	v_cndmask_b32_e64 v0, v0, 2, vcc
	;; [unrolled: 4-line block ×3, first 2 shown]
	v_cmp_gt_f32_e32 vcc, v24, v1
	s_nop 1
	v_cndmask_b32_e32 v1, v1, v24, vcc
	v_cndmask_b32_e32 v0, v0, v13, vcc
	v_cmp_gt_f32_e32 vcc, v25, v1
	s_nop 1
	v_cndmask_b32_e32 v1, v1, v25, vcc
	v_cndmask_b32_e32 v0, v0, v14, vcc
	;; [unrolled: 4-line block ×4, first 2 shown]
	ds_bpermute_b32 v1, v8, v20
	v_or_b32_e32 v0, v5, v0
	ds_bpermute_b32 v21, v8, v0
	s_waitcnt lgkmcnt(1)
	v_cmp_lt_f32_e64 s[26:27], v20, v1
	v_cmp_nlt_f32_e32 vcc, v20, v1
	s_and_saveexec_b64 s[28:29], vcc
	s_cbranch_execz .LBB95_25
; %bb.24:                               ;   in Loop: Header=BB95_23 Depth=1
	v_cmp_eq_f32_e32 vcc, v20, v1
	s_waitcnt lgkmcnt(0)
	v_cmp_lt_i32_e64 s[2:3], v21, v0
	s_and_b64 s[2:3], vcc, s[2:3]
	s_andn2_b64 s[26:27], s[26:27], exec
	s_and_b64 s[2:3], s[2:3], exec
	s_or_b64 s[26:27], s[26:27], s[2:3]
.LBB95_25:                              ;   in Loop: Header=BB95_23 Depth=1
	s_or_b64 exec, exec, s[28:29]
	s_and_saveexec_b64 s[2:3], s[26:27]
	s_cbranch_execz .LBB95_27
; %bb.26:                               ;   in Loop: Header=BB95_23 Depth=1
	v_mov_b32_e32 v20, v1
	s_waitcnt lgkmcnt(0)
	v_mov_b32_e32 v0, v21
.LBB95_27:                              ;   in Loop: Header=BB95_23 Depth=1
	s_or_b64 exec, exec, s[2:3]
	ds_bpermute_b32 v1, v9, v20
	s_waitcnt lgkmcnt(1)
	ds_bpermute_b32 v21, v9, v0
	s_waitcnt lgkmcnt(1)
	v_cmp_lt_f32_e64 s[26:27], v20, v1
	v_cmp_nlt_f32_e32 vcc, v20, v1
	s_and_saveexec_b64 s[28:29], vcc
	s_cbranch_execz .LBB95_29
; %bb.28:                               ;   in Loop: Header=BB95_23 Depth=1
	v_cmp_eq_f32_e32 vcc, v20, v1
	s_waitcnt lgkmcnt(0)
	v_cmp_lt_i32_e64 s[2:3], v21, v0
	s_and_b64 s[2:3], vcc, s[2:3]
	s_andn2_b64 s[26:27], s[26:27], exec
	s_and_b64 s[2:3], s[2:3], exec
	s_or_b64 s[26:27], s[26:27], s[2:3]
.LBB95_29:                              ;   in Loop: Header=BB95_23 Depth=1
	s_or_b64 exec, exec, s[28:29]
	s_and_saveexec_b64 s[2:3], s[26:27]
	s_cbranch_execz .LBB95_31
; %bb.30:                               ;   in Loop: Header=BB95_23 Depth=1
	v_mov_b32_e32 v20, v1
	s_waitcnt lgkmcnt(0)
	v_mov_b32_e32 v0, v21
.LBB95_31:                              ;   in Loop: Header=BB95_23 Depth=1
	s_or_b64 exec, exec, s[2:3]
	ds_bpermute_b32 v1, v10, v20
	s_waitcnt lgkmcnt(1)
	;; [unrolled: 26-line block ×4, first 2 shown]
	ds_bpermute_b32 v21, v12, v0
	s_waitcnt lgkmcnt(1)
	v_cmp_lt_f32_e64 s[26:27], v20, v1
	v_cmp_nlt_f32_e32 vcc, v20, v1
	s_and_saveexec_b64 s[28:29], vcc
	s_cbranch_execnz .LBB95_42
; %bb.40:                               ;   in Loop: Header=BB95_23 Depth=1
	s_or_b64 exec, exec, s[28:29]
	s_and_saveexec_b64 s[2:3], s[26:27]
	s_cbranch_execnz .LBB95_43
.LBB95_41:                              ;   in Loop: Header=BB95_23 Depth=1
	s_or_b64 exec, exec, s[2:3]
	s_and_saveexec_b64 s[26:27], s[6:7]
	s_cbranch_execnz .LBB95_44
	s_branch .LBB95_47
.LBB95_42:                              ;   in Loop: Header=BB95_23 Depth=1
	v_cmp_eq_f32_e32 vcc, v20, v1
	s_waitcnt lgkmcnt(0)
	v_cmp_lt_i32_e64 s[2:3], v21, v0
	s_and_b64 s[2:3], vcc, s[2:3]
	s_andn2_b64 s[26:27], s[26:27], exec
	s_and_b64 s[2:3], s[2:3], exec
	s_or_b64 s[26:27], s[26:27], s[2:3]
	s_or_b64 exec, exec, s[28:29]
	s_and_saveexec_b64 s[2:3], s[26:27]
	s_cbranch_execz .LBB95_41
.LBB95_43:                              ;   in Loop: Header=BB95_23 Depth=1
	s_waitcnt lgkmcnt(0)
	v_mov_b32_e32 v0, v21
	v_mov_b32_e32 v20, v1
	s_or_b64 exec, exec, s[2:3]
	s_and_saveexec_b64 s[26:27], s[6:7]
	s_cbranch_execz .LBB95_47
.LBB95_44:                              ;   in Loop: Header=BB95_23 Depth=1
	s_and_b64 vcc, exec, s[0:1]
	s_cbranch_vccnz .LBB95_46
; %bb.45:                               ;   in Loop: Header=BB95_23 Depth=1
	v_ashrrev_i32_e32 v1, 31, v0
	v_lshl_add_u64 v[22:23], v[0:1], 2, s[10:11]
	global_load_dword v1, v[22:23], off
	s_waitcnt vmcnt(0)
	v_sub_f32_e32 v20, v20, v1
.LBB95_46:                              ;   in Loop: Header=BB95_23 Depth=1
	v_add_u32_e32 v22, s31, v7
	v_cmp_le_i32_e32 vcc, s13, v0
	v_cmp_gt_i32_e64 s[2:3], s14, v0
	v_ashrrev_i32_e32 v23, 31, v22
	s_and_b64 s[2:3], vcc, s[2:3]
	v_lshlrev_b64 v[22:23], 2, v[22:23]
	v_lshl_add_u64 v[24:25], s[20:21], 0, v[22:23]
	v_subrev_u32_e32 v1, s13, v0
	s_and_b64 vcc, s[22:23], s[2:3]
	global_store_dword v[24:25], v20, off
	v_cndmask_b32_e32 v1, v18, v1, vcc
	v_lshl_add_u64 v[24:25], s[16:17], 0, v[22:23]
	global_store_dword v[24:25], v1, off
	v_add_f32_e32 v1, v6, v20
	v_lshl_add_u64 v[22:23], s[18:19], 0, v[22:23]
	v_cndmask_b32_e64 v6, v6, v1, s[4:5]
	global_store_dword v[22:23], v19, off
.LBB95_47:                              ;   in Loop: Header=BB95_23 Depth=1
	s_or_b64 exec, exec, s[26:27]
	v_ashrrev_i32_e32 v20, 31, v0
	v_lshrrev_b32_e32 v1, 30, v20
	s_waitcnt lgkmcnt(0)
	v_add_u32_e32 v21, v0, v1
	v_ashrrev_i32_e32 v1, 2, v21
	v_ashrrev_i32_e32 v21, 31, v21
	v_lshrrev_b32_e32 v21, 27, v21
	v_add_u32_e32 v21, v1, v21
	s_add_i32 s31, s31, 1
	v_and_b32_e32 v21, 0xffffffe0, v21
	s_cmp_lt_i32 s31, s12
	v_sub_u32_e32 v21, v1, v21
	s_cselect_b64 s[2:3], -1, 0
	v_cmp_eq_u32_e32 vcc, v3, v21
	s_and_b64 s[26:27], s[2:3], vcc
	s_and_saveexec_b64 s[2:3], s[26:27]
	s_cbranch_execz .LBB95_22
; %bb.48:                               ;   in Loop: Header=BB95_23 Depth=1
	v_lshrrev_b32_e32 v20, 25, v20
	v_add_u32_e32 v20, v0, v20
	v_lshlrev_b32_e32 v1, 2, v1
	v_ashrrev_i32_e32 v20, 7, v20
	v_sub_u32_e32 v0, v0, v1
	v_lshl_add_u32 v0, v20, 2, v0
	v_lshl_add_u32 v0, v0, 2, v4
	ds_write_b32 v0, v17
	s_branch .LBB95_22
.LBB95_49:
	v_mov_b32_e32 v6, 0
.LBB95_50:
	v_cmp_eq_u32_e32 vcc, 0, v3
	s_and_b64 exec, exec, vcc
	s_cbranch_execz .LBB95_63
; %bb.51:
	s_andn2_b64 vcc, exec, s[4:5]
	v_cvt_f32_f64_e32 v0, s[8:9]
	s_cbranch_vccnz .LBB95_53
; %bb.52:
	v_cmp_lt_f32_e32 vcc, 0, v6
	s_nop 1
	v_cndmask_b32_e32 v1, 1.0, v6, vcc
	v_div_scale_f32 v3, s[0:1], v1, v1, v0
	v_rcp_f32_e32 v4, v3
	s_nop 0
	v_fma_f32 v5, -v3, v4, 1.0
	v_fmac_f32_e32 v4, v5, v4
	v_div_scale_f32 v5, vcc, v0, v1, v0
	v_mul_f32_e32 v6, v5, v4
	v_fma_f32 v7, -v3, v6, v5
	v_fmac_f32_e32 v6, v7, v4
	v_fma_f32 v3, -v3, v6, v5
	v_div_fmas_f32 v3, v3, v4, v6
	v_div_fixup_f32 v0, v3, v1, v0
.LBB95_53:
	s_andn2_b64 vcc, exec, s[24:25]
	s_cbranch_vccnz .LBB95_63
; %bb.54:
	v_mul_lo_u32 v2, v2, s12
	s_cmp_gt_u32 s12, 3
	v_ashrrev_i32_e32 v3, 31, v2
	s_cbranch_scc0 .LBB95_58
; %bb.55:
	s_and_b32 s0, s12, 0x7ffffffc
	v_lshl_add_u64 v[4:5], v[2:3], 2, s[20:21]
	v_mov_b32_e32 v1, v0
	v_lshl_add_u64 v[4:5], v[4:5], 0, 8
	s_mov_b32 s1, s0
.LBB95_56:                              ; =>This Inner Loop Header: Depth=1
	global_load_dwordx4 v[6:9], v[4:5], off offset:-8
	s_add_i32 s1, s1, -4
	s_cmp_lg_u32 s1, 0
	s_waitcnt vmcnt(0)
	v_pk_mul_f32 v[6:7], v[0:1], v[6:7]
	v_pk_mul_f32 v[8:9], v[0:1], v[8:9]
	global_store_dwordx4 v[4:5], v[6:9], off offset:-8
	v_lshl_add_u64 v[4:5], v[4:5], 0, 16
	s_cbranch_scc1 .LBB95_56
; %bb.57:
	s_cmp_lg_u32 s0, s12
	s_cselect_b64 s[2:3], -1, 0
	s_branch .LBB95_60
.LBB95_58:
	s_mov_b64 s[2:3], 0
                                        ; implicit-def: $sgpr0
	s_cbranch_execz .LBB95_60
; %bb.59:
	s_mov_b64 s[2:3], -1
	s_mov_b32 s0, 0
.LBB95_60:
	s_andn2_b64 vcc, exec, s[2:3]
	s_cbranch_vccnz .LBB95_63
; %bb.61:
	s_mov_b32 s1, 0
	v_lshl_add_u64 v[2:3], v[2:3], 0, s[0:1]
	s_sub_i32 s2, s12, s0
	v_lshl_add_u64 v[2:3], v[2:3], 2, s[20:21]
.LBB95_62:                              ; =>This Inner Loop Header: Depth=1
	global_load_dword v1, v[2:3], off
	s_add_i32 s2, s2, -1
	s_cmp_lg_u32 s2, 0
	s_waitcnt vmcnt(0)
	v_mul_f32_e32 v1, v0, v1
	global_store_dword v[2:3], v1, off
	v_lshl_add_u64 v[2:3], v[2:3], 0, 4
	s_cbranch_scc1 .LBB95_62
.LBB95_63:
	s_endpgm
	.section	.rodata,"a",@progbits
	.p2align	6, 0x0
	.amdhsa_kernel _ZN4vllm3moe22topkGatingSoftplusSqrtILi8ELi256ELi4ELi16ELi32ELb0EjfEEvPKT6_PKbPfiPT5_PiiiibdPKfPKS8_SE_
		.amdhsa_group_segment_fixed_size 4096
		.amdhsa_private_segment_fixed_size 0
		.amdhsa_kernarg_size 96
		.amdhsa_user_sgpr_count 4
		.amdhsa_user_sgpr_dispatch_ptr 1
		.amdhsa_user_sgpr_queue_ptr 0
		.amdhsa_user_sgpr_kernarg_segment_ptr 1
		.amdhsa_user_sgpr_dispatch_id 0
		.amdhsa_user_sgpr_kernarg_preload_length 0
		.amdhsa_user_sgpr_kernarg_preload_offset 0
		.amdhsa_user_sgpr_private_segment_size 0
		.amdhsa_uses_dynamic_stack 0
		.amdhsa_enable_private_segment 0
		.amdhsa_system_sgpr_workgroup_id_x 1
		.amdhsa_system_sgpr_workgroup_id_y 0
		.amdhsa_system_sgpr_workgroup_id_z 0
		.amdhsa_system_sgpr_workgroup_info 0
		.amdhsa_system_vgpr_workitem_id 2
		.amdhsa_next_free_vgpr 28
		.amdhsa_next_free_sgpr 32
		.amdhsa_accum_offset 28
		.amdhsa_reserve_vcc 1
		.amdhsa_float_round_mode_32 0
		.amdhsa_float_round_mode_16_64 0
		.amdhsa_float_denorm_mode_32 3
		.amdhsa_float_denorm_mode_16_64 3
		.amdhsa_dx10_clamp 1
		.amdhsa_ieee_mode 1
		.amdhsa_fp16_overflow 0
		.amdhsa_tg_split 0
		.amdhsa_exception_fp_ieee_invalid_op 0
		.amdhsa_exception_fp_denorm_src 0
		.amdhsa_exception_fp_ieee_div_zero 0
		.amdhsa_exception_fp_ieee_overflow 0
		.amdhsa_exception_fp_ieee_underflow 0
		.amdhsa_exception_fp_ieee_inexact 0
		.amdhsa_exception_int_div_zero 0
	.end_amdhsa_kernel
	.section	.text._ZN4vllm3moe22topkGatingSoftplusSqrtILi8ELi256ELi4ELi16ELi32ELb0EjfEEvPKT6_PKbPfiPT5_PiiiibdPKfPKS8_SE_,"axG",@progbits,_ZN4vllm3moe22topkGatingSoftplusSqrtILi8ELi256ELi4ELi16ELi32ELb0EjfEEvPKT6_PKbPfiPT5_PiiiibdPKfPKS8_SE_,comdat
.Lfunc_end95:
	.size	_ZN4vllm3moe22topkGatingSoftplusSqrtILi8ELi256ELi4ELi16ELi32ELb0EjfEEvPKT6_PKbPfiPT5_PiiiibdPKfPKS8_SE_, .Lfunc_end95-_ZN4vllm3moe22topkGatingSoftplusSqrtILi8ELi256ELi4ELi16ELi32ELb0EjfEEvPKT6_PKbPfiPT5_PiiiibdPKfPKS8_SE_
                                        ; -- End function
	.section	.AMDGPU.csdata,"",@progbits
; Kernel info:
; codeLenInByte = 4304
; NumSgprs: 38
; NumVgprs: 28
; NumAgprs: 0
; TotalNumVgprs: 28
; ScratchSize: 0
; MemoryBound: 0
; FloatMode: 240
; IeeeMode: 1
; LDSByteSize: 4096 bytes/workgroup (compile time only)
; SGPRBlocks: 4
; VGPRBlocks: 3
; NumSGPRsForWavesPerEU: 38
; NumVGPRsForWavesPerEU: 28
; AccumOffset: 28
; Occupancy: 8
; WaveLimiterHint : 0
; COMPUTE_PGM_RSRC2:SCRATCH_EN: 0
; COMPUTE_PGM_RSRC2:USER_SGPR: 4
; COMPUTE_PGM_RSRC2:TRAP_HANDLER: 0
; COMPUTE_PGM_RSRC2:TGID_X_EN: 1
; COMPUTE_PGM_RSRC2:TGID_Y_EN: 0
; COMPUTE_PGM_RSRC2:TGID_Z_EN: 0
; COMPUTE_PGM_RSRC2:TIDIG_COMP_CNT: 2
; COMPUTE_PGM_RSRC3_GFX90A:ACCUM_OFFSET: 6
; COMPUTE_PGM_RSRC3_GFX90A:TG_SPLIT: 0
	.section	.text._ZN4vllm3moe22topkGatingSoftplusSqrtILi8ELi512ELi4ELi16ELi64ELb1EjfEEvPKT6_PKbPfiPT5_PiiiibdPKfPKS8_SE_,"axG",@progbits,_ZN4vllm3moe22topkGatingSoftplusSqrtILi8ELi512ELi4ELi16ELi64ELb1EjfEEvPKT6_PKbPfiPT5_PiiiibdPKfPKS8_SE_,comdat
	.protected	_ZN4vllm3moe22topkGatingSoftplusSqrtILi8ELi512ELi4ELi16ELi64ELb1EjfEEvPKT6_PKbPfiPT5_PiiiibdPKfPKS8_SE_ ; -- Begin function _ZN4vllm3moe22topkGatingSoftplusSqrtILi8ELi512ELi4ELi16ELi64ELb1EjfEEvPKT6_PKbPfiPT5_PiiiibdPKfPKS8_SE_
	.globl	_ZN4vllm3moe22topkGatingSoftplusSqrtILi8ELi512ELi4ELi16ELi64ELb1EjfEEvPKT6_PKbPfiPT5_PiiiibdPKfPKS8_SE_
	.p2align	8
	.type	_ZN4vllm3moe22topkGatingSoftplusSqrtILi8ELi512ELi4ELi16ELi64ELb1EjfEEvPKT6_PKbPfiPT5_PiiiibdPKfPKS8_SE_,@function
_ZN4vllm3moe22topkGatingSoftplusSqrtILi8ELi512ELi4ELi16ELi64ELb1EjfEEvPKT6_PKbPfiPT5_PiiiibdPKfPKS8_SE_: ; @_ZN4vllm3moe22topkGatingSoftplusSqrtILi8ELi512ELi4ELi16ELi64ELb1EjfEEvPKT6_PKbPfiPT5_PiiiibdPKfPKS8_SE_
; %bb.0:
	s_load_dword s3, s[0:1], 0x18
	v_and_b32_e32 v1, 0x3ff, v0
	s_lshl_b32 s2, s2, 2
	v_lshrrev_b32_e32 v2, 6, v1
	v_bfe_u32 v0, v0, 10, 10
	v_add3_u32 v6, s2, v0, v2
	s_waitcnt lgkmcnt(0)
	v_cmp_gt_i32_e32 vcc, s3, v6
	s_and_saveexec_b64 s[2:3], vcc
	s_cbranch_execz .LBB96_32
; %bb.1:
	s_load_dwordx2 s[2:3], s[0:1], 0x0
	s_load_dword s33, s[0:1], 0x30
	v_lshlrev_b32_e32 v0, 9, v6
	v_lshlrev_b32_e32 v2, 2, v1
	v_ashrrev_i32_e32 v1, 31, v0
	v_and_b32_e32 v10, 0xfc, v2
	s_waitcnt lgkmcnt(0)
	v_lshl_add_u64 v[0:1], v[0:1], 2, s[2:3]
	v_lshlrev_b32_e32 v4, 2, v10
	v_mov_b32_e32 v5, 0
	v_lshl_add_u64 v[0:1], v[0:1], 0, v[4:5]
	global_load_dwordx4 v[12:15], v[0:1], off
	s_load_dwordx4 s[8:11], s[0:1], 0x50
	v_ashrrev_i32_e32 v7, 31, v6
	s_mov_b32 s15, 0x800000
	s_mov_b32 s13, 0x3f317217
	;; [unrolled: 1-line block ×3, first 2 shown]
	s_waitcnt lgkmcnt(0)
	v_mov_b32_e32 v2, s8
	v_mov_b32_e32 v3, s9
	v_lshl_add_u64 v[2:3], v[6:7], 2, v[2:3]
	global_load_dword v4, v[2:3], off
	v_mov_b32_e32 v7, 0x4f800000
	global_load_dwordx4 v[0:3], v[0:1], off offset:1024
	v_mov_b32_e32 v18, 0x41b17218
	s_mov_b32 s9, 0x41a00000
	s_mov_b32 s12, 0xf800000
	v_mov_b32_e32 v19, 0x260
	s_cmp_gt_i32 s33, 0
	v_mov_b32_e32 v11, 0
	s_mov_b32 s8, 0
	s_waitcnt vmcnt(2)
	v_mul_f32_e32 v8, 0x3fb8aa3b, v12
	v_mul_f32_e32 v9, 0x3fb8aa3b, v13
	v_exp_f32_e32 v8, v8
	v_exp_f32_e32 v9, v9
	v_mul_f32_e32 v16, 0x3fb8aa3b, v14
	v_mul_f32_e32 v17, 0x3fb8aa3b, v15
	v_exp_f32_e32 v16, v16
	v_exp_f32_e32 v17, v17
	v_pk_add_f32 v[8:9], v[8:9], 1.0 op_sel_hi:[1,0]
	s_waitcnt vmcnt(1)
	v_mul_lo_u32 v4, v4, s33
	v_cmp_gt_f32_e32 vcc, s15, v9
	v_pk_add_f32 v[16:17], v[16:17], 1.0 op_sel_hi:[1,0]
	v_cmp_gt_f32_e64 s[2:3], s15, v8
	v_cndmask_b32_e32 v20, 1.0, v7, vcc
	v_cmp_gt_f32_e64 s[4:5], s15, v17
	v_cndmask_b32_e64 v21, 1.0, v7, s[2:3]
	v_mul_f32_e32 v9, v9, v20
	v_cndmask_b32_e64 v22, 1.0, v7, s[4:5]
	v_mul_f32_e32 v8, v8, v21
	v_log_f32_e32 v9, v9
	v_mul_f32_e32 v17, v17, v22
	v_log_f32_e32 v8, v8
	v_cmp_gt_f32_e64 s[6:7], s15, v16
	v_log_f32_e32 v17, v17
	v_cndmask_b32_e32 v20, 0, v18, vcc
	v_cndmask_b32_e64 v23, 1.0, v7, s[6:7]
	v_mul_f32_e32 v16, v16, v23
	v_mul_f32_e32 v23, 0x3f317217, v9
	;; [unrolled: 1-line block ×3, first 2 shown]
	v_fma_f32 v23, v9, s13, -v23
	v_mul_f32_e32 v25, 0x3f317217, v17
	v_fma_f32 v24, v8, s13, -v24
	v_fmac_f32_e32 v23, 0x3377d1cf, v9
	v_fma_f32 v25, v17, s13, -v25
	v_fmac_f32_e32 v24, 0x3377d1cf, v8
	v_fmac_f32_e32 v23, 0x3f317217, v9
	v_cmp_lt_f32_e64 vcc, |v9|, s14
	v_fmac_f32_e32 v25, 0x3377d1cf, v17
	v_fmac_f32_e32 v24, 0x3f317217, v8
	v_cndmask_b32_e32 v9, v9, v23, vcc
	v_cmp_lt_f32_e64 vcc, |v8|, s14
	v_cndmask_b32_e64 v21, 0, v18, s[2:3]
	v_fmac_f32_e32 v25, 0x3f317217, v17
	v_cndmask_b32_e32 v8, v8, v24, vcc
	v_cmp_lt_f32_e64 vcc, |v17|, s14
	v_sub_f32_e32 v8, v8, v21
	v_sub_f32_e32 v9, v9, v20
	v_cndmask_b32_e32 v17, v17, v25, vcc
	v_cmp_lt_f32_e32 vcc, s9, v12
	v_cndmask_b32_e64 v22, 0, v18, s[4:5]
	v_sub_f32_e32 v17, v17, v22
	v_cndmask_b32_e32 v8, v8, v12, vcc
	v_cmp_lt_f32_e32 vcc, s9, v13
	v_cmp_gt_f32_e64 s[2:3], s12, v8
	v_log_f32_e32 v16, v16
	v_cndmask_b32_e32 v9, v9, v13, vcc
	v_mul_f32_e32 v12, 0x4f800000, v9
	v_cmp_gt_f32_e32 vcc, s12, v9
	v_mul_f32_e32 v13, 0x4f800000, v8
	v_cndmask_b32_e64 v8, v8, v13, s[2:3]
	v_cndmask_b32_e32 v9, v9, v12, vcc
	v_sqrt_f32_e32 v12, v9
	v_sqrt_f32_e32 v13, v8
	v_mul_f32_e32 v26, 0x3f317217, v16
	v_fma_f32 v26, v16, s13, -v26
	v_add_u32_e32 v20, -1, v12
	v_add_u32_e32 v22, -1, v13
	v_fma_f32 v24, -v20, v12, v9
	v_add_u32_e32 v21, 1, v12
	v_fma_f32 v27, -v22, v13, v8
	v_cmp_ge_f32_e64 s[4:5], 0, v24
	v_add_u32_e32 v23, 1, v13
	v_fma_f32 v25, -v21, v12, v9
	v_cndmask_b32_e64 v12, v12, v20, s[4:5]
	v_cmp_ge_f32_e64 s[4:5], 0, v27
	v_fma_f32 v28, -v23, v13, v8
	v_fmac_f32_e32 v26, 0x3377d1cf, v16
	v_cndmask_b32_e64 v13, v13, v22, s[4:5]
	v_cmp_lt_f32_e64 s[4:5], 0, v25
	v_fmac_f32_e32 v26, 0x3f317217, v16
	s_nop 0
	v_cndmask_b32_e64 v12, v12, v21, s[4:5]
	v_cmp_lt_f32_e64 s[4:5], 0, v28
	v_mul_f32_e32 v20, 0x37800000, v12
	v_cndmask_b32_e32 v12, v12, v20, vcc
	v_cndmask_b32_e64 v13, v13, v23, s[4:5]
	v_mul_f32_e32 v21, 0x37800000, v13
	v_cmp_class_f32_e32 vcc, v9, v19
	v_cndmask_b32_e64 v20, v13, v21, s[2:3]
	v_cmp_lt_f32_e64 s[2:3], s9, v14
	v_cndmask_b32_e32 v13, v12, v9, vcc
	v_cmp_class_f32_e32 vcc, v8, v19
	v_cndmask_b32_e64 v9, 0, v18, s[6:7]
	s_nop 0
	v_cndmask_b32_e32 v12, v20, v8, vcc
	v_cmp_lt_f32_e64 vcc, |v16|, s14
	s_nop 1
	v_cndmask_b32_e32 v8, v16, v26, vcc
	v_cmp_lt_f32_e32 vcc, s9, v15
	v_sub_f32_e32 v8, v8, v9
	v_cndmask_b32_e64 v8, v8, v14, s[2:3]
	v_cndmask_b32_e32 v15, v17, v15, vcc
	v_mul_f32_e32 v16, 0x4f800000, v15
	v_cmp_gt_f32_e32 vcc, s12, v15
	s_nop 1
	v_cndmask_b32_e32 v15, v15, v16, vcc
	v_sqrt_f32_e32 v16, v15
	s_nop 0
	v_add_u32_e32 v9, -1, v16
	v_fma_f32 v14, -v9, v16, v15
	v_cmp_ge_f32_e64 s[2:3], 0, v14
	v_add_u32_e32 v14, 1, v16
	s_nop 0
	v_cndmask_b32_e64 v9, v16, v9, s[2:3]
	v_fma_f32 v16, -v14, v16, v15
	v_cmp_lt_f32_e64 s[2:3], 0, v16
	v_mul_f32_e32 v16, 0x4f800000, v8
	s_nop 0
	v_cndmask_b32_e64 v9, v9, v14, s[2:3]
	v_cmp_gt_f32_e64 s[2:3], s12, v8
	v_mul_f32_e32 v14, 0x37800000, v9
	v_cndmask_b32_e32 v9, v9, v14, vcc
	v_cndmask_b32_e64 v16, v8, v16, s[2:3]
	v_sqrt_f32_e32 v8, v16
	v_cmp_class_f32_e32 vcc, v15, v19
	v_add_u32_e32 v17, 1, v8
	s_nop 0
	v_cndmask_b32_e32 v15, v9, v15, vcc
	v_add_u32_e32 v9, -1, v8
	v_fma_f32 v14, -v9, v8, v16
	v_cmp_ge_f32_e32 vcc, 0, v14
	v_fma_f32 v20, -v17, v8, v16
	s_nop 0
	v_cndmask_b32_e32 v14, v8, v9, vcc
	s_waitcnt vmcnt(0)
	v_mul_f32_e32 v8, 0x3fb8aa3b, v0
	v_mul_f32_e32 v9, 0x3fb8aa3b, v1
	v_exp_f32_e32 v8, v8
	v_exp_f32_e32 v9, v9
	v_cmp_lt_f32_e32 vcc, 0, v20
	v_pk_add_f32 v[8:9], v[8:9], 1.0 op_sel_hi:[1,0]
	s_nop 0
	v_cndmask_b32_e32 v14, v14, v17, vcc
	v_mul_f32_e32 v17, 0x37800000, v14
	v_cmp_gt_f32_e32 vcc, s15, v9
	v_cndmask_b32_e64 v14, v14, v17, s[2:3]
	v_cmp_class_f32_e64 s[2:3], v16, v19
	v_cndmask_b32_e32 v17, 1.0, v7, vcc
	v_mul_f32_e32 v9, v9, v17
	v_log_f32_e32 v9, v9
	v_cndmask_b32_e64 v14, v14, v16, s[2:3]
	v_cmp_gt_f32_e64 s[2:3], s15, v8
	scratch_store_dwordx4 off, v[12:15], off
	v_cmp_lt_f32_e64 s[4:5], |v9|, s14
	s_nop 0
	v_cndmask_b32_e64 v13, 1.0, v7, s[2:3]
	v_mul_f32_e32 v12, 0x3f317217, v9
	v_mul_f32_e32 v8, v8, v13
	v_fma_f32 v12, v9, s13, -v12
	v_log_f32_e32 v8, v8
	v_fmac_f32_e32 v12, 0x3377d1cf, v9
	v_fmac_f32_e32 v12, 0x3f317217, v9
	v_cndmask_b32_e64 v9, v9, v12, s[4:5]
	v_cndmask_b32_e32 v12, 0, v18, vcc
	v_sub_f32_e32 v9, v9, v12
	v_mul_f32_e32 v12, 0x3f317217, v8
	v_fma_f32 v12, v8, s13, -v12
	v_fmac_f32_e32 v12, 0x3377d1cf, v8
	v_fmac_f32_e32 v12, 0x3f317217, v8
	v_cmp_lt_f32_e64 vcc, |v8|, s14
	s_nop 1
	v_cndmask_b32_e32 v8, v8, v12, vcc
	v_cmp_lt_f32_e32 vcc, s9, v1
	v_cndmask_b32_e64 v12, 0, v18, s[2:3]
	v_sub_f32_e32 v8, v8, v12
	v_cndmask_b32_e32 v1, v9, v1, vcc
	v_mul_f32_e32 v9, 0x4f800000, v1
	v_cmp_gt_f32_e32 vcc, s12, v1
	v_cmp_lt_f32_e64 s[2:3], s9, v0
	s_nop 0
	v_cndmask_b32_e32 v1, v1, v9, vcc
	v_sqrt_f32_e32 v9, v1
	v_cndmask_b32_e64 v0, v8, v0, s[2:3]
	v_add_u32_e32 v8, -1, v9
	v_fma_f32 v12, -v8, v9, v1
	v_cmp_ge_f32_e64 s[2:3], 0, v12
	v_add_u32_e32 v12, 1, v9
	s_nop 0
	v_cndmask_b32_e64 v8, v9, v8, s[2:3]
	v_fma_f32 v9, -v12, v9, v1
	v_cmp_lt_f32_e64 s[2:3], 0, v9
	s_nop 1
	v_cndmask_b32_e64 v8, v8, v12, s[2:3]
	v_mul_f32_e32 v12, 0x4f800000, v0
	v_cmp_gt_f32_e64 s[2:3], s12, v0
	v_mul_f32_e32 v9, 0x37800000, v8
	v_cndmask_b32_e32 v8, v8, v9, vcc
	v_cndmask_b32_e64 v0, v0, v12, s[2:3]
	v_sqrt_f32_e32 v12, v0
	v_cmp_class_f32_e32 vcc, v1, v19
	v_add_u32_e32 v14, 1, v12
	s_nop 0
	v_cndmask_b32_e32 v1, v8, v1, vcc
	v_add_u32_e32 v8, -1, v12
	v_fma_f32 v9, -v8, v12, v0
	v_cmp_ge_f32_e32 vcc, 0, v9
	v_mul_f32_e32 v9, 0x3fb8aa3b, v3
	v_exp_f32_e32 v9, v9
	v_cndmask_b32_e32 v13, v12, v8, vcc
	v_mul_f32_e32 v8, 0x3fb8aa3b, v2
	v_exp_f32_e32 v8, v8
	v_fma_f32 v12, -v14, v12, v0
	v_cmp_lt_f32_e32 vcc, 0, v12
	v_pk_add_f32 v[8:9], v[8:9], 1.0 op_sel_hi:[1,0]
	s_nop 0
	v_cndmask_b32_e32 v12, v13, v14, vcc
	v_cmp_gt_f32_e32 vcc, s15, v9
	v_mul_f32_e32 v13, 0x37800000, v12
	v_cndmask_b32_e64 v12, v12, v13, s[2:3]
	v_cndmask_b32_e32 v14, 1.0, v7, vcc
	v_mul_f32_e32 v9, v9, v14
	v_log_f32_e32 v9, v9
	v_cmp_class_f32_e64 s[2:3], v0, v19
	v_cmp_lt_f32_e64 s[4:5], |v9|, s14
	s_nop 0
	v_cndmask_b32_e64 v0, v12, v0, s[2:3]
	v_cmp_gt_f32_e64 s[2:3], s15, v8
	v_mul_f32_e32 v12, 0x3f317217, v9
	v_fma_f32 v12, v9, s13, -v12
	v_cndmask_b32_e64 v7, 1.0, v7, s[2:3]
	v_mul_f32_e32 v7, v8, v7
	v_log_f32_e32 v7, v7
	v_fmac_f32_e32 v12, 0x3377d1cf, v9
	v_fmac_f32_e32 v12, 0x3f317217, v9
	v_cndmask_b32_e64 v8, v9, v12, s[4:5]
	v_cndmask_b32_e32 v9, 0, v18, vcc
	v_sub_f32_e32 v8, v8, v9
	v_mul_f32_e32 v9, 0x3f317217, v7
	v_fma_f32 v9, v7, s13, -v9
	v_fmac_f32_e32 v9, 0x3377d1cf, v7
	v_fmac_f32_e32 v9, 0x3f317217, v7
	v_cmp_lt_f32_e64 vcc, |v7|, s14
	s_cselect_b64 s[4:5], -1, 0
	s_cmp_lt_i32 s33, 1
	v_cndmask_b32_e32 v7, v7, v9, vcc
	v_cmp_lt_f32_e32 vcc, s9, v3
	v_cndmask_b32_e64 v9, 0, v18, s[2:3]
	v_sub_f32_e32 v7, v7, v9
	v_cndmask_b32_e32 v3, v8, v3, vcc
	v_mul_f32_e32 v8, 0x4f800000, v3
	v_cmp_gt_f32_e32 vcc, s12, v3
	v_cmp_lt_f32_e64 s[2:3], s9, v2
	s_nop 0
	v_cndmask_b32_e32 v3, v3, v8, vcc
	v_sqrt_f32_e32 v8, v3
	v_cndmask_b32_e64 v2, v7, v2, s[2:3]
	v_add_u32_e32 v7, -1, v8
	v_fma_f32 v9, -v7, v8, v3
	v_cmp_ge_f32_e64 s[2:3], 0, v9
	v_add_u32_e32 v9, 1, v8
	s_nop 0
	v_cndmask_b32_e64 v7, v8, v7, s[2:3]
	v_fma_f32 v8, -v9, v8, v3
	v_cmp_lt_f32_e64 s[2:3], 0, v8
	s_nop 1
	v_cndmask_b32_e64 v7, v7, v9, s[2:3]
	v_mul_f32_e32 v9, 0x4f800000, v2
	v_cmp_gt_f32_e64 s[2:3], s12, v2
	v_mul_f32_e32 v8, 0x37800000, v7
	v_cndmask_b32_e32 v7, v7, v8, vcc
	v_cndmask_b32_e64 v2, v2, v9, s[2:3]
	v_sqrt_f32_e32 v9, v2
	v_cmp_class_f32_e32 vcc, v3, v19
	s_nop 1
	v_cndmask_b32_e32 v3, v7, v3, vcc
	v_add_u32_e32 v7, -1, v9
	v_fma_f32 v8, -v7, v9, v2
	v_cmp_ge_f32_e32 vcc, 0, v8
	v_add_u32_e32 v8, 1, v9
	s_nop 0
	v_cndmask_b32_e32 v7, v9, v7, vcc
	v_fma_f32 v9, -v8, v9, v2
	v_cmp_lt_f32_e32 vcc, 0, v9
	s_nop 1
	v_cndmask_b32_e32 v7, v7, v8, vcc
	v_mul_f32_e32 v8, 0x37800000, v7
	v_cndmask_b32_e64 v7, v7, v8, s[2:3]
	v_cmp_class_f32_e32 vcc, v2, v19
	s_nop 1
	v_cndmask_b32_e32 v2, v7, v2, vcc
	scratch_store_dwordx4 off, v[0:3], off offset:16
	s_nop 1
	v_lshl_add_u64 v[2:3], v[4:5], 2, s[10:11]
	v_mul_lo_u32 v0, v6, s33
	s_cbranch_scc1 .LBB96_29
; %bb.2:
	s_load_dwordx2 s[6:7], s[0:1], 0x20
	s_cmp_lt_u32 s33, 4
	s_cbranch_scc1 .LBB96_21
; %bb.3:
	s_mov_b32 s11, 0
	s_and_b32 s8, s33, 0x7ffffffc
	v_ashrrev_i32_e32 v1, 31, v0
	v_mov_b32_e32 v5, 0
	s_mov_b32 s10, s11
	s_branch .LBB96_5
.LBB96_4:                               ;   in Loop: Header=BB96_5 Depth=1
	s_or_b64 exec, exec, s[12:13]
	s_add_i32 s10, s10, 4
	s_cmp_eq_u32 s10, s8
	s_cbranch_scc1 .LBB96_22
.LBB96_5:                               ; =>This Loop Header: Depth=1
                                        ;     Child Loop BB96_7 Depth 2
                                        ;     Child Loop BB96_11 Depth 2
	;; [unrolled: 1-line block ×4, first 2 shown]
	v_lshl_add_u64 v[6:7], s[10:11], 2, v[2:3]
	global_load_dword v4, v[6:7], off
	v_add_u32_e32 v8, s10, v0
	v_ashrrev_i32_e32 v9, 31, v8
	s_waitcnt lgkmcnt(0)
	v_lshl_add_u64 v[8:9], v[8:9], 2, s[6:7]
	v_mov_b32_e32 v12, 0
	s_mov_b64 s[12:13], 0
	s_mov_b32 s9, 0
	s_mov_b32 s16, 0
	s_branch .LBB96_7
.LBB96_6:                               ;   in Loop: Header=BB96_7 Depth=2
	s_or_b64 exec, exec, s[14:15]
	s_add_i32 s17, s16, 1
	s_cmp_gt_u32 s16, 6
	s_cselect_b64 s[2:3], -1, 0
	s_xor_b64 s[14:15], vcc, -1
	s_or_b64 s[2:3], s[14:15], s[2:3]
	s_add_i32 s9, s9, 64
	s_and_b64 s[2:3], exec, s[2:3]
	v_add_u32_e32 v12, 4, v12
	s_or_b64 s[12:13], s[2:3], s[12:13]
	s_mov_b32 s16, s17
	s_andn2_b64 exec, exec, s[12:13]
	s_cbranch_execz .LBB96_9
.LBB96_7:                               ;   Parent Loop BB96_5 Depth=1
                                        ; =>  This Inner Loop Header: Depth=2
	s_and_b32 s2, s16, 3
	s_and_b32 s3, s9, 0x100
	s_or_b32 s2, s2, s3
	v_or_b32_e32 v13, s2, v10
	s_waitcnt vmcnt(0)
	v_cmp_ne_u32_e32 vcc, v4, v13
	v_cmp_eq_u32_e64 s[2:3], v4, v13
	s_and_saveexec_b64 s[14:15], s[2:3]
	s_cbranch_execz .LBB96_6
; %bb.8:                                ;   in Loop: Header=BB96_7 Depth=2
	scratch_load_dword v13, v12, off
	s_waitcnt vmcnt(0)
	v_add_f32_e32 v5, v5, v13
	global_store_dword v[8:9], v4, off
	s_branch .LBB96_6
.LBB96_9:                               ;   in Loop: Header=BB96_5 Depth=1
	s_or_b64 exec, exec, s[12:13]
	global_load_dword v4, v[6:7], off offset:4
	s_ashr_i32 s3, s10, 31
	s_mov_b32 s2, s10
	v_lshl_add_u64 v[8:9], s[2:3], 0, v[0:1]
	v_lshl_add_u64 v[8:9], v[8:9], 2, s[6:7]
	v_mov_b32_e32 v12, 0
	s_mov_b32 s9, 0
	s_mov_b64 s[12:13], 0
	s_mov_b32 s16, 0
	s_branch .LBB96_11
.LBB96_10:                              ;   in Loop: Header=BB96_11 Depth=2
	s_or_b64 exec, exec, s[14:15]
	s_add_i32 s17, s16, 1
	s_cmp_gt_u32 s16, 6
	s_cselect_b64 s[2:3], -1, 0
	s_xor_b64 s[14:15], vcc, -1
	s_or_b64 s[2:3], s[14:15], s[2:3]
	s_add_i32 s9, s9, 64
	s_and_b64 s[2:3], exec, s[2:3]
	v_add_u32_e32 v12, 4, v12
	s_or_b64 s[12:13], s[2:3], s[12:13]
	s_mov_b32 s16, s17
	s_andn2_b64 exec, exec, s[12:13]
	s_cbranch_execz .LBB96_13
.LBB96_11:                              ;   Parent Loop BB96_5 Depth=1
                                        ; =>  This Inner Loop Header: Depth=2
	s_and_b32 s2, s16, 3
	s_and_b32 s3, s9, 0x100
	s_or_b32 s2, s2, s3
	v_or_b32_e32 v13, s2, v10
	s_waitcnt vmcnt(0)
	v_cmp_ne_u32_e32 vcc, v4, v13
	v_cmp_eq_u32_e64 s[2:3], v4, v13
	s_and_saveexec_b64 s[14:15], s[2:3]
	s_cbranch_execz .LBB96_10
; %bb.12:                               ;   in Loop: Header=BB96_11 Depth=2
	scratch_load_dword v13, v12, off
	s_waitcnt vmcnt(0)
	v_add_f32_e32 v5, v5, v13
	global_store_dword v[8:9], v4, off offset:4
	s_branch .LBB96_10
.LBB96_13:                              ;   in Loop: Header=BB96_5 Depth=1
	s_or_b64 exec, exec, s[12:13]
	global_load_dword v4, v[6:7], off offset:8
	v_mov_b32_e32 v12, 0
	s_mov_b32 s9, 0
	s_mov_b64 s[12:13], 0
	s_mov_b32 s16, 0
	s_branch .LBB96_15
.LBB96_14:                              ;   in Loop: Header=BB96_15 Depth=2
	s_or_b64 exec, exec, s[14:15]
	s_add_i32 s17, s16, 1
	s_cmp_gt_u32 s16, 6
	s_cselect_b64 s[2:3], -1, 0
	s_xor_b64 s[14:15], vcc, -1
	s_or_b64 s[2:3], s[14:15], s[2:3]
	s_add_i32 s9, s9, 64
	s_and_b64 s[2:3], exec, s[2:3]
	v_add_u32_e32 v12, 4, v12
	s_or_b64 s[12:13], s[2:3], s[12:13]
	s_mov_b32 s16, s17
	s_andn2_b64 exec, exec, s[12:13]
	s_cbranch_execz .LBB96_17
.LBB96_15:                              ;   Parent Loop BB96_5 Depth=1
                                        ; =>  This Inner Loop Header: Depth=2
	s_and_b32 s2, s16, 3
	s_and_b32 s3, s9, 0x100
	s_or_b32 s2, s2, s3
	v_or_b32_e32 v13, s2, v10
	s_waitcnt vmcnt(0)
	v_cmp_ne_u32_e32 vcc, v4, v13
	v_cmp_eq_u32_e64 s[2:3], v4, v13
	s_and_saveexec_b64 s[14:15], s[2:3]
	s_cbranch_execz .LBB96_14
; %bb.16:                               ;   in Loop: Header=BB96_15 Depth=2
	scratch_load_dword v13, v12, off
	s_waitcnt vmcnt(0)
	v_add_f32_e32 v5, v5, v13
	global_store_dword v[8:9], v4, off offset:8
	s_branch .LBB96_14
.LBB96_17:                              ;   in Loop: Header=BB96_5 Depth=1
	s_or_b64 exec, exec, s[12:13]
	global_load_dword v4, v[6:7], off offset:12
	v_mov_b32_e32 v6, 0
	s_mov_b32 s9, 0
	s_mov_b64 s[12:13], 0
	s_mov_b32 s16, 0
	s_branch .LBB96_19
.LBB96_18:                              ;   in Loop: Header=BB96_19 Depth=2
	s_or_b64 exec, exec, s[14:15]
	s_add_i32 s17, s16, 1
	s_cmp_gt_u32 s16, 6
	s_cselect_b64 s[2:3], -1, 0
	s_xor_b64 s[14:15], vcc, -1
	s_or_b64 s[2:3], s[14:15], s[2:3]
	s_add_i32 s9, s9, 64
	s_and_b64 s[2:3], exec, s[2:3]
	v_add_u32_e32 v6, 4, v6
	s_or_b64 s[12:13], s[2:3], s[12:13]
	s_mov_b32 s16, s17
	s_andn2_b64 exec, exec, s[12:13]
	s_cbranch_execz .LBB96_4
.LBB96_19:                              ;   Parent Loop BB96_5 Depth=1
                                        ; =>  This Inner Loop Header: Depth=2
	s_and_b32 s2, s16, 3
	s_and_b32 s3, s9, 0x100
	s_or_b32 s2, s2, s3
	v_or_b32_e32 v7, s2, v10
	s_waitcnt vmcnt(0)
	v_cmp_ne_u32_e32 vcc, v4, v7
	v_cmp_eq_u32_e64 s[2:3], v4, v7
	s_and_saveexec_b64 s[14:15], s[2:3]
	s_cbranch_execz .LBB96_18
; %bb.20:                               ;   in Loop: Header=BB96_19 Depth=2
	scratch_load_dword v7, v6, off
	s_waitcnt vmcnt(0)
	v_add_f32_e32 v5, v5, v7
	global_store_dword v[8:9], v4, off offset:12
	s_branch .LBB96_18
.LBB96_21:
	v_mov_b32_e32 v5, 0
.LBB96_22:
	s_and_b32 s14, s33, 3
	s_cmp_eq_u32 s14, 0
	s_mov_b32 s9, 0
	s_cbranch_scc1 .LBB96_29
; %bb.23:
	s_mov_b32 s15, s9
	s_branch .LBB96_25
.LBB96_24:                              ;   in Loop: Header=BB96_25 Depth=1
	s_or_b64 exec, exec, s[10:11]
	s_add_i32 s8, s8, 1
	s_add_i32 s15, s15, 1
	s_cmp_lg_u32 s15, s14
	s_cbranch_scc0 .LBB96_29
.LBB96_25:                              ; =>This Loop Header: Depth=1
                                        ;     Child Loop BB96_27 Depth 2
	v_lshl_add_u64 v[6:7], s[8:9], 2, v[2:3]
	global_load_dword v1, v[6:7], off
	v_add_u32_e32 v6, s8, v0
	v_ashrrev_i32_e32 v7, 31, v6
	s_waitcnt lgkmcnt(0)
	v_lshl_add_u64 v[6:7], v[6:7], 2, s[6:7]
	v_mov_b32_e32 v4, 0
	s_mov_b32 s16, 0
	s_mov_b64 s[10:11], 0
	s_mov_b32 s17, 0
	s_branch .LBB96_27
.LBB96_26:                              ;   in Loop: Header=BB96_27 Depth=2
	s_or_b64 exec, exec, s[12:13]
	s_add_i32 s18, s17, 1
	s_cmp_gt_u32 s17, 6
	s_cselect_b64 s[2:3], -1, 0
	s_xor_b64 s[12:13], vcc, -1
	s_or_b64 s[2:3], s[12:13], s[2:3]
	s_add_i32 s16, s16, 64
	s_and_b64 s[2:3], exec, s[2:3]
	v_add_u32_e32 v4, 4, v4
	s_or_b64 s[10:11], s[2:3], s[10:11]
	s_mov_b32 s17, s18
	s_andn2_b64 exec, exec, s[10:11]
	s_cbranch_execz .LBB96_24
.LBB96_27:                              ;   Parent Loop BB96_25 Depth=1
                                        ; =>  This Inner Loop Header: Depth=2
	s_and_b32 s2, s17, 3
	s_and_b32 s3, s16, 0x100
	s_or_b32 s2, s2, s3
	v_or_b32_e32 v8, s2, v10
	s_waitcnt vmcnt(0)
	v_cmp_ne_u32_e32 vcc, v1, v8
	v_cmp_eq_u32_e64 s[2:3], v1, v8
	s_and_saveexec_b64 s[12:13], s[2:3]
	s_cbranch_execz .LBB96_26
; %bb.28:                               ;   in Loop: Header=BB96_27 Depth=2
	scratch_load_dword v8, v4, off
	s_waitcnt vmcnt(0)
	v_add_f32_e32 v5, v5, v8
	global_store_dword v[6:7], v1, off
	s_branch .LBB96_26
.LBB96_29:
	s_waitcnt lgkmcnt(0)
	s_load_dword s6, s[0:1], 0x3c
	v_add_u32_e32 v9, 16, v11
	s_waitcnt lgkmcnt(0)
	s_bitcmp1_b32 s6, 0
	s_cselect_b64 s[2:3], -1, 0
	s_bitcmp0_b32 s6, 0
	s_cbranch_scc0 .LBB96_33
; %bb.30:
	s_load_dwordx2 s[6:7], s[0:1], 0x40
	s_andn2_b64 vcc, exec, s[2:3]
	s_waitcnt lgkmcnt(0)
	v_cvt_f32_f64_e32 v8, s[6:7]
	s_cbranch_vccz .LBB96_34
.LBB96_31:
	s_andn2_b64 vcc, exec, s[4:5]
	s_cbranch_vccz .LBB96_35
.LBB96_32:
	s_endpgm
.LBB96_33:
	v_mbcnt_lo_u32_b32 v1, -1, 0
	v_mbcnt_hi_u32_b32 v1, -1, v1
	v_and_b32_e32 v4, 64, v1
	v_add_u32_e32 v4, 64, v4
	v_xor_b32_e32 v6, 32, v1
	v_cmp_lt_i32_e32 vcc, v6, v4
	v_xor_b32_e32 v7, 16, v1
	s_nop 0
	v_cndmask_b32_e32 v6, v1, v6, vcc
	v_lshlrev_b32_e32 v6, 2, v6
	ds_bpermute_b32 v6, v6, v5
	v_cmp_lt_i32_e32 vcc, v7, v4
	s_waitcnt lgkmcnt(0)
	v_add_f32_e32 v5, v5, v6
	v_cndmask_b32_e32 v6, v1, v7, vcc
	v_lshlrev_b32_e32 v6, 2, v6
	ds_bpermute_b32 v6, v6, v5
	v_xor_b32_e32 v7, 8, v1
	v_cmp_lt_i32_e32 vcc, v7, v4
	s_waitcnt lgkmcnt(0)
	v_add_f32_e32 v5, v5, v6
	v_cndmask_b32_e32 v6, v1, v7, vcc
	v_lshlrev_b32_e32 v6, 2, v6
	ds_bpermute_b32 v6, v6, v5
	v_xor_b32_e32 v7, 4, v1
	;; [unrolled: 7-line block ×4, first 2 shown]
	v_cmp_lt_i32_e32 vcc, v7, v4
	s_waitcnt lgkmcnt(0)
	v_add_f32_e32 v5, v5, v6
	v_cndmask_b32_e32 v1, v1, v7, vcc
	v_lshlrev_b32_e32 v1, 2, v1
	ds_bpermute_b32 v1, v1, v5
	s_waitcnt lgkmcnt(0)
	v_add_f32_e32 v5, v5, v1
	s_load_dwordx2 s[6:7], s[0:1], 0x40
	s_andn2_b64 vcc, exec, s[2:3]
	s_waitcnt lgkmcnt(0)
	v_cvt_f32_f64_e32 v8, s[6:7]
	s_cbranch_vccnz .LBB96_31
.LBB96_34:
	v_cmp_lt_f32_e32 vcc, 0, v5
	s_nop 1
	v_cndmask_b32_e32 v1, 1.0, v5, vcc
	v_div_scale_f32 v4, s[2:3], v1, v1, v8
	v_rcp_f32_e32 v5, v4
	s_nop 0
	v_fma_f32 v6, -v4, v5, 1.0
	v_fmac_f32_e32 v5, v6, v5
	v_div_scale_f32 v6, vcc, v8, v1, v8
	v_mul_f32_e32 v7, v6, v5
	v_fma_f32 v11, -v4, v7, v6
	v_fmac_f32_e32 v7, v11, v5
	v_fma_f32 v4, -v4, v7, v6
	v_div_fmas_f32 v4, v4, v5, v7
	v_div_fixup_f32 v8, v4, v1, v8
	s_andn2_b64 vcc, exec, s[4:5]
	s_cbranch_vccnz .LBB96_32
.LBB96_35:
	s_load_dwordx2 s[12:13], s[0:1], 0x10
	v_mov_b32_e32 v1, 0
	v_or_b32_e32 v20, 4, v1
	v_or_b32_e32 v18, 8, v1
	;; [unrolled: 1-line block ×3, first 2 shown]
	v_add_u32_e32 v13, 20, v1
	v_add_u32_e32 v11, 24, v1
	v_add_u32_e32 v12, 28, v1
	v_or_b32_e32 v23, 1, v10
	v_or_b32_e32 v22, 2, v10
	;; [unrolled: 1-line block ×7, first 2 shown]
	s_cmp_eq_u32 s33, 1
	s_mov_b32 s14, 0
	s_cbranch_scc1 .LBB96_70
; %bb.36:
	v_ashrrev_i32_e32 v1, 31, v0
	s_waitcnt lgkmcnt(0)
	v_lshl_add_u64 v[4:5], v[0:1], 2, s[12:13]
	s_and_b32 s14, s33, 0x7ffffffe
	v_lshl_add_u64 v[4:5], v[4:5], 0, 4
	v_lshl_add_u64 v[6:7], v[2:3], 0, 4
	s_mov_b32 s15, 0
	s_branch .LBB96_38
.LBB96_37:                              ;   in Loop: Header=BB96_38 Depth=1
	s_or_b64 exec, exec, s[0:1]
	s_add_i32 s15, s15, 2
	v_lshl_add_u64 v[4:5], v[4:5], 0, 8
	s_cmp_eq_u32 s14, s15
	v_lshl_add_u64 v[6:7], v[6:7], 0, 8
	s_cbranch_scc1 .LBB96_70
.LBB96_38:                              ; =>This Inner Loop Header: Depth=1
	global_load_dword v24, v[6:7], off offset:-4
	v_mov_b32_e32 v1, 0
	s_waitcnt vmcnt(0)
	v_cmp_eq_u32_e32 vcc, v24, v10
	v_cmp_ne_u32_e64 s[0:1], v24, v10
	s_and_saveexec_b64 s[16:17], s[0:1]
	s_cbranch_execz .LBB96_52
; %bb.39:                               ;   in Loop: Header=BB96_38 Depth=1
	v_cmp_eq_u32_e64 s[0:1], v24, v23
	v_cmp_ne_u32_e64 s[2:3], v24, v23
	v_mov_b32_e32 v1, v20
	s_and_saveexec_b64 s[18:19], s[2:3]
	s_cbranch_execz .LBB96_51
; %bb.40:                               ;   in Loop: Header=BB96_38 Depth=1
	v_cmp_eq_u32_e64 s[2:3], v24, v22
	v_cmp_ne_u32_e64 s[4:5], v24, v22
	v_mov_b32_e32 v1, v18
	;; [unrolled: 6-line block ×6, first 2 shown]
	s_and_saveexec_b64 s[30:31], s[10:11]
	s_xor_b64 s[30:31], exec, s[30:31]
; %bb.45:                               ;   in Loop: Header=BB96_38 Depth=1
	v_cmp_eq_u32_e64 s[10:11], v24, v14
	s_andn2_b64 s[28:29], s[28:29], exec
	s_and_b64 s[10:11], s[10:11], exec
	s_or_b64 s[28:29], s[28:29], s[10:11]
	v_mov_b32_e32 v1, v12
; %bb.46:                               ;   in Loop: Header=BB96_38 Depth=1
	s_or_b64 exec, exec, s[30:31]
	s_andn2_b64 s[8:9], s[8:9], exec
	s_and_b64 s[10:11], s[28:29], exec
	s_or_b64 s[8:9], s[8:9], s[10:11]
.LBB96_47:                              ;   in Loop: Header=BB96_38 Depth=1
	s_or_b64 exec, exec, s[26:27]
	s_andn2_b64 s[6:7], s[6:7], exec
	s_and_b64 s[8:9], s[8:9], exec
	s_or_b64 s[6:7], s[6:7], s[8:9]
.LBB96_48:                              ;   in Loop: Header=BB96_38 Depth=1
	s_or_b64 exec, exec, s[24:25]
	s_andn2_b64 s[4:5], s[4:5], exec
	s_and_b64 s[6:7], s[6:7], exec
	s_or_b64 s[4:5], s[4:5], s[6:7]
.LBB96_49:                              ;   in Loop: Header=BB96_38 Depth=1
	s_or_b64 exec, exec, s[22:23]
	s_andn2_b64 s[2:3], s[2:3], exec
	s_and_b64 s[4:5], s[4:5], exec
	s_or_b64 s[2:3], s[2:3], s[4:5]
.LBB96_50:                              ;   in Loop: Header=BB96_38 Depth=1
	s_or_b64 exec, exec, s[20:21]
	s_andn2_b64 s[0:1], s[0:1], exec
	s_and_b64 s[2:3], s[2:3], exec
	s_or_b64 s[0:1], s[0:1], s[2:3]
.LBB96_51:                              ;   in Loop: Header=BB96_38 Depth=1
	s_or_b64 exec, exec, s[18:19]
	s_andn2_b64 s[2:3], vcc, exec
	s_and_b64 s[0:1], s[0:1], exec
	s_or_b64 vcc, s[2:3], s[0:1]
.LBB96_52:                              ;   in Loop: Header=BB96_38 Depth=1
	s_or_b64 exec, exec, s[16:17]
	s_and_saveexec_b64 s[0:1], vcc
	s_cbranch_execz .LBB96_54
; %bb.53:                               ;   in Loop: Header=BB96_38 Depth=1
	scratch_load_dword v1, v1, off
	v_add_u32_e32 v24, s15, v0
	v_ashrrev_i32_e32 v25, 31, v24
	v_lshl_add_u64 v[24:25], v[24:25], 2, s[12:13]
	s_waitcnt vmcnt(0)
	v_mul_f32_e32 v1, v8, v1
	global_store_dword v[24:25], v1, off
.LBB96_54:                              ;   in Loop: Header=BB96_38 Depth=1
	s_or_b64 exec, exec, s[0:1]
	global_load_dword v24, v[6:7], off
	v_mov_b32_e32 v1, 0
	s_waitcnt vmcnt(0)
	v_cmp_eq_u32_e64 s[8:9], v24, v10
	v_cmp_ne_u32_e32 vcc, v24, v10
	s_and_saveexec_b64 s[10:11], vcc
	s_cbranch_execz .LBB96_68
; %bb.55:                               ;   in Loop: Header=BB96_38 Depth=1
	v_cmp_eq_u32_e32 vcc, v24, v23
	v_cmp_ne_u32_e64 s[0:1], v24, v23
	v_mov_b32_e32 v1, v20
	s_and_saveexec_b64 s[16:17], s[0:1]
	s_cbranch_execz .LBB96_67
; %bb.56:                               ;   in Loop: Header=BB96_38 Depth=1
	v_cmp_eq_u32_e64 s[0:1], v24, v22
	v_cmp_ne_u32_e64 s[2:3], v24, v22
	v_mov_b32_e32 v1, v18
	s_and_saveexec_b64 s[18:19], s[2:3]
	s_cbranch_execz .LBB96_66
; %bb.57:                               ;   in Loop: Header=BB96_38 Depth=1
	v_cmp_eq_u32_e64 s[2:3], v24, v21
	;; [unrolled: 6-line block ×5, first 2 shown]
	v_cmp_ne_u32_e64 s[6:7], v24, v15
	v_mov_b32_e32 v1, v11
	s_and_saveexec_b64 s[30:31], s[6:7]
; %bb.61:                               ;   in Loop: Header=BB96_38 Depth=1
	v_cmp_eq_u32_e64 s[6:7], v24, v14
	s_andn2_b64 s[28:29], s[28:29], exec
	s_and_b64 s[6:7], s[6:7], exec
	s_or_b64 s[28:29], s[28:29], s[6:7]
	v_mov_b32_e32 v1, v12
; %bb.62:                               ;   in Loop: Header=BB96_38 Depth=1
	s_or_b64 exec, exec, s[30:31]
	s_andn2_b64 s[6:7], s[24:25], exec
	s_and_b64 s[24:25], s[28:29], exec
	s_or_b64 s[24:25], s[6:7], s[24:25]
.LBB96_63:                              ;   in Loop: Header=BB96_38 Depth=1
	s_or_b64 exec, exec, s[26:27]
	s_andn2_b64 s[4:5], s[4:5], exec
	s_and_b64 s[6:7], s[24:25], exec
	s_or_b64 s[4:5], s[4:5], s[6:7]
.LBB96_64:                              ;   in Loop: Header=BB96_38 Depth=1
	s_or_b64 exec, exec, s[22:23]
	s_andn2_b64 s[2:3], s[2:3], exec
	s_and_b64 s[4:5], s[4:5], exec
	s_or_b64 s[2:3], s[2:3], s[4:5]
.LBB96_65:                              ;   in Loop: Header=BB96_38 Depth=1
	s_or_b64 exec, exec, s[20:21]
	s_andn2_b64 s[0:1], s[0:1], exec
	s_and_b64 s[2:3], s[2:3], exec
	s_or_b64 s[0:1], s[0:1], s[2:3]
.LBB96_66:                              ;   in Loop: Header=BB96_38 Depth=1
	s_or_b64 exec, exec, s[18:19]
	s_andn2_b64 s[2:3], vcc, exec
	s_and_b64 s[0:1], s[0:1], exec
	s_or_b64 vcc, s[2:3], s[0:1]
.LBB96_67:                              ;   in Loop: Header=BB96_38 Depth=1
	s_or_b64 exec, exec, s[16:17]
	s_andn2_b64 s[0:1], s[8:9], exec
	s_and_b64 s[2:3], vcc, exec
	s_or_b64 s[8:9], s[0:1], s[2:3]
.LBB96_68:                              ;   in Loop: Header=BB96_38 Depth=1
	s_or_b64 exec, exec, s[10:11]
	s_and_saveexec_b64 s[0:1], s[8:9]
	s_cbranch_execz .LBB96_37
; %bb.69:                               ;   in Loop: Header=BB96_38 Depth=1
	scratch_load_dword v1, v1, off
	s_waitcnt vmcnt(0)
	v_mul_f32_e32 v1, v8, v1
	global_store_dword v[4:5], v1, off
	s_branch .LBB96_37
.LBB96_70:
	s_bitcmp0_b32 s33, 0
	s_mov_b32 s15, 0
	s_cbranch_scc1 .LBB96_32
; %bb.71:
	v_lshl_add_u64 v[2:3], s[14:15], 2, v[2:3]
	global_load_dword v1, v[2:3], off
	v_mov_b32_e32 v2, 0
	s_waitcnt vmcnt(0)
	v_cmp_eq_u32_e64 s[8:9], v1, v10
	v_cmp_ne_u32_e32 vcc, v1, v10
	s_and_saveexec_b64 s[10:11], vcc
	s_cbranch_execz .LBB96_85
; %bb.72:
	v_cmp_eq_u32_e32 vcc, v1, v23
	v_cmp_ne_u32_e64 s[0:1], v1, v23
	s_and_saveexec_b64 s[16:17], s[0:1]
	s_cbranch_execz .LBB96_84
; %bb.73:
	v_cmp_eq_u32_e64 s[0:1], v1, v22
	v_cmp_ne_u32_e64 s[2:3], v1, v22
	s_and_saveexec_b64 s[18:19], s[2:3]
	s_cbranch_execz .LBB96_83
; %bb.74:
	v_cmp_eq_u32_e64 s[2:3], v1, v21
	;; [unrolled: 5-line block ×5, first 2 shown]
	v_cmp_ne_u32_e64 s[6:7], v1, v15
	s_and_saveexec_b64 s[30:31], s[6:7]
; %bb.78:
	v_cmp_eq_u32_e64 s[6:7], v1, v14
	s_andn2_b64 s[28:29], s[28:29], exec
	s_and_b64 s[6:7], s[6:7], exec
	s_or_b64 s[28:29], s[28:29], s[6:7]
	v_mov_b32_e32 v11, v12
; %bb.79:
	s_or_b64 exec, exec, s[30:31]
	s_andn2_b64 s[6:7], s[24:25], exec
	s_and_b64 s[24:25], s[28:29], exec
	s_or_b64 s[24:25], s[6:7], s[24:25]
	v_mov_b32_e32 v13, v11
.LBB96_80:
	s_or_b64 exec, exec, s[26:27]
	s_andn2_b64 s[4:5], s[4:5], exec
	s_and_b64 s[6:7], s[24:25], exec
	s_or_b64 s[4:5], s[4:5], s[6:7]
	v_mov_b32_e32 v9, v13
.LBB96_81:
	s_or_b64 exec, exec, s[22:23]
	s_andn2_b64 s[2:3], s[2:3], exec
	s_and_b64 s[4:5], s[4:5], exec
	s_or_b64 s[2:3], s[2:3], s[4:5]
	v_mov_b32_e32 v16, v9
.LBB96_82:
	s_or_b64 exec, exec, s[20:21]
	s_andn2_b64 s[0:1], s[0:1], exec
	s_and_b64 s[2:3], s[2:3], exec
	s_or_b64 s[0:1], s[0:1], s[2:3]
	v_mov_b32_e32 v18, v16
.LBB96_83:
	s_or_b64 exec, exec, s[18:19]
	s_andn2_b64 s[2:3], vcc, exec
	s_and_b64 s[0:1], s[0:1], exec
	s_or_b64 vcc, s[2:3], s[0:1]
	v_mov_b32_e32 v20, v18
.LBB96_84:
	s_or_b64 exec, exec, s[16:17]
	s_andn2_b64 s[0:1], s[8:9], exec
	s_and_b64 s[2:3], vcc, exec
	s_or_b64 s[8:9], s[0:1], s[2:3]
	v_mov_b32_e32 v2, v20
.LBB96_85:
	s_or_b64 exec, exec, s[10:11]
	s_and_b64 exec, exec, s[8:9]
	s_cbranch_execz .LBB96_32
; %bb.86:
	scratch_load_dword v2, v2, off
	v_add_u32_e32 v0, s14, v0
	v_ashrrev_i32_e32 v1, 31, v0
	s_waitcnt lgkmcnt(0)
	v_lshl_add_u64 v[0:1], v[0:1], 2, s[12:13]
	s_waitcnt vmcnt(0)
	v_mul_f32_e32 v2, v8, v2
	global_store_dword v[0:1], v2, off
	s_endpgm
	.section	.rodata,"a",@progbits
	.p2align	6, 0x0
	.amdhsa_kernel _ZN4vllm3moe22topkGatingSoftplusSqrtILi8ELi512ELi4ELi16ELi64ELb1EjfEEvPKT6_PKbPfiPT5_PiiiibdPKfPKS8_SE_
		.amdhsa_group_segment_fixed_size 0
		.amdhsa_private_segment_fixed_size 48
		.amdhsa_kernarg_size 96
		.amdhsa_user_sgpr_count 2
		.amdhsa_user_sgpr_dispatch_ptr 0
		.amdhsa_user_sgpr_queue_ptr 0
		.amdhsa_user_sgpr_kernarg_segment_ptr 1
		.amdhsa_user_sgpr_dispatch_id 0
		.amdhsa_user_sgpr_kernarg_preload_length 0
		.amdhsa_user_sgpr_kernarg_preload_offset 0
		.amdhsa_user_sgpr_private_segment_size 0
		.amdhsa_uses_dynamic_stack 0
		.amdhsa_enable_private_segment 1
		.amdhsa_system_sgpr_workgroup_id_x 1
		.amdhsa_system_sgpr_workgroup_id_y 0
		.amdhsa_system_sgpr_workgroup_id_z 0
		.amdhsa_system_sgpr_workgroup_info 0
		.amdhsa_system_vgpr_workitem_id 1
		.amdhsa_next_free_vgpr 29
		.amdhsa_next_free_sgpr 34
		.amdhsa_accum_offset 32
		.amdhsa_reserve_vcc 1
		.amdhsa_float_round_mode_32 0
		.amdhsa_float_round_mode_16_64 0
		.amdhsa_float_denorm_mode_32 3
		.amdhsa_float_denorm_mode_16_64 3
		.amdhsa_dx10_clamp 1
		.amdhsa_ieee_mode 1
		.amdhsa_fp16_overflow 0
		.amdhsa_tg_split 0
		.amdhsa_exception_fp_ieee_invalid_op 0
		.amdhsa_exception_fp_denorm_src 0
		.amdhsa_exception_fp_ieee_div_zero 0
		.amdhsa_exception_fp_ieee_overflow 0
		.amdhsa_exception_fp_ieee_underflow 0
		.amdhsa_exception_fp_ieee_inexact 0
		.amdhsa_exception_int_div_zero 0
	.end_amdhsa_kernel
	.section	.text._ZN4vllm3moe22topkGatingSoftplusSqrtILi8ELi512ELi4ELi16ELi64ELb1EjfEEvPKT6_PKbPfiPT5_PiiiibdPKfPKS8_SE_,"axG",@progbits,_ZN4vllm3moe22topkGatingSoftplusSqrtILi8ELi512ELi4ELi16ELi64ELb1EjfEEvPKT6_PKbPfiPT5_PiiiibdPKfPKS8_SE_,comdat
.Lfunc_end96:
	.size	_ZN4vllm3moe22topkGatingSoftplusSqrtILi8ELi512ELi4ELi16ELi64ELb1EjfEEvPKT6_PKbPfiPT5_PiiiibdPKfPKS8_SE_, .Lfunc_end96-_ZN4vllm3moe22topkGatingSoftplusSqrtILi8ELi512ELi4ELi16ELi64ELb1EjfEEvPKT6_PKbPfiPT5_PiiiibdPKfPKS8_SE_
                                        ; -- End function
	.section	.AMDGPU.csdata,"",@progbits
; Kernel info:
; codeLenInByte = 4708
; NumSgprs: 40
; NumVgprs: 29
; NumAgprs: 0
; TotalNumVgprs: 29
; ScratchSize: 48
; MemoryBound: 0
; FloatMode: 240
; IeeeMode: 1
; LDSByteSize: 0 bytes/workgroup (compile time only)
; SGPRBlocks: 4
; VGPRBlocks: 3
; NumSGPRsForWavesPerEU: 40
; NumVGPRsForWavesPerEU: 29
; AccumOffset: 32
; Occupancy: 8
; WaveLimiterHint : 1
; COMPUTE_PGM_RSRC2:SCRATCH_EN: 1
; COMPUTE_PGM_RSRC2:USER_SGPR: 2
; COMPUTE_PGM_RSRC2:TRAP_HANDLER: 0
; COMPUTE_PGM_RSRC2:TGID_X_EN: 1
; COMPUTE_PGM_RSRC2:TGID_Y_EN: 0
; COMPUTE_PGM_RSRC2:TGID_Z_EN: 0
; COMPUTE_PGM_RSRC2:TIDIG_COMP_CNT: 1
; COMPUTE_PGM_RSRC3_GFX90A:ACCUM_OFFSET: 7
; COMPUTE_PGM_RSRC3_GFX90A:TG_SPLIT: 0
	.section	.text._ZN4vllm3moe22topkGatingSoftplusSqrtILi8ELi512ELi4ELi16ELi64ELb0EjfEEvPKT6_PKbPfiPT5_PiiiibdPKfPKS8_SE_,"axG",@progbits,_ZN4vllm3moe22topkGatingSoftplusSqrtILi8ELi512ELi4ELi16ELi64ELb0EjfEEvPKT6_PKbPfiPT5_PiiiibdPKfPKS8_SE_,comdat
	.protected	_ZN4vllm3moe22topkGatingSoftplusSqrtILi8ELi512ELi4ELi16ELi64ELb0EjfEEvPKT6_PKbPfiPT5_PiiiibdPKfPKS8_SE_ ; -- Begin function _ZN4vllm3moe22topkGatingSoftplusSqrtILi8ELi512ELi4ELi16ELi64ELb0EjfEEvPKT6_PKbPfiPT5_PiiiibdPKfPKS8_SE_
	.globl	_ZN4vllm3moe22topkGatingSoftplusSqrtILi8ELi512ELi4ELi16ELi64ELb0EjfEEvPKT6_PKbPfiPT5_PiiiibdPKfPKS8_SE_
	.p2align	8
	.type	_ZN4vllm3moe22topkGatingSoftplusSqrtILi8ELi512ELi4ELi16ELi64ELb0EjfEEvPKT6_PKbPfiPT5_PiiiibdPKfPKS8_SE_,@function
_ZN4vllm3moe22topkGatingSoftplusSqrtILi8ELi512ELi4ELi16ELi64ELb0EjfEEvPKT6_PKbPfiPT5_PiiiibdPKfPKS8_SE_: ; @_ZN4vllm3moe22topkGatingSoftplusSqrtILi8ELi512ELi4ELi16ELi64ELb0EjfEEvPKT6_PKbPfiPT5_PiiiibdPKfPKS8_SE_
; %bb.0:
	s_load_dword s30, s[2:3], 0x18
	v_and_b32_e32 v1, 0x3ff, v0
	v_bfe_u32 v4, v0, 10, 10
	s_lshl_b32 s4, s4, 2
	v_lshrrev_b32_e32 v2, 6, v1
	v_add3_u32 v2, s4, v4, v2
	s_waitcnt lgkmcnt(0)
	v_cmp_gt_i32_e32 vcc, s30, v2
	s_and_saveexec_b64 s[4:5], vcc
	s_cbranch_execz .LBB97_67
; %bb.1:
	s_load_dwordx4 s[4:7], s[2:3], 0x0
	s_load_dwordx2 s[20:21], s[2:3], 0x10
	s_waitcnt lgkmcnt(0)
	s_cmp_eq_u64 s[6:7], 0
	s_cbranch_scc1 .LBB97_3
; %bb.2:
	v_ashrrev_i32_e32 v3, 31, v2
	v_lshl_add_u64 v[6:7], s[6:7], 0, v[2:3]
	global_load_ubyte v3, v[6:7], off
	s_waitcnt vmcnt(0)
	v_and_b32_e32 v3, 1, v3
	v_cmp_eq_u32_e32 vcc, 1, v3
	s_xor_b64 s[6:7], vcc, -1
	s_orn2_b64 s[22:23], s[6:7], exec
	s_branch .LBB97_4
.LBB97_3:
	s_mov_b64 s[22:23], -1
.LBB97_4:
	v_lshlrev_b32_e32 v8, 9, v2
	v_mov_b32_e32 v6, s4
	v_mov_b32_e32 v7, s5
	v_ashrrev_i32_e32 v9, 31, v8
	v_and_b32_e32 v3, 63, v1
	v_lshl_add_u64 v[6:7], v[8:9], 2, v[6:7]
	v_mov_b32_e32 v9, 0
	v_lshlrev_b32_e32 v8, 4, v3
	v_lshl_add_u64 v[14:15], v[6:7], 0, v[8:9]
	global_load_dwordx4 v[6:9], v[14:15], off
	global_load_dwordx4 v[10:13], v[14:15], off offset:1024
	s_load_dwordx2 s[4:5], s[0:1], 0x4
	s_load_dwordx4 s[8:11], s[2:3], 0x40
	v_bfe_u32 v0, v0, 20, 10
	s_mov_b32 s14, 0x800000
	s_mov_b32 s13, 0x3f317217
	s_waitcnt lgkmcnt(0)
	s_lshr_b32 s0, s4, 16
	s_mul_i32 s0, s0, s5
	v_mul_lo_u32 v1, s0, v1
	v_mad_u32_u24 v1, v4, s5, v1
	v_add_lshl_u32 v4, v1, v0, 5
	s_mov_b32 s15, 0x7f800000
	s_mov_b32 s12, 0x41a00000
	;; [unrolled: 1-line block ×3, first 2 shown]
	s_cmp_lg_u64 s[10:11], 0
	v_mov_b32_e32 v1, 0x260
	s_cselect_b64 s[6:7], -1, 0
	v_lshlrev_b32_e32 v5, 2, v3
	s_and_b64 s[0:1], exec, s[6:7]
	s_waitcnt vmcnt(1)
	ds_write_b128 v4, v[6:9]
	ds_read_b32 v8, v4
	v_mov_b32_e32 v6, 0x4f800000
	v_mov_b32_e32 v7, 0x41b17218
	s_waitcnt vmcnt(0)
	ds_write_b128 v4, v[10:13] offset:16
	s_waitcnt lgkmcnt(1)
	v_mul_f32_e32 v0, 0x3fb8aa3b, v8
	v_exp_f32_e32 v0, v0
	s_nop 0
	v_add_f32_e32 v0, 1.0, v0
	v_cmp_gt_f32_e32 vcc, s14, v0
	s_nop 1
	v_cndmask_b32_e32 v9, 1.0, v6, vcc
	v_mul_f32_e32 v0, v0, v9
	v_log_f32_e32 v9, v0
	v_cndmask_b32_e32 v14, 0, v7, vcc
	v_lshlrev_b32_e32 v0, 2, v5
	v_mul_f32_e32 v15, 0x3f317217, v9
	v_fma_f32 v15, v9, s13, -v15
	v_fmac_f32_e32 v15, 0x3377d1cf, v9
	v_fmac_f32_e32 v15, 0x3f317217, v9
	v_cmp_lt_f32_e64 vcc, |v9|, s15
	s_nop 1
	v_cndmask_b32_e32 v9, v9, v15, vcc
	v_sub_f32_e32 v9, v9, v14
	v_cmp_lt_f32_e32 vcc, s12, v8
	s_nop 1
	v_cndmask_b32_e32 v8, v9, v8, vcc
	v_mul_f32_e32 v9, 0x4f800000, v8
	v_cmp_gt_f32_e32 vcc, s16, v8
	s_nop 1
	v_cndmask_b32_e32 v8, v8, v9, vcc
	v_sqrt_f32_e32 v9, v8
	s_nop 0
	v_add_u32_e32 v10, -1, v9
	v_add_u32_e32 v11, 1, v9
	v_fma_f32 v12, -v10, v9, v8
	v_fma_f32 v13, -v11, v9, v8
	v_cmp_ge_f32_e64 s[4:5], 0, v12
	s_nop 1
	v_cndmask_b32_e64 v9, v9, v10, s[4:5]
	v_cmp_lt_f32_e64 s[4:5], 0, v13
	s_nop 1
	v_cndmask_b32_e64 v9, v9, v11, s[4:5]
	v_mul_f32_e32 v10, 0x37800000, v9
	v_cndmask_b32_e32 v9, v9, v10, vcc
	v_cmp_class_f32_e32 vcc, v8, v1
	s_nop 1
	v_cndmask_b32_e32 v8, v9, v8, vcc
	s_mov_b64 vcc, s[0:1]
	s_cbranch_vccz .LBB97_6
; %bb.5:
	global_load_dword v9, v0, s[10:11]
	s_waitcnt vmcnt(0)
	v_add_f32_e32 v8, v8, v9
.LBB97_6:
	ds_read_b32 v9, v4 offset:4
	ds_write_b32 v4, v8
	s_waitcnt lgkmcnt(1)
	v_mul_f32_e32 v10, 0x3fb8aa3b, v9
	v_exp_f32_e32 v10, v10
	s_nop 0
	v_add_f32_e32 v10, 1.0, v10
	v_cmp_gt_f32_e32 vcc, s14, v10
	s_nop 1
	v_cndmask_b32_e32 v6, 1.0, v6, vcc
	v_mul_f32_e32 v6, v10, v6
	v_log_f32_e32 v6, v6
	v_cndmask_b32_e32 v7, 0, v7, vcc
	v_mul_f32_e32 v8, 0x3f317217, v6
	v_fma_f32 v8, v6, s13, -v8
	v_fmac_f32_e32 v8, 0x3377d1cf, v6
	v_fmac_f32_e32 v8, 0x3f317217, v6
	v_cmp_lt_f32_e64 vcc, |v6|, s15
	s_nop 1
	v_cndmask_b32_e32 v6, v6, v8, vcc
	v_sub_f32_e32 v6, v6, v7
	v_cmp_lt_f32_e32 vcc, s12, v9
	v_cndmask_b32_e64 v8, 0, 1, s[6:7]
	v_cmp_ne_u32_e64 s[0:1], 1, v8
	v_cndmask_b32_e32 v6, v6, v9, vcc
	v_mul_f32_e32 v7, 0x4f800000, v6
	v_cmp_gt_f32_e64 s[4:5], s16, v6
	s_andn2_b64 vcc, exec, s[6:7]
	s_nop 0
	v_cndmask_b32_e64 v6, v6, v7, s[4:5]
	v_sqrt_f32_e32 v7, v6
	s_nop 0
	v_add_u32_e32 v8, -1, v7
	v_add_u32_e32 v9, 1, v7
	v_fma_f32 v10, -v8, v7, v6
	v_fma_f32 v11, -v9, v7, v6
	v_cmp_ge_f32_e64 s[6:7], 0, v10
	s_nop 1
	v_cndmask_b32_e64 v7, v7, v8, s[6:7]
	v_cmp_lt_f32_e64 s[6:7], 0, v11
	s_nop 1
	v_cndmask_b32_e64 v7, v7, v9, s[6:7]
	v_mul_f32_e32 v8, 0x37800000, v7
	v_cndmask_b32_e64 v7, v7, v8, s[4:5]
	v_cmp_class_f32_e64 s[4:5], v6, v1
	s_nop 1
	v_cndmask_b32_e64 v1, v7, v6, s[4:5]
	s_cbranch_vccnz .LBB97_8
; %bb.7:
	global_load_dword v6, v0, s[10:11] offset:4
	s_waitcnt vmcnt(0)
	v_add_f32_e32 v1, v1, v6
.LBB97_8:
	ds_read_b32 v8, v4 offset:8
	s_mov_b32 s12, 0x800000
	s_mov_b32 s7, 0x3f317217
	;; [unrolled: 1-line block ×4, first 2 shown]
	s_waitcnt lgkmcnt(0)
	v_mul_f32_e32 v6, 0x3fb8aa3b, v8
	v_exp_f32_e32 v7, v6
	v_mov_b32_e32 v6, 0x4f800000
	s_mov_b32 s14, 0xf800000
	ds_write_b32 v4, v1 offset:4
	v_add_f32_e32 v7, 1.0, v7
	v_cmp_gt_f32_e32 vcc, s12, v7
	s_nop 1
	v_cndmask_b32_e32 v9, 1.0, v6, vcc
	v_mul_f32_e32 v7, v7, v9
	v_log_f32_e32 v9, v7
	v_mov_b32_e32 v7, 0x41b17218
	v_cndmask_b32_e32 v10, 0, v7, vcc
	v_mul_f32_e32 v11, 0x3f317217, v9
	v_fma_f32 v11, v9, s7, -v11
	v_fmac_f32_e32 v11, 0x3377d1cf, v9
	v_fmac_f32_e32 v11, 0x3f317217, v9
	v_cmp_lt_f32_e64 vcc, |v9|, s13
	s_nop 1
	v_cndmask_b32_e32 v9, v9, v11, vcc
	v_sub_f32_e32 v9, v9, v10
	v_cmp_lt_f32_e32 vcc, s6, v8
	s_nop 1
	v_cndmask_b32_e32 v8, v9, v8, vcc
	v_mul_f32_e32 v9, 0x4f800000, v8
	v_cmp_gt_f32_e32 vcc, s14, v8
	s_nop 1
	v_cndmask_b32_e32 v8, v8, v9, vcc
	v_sqrt_f32_e32 v9, v8
	s_nop 0
	v_add_u32_e32 v1, -1, v9
	v_fma_f32 v10, -v1, v9, v8
	v_cmp_ge_f32_e64 s[4:5], 0, v10
	v_add_u32_e32 v10, 1, v9
	s_nop 0
	v_cndmask_b32_e64 v1, v9, v1, s[4:5]
	v_fma_f32 v9, -v10, v9, v8
	v_cmp_lt_f32_e64 s[4:5], 0, v9
	s_nop 1
	v_cndmask_b32_e64 v1, v1, v10, s[4:5]
	v_mul_f32_e32 v9, 0x37800000, v1
	v_cndmask_b32_e32 v9, v1, v9, vcc
	v_mov_b32_e32 v1, 0x260
	v_cmp_class_f32_e64 s[4:5], v8, v1
	s_and_b64 vcc, exec, s[0:1]
	s_nop 0
	v_cndmask_b32_e64 v8, v9, v8, s[4:5]
	s_cbranch_vccnz .LBB97_10
; %bb.9:
	global_load_dword v9, v0, s[10:11] offset:8
	s_waitcnt vmcnt(0)
	v_add_f32_e32 v8, v8, v9
.LBB97_10:
	ds_read_b32 v9, v4 offset:12
	ds_write_b32 v4, v8 offset:8
	s_waitcnt lgkmcnt(1)
	v_mul_f32_e32 v10, 0x3fb8aa3b, v9
	v_exp_f32_e32 v10, v10
	s_nop 0
	v_add_f32_e32 v10, 1.0, v10
	v_cmp_gt_f32_e32 vcc, s12, v10
	s_nop 1
	v_cndmask_b32_e32 v6, 1.0, v6, vcc
	v_mul_f32_e32 v6, v10, v6
	v_log_f32_e32 v6, v6
	v_cndmask_b32_e32 v7, 0, v7, vcc
	v_mul_f32_e32 v10, 0x3f317217, v6
	v_fma_f32 v10, v6, s7, -v10
	v_fmac_f32_e32 v10, 0x3377d1cf, v6
	v_fmac_f32_e32 v10, 0x3f317217, v6
	v_cmp_lt_f32_e64 vcc, |v6|, s13
	s_nop 1
	v_cndmask_b32_e32 v6, v6, v10, vcc
	v_sub_f32_e32 v6, v6, v7
	v_cmp_lt_f32_e32 vcc, s6, v9
	s_nop 1
	v_cndmask_b32_e32 v6, v6, v9, vcc
	v_mul_f32_e32 v7, 0x4f800000, v6
	v_cmp_gt_f32_e64 s[4:5], s14, v6
	s_and_b64 vcc, exec, s[0:1]
	s_nop 0
	v_cndmask_b32_e64 v6, v6, v7, s[4:5]
	v_sqrt_f32_e32 v7, v6
	s_nop 0
	v_add_u32_e32 v8, -1, v7
	v_add_u32_e32 v9, 1, v7
	v_fma_f32 v10, -v8, v7, v6
	v_fma_f32 v11, -v9, v7, v6
	v_cmp_ge_f32_e64 s[6:7], 0, v10
	s_nop 1
	v_cndmask_b32_e64 v7, v7, v8, s[6:7]
	v_cmp_lt_f32_e64 s[6:7], 0, v11
	s_nop 1
	v_cndmask_b32_e64 v7, v7, v9, s[6:7]
	v_mul_f32_e32 v8, 0x37800000, v7
	v_cndmask_b32_e64 v7, v7, v8, s[4:5]
	v_cmp_class_f32_e64 s[4:5], v6, v1
	s_nop 1
	v_cndmask_b32_e64 v1, v7, v6, s[4:5]
	s_cbranch_vccnz .LBB97_12
; %bb.11:
	global_load_dword v6, v0, s[10:11] offset:12
	s_waitcnt vmcnt(0)
	v_add_f32_e32 v1, v1, v6
.LBB97_12:
	ds_read_b32 v8, v4 offset:16
	s_mov_b32 s7, 0x3f317217
	s_mov_b32 s6, 0x41a00000
	ds_write_b32 v4, v1 offset:12
	s_waitcnt lgkmcnt(1)
	v_mul_f32_e32 v6, 0x3fb8aa3b, v8
	v_exp_f32_e32 v7, v6
	v_mov_b32_e32 v6, 0x4f800000
	v_add_f32_e32 v7, 1.0, v7
	v_cmp_gt_f32_e32 vcc, s12, v7
	s_nop 1
	v_cndmask_b32_e32 v9, 1.0, v6, vcc
	v_mul_f32_e32 v7, v7, v9
	v_log_f32_e32 v9, v7
	v_mov_b32_e32 v7, 0x41b17218
	v_cndmask_b32_e32 v10, 0, v7, vcc
	v_mul_f32_e32 v11, 0x3f317217, v9
	v_fma_f32 v11, v9, s7, -v11
	v_fmac_f32_e32 v11, 0x3377d1cf, v9
	v_fmac_f32_e32 v11, 0x3f317217, v9
	v_cmp_lt_f32_e64 vcc, |v9|, s13
	s_nop 1
	v_cndmask_b32_e32 v9, v9, v11, vcc
	v_sub_f32_e32 v9, v9, v10
	v_cmp_lt_f32_e32 vcc, s6, v8
	s_nop 1
	v_cndmask_b32_e32 v8, v9, v8, vcc
	v_mul_f32_e32 v9, 0x4f800000, v8
	v_cmp_gt_f32_e32 vcc, s14, v8
	s_nop 1
	v_cndmask_b32_e32 v8, v8, v9, vcc
	v_sqrt_f32_e32 v9, v8
	s_nop 0
	v_add_u32_e32 v1, -1, v9
	v_fma_f32 v10, -v1, v9, v8
	v_cmp_ge_f32_e64 s[4:5], 0, v10
	v_add_u32_e32 v10, 1, v9
	s_nop 0
	v_cndmask_b32_e64 v1, v9, v1, s[4:5]
	v_fma_f32 v9, -v10, v9, v8
	v_cmp_lt_f32_e64 s[4:5], 0, v9
	s_nop 1
	v_cndmask_b32_e64 v1, v1, v10, s[4:5]
	v_mul_f32_e32 v9, 0x37800000, v1
	v_cndmask_b32_e32 v9, v1, v9, vcc
	v_mov_b32_e32 v1, 0x260
	v_cmp_class_f32_e64 s[4:5], v8, v1
	s_and_b64 vcc, exec, s[0:1]
	s_nop 0
	v_cndmask_b32_e64 v8, v9, v8, s[4:5]
	s_cbranch_vccnz .LBB97_14
; %bb.13:
	global_load_dword v9, v0, s[10:11] offset:1024
	s_waitcnt vmcnt(0)
	v_add_f32_e32 v8, v8, v9
.LBB97_14:
	ds_read_b32 v9, v4 offset:20
	ds_write_b32 v4, v8 offset:16
	s_waitcnt lgkmcnt(1)
	v_mul_f32_e32 v10, 0x3fb8aa3b, v9
	v_exp_f32_e32 v10, v10
	s_nop 0
	v_add_f32_e32 v10, 1.0, v10
	v_cmp_gt_f32_e32 vcc, s12, v10
	s_nop 1
	v_cndmask_b32_e32 v6, 1.0, v6, vcc
	v_mul_f32_e32 v6, v10, v6
	v_log_f32_e32 v6, v6
	v_cndmask_b32_e32 v7, 0, v7, vcc
	v_mul_f32_e32 v10, 0x3f317217, v6
	v_fma_f32 v10, v6, s7, -v10
	v_fmac_f32_e32 v10, 0x3377d1cf, v6
	v_fmac_f32_e32 v10, 0x3f317217, v6
	v_cmp_lt_f32_e64 vcc, |v6|, s13
	s_nop 1
	v_cndmask_b32_e32 v6, v6, v10, vcc
	v_sub_f32_e32 v6, v6, v7
	v_cmp_lt_f32_e32 vcc, s6, v9
	s_nop 1
	v_cndmask_b32_e32 v6, v6, v9, vcc
	v_mul_f32_e32 v7, 0x4f800000, v6
	v_cmp_gt_f32_e64 s[4:5], s14, v6
	s_and_b64 vcc, exec, s[0:1]
	s_nop 0
	v_cndmask_b32_e64 v6, v6, v7, s[4:5]
	v_sqrt_f32_e32 v7, v6
	s_nop 0
	v_add_u32_e32 v8, -1, v7
	v_add_u32_e32 v9, 1, v7
	v_fma_f32 v10, -v8, v7, v6
	v_fma_f32 v11, -v9, v7, v6
	v_cmp_ge_f32_e64 s[6:7], 0, v10
	s_nop 1
	v_cndmask_b32_e64 v7, v7, v8, s[6:7]
	v_cmp_lt_f32_e64 s[6:7], 0, v11
	s_nop 1
	v_cndmask_b32_e64 v7, v7, v9, s[6:7]
	v_mul_f32_e32 v8, 0x37800000, v7
	v_cndmask_b32_e64 v7, v7, v8, s[4:5]
	v_cmp_class_f32_e64 s[4:5], v6, v1
	s_nop 1
	v_cndmask_b32_e64 v1, v7, v6, s[4:5]
	s_cbranch_vccnz .LBB97_16
; %bb.15:
	global_load_dword v6, v0, s[10:11] offset:1028
	s_waitcnt vmcnt(0)
	v_add_f32_e32 v1, v1, v6
.LBB97_16:
	ds_read_b32 v8, v4 offset:24
	s_mov_b32 s7, 0x3f317217
	s_mov_b32 s6, 0x41a00000
	ds_write_b32 v4, v1 offset:20
	s_waitcnt lgkmcnt(1)
	v_mul_f32_e32 v6, 0x3fb8aa3b, v8
	v_exp_f32_e32 v7, v6
	v_mov_b32_e32 v6, 0x4f800000
	v_add_f32_e32 v7, 1.0, v7
	v_cmp_gt_f32_e32 vcc, s12, v7
	s_nop 1
	v_cndmask_b32_e32 v9, 1.0, v6, vcc
	v_mul_f32_e32 v7, v7, v9
	v_log_f32_e32 v9, v7
	v_mov_b32_e32 v7, 0x41b17218
	v_cndmask_b32_e32 v10, 0, v7, vcc
	v_mul_f32_e32 v11, 0x3f317217, v9
	v_fma_f32 v11, v9, s7, -v11
	v_fmac_f32_e32 v11, 0x3377d1cf, v9
	v_fmac_f32_e32 v11, 0x3f317217, v9
	v_cmp_lt_f32_e64 vcc, |v9|, s13
	s_nop 1
	v_cndmask_b32_e32 v9, v9, v11, vcc
	v_sub_f32_e32 v9, v9, v10
	v_cmp_lt_f32_e32 vcc, s6, v8
	s_nop 1
	v_cndmask_b32_e32 v8, v9, v8, vcc
	v_mul_f32_e32 v9, 0x4f800000, v8
	v_cmp_gt_f32_e32 vcc, s14, v8
	s_nop 1
	v_cndmask_b32_e32 v8, v8, v9, vcc
	v_sqrt_f32_e32 v9, v8
	s_nop 0
	v_add_u32_e32 v1, -1, v9
	v_fma_f32 v10, -v1, v9, v8
	v_cmp_ge_f32_e64 s[4:5], 0, v10
	v_add_u32_e32 v10, 1, v9
	s_nop 0
	v_cndmask_b32_e64 v1, v9, v1, s[4:5]
	v_fma_f32 v9, -v10, v9, v8
	v_cmp_lt_f32_e64 s[4:5], 0, v9
	s_nop 1
	v_cndmask_b32_e64 v1, v1, v10, s[4:5]
	v_mul_f32_e32 v9, 0x37800000, v1
	v_cndmask_b32_e32 v9, v1, v9, vcc
	v_mov_b32_e32 v1, 0x260
	v_cmp_class_f32_e64 s[4:5], v8, v1
	s_and_b64 vcc, exec, s[0:1]
	s_nop 0
	v_cndmask_b32_e64 v8, v9, v8, s[4:5]
	s_cbranch_vccnz .LBB97_18
; %bb.17:
	global_load_dword v9, v0, s[10:11] offset:1032
	s_waitcnt vmcnt(0)
	v_add_f32_e32 v8, v8, v9
.LBB97_18:
	ds_read_b32 v9, v4 offset:28
	ds_write_b32 v4, v8 offset:24
	s_waitcnt lgkmcnt(1)
	v_mul_f32_e32 v10, 0x3fb8aa3b, v9
	v_exp_f32_e32 v10, v10
	s_nop 0
	v_add_f32_e32 v10, 1.0, v10
	v_cmp_gt_f32_e32 vcc, s12, v10
	s_nop 1
	v_cndmask_b32_e32 v6, 1.0, v6, vcc
	v_mul_f32_e32 v6, v10, v6
	v_log_f32_e32 v6, v6
	v_cndmask_b32_e32 v7, 0, v7, vcc
	v_mul_f32_e32 v10, 0x3f317217, v6
	v_fma_f32 v10, v6, s7, -v10
	v_fmac_f32_e32 v10, 0x3377d1cf, v6
	v_fmac_f32_e32 v10, 0x3f317217, v6
	v_cmp_lt_f32_e64 vcc, |v6|, s13
	s_nop 1
	v_cndmask_b32_e32 v6, v6, v10, vcc
	v_sub_f32_e32 v6, v6, v7
	v_cmp_lt_f32_e32 vcc, s6, v9
	s_nop 1
	v_cndmask_b32_e32 v6, v6, v9, vcc
	v_mul_f32_e32 v7, 0x4f800000, v6
	v_cmp_gt_f32_e64 s[4:5], s14, v6
	s_and_b64 vcc, exec, s[0:1]
	s_nop 0
	v_cndmask_b32_e64 v6, v6, v7, s[4:5]
	v_sqrt_f32_e32 v7, v6
	s_nop 0
	v_add_u32_e32 v8, -1, v7
	v_add_u32_e32 v9, 1, v7
	v_fma_f32 v10, -v8, v7, v6
	v_fma_f32 v11, -v9, v7, v6
	v_cmp_ge_f32_e64 s[6:7], 0, v10
	s_nop 1
	v_cndmask_b32_e64 v7, v7, v8, s[6:7]
	v_cmp_lt_f32_e64 s[6:7], 0, v11
	s_nop 1
	v_cndmask_b32_e64 v7, v7, v9, s[6:7]
	v_mul_f32_e32 v8, 0x37800000, v7
	v_cndmask_b32_e64 v7, v7, v8, s[4:5]
	v_cmp_class_f32_e64 s[4:5], v6, v1
	s_nop 1
	v_cndmask_b32_e64 v1, v7, v6, s[4:5]
	s_cbranch_vccnz .LBB97_20
; %bb.19:
	global_load_dword v0, v0, s[10:11] offset:1036
	s_waitcnt vmcnt(0)
	v_add_f32_e32 v1, v1, v0
.LBB97_20:
	s_load_dwordx4 s[12:15], s[2:3], 0x30
	s_mov_b32 s31, 0
	v_cmp_eq_u32_e64 s[6:7], 0, v3
	ds_write_b32 v4, v1 offset:28
	s_waitcnt lgkmcnt(0)
	s_bitcmp1_b32 s15, 0
	s_cselect_b64 s[4:5], -1, 0
	s_cmp_gt_i32 s12, 0
	s_cselect_b64 s[24:25], -1, 0
	s_and_b64 vcc, exec, s[24:25]
	s_cbranch_vccz .LBB97_53
; %bb.21:
	v_mbcnt_lo_u32_b32 v0, -1, 0
	v_mbcnt_hi_u32_b32 v0, -1, v0
	v_and_b32_e32 v1, 64, v0
	v_add_u32_e32 v1, 64, v1
	v_xor_b32_e32 v6, 32, v0
	v_cmp_lt_i32_e32 vcc, v6, v1
	s_load_dwordx4 s[16:19], s[2:3], 0x20
	v_mul_lo_u32 v7, v2, s12
	v_cndmask_b32_e32 v6, v0, v6, vcc
	v_lshlrev_b32_e32 v8, 2, v6
	v_xor_b32_e32 v6, 16, v0
	v_cmp_lt_i32_e32 vcc, v6, v1
	v_mov_b32_e32 v14, 0x100
	v_mov_b32_e32 v15, 0x101
	v_cndmask_b32_e32 v6, v0, v6, vcc
	v_lshlrev_b32_e32 v9, 2, v6
	v_xor_b32_e32 v6, 8, v0
	v_cmp_lt_i32_e32 vcc, v6, v1
	v_bfrev_b32_e32 v16, 4.0
	v_bfrev_b32_e32 v17, -4.0
	v_cndmask_b32_e32 v6, v0, v6, vcc
	v_lshlrev_b32_e32 v10, 2, v6
	v_xor_b32_e32 v6, 4, v0
	v_cmp_lt_i32_e32 vcc, v6, v1
	v_mov_b32_e32 v18, 0xc61c4000
	v_mov_b32_e32 v19, 0x200
	v_cndmask_b32_e32 v6, v0, v6, vcc
	v_lshlrev_b32_e32 v11, 2, v6
	v_xor_b32_e32 v6, 2, v0
	v_cmp_lt_i32_e32 vcc, v6, v1
	v_mov_b32_e32 v20, v2
	s_nop 0
	v_cndmask_b32_e32 v6, v0, v6, vcc
	v_lshlrev_b32_e32 v12, 2, v6
	v_xor_b32_e32 v6, 1, v0
	v_cmp_lt_i32_e32 vcc, v6, v1
	s_nop 1
	v_cndmask_b32_e32 v0, v0, v6, vcc
	v_lshlrev_b32_e32 v13, 2, v0
	v_mov_b32_e32 v6, 0
	s_branch .LBB97_23
.LBB97_22:                              ;   in Loop: Header=BB97_23 Depth=1
	s_or_b64 exec, exec, s[2:3]
	s_cmp_eq_u32 s12, s31
	v_add_u32_e32 v20, s30, v20
	s_cbranch_scc1 .LBB97_54
.LBB97_23:                              ; =>This Inner Loop Header: Depth=1
	ds_read_b128 v[22:25], v4
	ds_read_b128 v[26:29], v4 offset:16
	s_waitcnt lgkmcnt(0)
	v_cmp_gt_f32_e32 vcc, v23, v22
	s_nop 1
	v_cndmask_b32_e32 v1, v22, v23, vcc
	v_cndmask_b32_e64 v0, 0, 1, vcc
	v_cmp_gt_f32_e32 vcc, v24, v1
	s_nop 1
	v_cndmask_b32_e32 v1, v1, v24, vcc
	v_cndmask_b32_e64 v0, v0, 2, vcc
	;; [unrolled: 4-line block ×3, first 2 shown]
	v_cmp_gt_f32_e32 vcc, v26, v1
	s_nop 1
	v_cndmask_b32_e32 v1, v1, v26, vcc
	v_cndmask_b32_e32 v0, v0, v14, vcc
	v_cmp_gt_f32_e32 vcc, v27, v1
	s_nop 1
	v_cndmask_b32_e32 v1, v1, v27, vcc
	v_cndmask_b32_e32 v0, v0, v15, vcc
	;; [unrolled: 4-line block ×4, first 2 shown]
	ds_bpermute_b32 v1, v8, v21
	v_or_b32_e32 v0, v5, v0
	ds_bpermute_b32 v22, v8, v0
	s_waitcnt lgkmcnt(1)
	v_cmp_lt_f32_e64 s[26:27], v21, v1
	v_cmp_nlt_f32_e32 vcc, v21, v1
	s_and_saveexec_b64 s[28:29], vcc
	s_cbranch_execz .LBB97_25
; %bb.24:                               ;   in Loop: Header=BB97_23 Depth=1
	v_cmp_eq_f32_e32 vcc, v21, v1
	s_waitcnt lgkmcnt(0)
	v_cmp_lt_i32_e64 s[2:3], v22, v0
	s_and_b64 s[2:3], vcc, s[2:3]
	s_andn2_b64 s[26:27], s[26:27], exec
	s_and_b64 s[2:3], s[2:3], exec
	s_or_b64 s[26:27], s[26:27], s[2:3]
.LBB97_25:                              ;   in Loop: Header=BB97_23 Depth=1
	s_or_b64 exec, exec, s[28:29]
	s_and_saveexec_b64 s[2:3], s[26:27]
	s_cbranch_execz .LBB97_27
; %bb.26:                               ;   in Loop: Header=BB97_23 Depth=1
	v_mov_b32_e32 v21, v1
	s_waitcnt lgkmcnt(0)
	v_mov_b32_e32 v0, v22
.LBB97_27:                              ;   in Loop: Header=BB97_23 Depth=1
	s_or_b64 exec, exec, s[2:3]
	ds_bpermute_b32 v1, v9, v21
	s_waitcnt lgkmcnt(1)
	ds_bpermute_b32 v22, v9, v0
	s_waitcnt lgkmcnt(1)
	v_cmp_lt_f32_e64 s[26:27], v21, v1
	v_cmp_nlt_f32_e32 vcc, v21, v1
	s_and_saveexec_b64 s[28:29], vcc
	s_cbranch_execz .LBB97_29
; %bb.28:                               ;   in Loop: Header=BB97_23 Depth=1
	v_cmp_eq_f32_e32 vcc, v21, v1
	s_waitcnt lgkmcnt(0)
	v_cmp_lt_i32_e64 s[2:3], v22, v0
	s_and_b64 s[2:3], vcc, s[2:3]
	s_andn2_b64 s[26:27], s[26:27], exec
	s_and_b64 s[2:3], s[2:3], exec
	s_or_b64 s[26:27], s[26:27], s[2:3]
.LBB97_29:                              ;   in Loop: Header=BB97_23 Depth=1
	s_or_b64 exec, exec, s[28:29]
	s_and_saveexec_b64 s[2:3], s[26:27]
	s_cbranch_execz .LBB97_31
; %bb.30:                               ;   in Loop: Header=BB97_23 Depth=1
	v_mov_b32_e32 v21, v1
	s_waitcnt lgkmcnt(0)
	v_mov_b32_e32 v0, v22
.LBB97_31:                              ;   in Loop: Header=BB97_23 Depth=1
	s_or_b64 exec, exec, s[2:3]
	ds_bpermute_b32 v1, v10, v21
	s_waitcnt lgkmcnt(1)
	;; [unrolled: 26-line block ×5, first 2 shown]
	ds_bpermute_b32 v22, v13, v0
	s_waitcnt lgkmcnt(1)
	v_cmp_lt_f32_e64 s[26:27], v21, v1
	v_cmp_nlt_f32_e32 vcc, v21, v1
	s_and_saveexec_b64 s[28:29], vcc
	s_cbranch_execnz .LBB97_46
; %bb.44:                               ;   in Loop: Header=BB97_23 Depth=1
	s_or_b64 exec, exec, s[28:29]
	s_and_saveexec_b64 s[2:3], s[26:27]
	s_cbranch_execnz .LBB97_47
.LBB97_45:                              ;   in Loop: Header=BB97_23 Depth=1
	s_or_b64 exec, exec, s[2:3]
	s_and_saveexec_b64 s[26:27], s[6:7]
	s_cbranch_execnz .LBB97_48
	s_branch .LBB97_51
.LBB97_46:                              ;   in Loop: Header=BB97_23 Depth=1
	v_cmp_eq_f32_e32 vcc, v21, v1
	s_waitcnt lgkmcnt(0)
	v_cmp_lt_i32_e64 s[2:3], v22, v0
	s_and_b64 s[2:3], vcc, s[2:3]
	s_andn2_b64 s[26:27], s[26:27], exec
	s_and_b64 s[2:3], s[2:3], exec
	s_or_b64 s[26:27], s[26:27], s[2:3]
	s_or_b64 exec, exec, s[28:29]
	s_and_saveexec_b64 s[2:3], s[26:27]
	s_cbranch_execz .LBB97_45
.LBB97_47:                              ;   in Loop: Header=BB97_23 Depth=1
	s_waitcnt lgkmcnt(0)
	v_mov_b32_e32 v0, v22
	v_mov_b32_e32 v21, v1
	s_or_b64 exec, exec, s[2:3]
	s_and_saveexec_b64 s[26:27], s[6:7]
	s_cbranch_execz .LBB97_51
.LBB97_48:                              ;   in Loop: Header=BB97_23 Depth=1
	s_and_b64 vcc, exec, s[0:1]
	s_cbranch_vccnz .LBB97_50
; %bb.49:                               ;   in Loop: Header=BB97_23 Depth=1
	v_ashrrev_i32_e32 v1, 31, v0
	s_waitcnt lgkmcnt(0)
	v_lshl_add_u64 v[22:23], v[0:1], 2, s[10:11]
	global_load_dword v1, v[22:23], off
	s_waitcnt vmcnt(0)
	v_sub_f32_e32 v21, v21, v1
.LBB97_50:                              ;   in Loop: Header=BB97_23 Depth=1
	s_waitcnt lgkmcnt(0)
	v_add_u32_e32 v22, s31, v7
	v_cmp_le_i32_e32 vcc, s13, v0
	v_cmp_gt_i32_e64 s[2:3], s14, v0
	v_ashrrev_i32_e32 v23, 31, v22
	s_and_b64 s[2:3], vcc, s[2:3]
	v_lshlrev_b64 v[22:23], 2, v[22:23]
	v_lshl_add_u64 v[24:25], s[20:21], 0, v[22:23]
	v_subrev_u32_e32 v1, s13, v0
	s_and_b64 vcc, s[22:23], s[2:3]
	global_store_dword v[24:25], v21, off
	v_cndmask_b32_e32 v1, v19, v1, vcc
	v_lshl_add_u64 v[24:25], s[16:17], 0, v[22:23]
	global_store_dword v[24:25], v1, off
	v_add_f32_e32 v1, v6, v21
	v_lshl_add_u64 v[22:23], s[18:19], 0, v[22:23]
	v_cndmask_b32_e64 v6, v6, v1, s[4:5]
	global_store_dword v[22:23], v20, off
.LBB97_51:                              ;   in Loop: Header=BB97_23 Depth=1
	s_or_b64 exec, exec, s[26:27]
	v_ashrrev_i32_e32 v1, 31, v0
	v_lshrrev_b32_e32 v21, 30, v1
	s_waitcnt lgkmcnt(0)
	v_add_u32_e32 v22, v0, v21
	v_ashrrev_i32_e32 v21, 2, v22
	v_ashrrev_i32_e32 v22, 31, v22
	v_lshrrev_b32_e32 v22, 26, v22
	v_add_u32_e32 v22, v21, v22
	s_add_i32 s31, s31, 1
	v_and_b32_e32 v22, 0xffffffc0, v22
	s_cmp_lt_i32 s31, s12
	v_sub_u32_e32 v22, v21, v22
	s_cselect_b64 s[2:3], -1, 0
	v_cmp_eq_u32_e32 vcc, v3, v22
	s_and_b64 s[26:27], s[2:3], vcc
	s_and_saveexec_b64 s[2:3], s[26:27]
	s_cbranch_execz .LBB97_22
; %bb.52:                               ;   in Loop: Header=BB97_23 Depth=1
	v_add_u32_sdwa v1, v0, v1 dst_sel:DWORD dst_unused:UNUSED_PAD src0_sel:DWORD src1_sel:BYTE_3
	v_lshlrev_b32_e32 v21, 2, v21
	v_ashrrev_i32_e32 v1, 8, v1
	v_sub_u32_e32 v0, v0, v21
	v_lshl_add_u32 v0, v1, 2, v0
	v_lshl_add_u32 v0, v0, 2, v4
	ds_write_b32 v0, v18
	s_branch .LBB97_22
.LBB97_53:
	v_mov_b32_e32 v6, 0
.LBB97_54:
	v_cmp_eq_u32_e32 vcc, 0, v3
	s_and_b64 exec, exec, vcc
	s_cbranch_execz .LBB97_67
; %bb.55:
	s_andn2_b64 vcc, exec, s[4:5]
	v_cvt_f32_f64_e32 v0, s[8:9]
	s_cbranch_vccnz .LBB97_57
; %bb.56:
	v_cmp_lt_f32_e32 vcc, 0, v6
	s_nop 1
	v_cndmask_b32_e32 v1, 1.0, v6, vcc
	v_div_scale_f32 v3, s[0:1], v1, v1, v0
	v_rcp_f32_e32 v4, v3
	s_nop 0
	v_fma_f32 v5, -v3, v4, 1.0
	v_fmac_f32_e32 v4, v5, v4
	v_div_scale_f32 v5, vcc, v0, v1, v0
	v_mul_f32_e32 v6, v5, v4
	v_fma_f32 v7, -v3, v6, v5
	v_fmac_f32_e32 v6, v7, v4
	v_fma_f32 v3, -v3, v6, v5
	v_div_fmas_f32 v3, v3, v4, v6
	v_div_fixup_f32 v0, v3, v1, v0
.LBB97_57:
	s_andn2_b64 vcc, exec, s[24:25]
	s_cbranch_vccnz .LBB97_67
; %bb.58:
	v_mul_lo_u32 v2, v2, s12
	s_cmp_gt_u32 s12, 3
	v_ashrrev_i32_e32 v3, 31, v2
	s_cbranch_scc0 .LBB97_62
; %bb.59:
	s_and_b32 s0, s12, 0x7ffffffc
	v_lshl_add_u64 v[4:5], v[2:3], 2, s[20:21]
	v_mov_b32_e32 v1, v0
	v_lshl_add_u64 v[4:5], v[4:5], 0, 8
	s_mov_b32 s1, s0
.LBB97_60:                              ; =>This Inner Loop Header: Depth=1
	global_load_dwordx4 v[6:9], v[4:5], off offset:-8
	s_add_i32 s1, s1, -4
	s_cmp_lg_u32 s1, 0
	s_waitcnt vmcnt(0)
	v_pk_mul_f32 v[6:7], v[0:1], v[6:7]
	v_pk_mul_f32 v[8:9], v[0:1], v[8:9]
	global_store_dwordx4 v[4:5], v[6:9], off offset:-8
	v_lshl_add_u64 v[4:5], v[4:5], 0, 16
	s_cbranch_scc1 .LBB97_60
; %bb.61:
	s_cmp_lg_u32 s0, s12
	s_cselect_b64 s[2:3], -1, 0
	s_branch .LBB97_64
.LBB97_62:
	s_mov_b64 s[2:3], 0
                                        ; implicit-def: $sgpr0
	s_cbranch_execz .LBB97_64
; %bb.63:
	s_mov_b64 s[2:3], -1
	s_mov_b32 s0, 0
.LBB97_64:
	s_andn2_b64 vcc, exec, s[2:3]
	s_cbranch_vccnz .LBB97_67
; %bb.65:
	s_mov_b32 s1, 0
	v_lshl_add_u64 v[2:3], v[2:3], 0, s[0:1]
	s_sub_i32 s2, s12, s0
	v_lshl_add_u64 v[2:3], v[2:3], 2, s[20:21]
.LBB97_66:                              ; =>This Inner Loop Header: Depth=1
	global_load_dword v1, v[2:3], off
	s_add_i32 s2, s2, -1
	s_cmp_lg_u32 s2, 0
	s_waitcnt vmcnt(0)
	v_mul_f32_e32 v1, v0, v1
	global_store_dword v[2:3], v1, off
	v_lshl_add_u64 v[2:3], v[2:3], 0, 4
	s_cbranch_scc1 .LBB97_66
.LBB97_67:
	s_endpgm
	.section	.rodata,"a",@progbits
	.p2align	6, 0x0
	.amdhsa_kernel _ZN4vllm3moe22topkGatingSoftplusSqrtILi8ELi512ELi4ELi16ELi64ELb0EjfEEvPKT6_PKbPfiPT5_PiiiibdPKfPKS8_SE_
		.amdhsa_group_segment_fixed_size 8192
		.amdhsa_private_segment_fixed_size 0
		.amdhsa_kernarg_size 96
		.amdhsa_user_sgpr_count 4
		.amdhsa_user_sgpr_dispatch_ptr 1
		.amdhsa_user_sgpr_queue_ptr 0
		.amdhsa_user_sgpr_kernarg_segment_ptr 1
		.amdhsa_user_sgpr_dispatch_id 0
		.amdhsa_user_sgpr_kernarg_preload_length 0
		.amdhsa_user_sgpr_kernarg_preload_offset 0
		.amdhsa_user_sgpr_private_segment_size 0
		.amdhsa_uses_dynamic_stack 0
		.amdhsa_enable_private_segment 0
		.amdhsa_system_sgpr_workgroup_id_x 1
		.amdhsa_system_sgpr_workgroup_id_y 0
		.amdhsa_system_sgpr_workgroup_id_z 0
		.amdhsa_system_sgpr_workgroup_info 0
		.amdhsa_system_vgpr_workitem_id 2
		.amdhsa_next_free_vgpr 30
		.amdhsa_next_free_sgpr 32
		.amdhsa_accum_offset 32
		.amdhsa_reserve_vcc 1
		.amdhsa_float_round_mode_32 0
		.amdhsa_float_round_mode_16_64 0
		.amdhsa_float_denorm_mode_32 3
		.amdhsa_float_denorm_mode_16_64 3
		.amdhsa_dx10_clamp 1
		.amdhsa_ieee_mode 1
		.amdhsa_fp16_overflow 0
		.amdhsa_tg_split 0
		.amdhsa_exception_fp_ieee_invalid_op 0
		.amdhsa_exception_fp_denorm_src 0
		.amdhsa_exception_fp_ieee_div_zero 0
		.amdhsa_exception_fp_ieee_overflow 0
		.amdhsa_exception_fp_ieee_underflow 0
		.amdhsa_exception_fp_ieee_inexact 0
		.amdhsa_exception_int_div_zero 0
	.end_amdhsa_kernel
	.section	.text._ZN4vllm3moe22topkGatingSoftplusSqrtILi8ELi512ELi4ELi16ELi64ELb0EjfEEvPKT6_PKbPfiPT5_PiiiibdPKfPKS8_SE_,"axG",@progbits,_ZN4vllm3moe22topkGatingSoftplusSqrtILi8ELi512ELi4ELi16ELi64ELb0EjfEEvPKT6_PKbPfiPT5_PiiiibdPKfPKS8_SE_,comdat
.Lfunc_end97:
	.size	_ZN4vllm3moe22topkGatingSoftplusSqrtILi8ELi512ELi4ELi16ELi64ELb0EjfEEvPKT6_PKbPfiPT5_PiiiibdPKfPKS8_SE_, .Lfunc_end97-_ZN4vllm3moe22topkGatingSoftplusSqrtILi8ELi512ELi4ELi16ELi64ELb0EjfEEvPKT6_PKbPfiPT5_PiiiibdPKfPKS8_SE_
                                        ; -- End function
	.section	.AMDGPU.csdata,"",@progbits
; Kernel info:
; codeLenInByte = 4428
; NumSgprs: 38
; NumVgprs: 30
; NumAgprs: 0
; TotalNumVgprs: 30
; ScratchSize: 0
; MemoryBound: 0
; FloatMode: 240
; IeeeMode: 1
; LDSByteSize: 8192 bytes/workgroup (compile time only)
; SGPRBlocks: 4
; VGPRBlocks: 3
; NumSGPRsForWavesPerEU: 38
; NumVGPRsForWavesPerEU: 30
; AccumOffset: 32
; Occupancy: 8
; WaveLimiterHint : 0
; COMPUTE_PGM_RSRC2:SCRATCH_EN: 0
; COMPUTE_PGM_RSRC2:USER_SGPR: 4
; COMPUTE_PGM_RSRC2:TRAP_HANDLER: 0
; COMPUTE_PGM_RSRC2:TGID_X_EN: 1
; COMPUTE_PGM_RSRC2:TGID_Y_EN: 0
; COMPUTE_PGM_RSRC2:TGID_Z_EN: 0
; COMPUTE_PGM_RSRC2:TIDIG_COMP_CNT: 2
; COMPUTE_PGM_RSRC3_GFX90A:ACCUM_OFFSET: 7
; COMPUTE_PGM_RSRC3_GFX90A:TG_SPLIT: 0
	.section	.text._ZN4vllm3moe22topkGatingSoftplusSqrtILi16ELi512ELi4ELi16ELi32ELb1EjfEEvPKT6_PKbPfiPT5_PiiiibdPKfPKS8_SE_,"axG",@progbits,_ZN4vllm3moe22topkGatingSoftplusSqrtILi16ELi512ELi4ELi16ELi32ELb1EjfEEvPKT6_PKbPfiPT5_PiiiibdPKfPKS8_SE_,comdat
	.protected	_ZN4vllm3moe22topkGatingSoftplusSqrtILi16ELi512ELi4ELi16ELi32ELb1EjfEEvPKT6_PKbPfiPT5_PiiiibdPKfPKS8_SE_ ; -- Begin function _ZN4vllm3moe22topkGatingSoftplusSqrtILi16ELi512ELi4ELi16ELi32ELb1EjfEEvPKT6_PKbPfiPT5_PiiiibdPKfPKS8_SE_
	.globl	_ZN4vllm3moe22topkGatingSoftplusSqrtILi16ELi512ELi4ELi16ELi32ELb1EjfEEvPKT6_PKbPfiPT5_PiiiibdPKfPKS8_SE_
	.p2align	8
	.type	_ZN4vllm3moe22topkGatingSoftplusSqrtILi16ELi512ELi4ELi16ELi32ELb1EjfEEvPKT6_PKbPfiPT5_PiiiibdPKfPKS8_SE_,@function
_ZN4vllm3moe22topkGatingSoftplusSqrtILi16ELi512ELi4ELi16ELi32ELb1EjfEEvPKT6_PKbPfiPT5_PiiiibdPKfPKS8_SE_: ; @_ZN4vllm3moe22topkGatingSoftplusSqrtILi16ELi512ELi4ELi16ELi32ELb1EjfEEvPKT6_PKbPfiPT5_PiiiibdPKfPKS8_SE_
; %bb.0:
	s_load_dword s3, s[0:1], 0x18
	v_and_b32_e32 v1, 0x3ff, v0
	s_lshl_b32 s2, s2, 2
	v_lshrrev_b32_e32 v2, 5, v1
	v_bfe_u32 v0, v0, 10, 10
	v_add3_u32 v14, s2, v0, v2
	s_waitcnt lgkmcnt(0)
	v_cmp_gt_i32_e32 vcc, s3, v14
	s_and_saveexec_b64 s[2:3], vcc
	s_cbranch_execz .LBB98_68
; %bb.1:
	s_load_dwordx2 s[2:3], s[0:1], 0x0
	s_load_dword s33, s[0:1], 0x30
	v_lshlrev_b32_e32 v0, 9, v14
	v_lshlrev_b32_e32 v2, 2, v1
	v_ashrrev_i32_e32 v1, 31, v0
	v_and_b32_e32 v18, 0x7c, v2
	s_waitcnt lgkmcnt(0)
	v_lshl_add_u64 v[0:1], v[0:1], 2, s[2:3]
	v_lshlrev_b32_e32 v12, 2, v18
	v_mov_b32_e32 v13, 0
	v_lshl_add_u64 v[26:27], v[0:1], 0, v[12:13]
	global_load_dwordx4 v[22:25], v[26:27], off
	global_load_dwordx4 v[8:11], v[26:27], off offset:512
	s_load_dwordx4 s[4:7], s[0:1], 0x50
	v_ashrrev_i32_e32 v15, 31, v14
	s_mov_b32 s13, 0x800000
	v_mov_b32_e32 v21, 0x4f800000
	s_mov_b32 s11, 0x3f317217
	s_waitcnt lgkmcnt(0)
	v_mov_b32_e32 v0, s4
	v_mov_b32_e32 v1, s5
	v_lshl_add_u64 v[0:1], v[14:15], 2, v[0:1]
	global_load_dword v12, v[0:1], off
	v_mov_b32_e32 v16, s6
	v_mov_b32_e32 v17, s7
	s_mov_b32 s12, 0x7f800000
	v_mov_b32_e32 v20, 0x41b17218
	s_mov_b32 s9, 0x41a00000
	s_mov_b32 s10, 0xf800000
	v_mov_b32_e32 v19, 0x260
	s_cmp_gt_i32 s33, 0
	v_mov_b32_e32 v15, 0
	s_mov_b32 s8, 0
	s_waitcnt vmcnt(2)
	v_mul_f32_e32 v0, 0x3fb8aa3b, v22
	v_mul_f32_e32 v1, 0x3fb8aa3b, v23
	v_exp_f32_e32 v28, v0
	v_exp_f32_e32 v29, v1
	v_mul_f32_e32 v2, 0x3fb8aa3b, v24
	v_mul_f32_e32 v3, 0x3fb8aa3b, v25
	v_exp_f32_e32 v30, v2
	v_exp_f32_e32 v31, v3
	global_load_dwordx4 v[4:7], v[26:27], off offset:1024
	global_load_dwordx4 v[0:3], v[26:27], off offset:1536
	v_pk_add_f32 v[26:27], v[28:29], 1.0 op_sel_hi:[1,0]
	s_waitcnt vmcnt(2)
	v_mul_lo_u32 v12, v12, s33
	v_cmp_gt_f32_e32 vcc, s13, v27
	v_pk_add_f32 v[28:29], v[30:31], 1.0 op_sel_hi:[1,0]
	v_cmp_gt_f32_e64 s[2:3], s13, v26
	v_cndmask_b32_e32 v30, 1.0, v21, vcc
	v_cmp_gt_f32_e64 s[4:5], s13, v29
	v_cndmask_b32_e64 v31, 1.0, v21, s[2:3]
	v_mul_f32_e32 v27, v27, v30
	v_cndmask_b32_e64 v32, 1.0, v21, s[4:5]
	v_mul_f32_e32 v26, v26, v31
	v_log_f32_e32 v27, v27
	v_mul_f32_e32 v29, v29, v32
	v_log_f32_e32 v26, v26
	v_cmp_gt_f32_e64 s[6:7], s13, v28
	v_log_f32_e32 v29, v29
	v_cndmask_b32_e32 v30, 0, v20, vcc
	v_cndmask_b32_e64 v33, 1.0, v21, s[6:7]
	v_mul_f32_e32 v28, v28, v33
	v_mul_f32_e32 v33, 0x3f317217, v27
	;; [unrolled: 1-line block ×3, first 2 shown]
	v_fma_f32 v33, v27, s11, -v33
	v_mul_f32_e32 v35, 0x3f317217, v29
	v_fma_f32 v34, v26, s11, -v34
	v_fmac_f32_e32 v33, 0x3377d1cf, v27
	v_fma_f32 v35, v29, s11, -v35
	v_fmac_f32_e32 v34, 0x3377d1cf, v26
	v_fmac_f32_e32 v33, 0x3f317217, v27
	v_cmp_lt_f32_e64 vcc, |v27|, s12
	v_fmac_f32_e32 v35, 0x3377d1cf, v29
	v_fmac_f32_e32 v34, 0x3f317217, v26
	v_cndmask_b32_e32 v27, v27, v33, vcc
	v_cmp_lt_f32_e64 vcc, |v26|, s12
	v_cndmask_b32_e64 v31, 0, v20, s[2:3]
	v_fmac_f32_e32 v35, 0x3f317217, v29
	v_cndmask_b32_e32 v26, v26, v34, vcc
	v_cmp_lt_f32_e64 vcc, |v29|, s12
	v_sub_f32_e32 v26, v26, v31
	v_sub_f32_e32 v27, v27, v30
	v_cndmask_b32_e32 v29, v29, v35, vcc
	v_cmp_lt_f32_e32 vcc, s9, v22
	v_cndmask_b32_e64 v32, 0, v20, s[4:5]
	v_sub_f32_e32 v29, v29, v32
	v_cndmask_b32_e32 v22, v26, v22, vcc
	v_cmp_lt_f32_e32 vcc, s9, v23
	v_cmp_gt_f32_e64 s[2:3], s10, v22
	v_log_f32_e32 v28, v28
	v_cndmask_b32_e32 v23, v27, v23, vcc
	v_mul_f32_e32 v26, 0x4f800000, v23
	v_cmp_gt_f32_e32 vcc, s10, v23
	v_mul_f32_e32 v27, 0x4f800000, v22
	v_cndmask_b32_e64 v22, v22, v27, s[2:3]
	v_cndmask_b32_e32 v23, v23, v26, vcc
	v_sqrt_f32_e32 v26, v23
	v_sqrt_f32_e32 v27, v22
	v_add_u32_e32 v30, -1, v26
	v_add_u32_e32 v32, -1, v27
	v_fma_f32 v34, -v30, v26, v23
	v_add_u32_e32 v31, 1, v26
	v_fma_f32 v36, -v32, v27, v22
	v_cmp_ge_f32_e64 s[4:5], 0, v34
	v_add_u32_e32 v33, 1, v27
	v_fma_f32 v35, -v31, v26, v23
	v_cndmask_b32_e64 v26, v26, v30, s[4:5]
	v_cmp_ge_f32_e64 s[4:5], 0, v36
	v_fma_f32 v37, -v33, v27, v22
	s_nop 0
	v_cndmask_b32_e64 v27, v27, v32, s[4:5]
	v_cmp_lt_f32_e64 s[4:5], 0, v35
	s_nop 1
	v_cndmask_b32_e64 v26, v26, v31, s[4:5]
	v_mul_f32_e32 v30, 0x37800000, v26
	v_cmp_lt_f32_e64 s[4:5], 0, v37
	v_cndmask_b32_e32 v26, v26, v30, vcc
	v_cmp_class_f32_e32 vcc, v23, v19
	v_cndmask_b32_e64 v27, v27, v33, s[4:5]
	v_mul_f32_e32 v31, 0x37800000, v27
	v_cndmask_b32_e32 v23, v26, v23, vcc
	v_mul_f32_e32 v26, 0x3f317217, v28
	v_fma_f32 v26, v28, s11, -v26
	v_cndmask_b32_e64 v27, v27, v31, s[2:3]
	v_cmp_class_f32_e32 vcc, v22, v19
	v_fmac_f32_e32 v26, 0x3377d1cf, v28
	v_fmac_f32_e32 v26, 0x3f317217, v28
	v_cndmask_b32_e32 v22, v27, v22, vcc
	v_cmp_lt_f32_e64 vcc, |v28|, s12
	v_cndmask_b32_e64 v27, 0, v20, s[6:7]
	v_cmp_lt_f32_e64 s[2:3], s9, v24
	v_cndmask_b32_e32 v26, v28, v26, vcc
	v_cmp_lt_f32_e32 vcc, s9, v25
	v_sub_f32_e32 v26, v26, v27
	v_cndmask_b32_e64 v24, v26, v24, s[2:3]
	v_cndmask_b32_e32 v25, v29, v25, vcc
	v_mul_f32_e32 v28, 0x4f800000, v25
	v_cmp_gt_f32_e32 vcc, s10, v25
	s_nop 1
	v_cndmask_b32_e32 v25, v25, v28, vcc
	v_sqrt_f32_e32 v28, v25
	s_nop 0
	v_add_u32_e32 v26, -1, v28
	v_fma_f32 v27, -v26, v28, v25
	v_cmp_ge_f32_e64 s[2:3], 0, v27
	v_add_u32_e32 v27, 1, v28
	s_nop 0
	v_cndmask_b32_e64 v26, v28, v26, s[2:3]
	v_fma_f32 v28, -v27, v28, v25
	v_cmp_lt_f32_e64 s[2:3], 0, v28
	v_mul_f32_e32 v28, 0x4f800000, v24
	s_nop 0
	v_cndmask_b32_e64 v26, v26, v27, s[2:3]
	v_cmp_gt_f32_e64 s[2:3], s10, v24
	v_mul_f32_e32 v27, 0x37800000, v26
	v_cndmask_b32_e32 v26, v26, v27, vcc
	v_cndmask_b32_e64 v24, v24, v28, s[2:3]
	v_sqrt_f32_e32 v28, v24
	v_cmp_class_f32_e32 vcc, v25, v19
	v_add_u32_e32 v30, 1, v28
	s_nop 0
	v_cndmask_b32_e32 v25, v26, v25, vcc
	v_add_u32_e32 v26, -1, v28
	v_fma_f32 v27, -v26, v28, v24
	v_cmp_ge_f32_e32 vcc, 0, v27
	v_mul_f32_e32 v27, 0x3fb8aa3b, v9
	v_exp_f32_e32 v27, v27
	v_cndmask_b32_e32 v29, v28, v26, vcc
	v_mul_f32_e32 v26, 0x3fb8aa3b, v8
	v_exp_f32_e32 v26, v26
	v_fma_f32 v28, -v30, v28, v24
	v_cmp_lt_f32_e32 vcc, 0, v28
	v_pk_add_f32 v[26:27], v[26:27], 1.0 op_sel_hi:[1,0]
	s_nop 0
	v_cndmask_b32_e32 v28, v29, v30, vcc
	v_mul_f32_e32 v29, 0x37800000, v28
	v_cmp_gt_f32_e32 vcc, s13, v27
	v_cndmask_b32_e64 v28, v28, v29, s[2:3]
	v_cmp_class_f32_e64 s[2:3], v24, v19
	v_cndmask_b32_e32 v29, 1.0, v21, vcc
	v_mul_f32_e32 v27, v27, v29
	v_log_f32_e32 v27, v27
	v_cndmask_b32_e64 v24, v28, v24, s[2:3]
	v_cmp_gt_f32_e64 s[2:3], s13, v26
	scratch_store_dwordx4 off, v[22:25], off
	v_cmp_lt_f32_e64 s[4:5], |v27|, s12
	s_nop 0
	v_cndmask_b32_e64 v23, 1.0, v21, s[2:3]
	v_mul_f32_e32 v22, 0x3f317217, v27
	v_mul_f32_e32 v23, v26, v23
	v_fma_f32 v22, v27, s11, -v22
	v_log_f32_e32 v23, v23
	v_fmac_f32_e32 v22, 0x3377d1cf, v27
	v_fmac_f32_e32 v22, 0x3f317217, v27
	v_cndmask_b32_e64 v22, v27, v22, s[4:5]
	v_cndmask_b32_e32 v24, 0, v20, vcc
	v_sub_f32_e32 v22, v22, v24
	v_mul_f32_e32 v24, 0x3f317217, v23
	v_fma_f32 v24, v23, s11, -v24
	v_fmac_f32_e32 v24, 0x3377d1cf, v23
	v_fmac_f32_e32 v24, 0x3f317217, v23
	v_cmp_lt_f32_e64 vcc, |v23|, s12
	s_nop 1
	v_cndmask_b32_e32 v23, v23, v24, vcc
	v_cmp_lt_f32_e32 vcc, s9, v9
	v_cndmask_b32_e64 v24, 0, v20, s[2:3]
	v_sub_f32_e32 v23, v23, v24
	v_cndmask_b32_e32 v9, v22, v9, vcc
	v_mul_f32_e32 v22, 0x4f800000, v9
	v_cmp_gt_f32_e32 vcc, s10, v9
	v_cmp_lt_f32_e64 s[2:3], s9, v8
	s_nop 0
	v_cndmask_b32_e32 v9, v9, v22, vcc
	v_sqrt_f32_e32 v22, v9
	v_cndmask_b32_e64 v8, v23, v8, s[2:3]
	v_add_u32_e32 v23, -1, v22
	v_fma_f32 v24, -v23, v22, v9
	v_cmp_ge_f32_e64 s[2:3], 0, v24
	v_add_u32_e32 v24, 1, v22
	s_nop 0
	v_cndmask_b32_e64 v23, v22, v23, s[2:3]
	v_fma_f32 v22, -v24, v22, v9
	v_cmp_lt_f32_e64 s[2:3], 0, v22
	s_nop 1
	v_cndmask_b32_e64 v22, v23, v24, s[2:3]
	v_mul_f32_e32 v24, 0x4f800000, v8
	v_cmp_gt_f32_e64 s[2:3], s10, v8
	v_mul_f32_e32 v23, 0x37800000, v22
	v_cndmask_b32_e32 v22, v22, v23, vcc
	v_cndmask_b32_e64 v8, v8, v24, s[2:3]
	v_sqrt_f32_e32 v24, v8
	v_cmp_class_f32_e32 vcc, v9, v19
	v_add_u32_e32 v26, 1, v24
	s_nop 0
	v_cndmask_b32_e32 v9, v22, v9, vcc
	v_add_u32_e32 v22, -1, v24
	v_fma_f32 v23, -v22, v24, v8
	v_cmp_ge_f32_e32 vcc, 0, v23
	v_mul_f32_e32 v23, 0x3fb8aa3b, v11
	v_exp_f32_e32 v23, v23
	v_cndmask_b32_e32 v25, v24, v22, vcc
	v_mul_f32_e32 v22, 0x3fb8aa3b, v10
	v_exp_f32_e32 v22, v22
	v_fma_f32 v24, -v26, v24, v8
	v_cmp_lt_f32_e32 vcc, 0, v24
	v_pk_add_f32 v[22:23], v[22:23], 1.0 op_sel_hi:[1,0]
	s_nop 0
	v_cndmask_b32_e32 v24, v25, v26, vcc
	v_cmp_gt_f32_e32 vcc, s13, v23
	v_mul_f32_e32 v25, 0x37800000, v24
	v_cndmask_b32_e64 v24, v24, v25, s[2:3]
	v_cndmask_b32_e32 v26, 1.0, v21, vcc
	v_mul_f32_e32 v23, v23, v26
	v_log_f32_e32 v23, v23
	v_cmp_class_f32_e64 s[2:3], v8, v19
	v_cmp_lt_f32_e64 s[4:5], |v23|, s12
	s_nop 0
	v_cndmask_b32_e64 v8, v24, v8, s[2:3]
	v_cmp_gt_f32_e64 s[2:3], s13, v22
	v_mul_f32_e32 v24, 0x3f317217, v23
	v_fma_f32 v24, v23, s11, -v24
	v_cndmask_b32_e64 v25, 1.0, v21, s[2:3]
	v_mul_f32_e32 v22, v22, v25
	v_log_f32_e32 v22, v22
	v_fmac_f32_e32 v24, 0x3377d1cf, v23
	v_fmac_f32_e32 v24, 0x3f317217, v23
	v_cndmask_b32_e64 v23, v23, v24, s[4:5]
	v_cndmask_b32_e32 v24, 0, v20, vcc
	v_sub_f32_e32 v23, v23, v24
	v_mul_f32_e32 v24, 0x3f317217, v22
	v_fma_f32 v24, v22, s11, -v24
	v_fmac_f32_e32 v24, 0x3377d1cf, v22
	v_fmac_f32_e32 v24, 0x3f317217, v22
	v_cmp_lt_f32_e64 vcc, |v22|, s12
	s_nop 1
	v_cndmask_b32_e32 v22, v22, v24, vcc
	v_cmp_lt_f32_e32 vcc, s9, v11
	v_cndmask_b32_e64 v24, 0, v20, s[2:3]
	v_sub_f32_e32 v22, v22, v24
	v_cndmask_b32_e32 v11, v23, v11, vcc
	v_mul_f32_e32 v23, 0x4f800000, v11
	v_cmp_gt_f32_e32 vcc, s10, v11
	v_cmp_lt_f32_e64 s[2:3], s9, v10
	s_nop 0
	v_cndmask_b32_e32 v11, v11, v23, vcc
	v_sqrt_f32_e32 v23, v11
	v_cndmask_b32_e64 v10, v22, v10, s[2:3]
	v_add_u32_e32 v22, -1, v23
	v_fma_f32 v24, -v22, v23, v11
	v_cmp_ge_f32_e64 s[2:3], 0, v24
	v_add_u32_e32 v24, 1, v23
	s_nop 0
	v_cndmask_b32_e64 v22, v23, v22, s[2:3]
	v_fma_f32 v23, -v24, v23, v11
	v_cmp_lt_f32_e64 s[2:3], 0, v23
	s_nop 1
	v_cndmask_b32_e64 v22, v22, v24, s[2:3]
	v_mul_f32_e32 v24, 0x4f800000, v10
	v_cmp_gt_f32_e64 s[2:3], s10, v10
	v_mul_f32_e32 v23, 0x37800000, v22
	v_cndmask_b32_e32 v22, v22, v23, vcc
	v_cndmask_b32_e64 v10, v10, v24, s[2:3]
	v_sqrt_f32_e32 v24, v10
	v_cmp_class_f32_e32 vcc, v11, v19
	v_add_u32_e32 v26, 1, v24
	s_nop 0
	v_cndmask_b32_e32 v11, v22, v11, vcc
	v_add_u32_e32 v22, -1, v24
	v_fma_f32 v23, -v22, v24, v10
	v_cmp_ge_f32_e32 vcc, 0, v23
	s_waitcnt vmcnt(2)
	v_mul_f32_e32 v23, 0x3fb8aa3b, v5
	v_exp_f32_e32 v23, v23
	v_cndmask_b32_e32 v25, v24, v22, vcc
	v_mul_f32_e32 v22, 0x3fb8aa3b, v4
	v_exp_f32_e32 v22, v22
	v_fma_f32 v24, -v26, v24, v10
	v_cmp_lt_f32_e32 vcc, 0, v24
	v_pk_add_f32 v[22:23], v[22:23], 1.0 op_sel_hi:[1,0]
	s_nop 0
	v_cndmask_b32_e32 v24, v25, v26, vcc
	v_mul_f32_e32 v25, 0x37800000, v24
	v_cmp_gt_f32_e32 vcc, s13, v23
	v_cndmask_b32_e64 v24, v24, v25, s[2:3]
	v_cmp_class_f32_e64 s[2:3], v10, v19
	v_cndmask_b32_e32 v25, 1.0, v21, vcc
	v_mul_f32_e32 v23, v23, v25
	v_log_f32_e32 v23, v23
	v_cndmask_b32_e64 v10, v24, v10, s[2:3]
	v_cmp_gt_f32_e64 s[2:3], s13, v22
	scratch_store_dwordx4 off, v[8:11], off offset:16
	v_cmp_lt_f32_e64 s[4:5], |v23|, s12
	s_nop 0
	v_cndmask_b32_e64 v9, 1.0, v21, s[2:3]
	v_mul_f32_e32 v8, 0x3f317217, v23
	v_mul_f32_e32 v9, v22, v9
	v_fma_f32 v8, v23, s11, -v8
	v_log_f32_e32 v9, v9
	v_fmac_f32_e32 v8, 0x3377d1cf, v23
	v_fmac_f32_e32 v8, 0x3f317217, v23
	v_cndmask_b32_e64 v8, v23, v8, s[4:5]
	v_cndmask_b32_e32 v10, 0, v20, vcc
	v_sub_f32_e32 v8, v8, v10
	v_mul_f32_e32 v10, 0x3f317217, v9
	v_fma_f32 v10, v9, s11, -v10
	v_fmac_f32_e32 v10, 0x3377d1cf, v9
	v_fmac_f32_e32 v10, 0x3f317217, v9
	v_cmp_lt_f32_e64 vcc, |v9|, s12
	s_nop 1
	v_cndmask_b32_e32 v9, v9, v10, vcc
	v_cmp_lt_f32_e32 vcc, s9, v5
	v_cndmask_b32_e64 v10, 0, v20, s[2:3]
	v_sub_f32_e32 v9, v9, v10
	v_cndmask_b32_e32 v5, v8, v5, vcc
	v_mul_f32_e32 v8, 0x4f800000, v5
	v_cmp_gt_f32_e32 vcc, s10, v5
	v_cmp_lt_f32_e64 s[2:3], s9, v4
	s_nop 0
	v_cndmask_b32_e32 v5, v5, v8, vcc
	v_sqrt_f32_e32 v8, v5
	v_cndmask_b32_e64 v4, v9, v4, s[2:3]
	v_add_u32_e32 v9, -1, v8
	v_fma_f32 v10, -v9, v8, v5
	v_cmp_ge_f32_e64 s[2:3], 0, v10
	v_add_u32_e32 v10, 1, v8
	s_nop 0
	v_cndmask_b32_e64 v9, v8, v9, s[2:3]
	v_fma_f32 v8, -v10, v8, v5
	v_cmp_lt_f32_e64 s[2:3], 0, v8
	s_nop 1
	v_cndmask_b32_e64 v8, v9, v10, s[2:3]
	v_mul_f32_e32 v10, 0x4f800000, v4
	v_cmp_gt_f32_e64 s[2:3], s10, v4
	v_mul_f32_e32 v9, 0x37800000, v8
	v_cndmask_b32_e32 v8, v8, v9, vcc
	v_cndmask_b32_e64 v4, v4, v10, s[2:3]
	v_sqrt_f32_e32 v10, v4
	v_cmp_class_f32_e32 vcc, v5, v19
	v_add_u32_e32 v22, 1, v10
	s_nop 0
	v_cndmask_b32_e32 v5, v8, v5, vcc
	v_add_u32_e32 v8, -1, v10
	v_fma_f32 v9, -v8, v10, v4
	v_cmp_ge_f32_e32 vcc, 0, v9
	v_mul_f32_e32 v9, 0x3fb8aa3b, v7
	v_exp_f32_e32 v9, v9
	v_cndmask_b32_e32 v11, v10, v8, vcc
	v_mul_f32_e32 v8, 0x3fb8aa3b, v6
	v_exp_f32_e32 v8, v8
	v_fma_f32 v10, -v22, v10, v4
	v_cmp_lt_f32_e32 vcc, 0, v10
	v_pk_add_f32 v[8:9], v[8:9], 1.0 op_sel_hi:[1,0]
	s_nop 0
	v_cndmask_b32_e32 v10, v11, v22, vcc
	v_cmp_gt_f32_e32 vcc, s13, v9
	v_mul_f32_e32 v11, 0x37800000, v10
	v_cndmask_b32_e64 v10, v10, v11, s[2:3]
	v_cndmask_b32_e32 v22, 1.0, v21, vcc
	v_mul_f32_e32 v9, v9, v22
	v_log_f32_e32 v9, v9
	v_cmp_class_f32_e64 s[2:3], v4, v19
	v_cmp_lt_f32_e64 s[4:5], |v9|, s12
	s_nop 0
	v_cndmask_b32_e64 v4, v10, v4, s[2:3]
	v_cmp_gt_f32_e64 s[2:3], s13, v8
	v_mul_f32_e32 v10, 0x3f317217, v9
	v_fma_f32 v10, v9, s11, -v10
	v_cndmask_b32_e64 v11, 1.0, v21, s[2:3]
	v_mul_f32_e32 v8, v8, v11
	v_log_f32_e32 v8, v8
	v_fmac_f32_e32 v10, 0x3377d1cf, v9
	v_fmac_f32_e32 v10, 0x3f317217, v9
	v_cndmask_b32_e64 v9, v9, v10, s[4:5]
	v_cndmask_b32_e32 v10, 0, v20, vcc
	v_sub_f32_e32 v9, v9, v10
	v_mul_f32_e32 v10, 0x3f317217, v8
	v_fma_f32 v10, v8, s11, -v10
	v_fmac_f32_e32 v10, 0x3377d1cf, v8
	v_fmac_f32_e32 v10, 0x3f317217, v8
	v_cmp_lt_f32_e64 vcc, |v8|, s12
	s_nop 1
	v_cndmask_b32_e32 v8, v8, v10, vcc
	v_cmp_lt_f32_e32 vcc, s9, v7
	v_cndmask_b32_e64 v10, 0, v20, s[2:3]
	v_sub_f32_e32 v8, v8, v10
	v_cndmask_b32_e32 v7, v9, v7, vcc
	v_mul_f32_e32 v9, 0x4f800000, v7
	v_cmp_gt_f32_e32 vcc, s10, v7
	v_cmp_lt_f32_e64 s[2:3], s9, v6
	s_nop 0
	v_cndmask_b32_e32 v7, v7, v9, vcc
	v_sqrt_f32_e32 v9, v7
	v_cndmask_b32_e64 v6, v8, v6, s[2:3]
	v_add_u32_e32 v8, -1, v9
	v_fma_f32 v10, -v8, v9, v7
	v_cmp_ge_f32_e64 s[2:3], 0, v10
	v_add_u32_e32 v10, 1, v9
	s_nop 0
	v_cndmask_b32_e64 v8, v9, v8, s[2:3]
	v_fma_f32 v9, -v10, v9, v7
	v_cmp_lt_f32_e64 s[2:3], 0, v9
	s_nop 1
	v_cndmask_b32_e64 v8, v8, v10, s[2:3]
	v_mul_f32_e32 v10, 0x4f800000, v6
	v_cmp_gt_f32_e64 s[2:3], s10, v6
	v_mul_f32_e32 v9, 0x37800000, v8
	v_cndmask_b32_e32 v8, v8, v9, vcc
	v_cndmask_b32_e64 v6, v6, v10, s[2:3]
	v_sqrt_f32_e32 v10, v6
	v_cmp_class_f32_e32 vcc, v7, v19
	v_add_u32_e32 v22, 1, v10
	s_nop 0
	v_cndmask_b32_e32 v7, v8, v7, vcc
	v_add_u32_e32 v8, -1, v10
	v_fma_f32 v9, -v8, v10, v6
	v_cmp_ge_f32_e32 vcc, 0, v9
	s_waitcnt vmcnt(2)
	v_mul_f32_e32 v9, 0x3fb8aa3b, v1
	v_exp_f32_e32 v9, v9
	v_cndmask_b32_e32 v11, v10, v8, vcc
	v_mul_f32_e32 v8, 0x3fb8aa3b, v0
	v_exp_f32_e32 v8, v8
	v_fma_f32 v10, -v22, v10, v6
	v_cmp_lt_f32_e32 vcc, 0, v10
	v_pk_add_f32 v[8:9], v[8:9], 1.0 op_sel_hi:[1,0]
	s_nop 0
	v_cndmask_b32_e32 v10, v11, v22, vcc
	v_mul_f32_e32 v11, 0x37800000, v10
	v_cmp_gt_f32_e32 vcc, s13, v9
	v_cndmask_b32_e64 v10, v10, v11, s[2:3]
	v_cmp_class_f32_e64 s[2:3], v6, v19
	v_cndmask_b32_e32 v11, 1.0, v21, vcc
	v_mul_f32_e32 v9, v9, v11
	v_log_f32_e32 v9, v9
	v_cndmask_b32_e64 v6, v10, v6, s[2:3]
	v_cmp_gt_f32_e64 s[2:3], s13, v8
	scratch_store_dwordx4 off, v[4:7], off offset:32
	v_cmp_lt_f32_e64 s[4:5], |v9|, s12
	s_nop 0
	v_cndmask_b32_e64 v5, 1.0, v21, s[2:3]
	v_mul_f32_e32 v4, 0x3f317217, v9
	v_mul_f32_e32 v5, v8, v5
	v_fma_f32 v4, v9, s11, -v4
	v_log_f32_e32 v5, v5
	v_fmac_f32_e32 v4, 0x3377d1cf, v9
	v_fmac_f32_e32 v4, 0x3f317217, v9
	v_cndmask_b32_e64 v4, v9, v4, s[4:5]
	v_cndmask_b32_e32 v6, 0, v20, vcc
	v_sub_f32_e32 v4, v4, v6
	v_mul_f32_e32 v6, 0x3f317217, v5
	v_fma_f32 v6, v5, s11, -v6
	v_fmac_f32_e32 v6, 0x3377d1cf, v5
	v_fmac_f32_e32 v6, 0x3f317217, v5
	v_cmp_lt_f32_e64 vcc, |v5|, s12
	s_nop 1
	v_cndmask_b32_e32 v5, v5, v6, vcc
	v_cmp_lt_f32_e32 vcc, s9, v1
	v_cndmask_b32_e64 v6, 0, v20, s[2:3]
	v_sub_f32_e32 v5, v5, v6
	v_cndmask_b32_e32 v1, v4, v1, vcc
	v_mul_f32_e32 v4, 0x4f800000, v1
	v_cmp_gt_f32_e32 vcc, s10, v1
	v_cmp_lt_f32_e64 s[2:3], s9, v0
	s_nop 0
	v_cndmask_b32_e32 v1, v1, v4, vcc
	v_sqrt_f32_e32 v4, v1
	v_cndmask_b32_e64 v0, v5, v0, s[2:3]
	v_add_u32_e32 v5, -1, v4
	v_fma_f32 v6, -v5, v4, v1
	v_cmp_ge_f32_e64 s[2:3], 0, v6
	v_add_u32_e32 v6, 1, v4
	s_nop 0
	v_cndmask_b32_e64 v5, v4, v5, s[2:3]
	v_fma_f32 v4, -v6, v4, v1
	v_cmp_lt_f32_e64 s[2:3], 0, v4
	s_nop 1
	v_cndmask_b32_e64 v4, v5, v6, s[2:3]
	v_mul_f32_e32 v6, 0x4f800000, v0
	v_cmp_gt_f32_e64 s[2:3], s10, v0
	v_mul_f32_e32 v5, 0x37800000, v4
	v_cndmask_b32_e32 v4, v4, v5, vcc
	v_cndmask_b32_e64 v0, v0, v6, s[2:3]
	v_sqrt_f32_e32 v6, v0
	v_cmp_class_f32_e32 vcc, v1, v19
	v_add_u32_e32 v8, 1, v6
	s_nop 0
	v_cndmask_b32_e32 v1, v4, v1, vcc
	v_add_u32_e32 v4, -1, v6
	v_fma_f32 v5, -v4, v6, v0
	v_cmp_ge_f32_e32 vcc, 0, v5
	v_mul_f32_e32 v5, 0x3fb8aa3b, v3
	v_exp_f32_e32 v5, v5
	v_cndmask_b32_e32 v7, v6, v4, vcc
	v_mul_f32_e32 v4, 0x3fb8aa3b, v2
	v_exp_f32_e32 v4, v4
	v_fma_f32 v6, -v8, v6, v0
	v_cmp_lt_f32_e32 vcc, 0, v6
	v_pk_add_f32 v[4:5], v[4:5], 1.0 op_sel_hi:[1,0]
	s_nop 0
	v_cndmask_b32_e32 v6, v7, v8, vcc
	v_cmp_gt_f32_e32 vcc, s13, v5
	v_mul_f32_e32 v7, 0x37800000, v6
	v_cndmask_b32_e64 v6, v6, v7, s[2:3]
	v_cndmask_b32_e32 v8, 1.0, v21, vcc
	v_mul_f32_e32 v5, v5, v8
	v_log_f32_e32 v5, v5
	v_cmp_class_f32_e64 s[2:3], v0, v19
	v_cmp_lt_f32_e64 s[4:5], |v5|, s12
	s_nop 0
	v_cndmask_b32_e64 v0, v6, v0, s[2:3]
	v_cmp_gt_f32_e64 s[2:3], s13, v4
	v_mul_f32_e32 v6, 0x3f317217, v5
	v_fma_f32 v6, v5, s11, -v6
	v_cndmask_b32_e64 v7, 1.0, v21, s[2:3]
	v_mul_f32_e32 v4, v4, v7
	v_log_f32_e32 v4, v4
	v_fmac_f32_e32 v6, 0x3377d1cf, v5
	v_fmac_f32_e32 v6, 0x3f317217, v5
	v_cndmask_b32_e64 v5, v5, v6, s[4:5]
	v_cndmask_b32_e32 v6, 0, v20, vcc
	v_sub_f32_e32 v5, v5, v6
	v_mul_f32_e32 v6, 0x3f317217, v4
	v_fma_f32 v6, v4, s11, -v6
	v_fmac_f32_e32 v6, 0x3377d1cf, v4
	v_fmac_f32_e32 v6, 0x3f317217, v4
	v_cmp_lt_f32_e64 vcc, |v4|, s12
	s_cselect_b64 s[4:5], -1, 0
	s_cmp_lt_i32 s33, 1
	v_cndmask_b32_e32 v4, v4, v6, vcc
	v_cmp_lt_f32_e32 vcc, s9, v3
	v_cndmask_b32_e64 v6, 0, v20, s[2:3]
	v_sub_f32_e32 v4, v4, v6
	v_cndmask_b32_e32 v3, v5, v3, vcc
	v_mul_f32_e32 v5, 0x4f800000, v3
	v_cmp_gt_f32_e32 vcc, s10, v3
	v_cmp_lt_f32_e64 s[2:3], s9, v2
	s_nop 0
	v_cndmask_b32_e32 v3, v3, v5, vcc
	v_sqrt_f32_e32 v5, v3
	v_cndmask_b32_e64 v2, v4, v2, s[2:3]
	v_add_u32_e32 v4, -1, v5
	v_fma_f32 v6, -v4, v5, v3
	v_cmp_ge_f32_e64 s[2:3], 0, v6
	v_add_u32_e32 v6, 1, v5
	s_nop 0
	v_cndmask_b32_e64 v4, v5, v4, s[2:3]
	v_fma_f32 v5, -v6, v5, v3
	v_cmp_lt_f32_e64 s[2:3], 0, v5
	s_nop 1
	v_cndmask_b32_e64 v4, v4, v6, s[2:3]
	v_mul_f32_e32 v6, 0x4f800000, v2
	v_cmp_gt_f32_e64 s[2:3], s10, v2
	v_mul_f32_e32 v5, 0x37800000, v4
	v_cndmask_b32_e32 v4, v4, v5, vcc
	v_cndmask_b32_e64 v2, v2, v6, s[2:3]
	v_sqrt_f32_e32 v6, v2
	v_cmp_class_f32_e32 vcc, v3, v19
	s_nop 1
	v_cndmask_b32_e32 v3, v4, v3, vcc
	v_add_u32_e32 v4, -1, v6
	v_fma_f32 v5, -v4, v6, v2
	v_cmp_ge_f32_e32 vcc, 0, v5
	v_add_u32_e32 v5, 1, v6
	s_nop 0
	v_cndmask_b32_e32 v4, v6, v4, vcc
	v_fma_f32 v6, -v5, v6, v2
	v_cmp_lt_f32_e32 vcc, 0, v6
	s_nop 1
	v_cndmask_b32_e32 v4, v4, v5, vcc
	v_mul_f32_e32 v5, 0x37800000, v4
	v_cndmask_b32_e64 v4, v4, v5, s[2:3]
	v_cmp_class_f32_e32 vcc, v2, v19
	s_nop 1
	v_cndmask_b32_e32 v2, v4, v2, vcc
	scratch_store_dwordx4 off, v[0:3], off offset:48
	s_nop 1
	v_lshl_add_u64 v[0:1], v[12:13], 2, v[16:17]
	v_mul_lo_u32 v2, v14, s33
	s_cbranch_scc1 .LBB98_29
; %bb.2:
	s_load_dwordx2 s[6:7], s[0:1], 0x20
	s_cmp_lt_u32 s33, 4
	v_mul_lo_u32 v4, v14, s33
	s_cbranch_scc1 .LBB98_21
; %bb.3:
	s_mov_b32 s11, 0
	s_and_b32 s8, s33, 0x7ffffffc
	v_ashrrev_i32_e32 v5, 31, v4
	v_mov_b32_e32 v13, 0
	s_mov_b32 s10, s11
	s_branch .LBB98_5
.LBB98_4:                               ;   in Loop: Header=BB98_5 Depth=1
	s_or_b64 exec, exec, s[12:13]
	s_add_i32 s10, s10, 4
	s_cmp_eq_u32 s10, s8
	s_cbranch_scc1 .LBB98_22
.LBB98_5:                               ; =>This Loop Header: Depth=1
                                        ;     Child Loop BB98_7 Depth 2
                                        ;     Child Loop BB98_11 Depth 2
	;; [unrolled: 1-line block ×4, first 2 shown]
	v_lshl_add_u64 v[6:7], s[10:11], 2, v[0:1]
	global_load_dword v3, v[6:7], off
	v_add_u32_e32 v8, s10, v4
	v_ashrrev_i32_e32 v9, 31, v8
	s_waitcnt lgkmcnt(0)
	v_lshl_add_u64 v[8:9], v[8:9], 2, s[6:7]
	v_mov_b32_e32 v10, 0
	s_mov_b64 s[12:13], 0
	s_mov_b32 s9, 0
	s_mov_b32 s16, 0
	s_branch .LBB98_7
.LBB98_6:                               ;   in Loop: Header=BB98_7 Depth=2
	s_or_b64 exec, exec, s[14:15]
	s_add_i32 s17, s16, 1
	s_cmp_gt_u32 s16, 14
	s_cselect_b64 s[2:3], -1, 0
	s_xor_b64 s[14:15], vcc, -1
	s_or_b64 s[2:3], s[14:15], s[2:3]
	s_add_i32 s9, s9, 32
	s_and_b64 s[2:3], exec, s[2:3]
	v_add_u32_e32 v10, 4, v10
	s_or_b64 s[12:13], s[2:3], s[12:13]
	s_mov_b32 s16, s17
	s_andn2_b64 exec, exec, s[12:13]
	s_cbranch_execz .LBB98_9
.LBB98_7:                               ;   Parent Loop BB98_5 Depth=1
                                        ; =>  This Inner Loop Header: Depth=2
	s_and_b32 s2, s16, 3
	s_and_b32 s3, s9, 0x180
	s_or_b32 s2, s2, s3
	v_or_b32_e32 v11, s2, v18
	s_waitcnt vmcnt(0)
	v_cmp_ne_u32_e32 vcc, v3, v11
	v_cmp_eq_u32_e64 s[2:3], v3, v11
	s_and_saveexec_b64 s[14:15], s[2:3]
	s_cbranch_execz .LBB98_6
; %bb.8:                                ;   in Loop: Header=BB98_7 Depth=2
	scratch_load_dword v11, v10, off
	s_waitcnt vmcnt(0)
	v_add_f32_e32 v13, v13, v11
	global_store_dword v[8:9], v3, off
	s_branch .LBB98_6
.LBB98_9:                               ;   in Loop: Header=BB98_5 Depth=1
	s_or_b64 exec, exec, s[12:13]
	global_load_dword v3, v[6:7], off offset:4
	s_ashr_i32 s3, s10, 31
	s_mov_b32 s2, s10
	v_lshl_add_u64 v[8:9], s[2:3], 0, v[4:5]
	v_lshl_add_u64 v[8:9], v[8:9], 2, s[6:7]
	v_mov_b32_e32 v10, 0
	s_mov_b32 s9, 0
	s_mov_b64 s[12:13], 0
	s_mov_b32 s16, 0
	s_branch .LBB98_11
.LBB98_10:                              ;   in Loop: Header=BB98_11 Depth=2
	s_or_b64 exec, exec, s[14:15]
	s_add_i32 s17, s16, 1
	s_cmp_gt_u32 s16, 14
	s_cselect_b64 s[2:3], -1, 0
	s_xor_b64 s[14:15], vcc, -1
	s_or_b64 s[2:3], s[14:15], s[2:3]
	s_add_i32 s9, s9, 32
	s_and_b64 s[2:3], exec, s[2:3]
	v_add_u32_e32 v10, 4, v10
	s_or_b64 s[12:13], s[2:3], s[12:13]
	s_mov_b32 s16, s17
	s_andn2_b64 exec, exec, s[12:13]
	s_cbranch_execz .LBB98_13
.LBB98_11:                              ;   Parent Loop BB98_5 Depth=1
                                        ; =>  This Inner Loop Header: Depth=2
	s_and_b32 s2, s16, 3
	s_and_b32 s3, s9, 0x180
	s_or_b32 s2, s2, s3
	v_or_b32_e32 v11, s2, v18
	s_waitcnt vmcnt(0)
	v_cmp_ne_u32_e32 vcc, v3, v11
	v_cmp_eq_u32_e64 s[2:3], v3, v11
	s_and_saveexec_b64 s[14:15], s[2:3]
	s_cbranch_execz .LBB98_10
; %bb.12:                               ;   in Loop: Header=BB98_11 Depth=2
	scratch_load_dword v11, v10, off
	s_waitcnt vmcnt(0)
	v_add_f32_e32 v13, v13, v11
	global_store_dword v[8:9], v3, off offset:4
	s_branch .LBB98_10
.LBB98_13:                              ;   in Loop: Header=BB98_5 Depth=1
	s_or_b64 exec, exec, s[12:13]
	global_load_dword v3, v[6:7], off offset:8
	v_mov_b32_e32 v10, 0
	s_mov_b32 s9, 0
	s_mov_b64 s[12:13], 0
	s_mov_b32 s16, 0
	s_branch .LBB98_15
.LBB98_14:                              ;   in Loop: Header=BB98_15 Depth=2
	s_or_b64 exec, exec, s[14:15]
	s_add_i32 s17, s16, 1
	s_cmp_gt_u32 s16, 14
	s_cselect_b64 s[2:3], -1, 0
	s_xor_b64 s[14:15], vcc, -1
	s_or_b64 s[2:3], s[14:15], s[2:3]
	s_add_i32 s9, s9, 32
	s_and_b64 s[2:3], exec, s[2:3]
	v_add_u32_e32 v10, 4, v10
	s_or_b64 s[12:13], s[2:3], s[12:13]
	s_mov_b32 s16, s17
	s_andn2_b64 exec, exec, s[12:13]
	s_cbranch_execz .LBB98_17
.LBB98_15:                              ;   Parent Loop BB98_5 Depth=1
                                        ; =>  This Inner Loop Header: Depth=2
	s_and_b32 s2, s16, 3
	s_and_b32 s3, s9, 0x180
	s_or_b32 s2, s2, s3
	v_or_b32_e32 v11, s2, v18
	s_waitcnt vmcnt(0)
	v_cmp_ne_u32_e32 vcc, v3, v11
	v_cmp_eq_u32_e64 s[2:3], v3, v11
	s_and_saveexec_b64 s[14:15], s[2:3]
	s_cbranch_execz .LBB98_14
; %bb.16:                               ;   in Loop: Header=BB98_15 Depth=2
	scratch_load_dword v11, v10, off
	s_waitcnt vmcnt(0)
	v_add_f32_e32 v13, v13, v11
	global_store_dword v[8:9], v3, off offset:8
	s_branch .LBB98_14
.LBB98_17:                              ;   in Loop: Header=BB98_5 Depth=1
	s_or_b64 exec, exec, s[12:13]
	global_load_dword v3, v[6:7], off offset:12
	v_mov_b32_e32 v6, 0
	s_mov_b32 s9, 0
	s_mov_b64 s[12:13], 0
	s_mov_b32 s16, 0
	s_branch .LBB98_19
.LBB98_18:                              ;   in Loop: Header=BB98_19 Depth=2
	s_or_b64 exec, exec, s[14:15]
	s_add_i32 s17, s16, 1
	s_cmp_gt_u32 s16, 14
	s_cselect_b64 s[2:3], -1, 0
	s_xor_b64 s[14:15], vcc, -1
	s_or_b64 s[2:3], s[14:15], s[2:3]
	s_add_i32 s9, s9, 32
	s_and_b64 s[2:3], exec, s[2:3]
	v_add_u32_e32 v6, 4, v6
	s_or_b64 s[12:13], s[2:3], s[12:13]
	s_mov_b32 s16, s17
	s_andn2_b64 exec, exec, s[12:13]
	s_cbranch_execz .LBB98_4
.LBB98_19:                              ;   Parent Loop BB98_5 Depth=1
                                        ; =>  This Inner Loop Header: Depth=2
	s_and_b32 s2, s16, 3
	s_and_b32 s3, s9, 0x180
	s_or_b32 s2, s2, s3
	v_or_b32_e32 v7, s2, v18
	s_waitcnt vmcnt(0)
	v_cmp_ne_u32_e32 vcc, v3, v7
	v_cmp_eq_u32_e64 s[2:3], v3, v7
	s_and_saveexec_b64 s[14:15], s[2:3]
	s_cbranch_execz .LBB98_18
; %bb.20:                               ;   in Loop: Header=BB98_19 Depth=2
	scratch_load_dword v7, v6, off
	s_waitcnt vmcnt(0)
	v_add_f32_e32 v13, v13, v7
	global_store_dword v[8:9], v3, off offset:12
	s_branch .LBB98_18
.LBB98_21:
	v_mov_b32_e32 v13, 0
.LBB98_22:
	s_and_b32 s14, s33, 3
	s_cmp_eq_u32 s14, 0
	s_mov_b32 s9, 0
	s_cbranch_scc1 .LBB98_29
; %bb.23:
	s_mov_b32 s15, s9
	s_branch .LBB98_25
.LBB98_24:                              ;   in Loop: Header=BB98_25 Depth=1
	s_or_b64 exec, exec, s[10:11]
	s_add_i32 s8, s8, 1
	s_add_i32 s15, s15, 1
	s_cmp_lg_u32 s15, s14
	s_cbranch_scc0 .LBB98_29
.LBB98_25:                              ; =>This Loop Header: Depth=1
                                        ;     Child Loop BB98_27 Depth 2
	v_lshl_add_u64 v[6:7], s[8:9], 2, v[0:1]
	global_load_dword v3, v[6:7], off
	v_add_u32_e32 v6, s8, v4
	v_ashrrev_i32_e32 v7, 31, v6
	s_waitcnt lgkmcnt(0)
	v_lshl_add_u64 v[6:7], v[6:7], 2, s[6:7]
	v_mov_b32_e32 v5, 0
	s_mov_b32 s16, 0
	s_mov_b64 s[10:11], 0
	s_mov_b32 s17, 0
	s_branch .LBB98_27
.LBB98_26:                              ;   in Loop: Header=BB98_27 Depth=2
	s_or_b64 exec, exec, s[12:13]
	s_add_i32 s18, s17, 1
	s_cmp_gt_u32 s17, 14
	s_cselect_b64 s[2:3], -1, 0
	s_xor_b64 s[12:13], vcc, -1
	s_or_b64 s[2:3], s[12:13], s[2:3]
	s_add_i32 s16, s16, 32
	s_and_b64 s[2:3], exec, s[2:3]
	v_add_u32_e32 v5, 4, v5
	s_or_b64 s[10:11], s[2:3], s[10:11]
	s_mov_b32 s17, s18
	s_andn2_b64 exec, exec, s[10:11]
	s_cbranch_execz .LBB98_24
.LBB98_27:                              ;   Parent Loop BB98_25 Depth=1
                                        ; =>  This Inner Loop Header: Depth=2
	s_and_b32 s2, s17, 3
	s_and_b32 s3, s16, 0x180
	s_or_b32 s2, s2, s3
	v_or_b32_e32 v8, s2, v18
	s_waitcnt vmcnt(0)
	v_cmp_ne_u32_e32 vcc, v3, v8
	v_cmp_eq_u32_e64 s[2:3], v3, v8
	s_and_saveexec_b64 s[12:13], s[2:3]
	s_cbranch_execz .LBB98_26
; %bb.28:                               ;   in Loop: Header=BB98_27 Depth=2
	scratch_load_dword v8, v5, off
	s_waitcnt vmcnt(0)
	v_add_f32_e32 v13, v13, v8
	global_store_dword v[6:7], v3, off
	s_branch .LBB98_26
.LBB98_29:
	s_waitcnt lgkmcnt(0)
	s_load_dword s6, s[0:1], 0x3c
	v_add_u32_e32 v4, 16, v15
	v_add_u32_e32 v5, 32, v15
	;; [unrolled: 1-line block ×3, first 2 shown]
	s_waitcnt lgkmcnt(0)
	s_bitcmp1_b32 s6, 0
	s_cselect_b64 s[2:3], -1, 0
	s_bitcmp0_b32 s6, 0
	s_cbranch_scc0 .LBB98_32
; %bb.30:
	s_load_dwordx2 s[6:7], s[0:1], 0x40
	s_andn2_b64 vcc, exec, s[2:3]
	s_waitcnt lgkmcnt(0)
	v_cvt_f32_f64_e32 v7, s[6:7]
	s_cbranch_vccz .LBB98_33
.LBB98_31:
	s_andn2_b64 vcc, exec, s[4:5]
	s_cbranch_vccz .LBB98_34
	s_branch .LBB98_68
.LBB98_32:
	v_mbcnt_lo_u32_b32 v3, -1, 0
	v_mbcnt_hi_u32_b32 v3, -1, v3
	v_and_b32_e32 v7, 0x60, v3
	v_add_u32_e32 v7, 32, v7
	v_xor_b32_e32 v8, 16, v3
	v_cmp_lt_i32_e32 vcc, v8, v7
	v_xor_b32_e32 v9, 8, v3
	v_xor_b32_e32 v10, 4, v3
	v_cndmask_b32_e32 v8, v3, v8, vcc
	v_lshlrev_b32_e32 v8, 2, v8
	ds_bpermute_b32 v8, v8, v13
	v_cmp_lt_i32_e32 vcc, v9, v7
	s_waitcnt lgkmcnt(0)
	v_add_f32_e32 v8, v13, v8
	v_cndmask_b32_e32 v9, v3, v9, vcc
	v_lshlrev_b32_e32 v9, 2, v9
	ds_bpermute_b32 v9, v9, v8
	v_cmp_lt_i32_e32 vcc, v10, v7
	s_waitcnt lgkmcnt(0)
	v_add_f32_e32 v8, v8, v9
	v_cndmask_b32_e32 v9, v3, v10, vcc
	v_lshlrev_b32_e32 v9, 2, v9
	ds_bpermute_b32 v9, v9, v8
	v_xor_b32_e32 v10, 2, v3
	v_cmp_lt_i32_e32 vcc, v10, v7
	s_waitcnt lgkmcnt(0)
	v_add_f32_e32 v8, v8, v9
	v_cndmask_b32_e32 v9, v3, v10, vcc
	v_lshlrev_b32_e32 v9, 2, v9
	ds_bpermute_b32 v9, v9, v8
	v_xor_b32_e32 v10, 1, v3
	v_cmp_lt_i32_e32 vcc, v10, v7
	s_waitcnt lgkmcnt(0)
	v_add_f32_e32 v8, v8, v9
	v_cndmask_b32_e32 v3, v3, v10, vcc
	v_lshlrev_b32_e32 v3, 2, v3
	ds_bpermute_b32 v3, v3, v8
	s_waitcnt lgkmcnt(0)
	v_add_f32_e32 v13, v8, v3
	s_load_dwordx2 s[6:7], s[0:1], 0x40
	s_andn2_b64 vcc, exec, s[2:3]
	s_waitcnt lgkmcnt(0)
	v_cvt_f32_f64_e32 v7, s[6:7]
	s_cbranch_vccnz .LBB98_31
.LBB98_33:
	v_cmp_lt_f32_e32 vcc, 0, v13
	s_nop 1
	v_cndmask_b32_e32 v3, 1.0, v13, vcc
	v_div_scale_f32 v8, s[2:3], v3, v3, v7
	v_rcp_f32_e32 v9, v8
	s_nop 0
	v_fma_f32 v10, -v8, v9, 1.0
	v_fmac_f32_e32 v9, v10, v9
	v_div_scale_f32 v10, vcc, v7, v3, v7
	v_mul_f32_e32 v11, v10, v9
	v_fma_f32 v12, -v8, v11, v10
	v_fmac_f32_e32 v11, v12, v9
	v_fma_f32 v8, -v8, v11, v10
	v_div_fmas_f32 v8, v8, v9, v11
	v_div_fixup_f32 v7, v8, v3, v7
	s_andn2_b64 vcc, exec, s[4:5]
	s_cbranch_vccnz .LBB98_68
.LBB98_34:
	s_load_dwordx2 s[28:29], s[0:1], 0x10
	v_mov_b32_e32 v3, 0
	v_or_b32_e32 v8, 4, v3
	v_or_b32_e32 v9, 8, v3
	v_or_b32_e32 v10, 12, v3
	v_add_u32_e32 v11, 20, v3
	v_add_u32_e32 v12, 24, v3
	;; [unrolled: 1-line block ×9, first 2 shown]
	v_or_b32_e32 v21, 1, v18
	v_or_b32_e32 v22, 2, v18
	;; [unrolled: 1-line block ×15, first 2 shown]
	s_branch .LBB98_36
.LBB98_35:                              ;   in Loop: Header=BB98_36 Depth=1
	s_or_b64 exec, exec, s[0:1]
	s_add_i32 s33, s33, -1
	v_add_u32_e32 v2, 1, v2
	s_cmp_eq_u32 s33, 0
	v_lshl_add_u64 v[0:1], v[0:1], 0, 4
	s_cbranch_scc1 .LBB98_68
.LBB98_36:                              ; =>This Inner Loop Header: Depth=1
	global_load_dword v36, v[0:1], off
	v_mov_b32_e32 v3, 0
	s_waitcnt vmcnt(0)
	v_cmp_eq_u32_e32 vcc, v36, v18
	v_cmp_ne_u32_e64 s[0:1], v36, v18
	s_and_saveexec_b64 s[30:31], s[0:1]
	s_cbranch_execz .LBB98_66
; %bb.37:                               ;   in Loop: Header=BB98_36 Depth=1
	v_cmp_eq_u32_e64 s[0:1], v36, v21
	v_cmp_ne_u32_e64 s[2:3], v36, v21
	v_mov_b32_e32 v3, v8
	s_and_saveexec_b64 s[34:35], s[2:3]
	s_cbranch_execz .LBB98_65
; %bb.38:                               ;   in Loop: Header=BB98_36 Depth=1
	v_cmp_eq_u32_e64 s[2:3], v36, v22
	v_cmp_ne_u32_e64 s[4:5], v36, v22
	v_mov_b32_e32 v3, v9
	;; [unrolled: 6-line block ×14, first 2 shown]
	s_and_saveexec_b64 s[62:63], s[26:27]
	s_xor_b64 s[62:63], exec, s[62:63]
; %bb.51:                               ;   in Loop: Header=BB98_36 Depth=1
	v_cmp_eq_u32_e64 s[26:27], v36, v35
	s_andn2_b64 s[60:61], s[60:61], exec
	s_and_b64 s[26:27], s[26:27], exec
	s_or_b64 s[60:61], s[60:61], s[26:27]
	v_mov_b32_e32 v3, v20
; %bb.52:                               ;   in Loop: Header=BB98_36 Depth=1
	s_or_b64 exec, exec, s[62:63]
	s_andn2_b64 s[24:25], s[24:25], exec
	s_and_b64 s[26:27], s[60:61], exec
	s_or_b64 s[24:25], s[24:25], s[26:27]
.LBB98_53:                              ;   in Loop: Header=BB98_36 Depth=1
	s_or_b64 exec, exec, s[58:59]
	s_andn2_b64 s[22:23], s[22:23], exec
	s_and_b64 s[24:25], s[24:25], exec
	s_or_b64 s[22:23], s[22:23], s[24:25]
.LBB98_54:                              ;   in Loop: Header=BB98_36 Depth=1
	s_or_b64 exec, exec, s[56:57]
	s_andn2_b64 s[20:21], s[20:21], exec
	s_and_b64 s[22:23], s[22:23], exec
	s_or_b64 s[20:21], s[20:21], s[22:23]
.LBB98_55:                              ;   in Loop: Header=BB98_36 Depth=1
	s_or_b64 exec, exec, s[54:55]
	s_andn2_b64 s[18:19], s[18:19], exec
	s_and_b64 s[20:21], s[20:21], exec
	s_or_b64 s[18:19], s[18:19], s[20:21]
.LBB98_56:                              ;   in Loop: Header=BB98_36 Depth=1
	s_or_b64 exec, exec, s[52:53]
	s_andn2_b64 s[16:17], s[16:17], exec
	s_and_b64 s[18:19], s[18:19], exec
	s_or_b64 s[16:17], s[16:17], s[18:19]
.LBB98_57:                              ;   in Loop: Header=BB98_36 Depth=1
	s_or_b64 exec, exec, s[50:51]
	s_andn2_b64 s[14:15], s[14:15], exec
	s_and_b64 s[16:17], s[16:17], exec
	s_or_b64 s[14:15], s[14:15], s[16:17]
.LBB98_58:                              ;   in Loop: Header=BB98_36 Depth=1
	s_or_b64 exec, exec, s[48:49]
	s_andn2_b64 s[12:13], s[12:13], exec
	s_and_b64 s[14:15], s[14:15], exec
	s_or_b64 s[12:13], s[12:13], s[14:15]
.LBB98_59:                              ;   in Loop: Header=BB98_36 Depth=1
	s_or_b64 exec, exec, s[46:47]
	s_andn2_b64 s[10:11], s[10:11], exec
	s_and_b64 s[12:13], s[12:13], exec
	s_or_b64 s[10:11], s[10:11], s[12:13]
.LBB98_60:                              ;   in Loop: Header=BB98_36 Depth=1
	s_or_b64 exec, exec, s[44:45]
	s_andn2_b64 s[8:9], s[8:9], exec
	s_and_b64 s[10:11], s[10:11], exec
	s_or_b64 s[8:9], s[8:9], s[10:11]
.LBB98_61:                              ;   in Loop: Header=BB98_36 Depth=1
	s_or_b64 exec, exec, s[42:43]
	s_andn2_b64 s[6:7], s[6:7], exec
	s_and_b64 s[8:9], s[8:9], exec
	s_or_b64 s[6:7], s[6:7], s[8:9]
.LBB98_62:                              ;   in Loop: Header=BB98_36 Depth=1
	s_or_b64 exec, exec, s[40:41]
	s_andn2_b64 s[4:5], s[4:5], exec
	s_and_b64 s[6:7], s[6:7], exec
	s_or_b64 s[4:5], s[4:5], s[6:7]
.LBB98_63:                              ;   in Loop: Header=BB98_36 Depth=1
	s_or_b64 exec, exec, s[38:39]
	s_andn2_b64 s[2:3], s[2:3], exec
	s_and_b64 s[4:5], s[4:5], exec
	s_or_b64 s[2:3], s[2:3], s[4:5]
.LBB98_64:                              ;   in Loop: Header=BB98_36 Depth=1
	s_or_b64 exec, exec, s[36:37]
	s_andn2_b64 s[0:1], s[0:1], exec
	s_and_b64 s[2:3], s[2:3], exec
	s_or_b64 s[0:1], s[0:1], s[2:3]
.LBB98_65:                              ;   in Loop: Header=BB98_36 Depth=1
	s_or_b64 exec, exec, s[34:35]
	s_andn2_b64 s[2:3], vcc, exec
	s_and_b64 s[0:1], s[0:1], exec
	s_or_b64 vcc, s[2:3], s[0:1]
.LBB98_66:                              ;   in Loop: Header=BB98_36 Depth=1
	s_or_b64 exec, exec, s[30:31]
	s_and_saveexec_b64 s[0:1], vcc
	s_cbranch_execz .LBB98_35
; %bb.67:                               ;   in Loop: Header=BB98_36 Depth=1
	scratch_load_dword v36, v3, off
	v_ashrrev_i32_e32 v3, 31, v2
	s_waitcnt vmcnt(0)
	v_mul_f32_e32 v38, v7, v36
	s_waitcnt lgkmcnt(0)
	v_lshl_add_u64 v[36:37], v[2:3], 2, s[28:29]
	global_store_dword v[36:37], v38, off
	s_branch .LBB98_35
.LBB98_68:
	s_endpgm
	.section	.rodata,"a",@progbits
	.p2align	6, 0x0
	.amdhsa_kernel _ZN4vllm3moe22topkGatingSoftplusSqrtILi16ELi512ELi4ELi16ELi32ELb1EjfEEvPKT6_PKbPfiPT5_PiiiibdPKfPKS8_SE_
		.amdhsa_group_segment_fixed_size 0
		.amdhsa_private_segment_fixed_size 80
		.amdhsa_kernarg_size 96
		.amdhsa_user_sgpr_count 2
		.amdhsa_user_sgpr_dispatch_ptr 0
		.amdhsa_user_sgpr_queue_ptr 0
		.amdhsa_user_sgpr_kernarg_segment_ptr 1
		.amdhsa_user_sgpr_dispatch_id 0
		.amdhsa_user_sgpr_kernarg_preload_length 0
		.amdhsa_user_sgpr_kernarg_preload_offset 0
		.amdhsa_user_sgpr_private_segment_size 0
		.amdhsa_uses_dynamic_stack 0
		.amdhsa_enable_private_segment 1
		.amdhsa_system_sgpr_workgroup_id_x 1
		.amdhsa_system_sgpr_workgroup_id_y 0
		.amdhsa_system_sgpr_workgroup_id_z 0
		.amdhsa_system_sgpr_workgroup_info 0
		.amdhsa_system_vgpr_workitem_id 1
		.amdhsa_next_free_vgpr 39
		.amdhsa_next_free_sgpr 64
		.amdhsa_accum_offset 40
		.amdhsa_reserve_vcc 1
		.amdhsa_float_round_mode_32 0
		.amdhsa_float_round_mode_16_64 0
		.amdhsa_float_denorm_mode_32 3
		.amdhsa_float_denorm_mode_16_64 3
		.amdhsa_dx10_clamp 1
		.amdhsa_ieee_mode 1
		.amdhsa_fp16_overflow 0
		.amdhsa_tg_split 0
		.amdhsa_exception_fp_ieee_invalid_op 0
		.amdhsa_exception_fp_denorm_src 0
		.amdhsa_exception_fp_ieee_div_zero 0
		.amdhsa_exception_fp_ieee_overflow 0
		.amdhsa_exception_fp_ieee_underflow 0
		.amdhsa_exception_fp_ieee_inexact 0
		.amdhsa_exception_int_div_zero 0
	.end_amdhsa_kernel
	.section	.text._ZN4vllm3moe22topkGatingSoftplusSqrtILi16ELi512ELi4ELi16ELi32ELb1EjfEEvPKT6_PKbPfiPT5_PiiiibdPKfPKS8_SE_,"axG",@progbits,_ZN4vllm3moe22topkGatingSoftplusSqrtILi16ELi512ELi4ELi16ELi32ELb1EjfEEvPKT6_PKbPfiPT5_PiiiibdPKfPKS8_SE_,comdat
.Lfunc_end98:
	.size	_ZN4vllm3moe22topkGatingSoftplusSqrtILi16ELi512ELi4ELi16ELi32ELb1EjfEEvPKT6_PKbPfiPT5_PiiiibdPKfPKS8_SE_, .Lfunc_end98-_ZN4vllm3moe22topkGatingSoftplusSqrtILi16ELi512ELi4ELi16ELi32ELb1EjfEEvPKT6_PKbPfiPT5_PiiiibdPKfPKS8_SE_
                                        ; -- End function
	.section	.AMDGPU.csdata,"",@progbits
; Kernel info:
; codeLenInByte = 6088
; NumSgprs: 70
; NumVgprs: 39
; NumAgprs: 0
; TotalNumVgprs: 39
; ScratchSize: 80
; MemoryBound: 0
; FloatMode: 240
; IeeeMode: 1
; LDSByteSize: 0 bytes/workgroup (compile time only)
; SGPRBlocks: 8
; VGPRBlocks: 4
; NumSGPRsForWavesPerEU: 70
; NumVGPRsForWavesPerEU: 39
; AccumOffset: 40
; Occupancy: 8
; WaveLimiterHint : 1
; COMPUTE_PGM_RSRC2:SCRATCH_EN: 1
; COMPUTE_PGM_RSRC2:USER_SGPR: 2
; COMPUTE_PGM_RSRC2:TRAP_HANDLER: 0
; COMPUTE_PGM_RSRC2:TGID_X_EN: 1
; COMPUTE_PGM_RSRC2:TGID_Y_EN: 0
; COMPUTE_PGM_RSRC2:TGID_Z_EN: 0
; COMPUTE_PGM_RSRC2:TIDIG_COMP_CNT: 1
; COMPUTE_PGM_RSRC3_GFX90A:ACCUM_OFFSET: 9
; COMPUTE_PGM_RSRC3_GFX90A:TG_SPLIT: 0
	.section	.text._ZN4vllm3moe22topkGatingSoftplusSqrtILi16ELi512ELi4ELi16ELi32ELb0EjfEEvPKT6_PKbPfiPT5_PiiiibdPKfPKS8_SE_,"axG",@progbits,_ZN4vllm3moe22topkGatingSoftplusSqrtILi16ELi512ELi4ELi16ELi32ELb0EjfEEvPKT6_PKbPfiPT5_PiiiibdPKfPKS8_SE_,comdat
	.protected	_ZN4vllm3moe22topkGatingSoftplusSqrtILi16ELi512ELi4ELi16ELi32ELb0EjfEEvPKT6_PKbPfiPT5_PiiiibdPKfPKS8_SE_ ; -- Begin function _ZN4vllm3moe22topkGatingSoftplusSqrtILi16ELi512ELi4ELi16ELi32ELb0EjfEEvPKT6_PKbPfiPT5_PiiiibdPKfPKS8_SE_
	.globl	_ZN4vllm3moe22topkGatingSoftplusSqrtILi16ELi512ELi4ELi16ELi32ELb0EjfEEvPKT6_PKbPfiPT5_PiiiibdPKfPKS8_SE_
	.p2align	8
	.type	_ZN4vllm3moe22topkGatingSoftplusSqrtILi16ELi512ELi4ELi16ELi32ELb0EjfEEvPKT6_PKbPfiPT5_PiiiibdPKfPKS8_SE_,@function
_ZN4vllm3moe22topkGatingSoftplusSqrtILi16ELi512ELi4ELi16ELi32ELb0EjfEEvPKT6_PKbPfiPT5_PiiiibdPKfPKS8_SE_: ; @_ZN4vllm3moe22topkGatingSoftplusSqrtILi16ELi512ELi4ELi16ELi32ELb0EjfEEvPKT6_PKbPfiPT5_PiiiibdPKfPKS8_SE_
; %bb.0:
	s_load_dword s30, s[0:1], 0x18
	v_and_b32_e32 v2, 0x3ff, v0
	s_lshl_b32 s2, s2, 2
	v_lshrrev_b32_e32 v1, 5, v2
	v_bfe_u32 v0, v0, 10, 10
	v_add3_u32 v0, s2, v0, v1
	s_waitcnt lgkmcnt(0)
	v_cmp_gt_i32_e32 vcc, s30, v0
	s_and_saveexec_b64 s[2:3], vcc
	s_cbranch_execz .LBB99_79
; %bb.1:
	s_load_dwordx4 s[4:7], s[0:1], 0x0
	s_load_dwordx2 s[20:21], s[0:1], 0x10
	s_waitcnt lgkmcnt(0)
	s_cmp_eq_u64 s[6:7], 0
	s_cbranch_scc1 .LBB99_3
; %bb.2:
	v_ashrrev_i32_e32 v1, 31, v0
	v_lshl_add_u64 v[4:5], s[6:7], 0, v[0:1]
	global_load_ubyte v1, v[4:5], off
	s_waitcnt vmcnt(0)
	v_and_b32_e32 v1, 1, v1
	v_cmp_eq_u32_e32 vcc, 1, v1
	s_xor_b64 s[2:3], vcc, -1
	s_orn2_b64 s[22:23], s[2:3], exec
	s_branch .LBB99_4
.LBB99_3:
	s_mov_b64 s[22:23], -1
.LBB99_4:
	v_lshlrev_b32_e32 v6, 9, v0
	v_mov_b32_e32 v4, s4
	v_mov_b32_e32 v5, s5
	v_ashrrev_i32_e32 v7, 31, v6
	v_and_b32_e32 v1, 31, v2
	v_lshl_add_u64 v[4:5], v[6:7], 2, v[4:5]
	v_mov_b32_e32 v3, 0
	v_lshlrev_b32_e32 v2, 4, v1
	v_lshl_add_u64 v[6:7], v[4:5], 0, v[2:3]
	global_load_dwordx4 v[2:5], v[6:7], off
	global_load_dwordx4 v[8:11], v[6:7], off offset:512
	s_mov_b32 s16, 0x800000
	s_mov_b32 s13, 0x3f317217
	;; [unrolled: 1-line block ×5, first 2 shown]
	s_load_dwordx4 s[8:11], s[0:1], 0x40
	s_waitcnt lgkmcnt(0)
	s_cmp_lg_u64 s[10:11], 0
	s_cselect_b64 s[6:7], -1, 0
	s_and_b64 s[2:3], exec, s[6:7]
	s_waitcnt vmcnt(1)
	scratch_store_dwordx4 off, v[2:5], off
	scratch_load_dword v20, off, off
	global_load_dwordx4 v[12:15], v[6:7], off offset:1024
	global_load_dwordx4 v[16:19], v[6:7], off offset:1536
	v_mov_b32_e32 v5, 0x4f800000
	v_mov_b32_e32 v6, 0x41b17218
	;; [unrolled: 1-line block ×3, first 2 shown]
	v_lshlrev_b32_e32 v4, 2, v1
	s_waitcnt vmcnt(4)
	scratch_store_dwordx4 off, v[8:11], off offset:16
	s_waitcnt vmcnt(2)
	scratch_store_dwordx4 off, v[12:15], off offset:32
	;; [unrolled: 2-line block ×3, first 2 shown]
	v_mul_f32_e32 v2, 0x3fb8aa3b, v20
	v_exp_f32_e32 v7, v2
	v_lshlrev_b32_e32 v2, 2, v4
	v_add_f32_e32 v7, 1.0, v7
	v_cmp_gt_f32_e32 vcc, s16, v7
	s_nop 1
	v_cndmask_b32_e32 v21, 1.0, v5, vcc
	v_mul_f32_e32 v7, v7, v21
	v_log_f32_e32 v7, v7
	v_cndmask_b32_e32 v21, 0, v6, vcc
	v_mul_f32_e32 v22, 0x3f317217, v7
	v_fma_f32 v22, v7, s13, -v22
	v_fmac_f32_e32 v22, 0x3377d1cf, v7
	v_fmac_f32_e32 v22, 0x3f317217, v7
	v_cmp_lt_f32_e64 vcc, |v7|, s14
	s_nop 1
	v_cndmask_b32_e32 v7, v7, v22, vcc
	v_sub_f32_e32 v7, v7, v21
	v_cmp_lt_f32_e32 vcc, s12, v20
	s_nop 1
	v_cndmask_b32_e32 v7, v7, v20, vcc
	v_mul_f32_e32 v20, 0x4f800000, v7
	v_cmp_gt_f32_e32 vcc, s15, v7
	s_nop 1
	v_cndmask_b32_e32 v7, v7, v20, vcc
	v_sqrt_f32_e32 v20, v7
	s_nop 0
	v_add_u32_e32 v8, -1, v20
	v_add_u32_e32 v9, 1, v20
	v_fma_f32 v10, -v8, v20, v7
	v_fma_f32 v11, -v9, v20, v7
	v_cmp_ge_f32_e64 s[4:5], 0, v10
	s_nop 1
	v_cndmask_b32_e64 v8, v20, v8, s[4:5]
	v_cmp_lt_f32_e64 s[4:5], 0, v11
	s_nop 1
	v_cndmask_b32_e64 v8, v8, v9, s[4:5]
	v_mul_f32_e32 v9, 0x37800000, v8
	v_cndmask_b32_e32 v8, v8, v9, vcc
	v_cmp_class_f32_e32 vcc, v7, v3
	s_nop 1
	v_cndmask_b32_e32 v7, v8, v7, vcc
	s_mov_b64 vcc, s[2:3]
	s_cbranch_vccz .LBB99_6
; %bb.5:
	global_load_dword v8, v2, s[10:11]
	s_waitcnt vmcnt(0)
	v_add_f32_e32 v7, v7, v8
.LBB99_6:
	scratch_load_dword v8, off, off offset:4
	s_waitcnt vmcnt(0)
	v_mul_f32_e32 v9, 0x3fb8aa3b, v8
	v_exp_f32_e32 v9, v9
	scratch_store_dword off, v7, off
	v_add_f32_e32 v9, 1.0, v9
	v_cmp_gt_f32_e32 vcc, s16, v9
	s_nop 1
	v_cndmask_b32_e32 v5, 1.0, v5, vcc
	v_mul_f32_e32 v5, v9, v5
	v_log_f32_e32 v5, v5
	v_cndmask_b32_e32 v6, 0, v6, vcc
	v_mul_f32_e32 v7, 0x3f317217, v5
	v_fma_f32 v7, v5, s13, -v7
	v_fmac_f32_e32 v7, 0x3377d1cf, v5
	v_fmac_f32_e32 v7, 0x3f317217, v5
	v_cmp_lt_f32_e64 vcc, |v5|, s14
	s_nop 1
	v_cndmask_b32_e32 v5, v5, v7, vcc
	v_sub_f32_e32 v5, v5, v6
	v_cmp_lt_f32_e32 vcc, s12, v8
	v_cndmask_b32_e64 v7, 0, 1, s[6:7]
	v_cmp_ne_u32_e64 s[2:3], 1, v7
	v_cndmask_b32_e32 v5, v5, v8, vcc
	v_mul_f32_e32 v6, 0x4f800000, v5
	v_cmp_gt_f32_e64 s[4:5], s15, v5
	s_andn2_b64 vcc, exec, s[6:7]
	s_nop 0
	v_cndmask_b32_e64 v5, v5, v6, s[4:5]
	v_sqrt_f32_e32 v6, v5
	s_nop 0
	v_add_u32_e32 v7, -1, v6
	v_add_u32_e32 v8, 1, v6
	v_fma_f32 v9, -v7, v6, v5
	v_fma_f32 v10, -v8, v6, v5
	v_cmp_ge_f32_e64 s[6:7], 0, v9
	s_nop 1
	v_cndmask_b32_e64 v6, v6, v7, s[6:7]
	v_cmp_lt_f32_e64 s[6:7], 0, v10
	s_nop 1
	v_cndmask_b32_e64 v6, v6, v8, s[6:7]
	v_mul_f32_e32 v7, 0x37800000, v6
	v_cndmask_b32_e64 v6, v6, v7, s[4:5]
	v_cmp_class_f32_e64 s[4:5], v5, v3
	s_nop 1
	v_cndmask_b32_e64 v5, v6, v5, s[4:5]
	s_cbranch_vccnz .LBB99_8
; %bb.7:
	global_load_dword v3, v2, s[10:11] offset:4
	s_waitcnt vmcnt(0)
	v_add_f32_e32 v5, v5, v3
.LBB99_8:
	scratch_load_dword v7, off, off offset:8
	s_mov_b32 s15, 0x800000
	s_mov_b32 s16, 0xf800000
	scratch_store_dword off, v5, off offset:4
	v_mov_b32_e32 v5, 0x260
	s_waitcnt vmcnt(1)
	v_mul_f32_e32 v3, 0x3fb8aa3b, v7
	v_exp_f32_e32 v6, v3
	v_mov_b32_e32 v3, 0x4f800000
	v_add_f32_e32 v6, 1.0, v6
	v_cmp_gt_f32_e32 vcc, s15, v6
	s_nop 1
	v_cndmask_b32_e32 v8, 1.0, v3, vcc
	v_mul_f32_e32 v6, v6, v8
	v_log_f32_e32 v8, v6
	v_mov_b32_e32 v6, 0x41b17218
	v_cndmask_b32_e32 v9, 0, v6, vcc
	v_mul_f32_e32 v10, 0x3f317217, v8
	v_fma_f32 v10, v8, s13, -v10
	v_fmac_f32_e32 v10, 0x3377d1cf, v8
	v_fmac_f32_e32 v10, 0x3f317217, v8
	v_cmp_lt_f32_e64 vcc, |v8|, s14
	s_nop 1
	v_cndmask_b32_e32 v8, v8, v10, vcc
	v_sub_f32_e32 v8, v8, v9
	v_cmp_lt_f32_e32 vcc, s12, v7
	s_nop 1
	v_cndmask_b32_e32 v7, v8, v7, vcc
	v_mul_f32_e32 v8, 0x4f800000, v7
	v_cmp_gt_f32_e64 s[4:5], s16, v7
	s_and_b64 vcc, exec, s[2:3]
	s_nop 0
	v_cndmask_b32_e64 v7, v7, v8, s[4:5]
	v_sqrt_f32_e32 v8, v7
	s_nop 0
	v_add_u32_e32 v9, -1, v8
	v_add_u32_e32 v10, 1, v8
	v_fma_f32 v11, -v9, v8, v7
	v_fma_f32 v12, -v10, v8, v7
	v_cmp_ge_f32_e64 s[6:7], 0, v11
	s_nop 1
	v_cndmask_b32_e64 v8, v8, v9, s[6:7]
	v_cmp_lt_f32_e64 s[6:7], 0, v12
	s_nop 1
	v_cndmask_b32_e64 v8, v8, v10, s[6:7]
	v_mul_f32_e32 v9, 0x37800000, v8
	v_cndmask_b32_e64 v8, v8, v9, s[4:5]
	v_cmp_class_f32_e64 s[4:5], v7, v5
	s_nop 1
	v_cndmask_b32_e64 v7, v8, v7, s[4:5]
	s_cbranch_vccnz .LBB99_10
; %bb.9:
	global_load_dword v8, v2, s[10:11] offset:8
	s_waitcnt vmcnt(0)
	v_add_f32_e32 v7, v7, v8
.LBB99_10:
	scratch_load_dword v8, off, off offset:12
	s_waitcnt vmcnt(0)
	v_mul_f32_e32 v9, 0x3fb8aa3b, v8
	v_exp_f32_e32 v9, v9
	scratch_store_dword off, v7, off offset:8
	v_add_f32_e32 v9, 1.0, v9
	v_cmp_gt_f32_e32 vcc, s15, v9
	s_nop 1
	v_cndmask_b32_e32 v3, 1.0, v3, vcc
	v_mul_f32_e32 v3, v9, v3
	v_log_f32_e32 v3, v3
	v_cndmask_b32_e32 v6, 0, v6, vcc
	v_mul_f32_e32 v9, 0x3f317217, v3
	v_fma_f32 v9, v3, s13, -v9
	v_fmac_f32_e32 v9, 0x3377d1cf, v3
	v_fmac_f32_e32 v9, 0x3f317217, v3
	v_cmp_lt_f32_e64 vcc, |v3|, s14
	s_nop 1
	v_cndmask_b32_e32 v3, v3, v9, vcc
	v_sub_f32_e32 v3, v3, v6
	v_cmp_lt_f32_e32 vcc, s12, v8
	s_nop 1
	v_cndmask_b32_e32 v3, v3, v8, vcc
	v_mul_f32_e32 v6, 0x4f800000, v3
	v_cmp_gt_f32_e64 s[4:5], s16, v3
	s_and_b64 vcc, exec, s[2:3]
	s_nop 0
	v_cndmask_b32_e64 v3, v3, v6, s[4:5]
	v_sqrt_f32_e32 v6, v3
	s_nop 0
	v_add_u32_e32 v7, -1, v6
	v_add_u32_e32 v8, 1, v6
	v_fma_f32 v9, -v7, v6, v3
	v_fma_f32 v10, -v8, v6, v3
	v_cmp_ge_f32_e64 s[6:7], 0, v9
	s_nop 1
	v_cndmask_b32_e64 v6, v6, v7, s[6:7]
	v_cmp_lt_f32_e64 s[6:7], 0, v10
	s_nop 1
	v_cndmask_b32_e64 v6, v6, v8, s[6:7]
	v_mul_f32_e32 v7, 0x37800000, v6
	v_cndmask_b32_e64 v6, v6, v7, s[4:5]
	v_cmp_class_f32_e64 s[4:5], v3, v5
	s_nop 1
	v_cndmask_b32_e64 v5, v6, v3, s[4:5]
	s_cbranch_vccnz .LBB99_12
; %bb.11:
	global_load_dword v3, v2, s[10:11] offset:12
	s_waitcnt vmcnt(0)
	v_add_f32_e32 v5, v5, v3
.LBB99_12:
	scratch_load_dword v7, off, off offset:16
	s_waitcnt vmcnt(0)
	v_mul_f32_e32 v3, 0x3fb8aa3b, v7
	v_exp_f32_e32 v6, v3
	v_mov_b32_e32 v3, 0x4f800000
	scratch_store_dword off, v5, off offset:12
	v_mov_b32_e32 v5, 0x260
	v_add_f32_e32 v6, 1.0, v6
	v_cmp_gt_f32_e32 vcc, s15, v6
	s_nop 1
	v_cndmask_b32_e32 v8, 1.0, v3, vcc
	v_mul_f32_e32 v6, v6, v8
	v_log_f32_e32 v8, v6
	v_mov_b32_e32 v6, 0x41b17218
	v_cndmask_b32_e32 v9, 0, v6, vcc
	v_mul_f32_e32 v10, 0x3f317217, v8
	v_fma_f32 v10, v8, s13, -v10
	v_fmac_f32_e32 v10, 0x3377d1cf, v8
	v_fmac_f32_e32 v10, 0x3f317217, v8
	v_cmp_lt_f32_e64 vcc, |v8|, s14
	s_nop 1
	v_cndmask_b32_e32 v8, v8, v10, vcc
	v_sub_f32_e32 v8, v8, v9
	v_cmp_lt_f32_e32 vcc, s12, v7
	s_nop 1
	v_cndmask_b32_e32 v7, v8, v7, vcc
	v_mul_f32_e32 v8, 0x4f800000, v7
	v_cmp_gt_f32_e64 s[4:5], s16, v7
	s_and_b64 vcc, exec, s[2:3]
	s_nop 0
	v_cndmask_b32_e64 v7, v7, v8, s[4:5]
	v_sqrt_f32_e32 v8, v7
	s_nop 0
	v_add_u32_e32 v9, -1, v8
	v_add_u32_e32 v10, 1, v8
	v_fma_f32 v11, -v9, v8, v7
	v_fma_f32 v12, -v10, v8, v7
	v_cmp_ge_f32_e64 s[6:7], 0, v11
	s_nop 1
	v_cndmask_b32_e64 v8, v8, v9, s[6:7]
	v_cmp_lt_f32_e64 s[6:7], 0, v12
	s_nop 1
	v_cndmask_b32_e64 v8, v8, v10, s[6:7]
	v_mul_f32_e32 v9, 0x37800000, v8
	v_cndmask_b32_e64 v8, v8, v9, s[4:5]
	v_cmp_class_f32_e64 s[4:5], v7, v5
	s_nop 1
	v_cndmask_b32_e64 v7, v8, v7, s[4:5]
	s_cbranch_vccnz .LBB99_14
; %bb.13:
	global_load_dword v8, v2, s[10:11] offset:512
	s_waitcnt vmcnt(0)
	v_add_f32_e32 v7, v7, v8
.LBB99_14:
	scratch_load_dword v8, off, off offset:20
	s_waitcnt vmcnt(0)
	v_mul_f32_e32 v9, 0x3fb8aa3b, v8
	v_exp_f32_e32 v9, v9
	scratch_store_dword off, v7, off offset:16
	v_add_f32_e32 v9, 1.0, v9
	v_cmp_gt_f32_e32 vcc, s15, v9
	s_nop 1
	v_cndmask_b32_e32 v3, 1.0, v3, vcc
	v_mul_f32_e32 v3, v9, v3
	v_log_f32_e32 v3, v3
	v_cndmask_b32_e32 v6, 0, v6, vcc
	v_mul_f32_e32 v9, 0x3f317217, v3
	v_fma_f32 v9, v3, s13, -v9
	v_fmac_f32_e32 v9, 0x3377d1cf, v3
	v_fmac_f32_e32 v9, 0x3f317217, v3
	v_cmp_lt_f32_e64 vcc, |v3|, s14
	s_nop 1
	v_cndmask_b32_e32 v3, v3, v9, vcc
	v_sub_f32_e32 v3, v3, v6
	v_cmp_lt_f32_e32 vcc, s12, v8
	s_nop 1
	v_cndmask_b32_e32 v3, v3, v8, vcc
	v_mul_f32_e32 v6, 0x4f800000, v3
	v_cmp_gt_f32_e64 s[4:5], s16, v3
	s_and_b64 vcc, exec, s[2:3]
	s_nop 0
	v_cndmask_b32_e64 v3, v3, v6, s[4:5]
	v_sqrt_f32_e32 v6, v3
	s_nop 0
	v_add_u32_e32 v7, -1, v6
	v_add_u32_e32 v8, 1, v6
	v_fma_f32 v9, -v7, v6, v3
	v_fma_f32 v10, -v8, v6, v3
	v_cmp_ge_f32_e64 s[6:7], 0, v9
	s_nop 1
	v_cndmask_b32_e64 v6, v6, v7, s[6:7]
	v_cmp_lt_f32_e64 s[6:7], 0, v10
	s_nop 1
	v_cndmask_b32_e64 v6, v6, v8, s[6:7]
	v_mul_f32_e32 v7, 0x37800000, v6
	v_cndmask_b32_e64 v6, v6, v7, s[4:5]
	v_cmp_class_f32_e64 s[4:5], v3, v5
	s_nop 1
	v_cndmask_b32_e64 v5, v6, v3, s[4:5]
	s_cbranch_vccnz .LBB99_16
; %bb.15:
	global_load_dword v3, v2, s[10:11] offset:516
	s_waitcnt vmcnt(0)
	v_add_f32_e32 v5, v5, v3
.LBB99_16:
	scratch_load_dword v7, off, off offset:24
	s_waitcnt vmcnt(0)
	v_mul_f32_e32 v3, 0x3fb8aa3b, v7
	v_exp_f32_e32 v6, v3
	v_mov_b32_e32 v3, 0x4f800000
	scratch_store_dword off, v5, off offset:20
	v_mov_b32_e32 v5, 0x260
	v_add_f32_e32 v6, 1.0, v6
	v_cmp_gt_f32_e32 vcc, s15, v6
	s_nop 1
	v_cndmask_b32_e32 v8, 1.0, v3, vcc
	v_mul_f32_e32 v6, v6, v8
	v_log_f32_e32 v8, v6
	v_mov_b32_e32 v6, 0x41b17218
	v_cndmask_b32_e32 v9, 0, v6, vcc
	v_mul_f32_e32 v10, 0x3f317217, v8
	v_fma_f32 v10, v8, s13, -v10
	v_fmac_f32_e32 v10, 0x3377d1cf, v8
	v_fmac_f32_e32 v10, 0x3f317217, v8
	v_cmp_lt_f32_e64 vcc, |v8|, s14
	s_nop 1
	v_cndmask_b32_e32 v8, v8, v10, vcc
	v_sub_f32_e32 v8, v8, v9
	v_cmp_lt_f32_e32 vcc, s12, v7
	s_nop 1
	v_cndmask_b32_e32 v7, v8, v7, vcc
	v_mul_f32_e32 v8, 0x4f800000, v7
	v_cmp_gt_f32_e64 s[4:5], s16, v7
	s_and_b64 vcc, exec, s[2:3]
	s_nop 0
	v_cndmask_b32_e64 v7, v7, v8, s[4:5]
	v_sqrt_f32_e32 v8, v7
	s_nop 0
	v_add_u32_e32 v9, -1, v8
	v_add_u32_e32 v10, 1, v8
	v_fma_f32 v11, -v9, v8, v7
	v_fma_f32 v12, -v10, v8, v7
	v_cmp_ge_f32_e64 s[6:7], 0, v11
	s_nop 1
	v_cndmask_b32_e64 v8, v8, v9, s[6:7]
	v_cmp_lt_f32_e64 s[6:7], 0, v12
	s_nop 1
	v_cndmask_b32_e64 v8, v8, v10, s[6:7]
	v_mul_f32_e32 v9, 0x37800000, v8
	v_cndmask_b32_e64 v8, v8, v9, s[4:5]
	v_cmp_class_f32_e64 s[4:5], v7, v5
	s_nop 1
	v_cndmask_b32_e64 v7, v8, v7, s[4:5]
	s_cbranch_vccnz .LBB99_18
; %bb.17:
	global_load_dword v8, v2, s[10:11] offset:520
	s_waitcnt vmcnt(0)
	v_add_f32_e32 v7, v7, v8
.LBB99_18:
	scratch_load_dword v8, off, off offset:28
	s_waitcnt vmcnt(0)
	v_mul_f32_e32 v9, 0x3fb8aa3b, v8
	v_exp_f32_e32 v9, v9
	scratch_store_dword off, v7, off offset:24
	v_add_f32_e32 v9, 1.0, v9
	v_cmp_gt_f32_e32 vcc, s15, v9
	s_nop 1
	v_cndmask_b32_e32 v3, 1.0, v3, vcc
	v_mul_f32_e32 v3, v9, v3
	v_log_f32_e32 v3, v3
	v_cndmask_b32_e32 v6, 0, v6, vcc
	v_mul_f32_e32 v9, 0x3f317217, v3
	v_fma_f32 v9, v3, s13, -v9
	v_fmac_f32_e32 v9, 0x3377d1cf, v3
	v_fmac_f32_e32 v9, 0x3f317217, v3
	v_cmp_lt_f32_e64 vcc, |v3|, s14
	s_nop 1
	v_cndmask_b32_e32 v3, v3, v9, vcc
	v_sub_f32_e32 v3, v3, v6
	v_cmp_lt_f32_e32 vcc, s12, v8
	s_nop 1
	v_cndmask_b32_e32 v3, v3, v8, vcc
	v_mul_f32_e32 v6, 0x4f800000, v3
	v_cmp_gt_f32_e64 s[4:5], s16, v3
	s_and_b64 vcc, exec, s[2:3]
	s_nop 0
	v_cndmask_b32_e64 v3, v3, v6, s[4:5]
	v_sqrt_f32_e32 v6, v3
	s_nop 0
	v_add_u32_e32 v7, -1, v6
	v_add_u32_e32 v8, 1, v6
	v_fma_f32 v9, -v7, v6, v3
	v_fma_f32 v10, -v8, v6, v3
	v_cmp_ge_f32_e64 s[6:7], 0, v9
	s_nop 1
	v_cndmask_b32_e64 v6, v6, v7, s[6:7]
	v_cmp_lt_f32_e64 s[6:7], 0, v10
	s_nop 1
	v_cndmask_b32_e64 v6, v6, v8, s[6:7]
	v_mul_f32_e32 v7, 0x37800000, v6
	v_cndmask_b32_e64 v6, v6, v7, s[4:5]
	v_cmp_class_f32_e64 s[4:5], v3, v5
	s_nop 1
	v_cndmask_b32_e64 v5, v6, v3, s[4:5]
	s_cbranch_vccnz .LBB99_20
; %bb.19:
	global_load_dword v3, v2, s[10:11] offset:524
	s_waitcnt vmcnt(0)
	v_add_f32_e32 v5, v5, v3
.LBB99_20:
	scratch_load_dword v7, off, off offset:32
	s_waitcnt vmcnt(0)
	v_mul_f32_e32 v3, 0x3fb8aa3b, v7
	v_exp_f32_e32 v6, v3
	v_mov_b32_e32 v3, 0x4f800000
	scratch_store_dword off, v5, off offset:28
	v_mov_b32_e32 v5, 0x260
	v_add_f32_e32 v6, 1.0, v6
	v_cmp_gt_f32_e32 vcc, s15, v6
	s_nop 1
	v_cndmask_b32_e32 v8, 1.0, v3, vcc
	v_mul_f32_e32 v6, v6, v8
	v_log_f32_e32 v8, v6
	v_mov_b32_e32 v6, 0x41b17218
	v_cndmask_b32_e32 v9, 0, v6, vcc
	v_mul_f32_e32 v10, 0x3f317217, v8
	v_fma_f32 v10, v8, s13, -v10
	v_fmac_f32_e32 v10, 0x3377d1cf, v8
	v_fmac_f32_e32 v10, 0x3f317217, v8
	v_cmp_lt_f32_e64 vcc, |v8|, s14
	s_nop 1
	v_cndmask_b32_e32 v8, v8, v10, vcc
	v_sub_f32_e32 v8, v8, v9
	v_cmp_lt_f32_e32 vcc, s12, v7
	s_nop 1
	v_cndmask_b32_e32 v7, v8, v7, vcc
	v_mul_f32_e32 v8, 0x4f800000, v7
	v_cmp_gt_f32_e64 s[4:5], s16, v7
	s_and_b64 vcc, exec, s[2:3]
	s_nop 0
	v_cndmask_b32_e64 v7, v7, v8, s[4:5]
	v_sqrt_f32_e32 v8, v7
	s_nop 0
	v_add_u32_e32 v9, -1, v8
	v_add_u32_e32 v10, 1, v8
	v_fma_f32 v11, -v9, v8, v7
	v_fma_f32 v12, -v10, v8, v7
	v_cmp_ge_f32_e64 s[6:7], 0, v11
	s_nop 1
	v_cndmask_b32_e64 v8, v8, v9, s[6:7]
	v_cmp_lt_f32_e64 s[6:7], 0, v12
	s_nop 1
	v_cndmask_b32_e64 v8, v8, v10, s[6:7]
	v_mul_f32_e32 v9, 0x37800000, v8
	v_cndmask_b32_e64 v8, v8, v9, s[4:5]
	v_cmp_class_f32_e64 s[4:5], v7, v5
	s_nop 1
	v_cndmask_b32_e64 v7, v8, v7, s[4:5]
	s_cbranch_vccnz .LBB99_22
; %bb.21:
	global_load_dword v8, v2, s[10:11] offset:1024
	s_waitcnt vmcnt(0)
	v_add_f32_e32 v7, v7, v8
.LBB99_22:
	scratch_load_dword v8, off, off offset:36
	s_waitcnt vmcnt(0)
	v_mul_f32_e32 v9, 0x3fb8aa3b, v8
	v_exp_f32_e32 v9, v9
	scratch_store_dword off, v7, off offset:32
	v_add_f32_e32 v9, 1.0, v9
	v_cmp_gt_f32_e32 vcc, s15, v9
	s_nop 1
	v_cndmask_b32_e32 v3, 1.0, v3, vcc
	v_mul_f32_e32 v3, v9, v3
	v_log_f32_e32 v3, v3
	v_cndmask_b32_e32 v6, 0, v6, vcc
	v_mul_f32_e32 v9, 0x3f317217, v3
	v_fma_f32 v9, v3, s13, -v9
	v_fmac_f32_e32 v9, 0x3377d1cf, v3
	v_fmac_f32_e32 v9, 0x3f317217, v3
	v_cmp_lt_f32_e64 vcc, |v3|, s14
	s_nop 1
	v_cndmask_b32_e32 v3, v3, v9, vcc
	v_sub_f32_e32 v3, v3, v6
	v_cmp_lt_f32_e32 vcc, s12, v8
	s_nop 1
	v_cndmask_b32_e32 v3, v3, v8, vcc
	v_mul_f32_e32 v6, 0x4f800000, v3
	v_cmp_gt_f32_e64 s[4:5], s16, v3
	s_and_b64 vcc, exec, s[2:3]
	s_nop 0
	v_cndmask_b32_e64 v3, v3, v6, s[4:5]
	v_sqrt_f32_e32 v6, v3
	s_nop 0
	v_add_u32_e32 v7, -1, v6
	v_add_u32_e32 v8, 1, v6
	v_fma_f32 v9, -v7, v6, v3
	v_fma_f32 v10, -v8, v6, v3
	v_cmp_ge_f32_e64 s[6:7], 0, v9
	s_nop 1
	v_cndmask_b32_e64 v6, v6, v7, s[6:7]
	v_cmp_lt_f32_e64 s[6:7], 0, v10
	s_nop 1
	v_cndmask_b32_e64 v6, v6, v8, s[6:7]
	v_mul_f32_e32 v7, 0x37800000, v6
	v_cndmask_b32_e64 v6, v6, v7, s[4:5]
	v_cmp_class_f32_e64 s[4:5], v3, v5
	s_nop 1
	v_cndmask_b32_e64 v5, v6, v3, s[4:5]
	s_cbranch_vccnz .LBB99_24
; %bb.23:
	global_load_dword v3, v2, s[10:11] offset:1028
	s_waitcnt vmcnt(0)
	v_add_f32_e32 v5, v5, v3
.LBB99_24:
	scratch_load_dword v7, off, off offset:40
	s_waitcnt vmcnt(0)
	v_mul_f32_e32 v3, 0x3fb8aa3b, v7
	v_exp_f32_e32 v6, v3
	v_mov_b32_e32 v3, 0x4f800000
	scratch_store_dword off, v5, off offset:36
	v_mov_b32_e32 v5, 0x260
	v_add_f32_e32 v6, 1.0, v6
	v_cmp_gt_f32_e32 vcc, s15, v6
	s_nop 1
	v_cndmask_b32_e32 v8, 1.0, v3, vcc
	v_mul_f32_e32 v6, v6, v8
	v_log_f32_e32 v8, v6
	v_mov_b32_e32 v6, 0x41b17218
	v_cndmask_b32_e32 v9, 0, v6, vcc
	v_mul_f32_e32 v10, 0x3f317217, v8
	v_fma_f32 v10, v8, s13, -v10
	v_fmac_f32_e32 v10, 0x3377d1cf, v8
	v_fmac_f32_e32 v10, 0x3f317217, v8
	v_cmp_lt_f32_e64 vcc, |v8|, s14
	s_nop 1
	v_cndmask_b32_e32 v8, v8, v10, vcc
	v_sub_f32_e32 v8, v8, v9
	v_cmp_lt_f32_e32 vcc, s12, v7
	s_nop 1
	v_cndmask_b32_e32 v7, v8, v7, vcc
	v_mul_f32_e32 v8, 0x4f800000, v7
	v_cmp_gt_f32_e64 s[4:5], s16, v7
	s_and_b64 vcc, exec, s[2:3]
	s_nop 0
	v_cndmask_b32_e64 v7, v7, v8, s[4:5]
	v_sqrt_f32_e32 v8, v7
	s_nop 0
	v_add_u32_e32 v9, -1, v8
	v_add_u32_e32 v10, 1, v8
	v_fma_f32 v11, -v9, v8, v7
	v_fma_f32 v12, -v10, v8, v7
	v_cmp_ge_f32_e64 s[6:7], 0, v11
	s_nop 1
	v_cndmask_b32_e64 v8, v8, v9, s[6:7]
	v_cmp_lt_f32_e64 s[6:7], 0, v12
	s_nop 1
	v_cndmask_b32_e64 v8, v8, v10, s[6:7]
	v_mul_f32_e32 v9, 0x37800000, v8
	v_cndmask_b32_e64 v8, v8, v9, s[4:5]
	v_cmp_class_f32_e64 s[4:5], v7, v5
	s_nop 1
	v_cndmask_b32_e64 v7, v8, v7, s[4:5]
	s_cbranch_vccnz .LBB99_26
; %bb.25:
	global_load_dword v8, v2, s[10:11] offset:1032
	s_waitcnt vmcnt(0)
	v_add_f32_e32 v7, v7, v8
.LBB99_26:
	scratch_load_dword v8, off, off offset:44
	s_waitcnt vmcnt(0)
	v_mul_f32_e32 v9, 0x3fb8aa3b, v8
	v_exp_f32_e32 v9, v9
	scratch_store_dword off, v7, off offset:40
	v_add_f32_e32 v9, 1.0, v9
	v_cmp_gt_f32_e32 vcc, s15, v9
	s_nop 1
	v_cndmask_b32_e32 v3, 1.0, v3, vcc
	v_mul_f32_e32 v3, v9, v3
	v_log_f32_e32 v3, v3
	v_cndmask_b32_e32 v6, 0, v6, vcc
	v_mul_f32_e32 v9, 0x3f317217, v3
	v_fma_f32 v9, v3, s13, -v9
	v_fmac_f32_e32 v9, 0x3377d1cf, v3
	v_fmac_f32_e32 v9, 0x3f317217, v3
	v_cmp_lt_f32_e64 vcc, |v3|, s14
	s_nop 1
	v_cndmask_b32_e32 v3, v3, v9, vcc
	v_sub_f32_e32 v3, v3, v6
	v_cmp_lt_f32_e32 vcc, s12, v8
	s_nop 1
	v_cndmask_b32_e32 v3, v3, v8, vcc
	v_mul_f32_e32 v6, 0x4f800000, v3
	v_cmp_gt_f32_e64 s[4:5], s16, v3
	s_and_b64 vcc, exec, s[2:3]
	s_nop 0
	v_cndmask_b32_e64 v3, v3, v6, s[4:5]
	v_sqrt_f32_e32 v6, v3
	s_nop 0
	v_add_u32_e32 v7, -1, v6
	v_add_u32_e32 v8, 1, v6
	v_fma_f32 v9, -v7, v6, v3
	v_fma_f32 v10, -v8, v6, v3
	v_cmp_ge_f32_e64 s[6:7], 0, v9
	s_nop 1
	v_cndmask_b32_e64 v6, v6, v7, s[6:7]
	v_cmp_lt_f32_e64 s[6:7], 0, v10
	s_nop 1
	v_cndmask_b32_e64 v6, v6, v8, s[6:7]
	v_mul_f32_e32 v7, 0x37800000, v6
	v_cndmask_b32_e64 v6, v6, v7, s[4:5]
	v_cmp_class_f32_e64 s[4:5], v3, v5
	s_nop 1
	v_cndmask_b32_e64 v5, v6, v3, s[4:5]
	s_cbranch_vccnz .LBB99_28
; %bb.27:
	global_load_dword v3, v2, s[10:11] offset:1036
	s_waitcnt vmcnt(0)
	v_add_f32_e32 v5, v5, v3
.LBB99_28:
	scratch_load_dword v7, off, off offset:48
	s_waitcnt vmcnt(0)
	v_mul_f32_e32 v3, 0x3fb8aa3b, v7
	v_exp_f32_e32 v6, v3
	v_mov_b32_e32 v3, 0x4f800000
	scratch_store_dword off, v5, off offset:44
	v_mov_b32_e32 v5, 0x260
	v_add_f32_e32 v6, 1.0, v6
	v_cmp_gt_f32_e32 vcc, s15, v6
	s_nop 1
	v_cndmask_b32_e32 v8, 1.0, v3, vcc
	v_mul_f32_e32 v6, v6, v8
	v_log_f32_e32 v8, v6
	v_mov_b32_e32 v6, 0x41b17218
	v_cndmask_b32_e32 v9, 0, v6, vcc
	v_mul_f32_e32 v10, 0x3f317217, v8
	v_fma_f32 v10, v8, s13, -v10
	v_fmac_f32_e32 v10, 0x3377d1cf, v8
	v_fmac_f32_e32 v10, 0x3f317217, v8
	v_cmp_lt_f32_e64 vcc, |v8|, s14
	s_nop 1
	v_cndmask_b32_e32 v8, v8, v10, vcc
	v_sub_f32_e32 v8, v8, v9
	v_cmp_lt_f32_e32 vcc, s12, v7
	s_nop 1
	v_cndmask_b32_e32 v7, v8, v7, vcc
	v_mul_f32_e32 v8, 0x4f800000, v7
	v_cmp_gt_f32_e64 s[4:5], s16, v7
	s_and_b64 vcc, exec, s[2:3]
	s_nop 0
	v_cndmask_b32_e64 v7, v7, v8, s[4:5]
	v_sqrt_f32_e32 v8, v7
	s_nop 0
	v_add_u32_e32 v9, -1, v8
	v_add_u32_e32 v10, 1, v8
	v_fma_f32 v11, -v9, v8, v7
	v_fma_f32 v12, -v10, v8, v7
	v_cmp_ge_f32_e64 s[6:7], 0, v11
	s_nop 1
	v_cndmask_b32_e64 v8, v8, v9, s[6:7]
	v_cmp_lt_f32_e64 s[6:7], 0, v12
	s_nop 1
	v_cndmask_b32_e64 v8, v8, v10, s[6:7]
	v_mul_f32_e32 v9, 0x37800000, v8
	v_cndmask_b32_e64 v8, v8, v9, s[4:5]
	v_cmp_class_f32_e64 s[4:5], v7, v5
	s_nop 1
	v_cndmask_b32_e64 v7, v8, v7, s[4:5]
	s_cbranch_vccnz .LBB99_30
; %bb.29:
	global_load_dword v8, v2, s[10:11] offset:1536
	s_waitcnt vmcnt(0)
	v_add_f32_e32 v7, v7, v8
.LBB99_30:
	scratch_load_dword v8, off, off offset:52
	s_waitcnt vmcnt(0)
	v_mul_f32_e32 v9, 0x3fb8aa3b, v8
	v_exp_f32_e32 v9, v9
	scratch_store_dword off, v7, off offset:48
	v_add_f32_e32 v9, 1.0, v9
	v_cmp_gt_f32_e32 vcc, s15, v9
	s_nop 1
	v_cndmask_b32_e32 v3, 1.0, v3, vcc
	v_mul_f32_e32 v3, v9, v3
	v_log_f32_e32 v3, v3
	v_cndmask_b32_e32 v6, 0, v6, vcc
	v_mul_f32_e32 v9, 0x3f317217, v3
	v_fma_f32 v9, v3, s13, -v9
	v_fmac_f32_e32 v9, 0x3377d1cf, v3
	v_fmac_f32_e32 v9, 0x3f317217, v3
	v_cmp_lt_f32_e64 vcc, |v3|, s14
	s_nop 1
	v_cndmask_b32_e32 v3, v3, v9, vcc
	v_sub_f32_e32 v3, v3, v6
	v_cmp_lt_f32_e32 vcc, s12, v8
	s_nop 1
	v_cndmask_b32_e32 v3, v3, v8, vcc
	v_mul_f32_e32 v6, 0x4f800000, v3
	v_cmp_gt_f32_e64 s[4:5], s16, v3
	s_and_b64 vcc, exec, s[2:3]
	s_nop 0
	v_cndmask_b32_e64 v3, v3, v6, s[4:5]
	v_sqrt_f32_e32 v6, v3
	s_nop 0
	v_add_u32_e32 v7, -1, v6
	v_add_u32_e32 v8, 1, v6
	v_fma_f32 v9, -v7, v6, v3
	v_fma_f32 v10, -v8, v6, v3
	v_cmp_ge_f32_e64 s[6:7], 0, v9
	s_nop 1
	v_cndmask_b32_e64 v6, v6, v7, s[6:7]
	v_cmp_lt_f32_e64 s[6:7], 0, v10
	s_nop 1
	v_cndmask_b32_e64 v6, v6, v8, s[6:7]
	v_mul_f32_e32 v7, 0x37800000, v6
	v_cndmask_b32_e64 v6, v6, v7, s[4:5]
	v_cmp_class_f32_e64 s[4:5], v3, v5
	s_nop 1
	v_cndmask_b32_e64 v5, v6, v3, s[4:5]
	s_cbranch_vccnz .LBB99_32
; %bb.31:
	global_load_dword v3, v2, s[10:11] offset:1540
	s_waitcnt vmcnt(0)
	v_add_f32_e32 v5, v5, v3
.LBB99_32:
	scratch_load_dword v7, off, off offset:56
	s_waitcnt vmcnt(0)
	v_mul_f32_e32 v3, 0x3fb8aa3b, v7
	v_exp_f32_e32 v6, v3
	v_mov_b32_e32 v3, 0x4f800000
	scratch_store_dword off, v5, off offset:52
	v_mov_b32_e32 v5, 0x260
	v_add_f32_e32 v6, 1.0, v6
	v_cmp_gt_f32_e32 vcc, s15, v6
	s_nop 1
	v_cndmask_b32_e32 v8, 1.0, v3, vcc
	v_mul_f32_e32 v6, v6, v8
	v_log_f32_e32 v8, v6
	v_mov_b32_e32 v6, 0x41b17218
	v_cndmask_b32_e32 v9, 0, v6, vcc
	v_mul_f32_e32 v10, 0x3f317217, v8
	v_fma_f32 v10, v8, s13, -v10
	v_fmac_f32_e32 v10, 0x3377d1cf, v8
	v_fmac_f32_e32 v10, 0x3f317217, v8
	v_cmp_lt_f32_e64 vcc, |v8|, s14
	s_nop 1
	v_cndmask_b32_e32 v8, v8, v10, vcc
	v_sub_f32_e32 v8, v8, v9
	v_cmp_lt_f32_e32 vcc, s12, v7
	s_nop 1
	v_cndmask_b32_e32 v7, v8, v7, vcc
	v_mul_f32_e32 v8, 0x4f800000, v7
	v_cmp_gt_f32_e64 s[4:5], s16, v7
	s_and_b64 vcc, exec, s[2:3]
	s_nop 0
	v_cndmask_b32_e64 v7, v7, v8, s[4:5]
	v_sqrt_f32_e32 v8, v7
	s_nop 0
	v_add_u32_e32 v9, -1, v8
	v_add_u32_e32 v10, 1, v8
	v_fma_f32 v11, -v9, v8, v7
	v_fma_f32 v12, -v10, v8, v7
	v_cmp_ge_f32_e64 s[6:7], 0, v11
	s_nop 1
	v_cndmask_b32_e64 v8, v8, v9, s[6:7]
	v_cmp_lt_f32_e64 s[6:7], 0, v12
	s_nop 1
	v_cndmask_b32_e64 v8, v8, v10, s[6:7]
	v_mul_f32_e32 v9, 0x37800000, v8
	v_cndmask_b32_e64 v8, v8, v9, s[4:5]
	v_cmp_class_f32_e64 s[4:5], v7, v5
	s_nop 1
	v_cndmask_b32_e64 v7, v8, v7, s[4:5]
	s_cbranch_vccnz .LBB99_34
; %bb.33:
	global_load_dword v8, v2, s[10:11] offset:1544
	s_waitcnt vmcnt(0)
	v_add_f32_e32 v7, v7, v8
.LBB99_34:
	scratch_load_dword v8, off, off offset:60
	s_waitcnt vmcnt(0)
	v_mul_f32_e32 v9, 0x3fb8aa3b, v8
	v_exp_f32_e32 v9, v9
	scratch_store_dword off, v7, off offset:56
	v_add_f32_e32 v9, 1.0, v9
	v_cmp_gt_f32_e32 vcc, s15, v9
	s_nop 1
	v_cndmask_b32_e32 v3, 1.0, v3, vcc
	v_mul_f32_e32 v3, v9, v3
	v_log_f32_e32 v3, v3
	v_cndmask_b32_e32 v6, 0, v6, vcc
	v_mul_f32_e32 v9, 0x3f317217, v3
	v_fma_f32 v9, v3, s13, -v9
	v_fmac_f32_e32 v9, 0x3377d1cf, v3
	v_fmac_f32_e32 v9, 0x3f317217, v3
	v_cmp_lt_f32_e64 vcc, |v3|, s14
	s_nop 1
	v_cndmask_b32_e32 v3, v3, v9, vcc
	v_sub_f32_e32 v3, v3, v6
	v_cmp_lt_f32_e32 vcc, s12, v8
	s_nop 1
	v_cndmask_b32_e32 v3, v3, v8, vcc
	v_mul_f32_e32 v6, 0x4f800000, v3
	v_cmp_gt_f32_e64 s[4:5], s16, v3
	s_and_b64 vcc, exec, s[2:3]
	s_nop 0
	v_cndmask_b32_e64 v3, v3, v6, s[4:5]
	v_sqrt_f32_e32 v6, v3
	s_nop 0
	v_add_u32_e32 v7, -1, v6
	v_add_u32_e32 v8, 1, v6
	v_fma_f32 v9, -v7, v6, v3
	v_fma_f32 v10, -v8, v6, v3
	v_cmp_ge_f32_e64 s[6:7], 0, v9
	s_nop 1
	v_cndmask_b32_e64 v6, v6, v7, s[6:7]
	v_cmp_lt_f32_e64 s[6:7], 0, v10
	s_nop 1
	v_cndmask_b32_e64 v6, v6, v8, s[6:7]
	v_mul_f32_e32 v7, 0x37800000, v6
	v_cndmask_b32_e64 v6, v6, v7, s[4:5]
	v_cmp_class_f32_e64 s[4:5], v3, v5
	s_nop 1
	v_cndmask_b32_e64 v3, v6, v3, s[4:5]
	s_cbranch_vccnz .LBB99_36
; %bb.35:
	global_load_dword v2, v2, s[10:11] offset:1548
	s_waitcnt vmcnt(0)
	v_add_f32_e32 v3, v3, v2
.LBB99_36:
	s_load_dwordx4 s[12:15], s[0:1], 0x30
	s_mov_b32 s31, 0
	v_cmp_eq_u32_e64 s[6:7], 0, v1
	scratch_store_dword off, v3, off offset:60
	s_waitcnt lgkmcnt(0)
	s_bitcmp1_b32 s15, 0
	s_cselect_b64 s[4:5], -1, 0
	s_cmp_gt_i32 s12, 0
	s_cselect_b64 s[24:25], -1, 0
	s_and_b64 vcc, exec, s[24:25]
	s_cbranch_vccz .LBB99_65
; %bb.37:
	v_mbcnt_lo_u32_b32 v2, -1, 0
	v_mbcnt_hi_u32_b32 v2, -1, v2
	v_and_b32_e32 v3, 0x60, v2
	v_add_u32_e32 v3, 32, v3
	v_xor_b32_e32 v5, 16, v2
	v_cmp_lt_i32_e32 vcc, v5, v3
	s_load_dwordx4 s[16:19], s[0:1], 0x20
	v_mul_lo_u32 v6, v0, s12
	v_cndmask_b32_e32 v5, v2, v5, vcc
	v_lshlrev_b32_e32 v7, 2, v5
	v_xor_b32_e32 v5, 8, v2
	v_cmp_lt_i32_e32 vcc, v5, v3
	v_mov_b32_e32 v12, 0x80
	v_mov_b32_e32 v13, 0x81
	v_cndmask_b32_e32 v5, v2, v5, vcc
	v_lshlrev_b32_e32 v8, 2, v5
	v_xor_b32_e32 v5, 4, v2
	v_cmp_lt_i32_e32 vcc, v5, v3
	v_mov_b32_e32 v14, 0x82
	v_mov_b32_e32 v15, 0x83
	;; [unrolled: 6-line block ×3, first 2 shown]
	v_cndmask_b32_e32 v5, v2, v5, vcc
	v_lshlrev_b32_e32 v10, 2, v5
	v_xor_b32_e32 v5, 1, v2
	v_cmp_lt_i32_e32 vcc, v5, v3
	v_bfrev_b32_e32 v18, 4.0
	v_bfrev_b32_e32 v19, -4.0
	v_cndmask_b32_e32 v2, v2, v5, vcc
	v_lshlrev_b32_e32 v11, 2, v2
	v_mov_b32_e32 v5, 0
	v_mov_b32_e32 v20, 0x180
	;; [unrolled: 1-line block ×9, first 2 shown]
	s_branch .LBB99_39
.LBB99_38:                              ;   in Loop: Header=BB99_39 Depth=1
	s_or_b64 exec, exec, s[0:1]
	s_cmp_eq_u32 s12, s31
	v_add_u32_e32 v27, s30, v27
	s_cbranch_scc1 .LBB99_66
.LBB99_39:                              ; =>This Inner Loop Header: Depth=1
	scratch_load_dwordx4 v[28:31], off, off
	scratch_load_dwordx4 v[32:35], off, off offset:16
	scratch_load_dwordx4 v[36:39], off, off offset:32
	;; [unrolled: 1-line block ×3, first 2 shown]
	s_waitcnt vmcnt(3)
	v_cmp_gt_f32_e32 vcc, v29, v28
	s_nop 1
	v_cndmask_b32_e32 v3, v28, v29, vcc
	v_cndmask_b32_e64 v2, 0, 1, vcc
	v_cmp_gt_f32_e32 vcc, v30, v3
	s_nop 1
	v_cndmask_b32_e32 v3, v3, v30, vcc
	v_cndmask_b32_e64 v2, v2, 2, vcc
	;; [unrolled: 4-line block ×3, first 2 shown]
	s_waitcnt vmcnt(2)
	v_cmp_gt_f32_e32 vcc, v32, v3
	s_nop 1
	v_cndmask_b32_e32 v3, v3, v32, vcc
	v_cndmask_b32_e32 v2, v2, v12, vcc
	v_cmp_gt_f32_e32 vcc, v33, v3
	s_nop 1
	v_cndmask_b32_e32 v3, v3, v33, vcc
	v_cndmask_b32_e32 v2, v2, v13, vcc
	v_cmp_gt_f32_e32 vcc, v34, v3
	s_nop 1
	v_cndmask_b32_e32 v3, v3, v34, vcc
	v_cndmask_b32_e32 v2, v2, v14, vcc
	v_cmp_gt_f32_e32 vcc, v35, v3
	s_nop 1
	v_cndmask_b32_e32 v3, v3, v35, vcc
	v_cndmask_b32_e32 v2, v2, v15, vcc
	s_waitcnt vmcnt(1)
	v_cmp_gt_f32_e32 vcc, v36, v3
	s_nop 1
	v_cndmask_b32_e32 v3, v3, v36, vcc
	v_cndmask_b32_e32 v2, v2, v16, vcc
	v_cmp_gt_f32_e32 vcc, v37, v3
	s_nop 1
	v_cndmask_b32_e32 v3, v3, v37, vcc
	v_cndmask_b32_e32 v2, v2, v17, vcc
	v_cmp_gt_f32_e32 vcc, v38, v3
	s_nop 1
	v_cndmask_b32_e32 v3, v3, v38, vcc
	v_cndmask_b32_e32 v2, v2, v18, vcc
	v_cmp_gt_f32_e32 vcc, v39, v3
	s_nop 1
	v_cndmask_b32_e32 v3, v3, v39, vcc
	v_cndmask_b32_e32 v2, v2, v19, vcc
	s_waitcnt vmcnt(0)
	v_cmp_gt_f32_e32 vcc, v40, v3
	s_nop 1
	v_cndmask_b32_e32 v3, v3, v40, vcc
	v_cndmask_b32_e32 v2, v2, v20, vcc
	v_cmp_gt_f32_e32 vcc, v41, v3
	s_nop 1
	v_cndmask_b32_e32 v3, v3, v41, vcc
	v_cndmask_b32_e32 v2, v2, v21, vcc
	v_cmp_gt_f32_e32 vcc, v42, v3
	s_nop 1
	v_cndmask_b32_e32 v3, v3, v42, vcc
	v_cndmask_b32_e32 v2, v2, v22, vcc
	v_cmp_gt_f32_e32 vcc, v43, v3
	s_nop 1
	v_cndmask_b32_e32 v2, v2, v23, vcc
	v_cndmask_b32_e32 v28, v3, v43, vcc
	ds_bpermute_b32 v3, v7, v28
	v_or_b32_e32 v2, v4, v2
	ds_bpermute_b32 v29, v7, v2
	s_waitcnt lgkmcnt(0)
	v_cmp_lt_f32_e64 s[26:27], v28, v3
	v_cmp_nlt_f32_e32 vcc, v28, v3
	s_and_saveexec_b64 s[28:29], vcc
; %bb.40:                               ;   in Loop: Header=BB99_39 Depth=1
	v_cmp_eq_f32_e32 vcc, v28, v3
	v_cmp_lt_i32_e64 s[0:1], v29, v2
	s_and_b64 s[0:1], vcc, s[0:1]
	s_andn2_b64 s[26:27], s[26:27], exec
	s_and_b64 s[0:1], s[0:1], exec
	s_or_b64 s[26:27], s[26:27], s[0:1]
; %bb.41:                               ;   in Loop: Header=BB99_39 Depth=1
	s_or_b64 exec, exec, s[28:29]
	s_and_saveexec_b64 s[0:1], s[26:27]
; %bb.42:                               ;   in Loop: Header=BB99_39 Depth=1
	v_mov_b32_e32 v28, v3
	v_mov_b32_e32 v2, v29
; %bb.43:                               ;   in Loop: Header=BB99_39 Depth=1
	s_or_b64 exec, exec, s[0:1]
	ds_bpermute_b32 v3, v8, v28
	ds_bpermute_b32 v29, v8, v2
	s_waitcnt lgkmcnt(1)
	v_cmp_lt_f32_e64 s[26:27], v28, v3
	v_cmp_nlt_f32_e32 vcc, v28, v3
	s_and_saveexec_b64 s[28:29], vcc
	s_cbranch_execz .LBB99_45
; %bb.44:                               ;   in Loop: Header=BB99_39 Depth=1
	v_cmp_eq_f32_e32 vcc, v28, v3
	s_waitcnt lgkmcnt(0)
	v_cmp_lt_i32_e64 s[0:1], v29, v2
	s_and_b64 s[0:1], vcc, s[0:1]
	s_andn2_b64 s[26:27], s[26:27], exec
	s_and_b64 s[0:1], s[0:1], exec
	s_or_b64 s[26:27], s[26:27], s[0:1]
.LBB99_45:                              ;   in Loop: Header=BB99_39 Depth=1
	s_or_b64 exec, exec, s[28:29]
	s_and_saveexec_b64 s[0:1], s[26:27]
	s_cbranch_execz .LBB99_47
; %bb.46:                               ;   in Loop: Header=BB99_39 Depth=1
	v_mov_b32_e32 v28, v3
	s_waitcnt lgkmcnt(0)
	v_mov_b32_e32 v2, v29
.LBB99_47:                              ;   in Loop: Header=BB99_39 Depth=1
	s_or_b64 exec, exec, s[0:1]
	ds_bpermute_b32 v3, v9, v28
	s_waitcnt lgkmcnt(1)
	ds_bpermute_b32 v29, v9, v2
	s_waitcnt lgkmcnt(1)
	v_cmp_lt_f32_e64 s[26:27], v28, v3
	v_cmp_nlt_f32_e32 vcc, v28, v3
	s_and_saveexec_b64 s[28:29], vcc
	s_cbranch_execz .LBB99_49
; %bb.48:                               ;   in Loop: Header=BB99_39 Depth=1
	v_cmp_eq_f32_e32 vcc, v28, v3
	s_waitcnt lgkmcnt(0)
	v_cmp_lt_i32_e64 s[0:1], v29, v2
	s_and_b64 s[0:1], vcc, s[0:1]
	s_andn2_b64 s[26:27], s[26:27], exec
	s_and_b64 s[0:1], s[0:1], exec
	s_or_b64 s[26:27], s[26:27], s[0:1]
.LBB99_49:                              ;   in Loop: Header=BB99_39 Depth=1
	s_or_b64 exec, exec, s[28:29]
	s_and_saveexec_b64 s[0:1], s[26:27]
	s_cbranch_execz .LBB99_51
; %bb.50:                               ;   in Loop: Header=BB99_39 Depth=1
	v_mov_b32_e32 v28, v3
	s_waitcnt lgkmcnt(0)
	v_mov_b32_e32 v2, v29
.LBB99_51:                              ;   in Loop: Header=BB99_39 Depth=1
	s_or_b64 exec, exec, s[0:1]
	ds_bpermute_b32 v3, v10, v28
	s_waitcnt lgkmcnt(1)
	;; [unrolled: 26-line block ×3, first 2 shown]
	ds_bpermute_b32 v29, v11, v2
	s_waitcnt lgkmcnt(1)
	v_cmp_lt_f32_e64 s[26:27], v28, v3
	v_cmp_nlt_f32_e32 vcc, v28, v3
	s_and_saveexec_b64 s[28:29], vcc
	s_cbranch_execnz .LBB99_58
; %bb.56:                               ;   in Loop: Header=BB99_39 Depth=1
	s_or_b64 exec, exec, s[28:29]
	s_and_saveexec_b64 s[0:1], s[26:27]
	s_cbranch_execnz .LBB99_59
.LBB99_57:                              ;   in Loop: Header=BB99_39 Depth=1
	s_or_b64 exec, exec, s[0:1]
	s_and_saveexec_b64 s[26:27], s[6:7]
	s_cbranch_execnz .LBB99_60
	s_branch .LBB99_63
.LBB99_58:                              ;   in Loop: Header=BB99_39 Depth=1
	v_cmp_eq_f32_e32 vcc, v28, v3
	s_waitcnt lgkmcnt(0)
	v_cmp_lt_i32_e64 s[0:1], v29, v2
	s_and_b64 s[0:1], vcc, s[0:1]
	s_andn2_b64 s[26:27], s[26:27], exec
	s_and_b64 s[0:1], s[0:1], exec
	s_or_b64 s[26:27], s[26:27], s[0:1]
	s_or_b64 exec, exec, s[28:29]
	s_and_saveexec_b64 s[0:1], s[26:27]
	s_cbranch_execz .LBB99_57
.LBB99_59:                              ;   in Loop: Header=BB99_39 Depth=1
	s_waitcnt lgkmcnt(0)
	v_mov_b32_e32 v2, v29
	v_mov_b32_e32 v28, v3
	s_or_b64 exec, exec, s[0:1]
	s_and_saveexec_b64 s[26:27], s[6:7]
	s_cbranch_execz .LBB99_63
.LBB99_60:                              ;   in Loop: Header=BB99_39 Depth=1
	s_and_b64 vcc, exec, s[2:3]
	s_cbranch_vccnz .LBB99_62
; %bb.61:                               ;   in Loop: Header=BB99_39 Depth=1
	v_ashrrev_i32_e32 v3, 31, v2
	v_lshl_add_u64 v[30:31], v[2:3], 2, s[10:11]
	global_load_dword v3, v[30:31], off
	s_waitcnt vmcnt(0)
	v_sub_f32_e32 v28, v28, v3
.LBB99_62:                              ;   in Loop: Header=BB99_39 Depth=1
	v_add_u32_e32 v30, s31, v6
	v_cmp_le_i32_e32 vcc, s13, v2
	v_cmp_gt_i32_e64 s[0:1], s14, v2
	v_ashrrev_i32_e32 v31, 31, v30
	s_and_b64 s[0:1], vcc, s[0:1]
	v_lshlrev_b64 v[30:31], 2, v[30:31]
	v_lshl_add_u64 v[32:33], s[20:21], 0, v[30:31]
	v_subrev_u32_e32 v3, s13, v2
	s_and_b64 vcc, s[22:23], s[0:1]
	global_store_dword v[32:33], v28, off
	v_cndmask_b32_e32 v3, v26, v3, vcc
	v_lshl_add_u64 v[32:33], s[16:17], 0, v[30:31]
	global_store_dword v[32:33], v3, off
	v_add_f32_e32 v3, v5, v28
	v_lshl_add_u64 v[30:31], s[18:19], 0, v[30:31]
	v_cndmask_b32_e64 v5, v5, v3, s[4:5]
	global_store_dword v[30:31], v27, off
.LBB99_63:                              ;   in Loop: Header=BB99_39 Depth=1
	s_or_b64 exec, exec, s[26:27]
	v_ashrrev_i32_e32 v28, 31, v2
	v_lshrrev_b32_e32 v3, 30, v28
	s_waitcnt lgkmcnt(0)
	v_add_u32_e32 v29, v2, v3
	v_ashrrev_i32_e32 v3, 2, v29
	v_ashrrev_i32_e32 v29, 31, v29
	v_lshrrev_b32_e32 v29, 27, v29
	v_add_u32_e32 v29, v3, v29
	s_add_i32 s31, s31, 1
	v_and_b32_e32 v29, 0xffffffe0, v29
	s_cmp_lt_i32 s31, s12
	v_sub_u32_e32 v29, v3, v29
	s_cselect_b64 s[0:1], -1, 0
	v_cmp_eq_u32_e32 vcc, v1, v29
	s_and_b64 s[26:27], s[0:1], vcc
	s_and_saveexec_b64 s[0:1], s[26:27]
	s_cbranch_execz .LBB99_38
; %bb.64:                               ;   in Loop: Header=BB99_39 Depth=1
	v_lshrrev_b32_e32 v28, 25, v28
	v_add_u32_e32 v28, v2, v28
	v_lshlrev_b32_e32 v3, 2, v3
	v_ashrrev_i32_e32 v28, 7, v28
	v_sub_u32_e32 v2, v2, v3
	v_lshl_add_u32 v2, v28, 2, v2
	v_lshl_add_u32 v2, v2, 2, v24
	scratch_store_dword v2, v25, off
	s_branch .LBB99_38
.LBB99_65:
	v_mov_b32_e32 v5, 0
.LBB99_66:
	v_cmp_eq_u32_e32 vcc, 0, v1
	s_and_b64 exec, exec, vcc
	s_cbranch_execz .LBB99_79
; %bb.67:
	s_andn2_b64 vcc, exec, s[4:5]
	v_cvt_f32_f64_e32 v2, s[8:9]
	s_cbranch_vccnz .LBB99_69
; %bb.68:
	v_cmp_lt_f32_e32 vcc, 0, v5
	s_nop 1
	v_cndmask_b32_e32 v1, 1.0, v5, vcc
	v_div_scale_f32 v3, s[0:1], v1, v1, v2
	v_rcp_f32_e32 v4, v3
	s_nop 0
	v_fma_f32 v5, -v3, v4, 1.0
	v_fmac_f32_e32 v4, v5, v4
	v_div_scale_f32 v5, vcc, v2, v1, v2
	v_mul_f32_e32 v6, v5, v4
	v_fma_f32 v7, -v3, v6, v5
	v_fmac_f32_e32 v6, v7, v4
	v_fma_f32 v3, -v3, v6, v5
	v_div_fmas_f32 v3, v3, v4, v6
	v_div_fixup_f32 v2, v3, v1, v2
.LBB99_69:
	s_andn2_b64 vcc, exec, s[24:25]
	s_cbranch_vccnz .LBB99_79
; %bb.70:
	v_mul_lo_u32 v0, v0, s12
	s_cmp_gt_u32 s12, 3
	v_ashrrev_i32_e32 v1, 31, v0
	s_cbranch_scc0 .LBB99_74
; %bb.71:
	s_and_b32 s0, s12, 0x7ffffffc
	v_lshl_add_u64 v[4:5], v[0:1], 2, s[20:21]
	v_mov_b32_e32 v3, v2
	v_lshl_add_u64 v[4:5], v[4:5], 0, 8
	s_mov_b32 s1, s0
.LBB99_72:                              ; =>This Inner Loop Header: Depth=1
	global_load_dwordx4 v[6:9], v[4:5], off offset:-8
	s_add_i32 s1, s1, -4
	s_cmp_lg_u32 s1, 0
	s_waitcnt vmcnt(0)
	v_pk_mul_f32 v[6:7], v[2:3], v[6:7]
	v_pk_mul_f32 v[8:9], v[2:3], v[8:9]
	global_store_dwordx4 v[4:5], v[6:9], off offset:-8
	v_lshl_add_u64 v[4:5], v[4:5], 0, 16
	s_cbranch_scc1 .LBB99_72
; %bb.73:
	s_cmp_lg_u32 s0, s12
	s_cselect_b64 s[2:3], -1, 0
	s_branch .LBB99_76
.LBB99_74:
	s_mov_b64 s[2:3], 0
                                        ; implicit-def: $sgpr0
	s_cbranch_execz .LBB99_76
; %bb.75:
	s_mov_b64 s[2:3], -1
	s_mov_b32 s0, 0
.LBB99_76:
	s_andn2_b64 vcc, exec, s[2:3]
	s_cbranch_vccnz .LBB99_79
; %bb.77:
	s_mov_b32 s1, 0
	v_lshl_add_u64 v[0:1], v[0:1], 0, s[0:1]
	s_sub_i32 s2, s12, s0
	v_lshl_add_u64 v[0:1], v[0:1], 2, s[20:21]
.LBB99_78:                              ; =>This Inner Loop Header: Depth=1
	global_load_dword v3, v[0:1], off
	s_add_i32 s2, s2, -1
	s_cmp_lg_u32 s2, 0
	s_waitcnt vmcnt(0)
	v_mul_f32_e32 v3, v2, v3
	global_store_dword v[0:1], v3, off
	v_lshl_add_u64 v[0:1], v[0:1], 0, 4
	s_cbranch_scc1 .LBB99_78
.LBB99_79:
	s_endpgm
	.section	.rodata,"a",@progbits
	.p2align	6, 0x0
	.amdhsa_kernel _ZN4vllm3moe22topkGatingSoftplusSqrtILi16ELi512ELi4ELi16ELi32ELb0EjfEEvPKT6_PKbPfiPT5_PiiiibdPKfPKS8_SE_
		.amdhsa_group_segment_fixed_size 0
		.amdhsa_private_segment_fixed_size 80
		.amdhsa_kernarg_size 96
		.amdhsa_user_sgpr_count 2
		.amdhsa_user_sgpr_dispatch_ptr 0
		.amdhsa_user_sgpr_queue_ptr 0
		.amdhsa_user_sgpr_kernarg_segment_ptr 1
		.amdhsa_user_sgpr_dispatch_id 0
		.amdhsa_user_sgpr_kernarg_preload_length 0
		.amdhsa_user_sgpr_kernarg_preload_offset 0
		.amdhsa_user_sgpr_private_segment_size 0
		.amdhsa_uses_dynamic_stack 0
		.amdhsa_enable_private_segment 1
		.amdhsa_system_sgpr_workgroup_id_x 1
		.amdhsa_system_sgpr_workgroup_id_y 0
		.amdhsa_system_sgpr_workgroup_id_z 0
		.amdhsa_system_sgpr_workgroup_info 0
		.amdhsa_system_vgpr_workitem_id 1
		.amdhsa_next_free_vgpr 44
		.amdhsa_next_free_sgpr 32
		.amdhsa_accum_offset 44
		.amdhsa_reserve_vcc 1
		.amdhsa_float_round_mode_32 0
		.amdhsa_float_round_mode_16_64 0
		.amdhsa_float_denorm_mode_32 3
		.amdhsa_float_denorm_mode_16_64 3
		.amdhsa_dx10_clamp 1
		.amdhsa_ieee_mode 1
		.amdhsa_fp16_overflow 0
		.amdhsa_tg_split 0
		.amdhsa_exception_fp_ieee_invalid_op 0
		.amdhsa_exception_fp_denorm_src 0
		.amdhsa_exception_fp_ieee_div_zero 0
		.amdhsa_exception_fp_ieee_overflow 0
		.amdhsa_exception_fp_ieee_underflow 0
		.amdhsa_exception_fp_ieee_inexact 0
		.amdhsa_exception_int_div_zero 0
	.end_amdhsa_kernel
	.section	.text._ZN4vllm3moe22topkGatingSoftplusSqrtILi16ELi512ELi4ELi16ELi32ELb0EjfEEvPKT6_PKbPfiPT5_PiiiibdPKfPKS8_SE_,"axG",@progbits,_ZN4vllm3moe22topkGatingSoftplusSqrtILi16ELi512ELi4ELi16ELi32ELb0EjfEEvPKT6_PKbPfiPT5_PiiiibdPKfPKS8_SE_,comdat
.Lfunc_end99:
	.size	_ZN4vllm3moe22topkGatingSoftplusSqrtILi16ELi512ELi4ELi16ELi32ELb0EjfEEvPKT6_PKbPfiPT5_PiiiibdPKfPKS8_SE_, .Lfunc_end99-_ZN4vllm3moe22topkGatingSoftplusSqrtILi16ELi512ELi4ELi16ELi32ELb0EjfEEvPKT6_PKbPfiPT5_PiiiibdPKfPKS8_SE_
                                        ; -- End function
	.section	.AMDGPU.csdata,"",@progbits
; Kernel info:
; codeLenInByte = 6816
; NumSgprs: 38
; NumVgprs: 44
; NumAgprs: 0
; TotalNumVgprs: 44
; ScratchSize: 80
; MemoryBound: 0
; FloatMode: 240
; IeeeMode: 1
; LDSByteSize: 0 bytes/workgroup (compile time only)
; SGPRBlocks: 4
; VGPRBlocks: 5
; NumSGPRsForWavesPerEU: 38
; NumVGPRsForWavesPerEU: 44
; AccumOffset: 44
; Occupancy: 8
; WaveLimiterHint : 0
; COMPUTE_PGM_RSRC2:SCRATCH_EN: 1
; COMPUTE_PGM_RSRC2:USER_SGPR: 2
; COMPUTE_PGM_RSRC2:TRAP_HANDLER: 0
; COMPUTE_PGM_RSRC2:TGID_X_EN: 1
; COMPUTE_PGM_RSRC2:TGID_Y_EN: 0
; COMPUTE_PGM_RSRC2:TGID_Z_EN: 0
; COMPUTE_PGM_RSRC2:TIDIG_COMP_CNT: 1
; COMPUTE_PGM_RSRC3_GFX90A:ACCUM_OFFSET: 10
; COMPUTE_PGM_RSRC3_GFX90A:TG_SPLIT: 0
	.section	.text._ZN4vllm3moe22topkGatingSoftplusSqrtILi3ELi192ELi4ELi4ELi64ELb1EjfEEvPKT6_PKbPfiPT5_PiiiibdPKfPKS8_SE_,"axG",@progbits,_ZN4vllm3moe22topkGatingSoftplusSqrtILi3ELi192ELi4ELi4ELi64ELb1EjfEEvPKT6_PKbPfiPT5_PiiiibdPKfPKS8_SE_,comdat
	.protected	_ZN4vllm3moe22topkGatingSoftplusSqrtILi3ELi192ELi4ELi4ELi64ELb1EjfEEvPKT6_PKbPfiPT5_PiiiibdPKfPKS8_SE_ ; -- Begin function _ZN4vllm3moe22topkGatingSoftplusSqrtILi3ELi192ELi4ELi4ELi64ELb1EjfEEvPKT6_PKbPfiPT5_PiiiibdPKfPKS8_SE_
	.globl	_ZN4vllm3moe22topkGatingSoftplusSqrtILi3ELi192ELi4ELi4ELi64ELb1EjfEEvPKT6_PKbPfiPT5_PiiiibdPKfPKS8_SE_
	.p2align	8
	.type	_ZN4vllm3moe22topkGatingSoftplusSqrtILi3ELi192ELi4ELi4ELi64ELb1EjfEEvPKT6_PKbPfiPT5_PiiiibdPKfPKS8_SE_,@function
_ZN4vllm3moe22topkGatingSoftplusSqrtILi3ELi192ELi4ELi4ELi64ELb1EjfEEvPKT6_PKbPfiPT5_PiiiibdPKfPKS8_SE_: ; @_ZN4vllm3moe22topkGatingSoftplusSqrtILi3ELi192ELi4ELi4ELi64ELb1EjfEEvPKT6_PKbPfiPT5_PiiiibdPKfPKS8_SE_
; %bb.0:
	s_load_dword s3, s[0:1], 0x18
	v_and_b32_e32 v1, 0x3ff, v0
	s_lshl_b32 s2, s2, 2
	v_lshrrev_b32_e32 v2, 6, v1
	v_bfe_u32 v0, v0, 10, 10
	v_add3_u32 v2, s2, v0, v2
	s_waitcnt lgkmcnt(0)
	v_cmp_gt_i32_e32 vcc, s3, v2
	s_and_saveexec_b64 s[2:3], vcc
	s_cbranch_execz .LBB100_70
; %bb.1:
	s_load_dwordx2 s[2:3], s[0:1], 0x0
	s_load_dword s20, s[0:1], 0x30
	s_load_dwordx4 s[8:11], s[0:1], 0x50
	s_movk_i32 s4, 0xc0
	v_mul_lo_u32 v4, v2, s4
	v_ashrrev_i32_e32 v5, 31, v4
	v_and_b32_e32 v12, 63, v1
	s_waitcnt lgkmcnt(0)
	v_lshl_add_u64 v[4:5], v[4:5], 2, s[2:3]
	v_lshlrev_b32_e32 v0, 2, v12
	v_mov_b32_e32 v1, 0
	v_lshl_add_u64 v[4:5], v[4:5], 0, v[0:1]
	global_load_dword v6, v[4:5], off
	global_load_dword v7, v[4:5], off offset:256
	global_load_dword v8, v[4:5], off offset:512
	v_mov_b32_e32 v4, s8
	v_mov_b32_e32 v5, s9
	v_ashrrev_i32_e32 v3, 31, v2
	v_lshl_add_u64 v[4:5], v[2:3], 2, v[4:5]
	global_load_dword v0, v[4:5], off
	s_mov_b32 s4, 0x800000
	v_mov_b32_e32 v3, 0x4f800000
	s_mov_b32 s7, 0x3f317217
	s_mov_b32 s9, 0x7f800000
	v_mov_b32_e32 v9, 0x41b17218
	s_mov_b32 s6, 0x41a00000
	s_mov_b32 s12, 0xf800000
	v_mov_b32_e32 v11, 0x260
	s_cmp_gt_i32 s20, 0
	s_mov_b32 s8, 0
	v_mul_lo_u32 v2, v2, s20
	s_waitcnt vmcnt(3)
	v_mul_f32_e32 v4, 0x3fb8aa3b, v6
	s_waitcnt vmcnt(2)
	v_mul_f32_e32 v5, 0x3fb8aa3b, v7
	v_exp_f32_e32 v4, v4
	v_exp_f32_e32 v5, v5
	s_waitcnt vmcnt(1)
	v_mul_f32_e32 v10, 0x3fb8aa3b, v8
	v_exp_f32_e32 v10, v10
	v_pk_add_f32 v[4:5], v[4:5], 1.0 op_sel_hi:[1,0]
	s_nop 0
	v_cmp_gt_f32_e32 vcc, s4, v5
	v_add_f32_e32 v10, 1.0, v10
	v_cmp_gt_f32_e64 s[2:3], s4, v4
	v_cndmask_b32_e32 v13, 1.0, v3, vcc
	v_cmp_gt_f32_e64 s[4:5], s4, v10
	v_cndmask_b32_e64 v14, 1.0, v3, s[2:3]
	v_mul_f32_e32 v5, v5, v13
	v_cndmask_b32_e64 v3, 1.0, v3, s[4:5]
	v_mul_f32_e32 v4, v4, v14
	v_log_f32_e32 v5, v5
	v_mul_f32_e32 v3, v10, v3
	v_log_f32_e32 v4, v4
	v_log_f32_e32 v3, v3
	v_mul_f32_e32 v10, 0x3f317217, v5
	v_fma_f32 v10, v5, s7, -v10
	v_mul_f32_e32 v15, 0x3f317217, v4
	v_mul_f32_e32 v16, 0x3f317217, v3
	v_fma_f32 v15, v4, s7, -v15
	v_fmac_f32_e32 v10, 0x3377d1cf, v5
	v_cndmask_b32_e32 v13, 0, v9, vcc
	v_fma_f32 v16, v3, s7, -v16
	v_fmac_f32_e32 v15, 0x3377d1cf, v4
	v_fmac_f32_e32 v10, 0x3f317217, v5
	v_cmp_lt_f32_e64 vcc, |v5|, s9
	v_fmac_f32_e32 v16, 0x3377d1cf, v3
	v_fmac_f32_e32 v15, 0x3f317217, v4
	v_cndmask_b32_e32 v5, v5, v10, vcc
	v_cmp_lt_f32_e64 vcc, |v4|, s9
	v_cndmask_b32_e64 v14, 0, v9, s[2:3]
	v_fmac_f32_e32 v16, 0x3f317217, v3
	v_cndmask_b32_e32 v4, v4, v15, vcc
	v_cmp_lt_f32_e64 vcc, |v3|, s9
	v_sub_f32_e32 v4, v4, v14
	v_cndmask_b32_e64 v9, 0, v9, s[4:5]
	v_cndmask_b32_e32 v3, v3, v16, vcc
	v_cmp_lt_f32_e32 vcc, s6, v6
	v_sub_f32_e32 v5, v5, v13
	v_sub_f32_e32 v3, v3, v9
	v_cndmask_b32_e32 v4, v4, v6, vcc
	v_cmp_lt_f32_e32 vcc, s6, v7
	v_cmp_gt_f32_e64 s[2:3], s12, v4
	s_waitcnt vmcnt(0)
	v_mul_lo_u32 v0, v0, s20
	v_cndmask_b32_e32 v5, v5, v7, vcc
	v_cmp_lt_f32_e32 vcc, s6, v8
	v_mul_f32_e32 v6, 0x4f800000, v5
	v_mul_f32_e32 v7, 0x4f800000, v4
	v_cndmask_b32_e32 v3, v3, v8, vcc
	v_cmp_gt_f32_e32 vcc, s12, v5
	v_mul_f32_e32 v8, 0x4f800000, v3
	v_cndmask_b32_e64 v4, v4, v7, s[2:3]
	v_cndmask_b32_e32 v5, v5, v6, vcc
	v_sqrt_f32_e32 v6, v5
	v_cmp_gt_f32_e64 s[4:5], s12, v3
	v_sqrt_f32_e32 v7, v4
	v_add_u32_e32 v9, -1, v6
	v_cndmask_b32_e64 v3, v3, v8, s[4:5]
	v_sqrt_f32_e32 v8, v3
	v_add_u32_e32 v13, -1, v7
	v_fma_f32 v16, -v9, v6, v5
	v_add_u32_e32 v10, 1, v6
	v_add_u32_e32 v15, -1, v8
	v_fma_f32 v18, -v13, v7, v4
	v_cmp_ge_f32_e64 s[6:7], 0, v16
	v_add_u32_e32 v14, 1, v7
	v_fma_f32 v17, -v10, v6, v5
	v_fma_f32 v20, -v15, v8, v3
	v_cndmask_b32_e64 v6, v6, v9, s[6:7]
	v_cmp_ge_f32_e64 s[6:7], 0, v18
	v_fma_f32 v19, -v14, v7, v4
	s_nop 0
	v_cndmask_b32_e64 v7, v7, v13, s[6:7]
	v_cmp_ge_f32_e64 s[6:7], 0, v20
	s_nop 1
	v_cndmask_b32_e64 v9, v8, v15, s[6:7]
	v_cmp_lt_f32_e64 s[6:7], 0, v17
	s_nop 1
	v_cndmask_b32_e64 v6, v6, v10, s[6:7]
	v_cmp_lt_f32_e64 s[6:7], 0, v19
	v_mul_f32_e32 v10, 0x37800000, v6
	v_cndmask_b32_e32 v6, v6, v10, vcc
	v_cndmask_b32_e64 v7, v7, v14, s[6:7]
	v_mul_f32_e32 v13, 0x37800000, v7
	v_cmp_class_f32_e32 vcc, v5, v11
	v_cndmask_b32_e64 v7, v7, v13, s[2:3]
	v_mov_b32_e32 v10, v1
	v_cndmask_b32_e32 v13, v6, v5, vcc
	v_cmp_class_f32_e32 vcc, v4, v11
	s_nop 1
	v_cndmask_b32_e32 v14, v7, v4, vcc
	v_add_u32_e32 v4, 1, v8
	v_fma_f32 v5, -v4, v8, v3
	v_cmp_lt_f32_e32 vcc, 0, v5
	s_nop 1
	v_cndmask_b32_e32 v4, v9, v4, vcc
	v_mul_f32_e32 v5, 0x37800000, v4
	v_cndmask_b32_e64 v4, v4, v5, s[4:5]
	v_cmp_class_f32_e32 vcc, v3, v11
	s_cselect_b64 s[4:5], -1, 0
	s_cmp_lt_i32 s20, 1
	v_cndmask_b32_e32 v15, v4, v3, vcc
	v_lshl_add_u64 v[4:5], v[0:1], 2, s[10:11]
	s_cbranch_scc1 .LBB100_29
; %bb.2:
	s_load_dwordx2 s[6:7], s[0:1], 0x20
	s_cmp_lt_u32 s20, 4
	s_cbranch_scc1 .LBB100_21
; %bb.3:
	s_mov_b32 s13, 0
	s_and_b32 s8, s20, 0x7ffffffc
	v_ashrrev_i32_e32 v3, 31, v2
	v_mov_b32_e32 v10, 0
	s_mov_b32 s12, s13
	s_branch .LBB100_5
.LBB100_4:                              ;   in Loop: Header=BB100_5 Depth=1
	s_or_b64 exec, exec, s[14:15]
	s_add_i32 s12, s12, 4
	s_cmp_eq_u32 s12, s8
	s_cbranch_scc1 .LBB100_22
.LBB100_5:                              ; =>This Loop Header: Depth=1
                                        ;     Child Loop BB100_7 Depth 2
                                        ;     Child Loop BB100_11 Depth 2
	;; [unrolled: 1-line block ×4, first 2 shown]
	v_lshl_add_u64 v[6:7], s[12:13], 2, v[4:5]
	global_load_dword v11, v[6:7], off
	v_add_u32_e32 v8, s12, v2
	v_ashrrev_i32_e32 v9, 31, v8
	s_waitcnt lgkmcnt(0)
	v_lshl_add_u64 v[8:9], v[8:9], 2, s[6:7]
	s_mov_b64 s[14:15], 0
	v_mov_b32_e32 v16, v12
	s_mov_b64 s[16:17], 0
	s_waitcnt vmcnt(0)
	s_branch .LBB100_7
.LBB100_6:                              ;   in Loop: Header=BB100_7 Depth=2
	s_or_b64 exec, exec, s[18:19]
	s_cmp_gt_u32 s16, 1
	s_cselect_b64 s[2:3], -1, 0
	s_xor_b64 s[18:19], vcc, -1
	s_or_b64 s[2:3], s[18:19], s[2:3]
	s_add_u32 s16, s16, 1
	s_addc_u32 s17, s17, 0
	s_and_b64 s[2:3], exec, s[2:3]
	s_or_b64 s[14:15], s[2:3], s[14:15]
	v_add_u32_e32 v16, 64, v16
	s_andn2_b64 exec, exec, s[14:15]
	s_cbranch_execz .LBB100_9
.LBB100_7:                              ;   Parent Loop BB100_5 Depth=1
                                        ; =>  This Inner Loop Header: Depth=2
	v_cmp_ne_u32_e32 vcc, v11, v16
	v_cmp_eq_u32_e64 s[2:3], v11, v16
	s_and_saveexec_b64 s[18:19], s[2:3]
	s_cbranch_execz .LBB100_6
; %bb.8:                                ;   in Loop: Header=BB100_7 Depth=2
	s_cmp_eq_u32 s16, 1
	s_cselect_b64 s[2:3], -1, 0
	s_cmp_eq_u32 s16, 2
	v_cndmask_b32_e64 v17, v14, v13, s[2:3]
	s_cselect_b64 s[2:3], -1, 0
	v_cndmask_b32_e64 v17, v17, v15, s[2:3]
	v_add_f32_e32 v10, v10, v17
	global_store_dword v[8:9], v11, off
	s_branch .LBB100_6
.LBB100_9:                              ;   in Loop: Header=BB100_5 Depth=1
	s_or_b64 exec, exec, s[14:15]
	global_load_dword v11, v[6:7], off offset:4
	s_ashr_i32 s3, s12, 31
	s_mov_b32 s2, s12
	v_lshl_add_u64 v[8:9], s[2:3], 0, v[2:3]
	v_lshl_add_u64 v[8:9], v[8:9], 2, s[6:7]
	s_mov_b64 s[14:15], 0
	v_mov_b32_e32 v16, v12
	s_mov_b64 s[16:17], 0
	s_waitcnt vmcnt(0)
	s_branch .LBB100_11
.LBB100_10:                             ;   in Loop: Header=BB100_11 Depth=2
	s_or_b64 exec, exec, s[18:19]
	s_cmp_gt_u32 s16, 1
	s_cselect_b64 s[2:3], -1, 0
	s_xor_b64 s[18:19], vcc, -1
	s_or_b64 s[2:3], s[18:19], s[2:3]
	s_add_u32 s16, s16, 1
	s_addc_u32 s17, s17, 0
	s_and_b64 s[2:3], exec, s[2:3]
	s_or_b64 s[14:15], s[2:3], s[14:15]
	v_add_u32_e32 v16, 64, v16
	s_andn2_b64 exec, exec, s[14:15]
	s_cbranch_execz .LBB100_13
.LBB100_11:                             ;   Parent Loop BB100_5 Depth=1
                                        ; =>  This Inner Loop Header: Depth=2
	v_cmp_ne_u32_e32 vcc, v11, v16
	v_cmp_eq_u32_e64 s[2:3], v11, v16
	s_and_saveexec_b64 s[18:19], s[2:3]
	s_cbranch_execz .LBB100_10
; %bb.12:                               ;   in Loop: Header=BB100_11 Depth=2
	s_cmp_eq_u32 s16, 1
	s_cselect_b64 s[2:3], -1, 0
	s_cmp_eq_u32 s16, 2
	v_cndmask_b32_e64 v17, v14, v13, s[2:3]
	s_cselect_b64 s[2:3], -1, 0
	v_cndmask_b32_e64 v17, v17, v15, s[2:3]
	v_add_f32_e32 v10, v10, v17
	global_store_dword v[8:9], v11, off offset:4
	s_branch .LBB100_10
.LBB100_13:                             ;   in Loop: Header=BB100_5 Depth=1
	s_or_b64 exec, exec, s[14:15]
	global_load_dword v11, v[6:7], off offset:8
	s_mov_b64 s[14:15], 0
	v_mov_b32_e32 v16, v12
	s_mov_b64 s[16:17], 0
	s_waitcnt vmcnt(0)
	s_branch .LBB100_15
.LBB100_14:                             ;   in Loop: Header=BB100_15 Depth=2
	s_or_b64 exec, exec, s[18:19]
	s_cmp_gt_u32 s16, 1
	s_cselect_b64 s[2:3], -1, 0
	s_xor_b64 s[18:19], vcc, -1
	s_or_b64 s[2:3], s[18:19], s[2:3]
	s_add_u32 s16, s16, 1
	s_addc_u32 s17, s17, 0
	s_and_b64 s[2:3], exec, s[2:3]
	s_or_b64 s[14:15], s[2:3], s[14:15]
	v_add_u32_e32 v16, 64, v16
	s_andn2_b64 exec, exec, s[14:15]
	s_cbranch_execz .LBB100_17
.LBB100_15:                             ;   Parent Loop BB100_5 Depth=1
                                        ; =>  This Inner Loop Header: Depth=2
	v_cmp_ne_u32_e32 vcc, v11, v16
	v_cmp_eq_u32_e64 s[2:3], v11, v16
	s_and_saveexec_b64 s[18:19], s[2:3]
	s_cbranch_execz .LBB100_14
; %bb.16:                               ;   in Loop: Header=BB100_15 Depth=2
	s_cmp_eq_u32 s16, 1
	s_cselect_b64 s[2:3], -1, 0
	s_cmp_eq_u32 s16, 2
	v_cndmask_b32_e64 v17, v14, v13, s[2:3]
	s_cselect_b64 s[2:3], -1, 0
	v_cndmask_b32_e64 v17, v17, v15, s[2:3]
	v_add_f32_e32 v10, v10, v17
	global_store_dword v[8:9], v11, off offset:8
	s_branch .LBB100_14
.LBB100_17:                             ;   in Loop: Header=BB100_5 Depth=1
	s_or_b64 exec, exec, s[14:15]
	global_load_dword v6, v[6:7], off offset:12
	s_mov_b64 s[14:15], 0
	v_mov_b32_e32 v7, v12
	s_mov_b64 s[16:17], 0
	s_waitcnt vmcnt(0)
	s_branch .LBB100_19
.LBB100_18:                             ;   in Loop: Header=BB100_19 Depth=2
	s_or_b64 exec, exec, s[18:19]
	s_cmp_gt_u32 s16, 1
	s_cselect_b64 s[2:3], -1, 0
	s_xor_b64 s[18:19], vcc, -1
	s_or_b64 s[2:3], s[18:19], s[2:3]
	s_add_u32 s16, s16, 1
	s_addc_u32 s17, s17, 0
	s_and_b64 s[2:3], exec, s[2:3]
	s_or_b64 s[14:15], s[2:3], s[14:15]
	v_add_u32_e32 v7, 64, v7
	s_andn2_b64 exec, exec, s[14:15]
	s_cbranch_execz .LBB100_4
.LBB100_19:                             ;   Parent Loop BB100_5 Depth=1
                                        ; =>  This Inner Loop Header: Depth=2
	v_cmp_ne_u32_e32 vcc, v6, v7
	v_cmp_eq_u32_e64 s[2:3], v6, v7
	s_and_saveexec_b64 s[18:19], s[2:3]
	s_cbranch_execz .LBB100_18
; %bb.20:                               ;   in Loop: Header=BB100_19 Depth=2
	s_cmp_eq_u32 s16, 1
	s_cselect_b64 s[2:3], -1, 0
	s_cmp_eq_u32 s16, 2
	v_cndmask_b32_e64 v11, v14, v13, s[2:3]
	s_cselect_b64 s[2:3], -1, 0
	v_cndmask_b32_e64 v11, v11, v15, s[2:3]
	v_add_f32_e32 v10, v10, v11
	global_store_dword v[8:9], v6, off offset:12
	s_branch .LBB100_18
.LBB100_21:
	v_mov_b32_e32 v10, 0
.LBB100_22:
	s_and_b32 s18, s20, 3
	s_cmp_eq_u32 s18, 0
	s_mov_b32 s9, 0
	s_cbranch_scc1 .LBB100_29
; %bb.23:
	s_mov_b32 s19, s9
	s_branch .LBB100_25
.LBB100_24:                             ;   in Loop: Header=BB100_25 Depth=1
	s_or_b64 exec, exec, s[12:13]
	s_add_i32 s8, s8, 1
	s_add_i32 s19, s19, 1
	s_cmp_lg_u32 s19, s18
	s_cbranch_scc0 .LBB100_29
.LBB100_25:                             ; =>This Loop Header: Depth=1
                                        ;     Child Loop BB100_27 Depth 2
	v_lshl_add_u64 v[6:7], s[8:9], 2, v[4:5]
	global_load_dword v3, v[6:7], off
	v_add_u32_e32 v6, s8, v2
	v_ashrrev_i32_e32 v7, 31, v6
	s_waitcnt lgkmcnt(0)
	v_lshl_add_u64 v[6:7], v[6:7], 2, s[6:7]
	s_mov_b64 s[12:13], 0
	v_mov_b32_e32 v8, v12
	s_mov_b64 s[14:15], 0
	s_waitcnt vmcnt(0)
	s_branch .LBB100_27
.LBB100_26:                             ;   in Loop: Header=BB100_27 Depth=2
	s_or_b64 exec, exec, s[16:17]
	s_cmp_gt_u32 s14, 1
	s_cselect_b64 s[2:3], -1, 0
	s_xor_b64 s[16:17], vcc, -1
	s_or_b64 s[2:3], s[16:17], s[2:3]
	s_add_u32 s14, s14, 1
	s_addc_u32 s15, s15, 0
	s_and_b64 s[2:3], exec, s[2:3]
	s_or_b64 s[12:13], s[2:3], s[12:13]
	v_add_u32_e32 v8, 64, v8
	s_andn2_b64 exec, exec, s[12:13]
	s_cbranch_execz .LBB100_24
.LBB100_27:                             ;   Parent Loop BB100_25 Depth=1
                                        ; =>  This Inner Loop Header: Depth=2
	v_cmp_ne_u32_e32 vcc, v3, v8
	v_cmp_eq_u32_e64 s[2:3], v3, v8
	s_and_saveexec_b64 s[16:17], s[2:3]
	s_cbranch_execz .LBB100_26
; %bb.28:                               ;   in Loop: Header=BB100_27 Depth=2
	s_cmp_eq_u32 s14, 1
	s_cselect_b64 s[2:3], -1, 0
	s_cmp_eq_u32 s14, 2
	v_cndmask_b32_e64 v9, v14, v13, s[2:3]
	s_cselect_b64 s[2:3], -1, 0
	v_cndmask_b32_e64 v9, v9, v15, s[2:3]
	v_add_f32_e32 v10, v10, v9
	global_store_dword v[6:7], v3, off
	s_branch .LBB100_26
.LBB100_29:
	s_waitcnt lgkmcnt(0)
	s_load_dword s6, s[0:1], 0x3c
	s_waitcnt lgkmcnt(0)
	s_bitcmp1_b32 s6, 0
	s_cselect_b64 s[2:3], -1, 0
	s_bitcmp0_b32 s6, 0
	s_cbranch_scc0 .LBB100_32
; %bb.30:
	s_load_dwordx2 s[6:7], s[0:1], 0x40
	s_andn2_b64 vcc, exec, s[2:3]
	s_waitcnt lgkmcnt(0)
	v_cvt_f32_f64_e32 v16, s[6:7]
	s_cbranch_vccz .LBB100_33
.LBB100_31:
	s_andn2_b64 vcc, exec, s[4:5]
	s_cbranch_vccz .LBB100_34
	s_branch .LBB100_70
.LBB100_32:
	v_mbcnt_lo_u32_b32 v3, -1, 0
	v_mbcnt_hi_u32_b32 v3, -1, v3
	v_and_b32_e32 v6, 64, v3
	v_add_u32_e32 v6, 64, v6
	v_xor_b32_e32 v7, 32, v3
	v_cmp_lt_i32_e32 vcc, v7, v6
	v_xor_b32_e32 v8, 16, v3
	v_xor_b32_e32 v9, 8, v3
	v_cndmask_b32_e32 v7, v3, v7, vcc
	v_lshlrev_b32_e32 v7, 2, v7
	ds_bpermute_b32 v7, v7, v10
	v_cmp_lt_i32_e32 vcc, v8, v6
	s_waitcnt lgkmcnt(0)
	v_add_f32_e32 v7, v10, v7
	v_cndmask_b32_e32 v8, v3, v8, vcc
	v_lshlrev_b32_e32 v8, 2, v8
	ds_bpermute_b32 v8, v8, v7
	v_cmp_lt_i32_e32 vcc, v9, v6
	s_waitcnt lgkmcnt(0)
	v_add_f32_e32 v7, v7, v8
	v_cndmask_b32_e32 v8, v3, v9, vcc
	v_lshlrev_b32_e32 v8, 2, v8
	ds_bpermute_b32 v8, v8, v7
	v_xor_b32_e32 v9, 4, v3
	v_cmp_lt_i32_e32 vcc, v9, v6
	s_waitcnt lgkmcnt(0)
	v_add_f32_e32 v7, v7, v8
	v_cndmask_b32_e32 v8, v3, v9, vcc
	v_lshlrev_b32_e32 v8, 2, v8
	ds_bpermute_b32 v8, v8, v7
	v_xor_b32_e32 v9, 2, v3
	;; [unrolled: 7-line block ×3, first 2 shown]
	v_cmp_lt_i32_e32 vcc, v9, v6
	s_waitcnt lgkmcnt(0)
	v_add_f32_e32 v7, v7, v8
	v_cndmask_b32_e32 v3, v3, v9, vcc
	v_lshlrev_b32_e32 v3, 2, v3
	ds_bpermute_b32 v3, v3, v7
	s_waitcnt lgkmcnt(0)
	v_add_f32_e32 v10, v7, v3
	s_load_dwordx2 s[6:7], s[0:1], 0x40
	s_andn2_b64 vcc, exec, s[2:3]
	s_waitcnt lgkmcnt(0)
	v_cvt_f32_f64_e32 v16, s[6:7]
	s_cbranch_vccnz .LBB100_31
.LBB100_33:
	v_cmp_lt_f32_e32 vcc, 0, v10
	s_nop 1
	v_cndmask_b32_e32 v3, 1.0, v10, vcc
	v_div_scale_f32 v6, s[2:3], v3, v3, v16
	v_rcp_f32_e32 v7, v6
	s_nop 0
	v_fma_f32 v8, -v6, v7, 1.0
	v_fmac_f32_e32 v7, v8, v7
	v_div_scale_f32 v8, vcc, v16, v3, v16
	v_mul_f32_e32 v9, v8, v7
	v_fma_f32 v10, -v6, v9, v8
	v_fmac_f32_e32 v9, v10, v7
	v_fma_f32 v6, -v6, v9, v8
	v_div_fmas_f32 v6, v6, v7, v9
	v_div_fixup_f32 v16, v6, v3, v16
	s_andn2_b64 vcc, exec, s[4:5]
	s_cbranch_vccnz .LBB100_70
.LBB100_34:
	s_load_dwordx2 s[0:1], s[0:1], 0x10
	v_or_b32_e32 v17, 64, v12
	v_or_b32_e32 v18, 0x80, v12
	s_cmp_lt_u32 s20, 4
	s_mov_b32 s2, 0
	s_cbranch_scc1 .LBB100_61
; %bb.35:
	v_ashrrev_i32_e32 v3, 31, v2
	s_and_b32 s2, s20, 0x7ffffffc
	s_waitcnt lgkmcnt(0)
	v_lshl_add_u64 v[6:7], v[2:3], 2, s[0:1]
	s_mov_b32 s3, 0
	s_mov_b64 s[4:5], 0
	s_branch .LBB100_37
.LBB100_36:                             ;   in Loop: Header=BB100_37 Depth=1
	s_or_b64 exec, exec, s[8:9]
	s_add_i32 s3, s3, 4
	s_add_u32 s4, s4, 16
	s_addc_u32 s5, s5, 0
	s_cmp_lg_u32 s2, s3
	s_cbranch_scc0 .LBB100_61
.LBB100_37:                             ; =>This Inner Loop Header: Depth=1
	v_lshl_add_u64 v[8:9], v[4:5], 0, s[4:5]
	global_load_dword v3, v[8:9], off
	v_mov_b64_e32 v[10:11], 0
	s_waitcnt vmcnt(0)
	v_cmp_eq_u32_e64 s[6:7], v3, v12
	v_cmp_ne_u32_e32 vcc, v3, v12
	s_and_saveexec_b64 s[8:9], vcc
	s_cbranch_execz .LBB100_41
; %bb.38:                               ;   in Loop: Header=BB100_37 Depth=1
	v_cmp_eq_u32_e64 s[12:13], v3, v17
	v_cmp_ne_u32_e32 vcc, v3, v17
	v_mov_b64_e32 v[10:11], 1
	s_and_saveexec_b64 s[14:15], vcc
	s_xor_b64 s[14:15], exec, s[14:15]
; %bb.39:                               ;   in Loop: Header=BB100_37 Depth=1
	v_cmp_eq_u32_e32 vcc, v3, v18
	s_andn2_b64 s[12:13], s[12:13], exec
	s_and_b64 s[16:17], vcc, exec
	v_mov_b64_e32 v[10:11], 2
	s_or_b64 s[12:13], s[12:13], s[16:17]
; %bb.40:                               ;   in Loop: Header=BB100_37 Depth=1
	s_or_b64 exec, exec, s[14:15]
	s_andn2_b64 s[6:7], s[6:7], exec
	s_and_b64 s[12:13], s[12:13], exec
	s_or_b64 s[6:7], s[6:7], s[12:13]
.LBB100_41:                             ;   in Loop: Header=BB100_37 Depth=1
	s_or_b64 exec, exec, s[8:9]
	s_and_saveexec_b64 s[8:9], s[6:7]
	s_cbranch_execz .LBB100_43
; %bb.42:                               ;   in Loop: Header=BB100_37 Depth=1
	v_cmp_eq_u32_e32 vcc, 1, v10
	v_add_u32_e32 v20, s3, v2
	v_ashrrev_i32_e32 v21, 31, v20
	v_cndmask_b32_e32 v3, v14, v13, vcc
	v_cmp_eq_u32_e32 vcc, 2, v10
	v_lshl_add_u64 v[10:11], v[20:21], 2, s[0:1]
	s_nop 0
	v_cndmask_b32_e32 v3, v3, v15, vcc
	v_mul_f32_e32 v3, v16, v3
	global_store_dword v[10:11], v3, off
.LBB100_43:                             ;   in Loop: Header=BB100_37 Depth=1
	s_or_b64 exec, exec, s[8:9]
	global_load_dword v3, v[8:9], off offset:4
	v_mov_b64_e32 v[10:11], 0
	s_waitcnt vmcnt(0)
	v_cmp_eq_u32_e64 s[6:7], v3, v12
	v_cmp_ne_u32_e32 vcc, v3, v12
	s_and_saveexec_b64 s[8:9], vcc
	s_cbranch_execz .LBB100_47
; %bb.44:                               ;   in Loop: Header=BB100_37 Depth=1
	v_cmp_eq_u32_e64 s[12:13], v3, v17
	v_cmp_ne_u32_e32 vcc, v3, v17
	v_mov_b64_e32 v[10:11], 1
	s_and_saveexec_b64 s[14:15], vcc
; %bb.45:                               ;   in Loop: Header=BB100_37 Depth=1
	v_cmp_eq_u32_e32 vcc, v3, v18
	s_andn2_b64 s[12:13], s[12:13], exec
	s_and_b64 s[16:17], vcc, exec
	v_mov_b64_e32 v[10:11], 2
	s_or_b64 s[12:13], s[12:13], s[16:17]
; %bb.46:                               ;   in Loop: Header=BB100_37 Depth=1
	s_or_b64 exec, exec, s[14:15]
	s_andn2_b64 s[6:7], s[6:7], exec
	s_and_b64 s[12:13], s[12:13], exec
	s_or_b64 s[6:7], s[6:7], s[12:13]
.LBB100_47:                             ;   in Loop: Header=BB100_37 Depth=1
	s_or_b64 exec, exec, s[8:9]
	s_and_saveexec_b64 s[8:9], s[6:7]
	s_cbranch_execz .LBB100_49
; %bb.48:                               ;   in Loop: Header=BB100_37 Depth=1
	v_cmp_eq_u32_e32 vcc, 1, v10
	s_nop 1
	v_cndmask_b32_e32 v3, v14, v13, vcc
	v_cmp_eq_u32_e32 vcc, 2, v10
	v_lshl_add_u64 v[10:11], v[6:7], 0, s[4:5]
	s_nop 0
	v_cndmask_b32_e32 v3, v3, v15, vcc
	v_mul_f32_e32 v3, v16, v3
	global_store_dword v[10:11], v3, off offset:4
.LBB100_49:                             ;   in Loop: Header=BB100_37 Depth=1
	s_or_b64 exec, exec, s[8:9]
	global_load_dword v3, v[8:9], off offset:8
	v_mov_b64_e32 v[10:11], 0
	s_waitcnt vmcnt(0)
	v_cmp_eq_u32_e64 s[6:7], v3, v12
	v_cmp_ne_u32_e32 vcc, v3, v12
	s_and_saveexec_b64 s[8:9], vcc
	s_cbranch_execz .LBB100_53
; %bb.50:                               ;   in Loop: Header=BB100_37 Depth=1
	v_cmp_eq_u32_e64 s[12:13], v3, v17
	v_cmp_ne_u32_e32 vcc, v3, v17
	v_mov_b64_e32 v[10:11], 1
	s_and_saveexec_b64 s[14:15], vcc
; %bb.51:                               ;   in Loop: Header=BB100_37 Depth=1
	v_cmp_eq_u32_e32 vcc, v3, v18
	s_andn2_b64 s[12:13], s[12:13], exec
	s_and_b64 s[16:17], vcc, exec
	v_mov_b64_e32 v[10:11], 2
	s_or_b64 s[12:13], s[12:13], s[16:17]
; %bb.52:                               ;   in Loop: Header=BB100_37 Depth=1
	s_or_b64 exec, exec, s[14:15]
	s_andn2_b64 s[6:7], s[6:7], exec
	s_and_b64 s[12:13], s[12:13], exec
	s_or_b64 s[6:7], s[6:7], s[12:13]
.LBB100_53:                             ;   in Loop: Header=BB100_37 Depth=1
	s_or_b64 exec, exec, s[8:9]
	s_and_saveexec_b64 s[8:9], s[6:7]
	s_cbranch_execz .LBB100_55
; %bb.54:                               ;   in Loop: Header=BB100_37 Depth=1
	v_cmp_eq_u32_e32 vcc, 1, v10
	s_nop 1
	v_cndmask_b32_e32 v3, v14, v13, vcc
	v_cmp_eq_u32_e32 vcc, 2, v10
	v_lshl_add_u64 v[10:11], v[6:7], 0, s[4:5]
	s_nop 0
	v_cndmask_b32_e32 v3, v3, v15, vcc
	v_mul_f32_e32 v3, v16, v3
	global_store_dword v[10:11], v3, off offset:8
.LBB100_55:                             ;   in Loop: Header=BB100_37 Depth=1
	s_or_b64 exec, exec, s[8:9]
	global_load_dword v3, v[8:9], off offset:12
	v_mov_b64_e32 v[8:9], 0
	s_waitcnt vmcnt(0)
	v_cmp_eq_u32_e64 s[6:7], v3, v12
	v_cmp_ne_u32_e32 vcc, v3, v12
	s_and_saveexec_b64 s[8:9], vcc
	s_cbranch_execz .LBB100_59
; %bb.56:                               ;   in Loop: Header=BB100_37 Depth=1
	v_cmp_eq_u32_e64 s[12:13], v3, v17
	v_cmp_ne_u32_e32 vcc, v3, v17
	v_mov_b64_e32 v[8:9], 1
	s_and_saveexec_b64 s[14:15], vcc
; %bb.57:                               ;   in Loop: Header=BB100_37 Depth=1
	v_cmp_eq_u32_e32 vcc, v3, v18
	s_andn2_b64 s[12:13], s[12:13], exec
	s_and_b64 s[16:17], vcc, exec
	v_mov_b64_e32 v[8:9], 2
	s_or_b64 s[12:13], s[12:13], s[16:17]
; %bb.58:                               ;   in Loop: Header=BB100_37 Depth=1
	s_or_b64 exec, exec, s[14:15]
	s_andn2_b64 s[6:7], s[6:7], exec
	s_and_b64 s[12:13], s[12:13], exec
	s_or_b64 s[6:7], s[6:7], s[12:13]
.LBB100_59:                             ;   in Loop: Header=BB100_37 Depth=1
	s_or_b64 exec, exec, s[8:9]
	s_and_saveexec_b64 s[8:9], s[6:7]
	s_cbranch_execz .LBB100_36
; %bb.60:                               ;   in Loop: Header=BB100_37 Depth=1
	v_cmp_eq_u32_e32 vcc, 1, v8
	s_nop 1
	v_cndmask_b32_e32 v3, v14, v13, vcc
	v_cmp_eq_u32_e32 vcc, 2, v8
	v_lshl_add_u64 v[8:9], v[6:7], 0, s[4:5]
	s_nop 0
	v_cndmask_b32_e32 v3, v3, v15, vcc
	v_mul_f32_e32 v3, v16, v3
	global_store_dword v[8:9], v3, off offset:12
	s_branch .LBB100_36
.LBB100_61:
	s_and_b32 s12, s20, 3
	s_cmp_eq_u32 s12, 0
	s_mov_b32 s3, 0
	s_cbranch_scc1 .LBB100_70
; %bb.62:
	v_add_u32_e32 v2, s2, v2
	s_lshl_b64 s[2:3], s[2:3], 2
	s_add_u32 s2, s10, s2
	s_addc_u32 s3, s11, s3
	v_lshl_add_u64 v[0:1], v[0:1], 2, s[2:3]
	s_branch .LBB100_64
.LBB100_63:                             ;   in Loop: Header=BB100_64 Depth=1
	s_or_b64 exec, exec, s[4:5]
	s_add_i32 s12, s12, -1
	v_add_u32_e32 v2, 1, v2
	s_cmp_lg_u32 s12, 0
	v_lshl_add_u64 v[0:1], v[0:1], 0, 4
	s_cbranch_scc0 .LBB100_70
.LBB100_64:                             ; =>This Inner Loop Header: Depth=1
	global_load_dword v3, v[0:1], off
	v_mov_b64_e32 v[4:5], 0
	s_waitcnt vmcnt(0)
	v_cmp_eq_u32_e64 s[2:3], v3, v12
	v_cmp_ne_u32_e32 vcc, v3, v12
	s_and_saveexec_b64 s[4:5], vcc
	s_cbranch_execz .LBB100_68
; %bb.65:                               ;   in Loop: Header=BB100_64 Depth=1
	v_cmp_eq_u32_e64 s[6:7], v3, v17
	v_cmp_ne_u32_e32 vcc, v3, v17
	v_mov_b64_e32 v[4:5], 1
	s_and_saveexec_b64 s[8:9], vcc
; %bb.66:                               ;   in Loop: Header=BB100_64 Depth=1
	v_cmp_eq_u32_e32 vcc, v3, v18
	s_andn2_b64 s[6:7], s[6:7], exec
	s_and_b64 s[10:11], vcc, exec
	v_mov_b64_e32 v[4:5], 2
	s_or_b64 s[6:7], s[6:7], s[10:11]
; %bb.67:                               ;   in Loop: Header=BB100_64 Depth=1
	s_or_b64 exec, exec, s[8:9]
	s_andn2_b64 s[2:3], s[2:3], exec
	s_and_b64 s[6:7], s[6:7], exec
	s_or_b64 s[2:3], s[2:3], s[6:7]
.LBB100_68:                             ;   in Loop: Header=BB100_64 Depth=1
	s_or_b64 exec, exec, s[4:5]
	s_and_saveexec_b64 s[4:5], s[2:3]
	s_cbranch_execz .LBB100_63
; %bb.69:                               ;   in Loop: Header=BB100_64 Depth=1
	v_cmp_eq_u32_e32 vcc, 1, v4
	s_nop 1
	v_cndmask_b32_e32 v3, v14, v13, vcc
	v_cmp_eq_u32_e32 vcc, 2, v4
	s_nop 1
	v_cndmask_b32_e32 v3, v3, v15, vcc
	v_mul_f32_e32 v6, v16, v3
	v_ashrrev_i32_e32 v3, 31, v2
	s_waitcnt lgkmcnt(0)
	v_lshl_add_u64 v[4:5], v[2:3], 2, s[0:1]
	global_store_dword v[4:5], v6, off
	s_branch .LBB100_63
.LBB100_70:
	s_endpgm
	.section	.rodata,"a",@progbits
	.p2align	6, 0x0
	.amdhsa_kernel _ZN4vllm3moe22topkGatingSoftplusSqrtILi3ELi192ELi4ELi4ELi64ELb1EjfEEvPKT6_PKbPfiPT5_PiiiibdPKfPKS8_SE_
		.amdhsa_group_segment_fixed_size 0
		.amdhsa_private_segment_fixed_size 0
		.amdhsa_kernarg_size 96
		.amdhsa_user_sgpr_count 2
		.amdhsa_user_sgpr_dispatch_ptr 0
		.amdhsa_user_sgpr_queue_ptr 0
		.amdhsa_user_sgpr_kernarg_segment_ptr 1
		.amdhsa_user_sgpr_dispatch_id 0
		.amdhsa_user_sgpr_kernarg_preload_length 0
		.amdhsa_user_sgpr_kernarg_preload_offset 0
		.amdhsa_user_sgpr_private_segment_size 0
		.amdhsa_uses_dynamic_stack 0
		.amdhsa_enable_private_segment 0
		.amdhsa_system_sgpr_workgroup_id_x 1
		.amdhsa_system_sgpr_workgroup_id_y 0
		.amdhsa_system_sgpr_workgroup_id_z 0
		.amdhsa_system_sgpr_workgroup_info 0
		.amdhsa_system_vgpr_workitem_id 1
		.amdhsa_next_free_vgpr 22
		.amdhsa_next_free_sgpr 21
		.amdhsa_accum_offset 24
		.amdhsa_reserve_vcc 1
		.amdhsa_float_round_mode_32 0
		.amdhsa_float_round_mode_16_64 0
		.amdhsa_float_denorm_mode_32 3
		.amdhsa_float_denorm_mode_16_64 3
		.amdhsa_dx10_clamp 1
		.amdhsa_ieee_mode 1
		.amdhsa_fp16_overflow 0
		.amdhsa_tg_split 0
		.amdhsa_exception_fp_ieee_invalid_op 0
		.amdhsa_exception_fp_denorm_src 0
		.amdhsa_exception_fp_ieee_div_zero 0
		.amdhsa_exception_fp_ieee_overflow 0
		.amdhsa_exception_fp_ieee_underflow 0
		.amdhsa_exception_fp_ieee_inexact 0
		.amdhsa_exception_int_div_zero 0
	.end_amdhsa_kernel
	.section	.text._ZN4vllm3moe22topkGatingSoftplusSqrtILi3ELi192ELi4ELi4ELi64ELb1EjfEEvPKT6_PKbPfiPT5_PiiiibdPKfPKS8_SE_,"axG",@progbits,_ZN4vllm3moe22topkGatingSoftplusSqrtILi3ELi192ELi4ELi4ELi64ELb1EjfEEvPKT6_PKbPfiPT5_PiiiibdPKfPKS8_SE_,comdat
.Lfunc_end100:
	.size	_ZN4vllm3moe22topkGatingSoftplusSqrtILi3ELi192ELi4ELi4ELi64ELb1EjfEEvPKT6_PKbPfiPT5_PiiiibdPKfPKS8_SE_, .Lfunc_end100-_ZN4vllm3moe22topkGatingSoftplusSqrtILi3ELi192ELi4ELi4ELi64ELb1EjfEEvPKT6_PKbPfiPT5_PiiiibdPKfPKS8_SE_
                                        ; -- End function
	.section	.AMDGPU.csdata,"",@progbits
; Kernel info:
; codeLenInByte = 3212
; NumSgprs: 27
; NumVgprs: 22
; NumAgprs: 0
; TotalNumVgprs: 22
; ScratchSize: 0
; MemoryBound: 0
; FloatMode: 240
; IeeeMode: 1
; LDSByteSize: 0 bytes/workgroup (compile time only)
; SGPRBlocks: 3
; VGPRBlocks: 2
; NumSGPRsForWavesPerEU: 27
; NumVGPRsForWavesPerEU: 22
; AccumOffset: 24
; Occupancy: 8
; WaveLimiterHint : 1
; COMPUTE_PGM_RSRC2:SCRATCH_EN: 0
; COMPUTE_PGM_RSRC2:USER_SGPR: 2
; COMPUTE_PGM_RSRC2:TRAP_HANDLER: 0
; COMPUTE_PGM_RSRC2:TGID_X_EN: 1
; COMPUTE_PGM_RSRC2:TGID_Y_EN: 0
; COMPUTE_PGM_RSRC2:TGID_Z_EN: 0
; COMPUTE_PGM_RSRC2:TIDIG_COMP_CNT: 1
; COMPUTE_PGM_RSRC3_GFX90A:ACCUM_OFFSET: 5
; COMPUTE_PGM_RSRC3_GFX90A:TG_SPLIT: 0
	.section	.text._ZN4vllm3moe22topkGatingSoftplusSqrtILi3ELi192ELi4ELi4ELi64ELb0EjfEEvPKT6_PKbPfiPT5_PiiiibdPKfPKS8_SE_,"axG",@progbits,_ZN4vllm3moe22topkGatingSoftplusSqrtILi3ELi192ELi4ELi4ELi64ELb0EjfEEvPKT6_PKbPfiPT5_PiiiibdPKfPKS8_SE_,comdat
	.protected	_ZN4vllm3moe22topkGatingSoftplusSqrtILi3ELi192ELi4ELi4ELi64ELb0EjfEEvPKT6_PKbPfiPT5_PiiiibdPKfPKS8_SE_ ; -- Begin function _ZN4vllm3moe22topkGatingSoftplusSqrtILi3ELi192ELi4ELi4ELi64ELb0EjfEEvPKT6_PKbPfiPT5_PiiiibdPKfPKS8_SE_
	.globl	_ZN4vllm3moe22topkGatingSoftplusSqrtILi3ELi192ELi4ELi4ELi64ELb0EjfEEvPKT6_PKbPfiPT5_PiiiibdPKfPKS8_SE_
	.p2align	8
	.type	_ZN4vllm3moe22topkGatingSoftplusSqrtILi3ELi192ELi4ELi4ELi64ELb0EjfEEvPKT6_PKbPfiPT5_PiiiibdPKfPKS8_SE_,@function
_ZN4vllm3moe22topkGatingSoftplusSqrtILi3ELi192ELi4ELi4ELi64ELb0EjfEEvPKT6_PKbPfiPT5_PiiiibdPKfPKS8_SE_: ; @_ZN4vllm3moe22topkGatingSoftplusSqrtILi3ELi192ELi4ELi4ELi64ELb0EjfEEvPKT6_PKbPfiPT5_PiiiibdPKfPKS8_SE_
; %bb.0:
	s_load_dword s30, s[0:1], 0x18
	v_and_b32_e32 v1, 0x3ff, v0
	s_lshl_b32 s2, s2, 2
	v_lshrrev_b32_e32 v2, 6, v1
	v_bfe_u32 v0, v0, 10, 10
	v_add3_u32 v4, s2, v0, v2
	s_waitcnt lgkmcnt(0)
	v_cmp_gt_i32_e32 vcc, s30, v4
	s_and_saveexec_b64 s[2:3], vcc
	s_cbranch_execz .LBB101_55
; %bb.1:
	s_load_dwordx4 s[4:7], s[0:1], 0x0
	s_load_dwordx2 s[20:21], s[0:1], 0x10
	s_waitcnt lgkmcnt(0)
	s_cmp_eq_u64 s[6:7], 0
	s_cbranch_scc1 .LBB101_3
; %bb.2:
	v_ashrrev_i32_e32 v5, 31, v4
	v_lshl_add_u64 v[2:3], s[6:7], 0, v[4:5]
	global_load_ubyte v0, v[2:3], off
	s_waitcnt vmcnt(0)
	v_and_b32_e32 v0, 1, v0
	v_cmp_eq_u32_e32 vcc, 1, v0
	s_xor_b64 s[2:3], vcc, -1
	s_orn2_b64 s[22:23], s[2:3], exec
	s_branch .LBB101_4
.LBB101_3:
	s_mov_b64 s[22:23], -1
.LBB101_4:
	s_movk_i32 s2, 0xc0
	v_mul_lo_u32 v6, v4, s2
	v_mov_b32_e32 v2, s4
	v_mov_b32_e32 v3, s5
	v_ashrrev_i32_e32 v7, 31, v6
	v_lshl_add_u64 v[2:3], v[6:7], 2, v[2:3]
	v_and_b32_e32 v6, 63, v1
	v_mov_b32_e32 v9, 0
	v_lshlrev_b32_e32 v8, 2, v6
	v_lshl_add_u64 v[10:11], v[2:3], 0, v[8:9]
	global_load_dword v0, v[10:11], off
	global_load_dword v1, v[10:11], off offset:256
	global_load_dword v2, v[10:11], off offset:512
	s_mov_b32 s16, 0x800000
	v_mov_b32_e32 v7, 0x4f800000
	s_mov_b32 s7, 0x3f317217
	s_mov_b32 s14, 0x7f800000
	v_mov_b32_e32 v5, 0x41b17218
	s_mov_b32 s6, 0x41a00000
	s_mov_b32 s15, 0xf800000
	s_load_dwordx4 s[8:11], s[0:1], 0x40
	s_waitcnt lgkmcnt(0)
	s_cmp_lg_u64 s[10:11], 0
	s_cselect_b64 s[12:13], -1, 0
	s_and_b64 s[2:3], exec, s[12:13]
	s_waitcnt vmcnt(2)
	v_mul_f32_e32 v3, 0x3fb8aa3b, v0
	v_exp_f32_e32 v3, v3
	s_nop 0
	v_add_f32_e32 v3, 1.0, v3
	v_cmp_gt_f32_e32 vcc, s16, v3
	s_nop 1
	v_cndmask_b32_e32 v9, 1.0, v7, vcc
	v_mul_f32_e32 v3, v3, v9
	v_log_f32_e32 v9, v3
	v_cndmask_b32_e32 v10, 0, v5, vcc
	v_mov_b32_e32 v3, 0x260
	v_mul_f32_e32 v11, 0x3f317217, v9
	v_fma_f32 v11, v9, s7, -v11
	v_fmac_f32_e32 v11, 0x3377d1cf, v9
	v_fmac_f32_e32 v11, 0x3f317217, v9
	v_cmp_lt_f32_e64 vcc, |v9|, s14
	s_nop 1
	v_cndmask_b32_e32 v9, v9, v11, vcc
	v_sub_f32_e32 v9, v9, v10
	v_cmp_lt_f32_e32 vcc, s6, v0
	s_nop 1
	v_cndmask_b32_e32 v0, v9, v0, vcc
	v_mul_f32_e32 v9, 0x4f800000, v0
	v_cmp_gt_f32_e32 vcc, s15, v0
	s_nop 1
	v_cndmask_b32_e32 v0, v0, v9, vcc
	v_sqrt_f32_e32 v9, v0
	s_nop 0
	v_add_u32_e32 v10, -1, v9
	v_add_u32_e32 v11, 1, v9
	v_fma_f32 v12, -v10, v9, v0
	v_fma_f32 v13, -v11, v9, v0
	v_cmp_ge_f32_e64 s[4:5], 0, v12
	s_nop 1
	v_cndmask_b32_e64 v9, v9, v10, s[4:5]
	v_cmp_lt_f32_e64 s[4:5], 0, v13
	s_nop 1
	v_cndmask_b32_e64 v9, v9, v11, s[4:5]
	v_mul_f32_e32 v10, 0x37800000, v9
	v_cndmask_b32_e32 v9, v9, v10, vcc
	v_cmp_class_f32_e32 vcc, v0, v3
	s_nop 1
	v_cndmask_b32_e32 v0, v9, v0, vcc
	s_mov_b64 vcc, s[2:3]
	s_cbranch_vccz .LBB101_6
; %bb.5:
	global_load_dword v9, v8, s[10:11]
	s_waitcnt vmcnt(0)
	v_add_f32_e32 v0, v0, v9
.LBB101_6:
	s_waitcnt vmcnt(1)
	v_mul_f32_e32 v9, 0x3fb8aa3b, v1
	v_exp_f32_e32 v9, v9
	s_nop 0
	v_add_f32_e32 v9, 1.0, v9
	v_cmp_gt_f32_e32 vcc, s16, v9
	s_nop 1
	v_cndmask_b32_e32 v7, 1.0, v7, vcc
	v_mul_f32_e32 v7, v9, v7
	v_log_f32_e32 v7, v7
	v_cndmask_b32_e32 v5, 0, v5, vcc
	v_mul_f32_e32 v9, 0x3f317217, v7
	v_fma_f32 v9, v7, s7, -v9
	v_fmac_f32_e32 v9, 0x3377d1cf, v7
	v_fmac_f32_e32 v9, 0x3f317217, v7
	v_cmp_lt_f32_e64 vcc, |v7|, s14
	s_nop 1
	v_cndmask_b32_e32 v7, v7, v9, vcc
	v_sub_f32_e32 v5, v7, v5
	v_cmp_lt_f32_e32 vcc, s6, v1
	s_nop 1
	v_cndmask_b32_e32 v1, v5, v1, vcc
	v_mul_f32_e32 v5, 0x4f800000, v1
	v_cmp_gt_f32_e32 vcc, s15, v1
	s_nop 1
	v_cndmask_b32_e32 v1, v1, v5, vcc
	v_sqrt_f32_e32 v5, v1
	s_nop 0
	v_add_u32_e32 v7, -1, v5
	v_add_u32_e32 v9, 1, v5
	v_fma_f32 v10, -v7, v5, v1
	v_fma_f32 v11, -v9, v5, v1
	v_cmp_ge_f32_e64 s[2:3], 0, v10
	s_nop 1
	v_cndmask_b32_e64 v5, v5, v7, s[2:3]
	v_cmp_lt_f32_e64 s[2:3], 0, v11
	s_nop 1
	v_cndmask_b32_e64 v5, v5, v9, s[2:3]
	v_mul_f32_e32 v7, 0x37800000, v5
	v_cndmask_b32_e32 v5, v5, v7, vcc
	v_cndmask_b32_e64 v7, 0, 1, s[12:13]
	v_cmp_class_f32_e64 s[2:3], v1, v3
	v_cmp_ne_u32_e64 s[6:7], 1, v7
	s_andn2_b64 vcc, exec, s[12:13]
	v_cndmask_b32_e64 v1, v5, v1, s[2:3]
	s_cbranch_vccnz .LBB101_8
; %bb.7:
	global_load_dword v3, v8, s[10:11] offset:256
	s_waitcnt vmcnt(0)
	v_add_f32_e32 v1, v1, v3
.LBB101_8:
	s_waitcnt vmcnt(0)
	v_mul_f32_e32 v3, 0x3fb8aa3b, v2
	v_exp_f32_e32 v3, v3
	s_mov_b32 s2, 0x800000
	v_mov_b32_e32 v5, 0x4f800000
	s_mov_b32 s3, 0x7f800000
	v_add_f32_e32 v3, 1.0, v3
	v_cmp_gt_f32_e32 vcc, s2, v3
	s_mov_b32 s2, 0x3f317217
	s_mov_b32 s4, 0x41a00000
	v_cndmask_b32_e32 v5, 1.0, v5, vcc
	v_mul_f32_e32 v3, v3, v5
	v_log_f32_e32 v3, v3
	s_nop 0
	v_mul_f32_e32 v5, 0x3f317217, v3
	v_fma_f32 v5, v3, s2, -v5
	v_fmamk_f32 v5, v3, 0x3377d1cf, v5
	v_fmac_f32_e32 v5, 0x3f317217, v3
	v_cmp_lt_f32_e64 s[2:3], |v3|, s3
	s_nop 1
	v_cndmask_b32_e64 v3, v3, v5, s[2:3]
	v_mov_b32_e32 v5, 0x41b17218
	v_cndmask_b32_e32 v5, 0, v5, vcc
	v_sub_f32_e32 v3, v3, v5
	v_cmp_lt_f32_e32 vcc, s4, v2
	s_mov_b32 s2, 0xf800000
	s_nop 0
	v_cndmask_b32_e32 v2, v3, v2, vcc
	v_mul_f32_e32 v3, 0x4f800000, v2
	v_cmp_gt_f32_e32 vcc, s2, v2
	s_nop 1
	v_cndmask_b32_e32 v2, v2, v3, vcc
	v_sqrt_f32_e32 v3, v2
	s_nop 0
	v_add_u32_e32 v5, -1, v3
	v_fma_f32 v7, -v5, v3, v2
	v_cmp_ge_f32_e64 s[2:3], 0, v7
	v_add_u32_e32 v7, 1, v3
	s_nop 0
	v_cndmask_b32_e64 v5, v3, v5, s[2:3]
	v_fma_f32 v3, -v7, v3, v2
	v_cmp_lt_f32_e64 s[2:3], 0, v3
	s_nop 1
	v_cndmask_b32_e64 v3, v5, v7, s[2:3]
	v_mul_f32_e32 v5, 0x37800000, v3
	v_cndmask_b32_e32 v3, v3, v5, vcc
	v_mov_b32_e32 v5, 0x260
	v_cmp_class_f32_e64 s[2:3], v2, v5
	s_and_b64 vcc, exec, s[6:7]
	s_nop 0
	v_cndmask_b32_e64 v2, v3, v2, s[2:3]
	s_cbranch_vccnz .LBB101_10
; %bb.9:
	global_load_dword v3, v8, s[10:11] offset:512
	s_waitcnt vmcnt(0)
	v_add_f32_e32 v2, v2, v3
.LBB101_10:
	s_load_dwordx4 s[12:15], s[0:1], 0x30
	v_cmp_eq_u32_e64 s[4:5], 0, v6
	s_waitcnt lgkmcnt(0)
	s_bitcmp1_b32 s15, 0
	s_cselect_b64 s[2:3], -1, 0
	s_cmp_gt_i32 s12, 0
	s_cselect_b64 s[24:25], -1, 0
	s_and_b64 vcc, exec, s[24:25]
	s_cbranch_vccz .LBB101_41
; %bb.11:
	v_mbcnt_lo_u32_b32 v3, -1, 0
	v_mbcnt_hi_u32_b32 v3, -1, v3
	v_and_b32_e32 v5, 64, v3
	v_add_u32_e32 v8, 64, v5
	v_xor_b32_e32 v9, 32, v3
	v_cmp_lt_i32_e32 vcc, v9, v8
	s_load_dwordx4 s[16:19], s[0:1], 0x20
	s_mov_b32 s15, 0
	v_cndmask_b32_e32 v9, v3, v9, vcc
	v_lshlrev_b32_e32 v11, 2, v9
	v_xor_b32_e32 v9, 16, v3
	v_cmp_lt_i32_e32 vcc, v9, v8
	v_mul_lo_u32 v5, v4, s12
	v_or_b32_e32 v7, 64, v6
	v_cndmask_b32_e32 v9, v3, v9, vcc
	v_lshlrev_b32_e32 v12, 2, v9
	v_xor_b32_e32 v9, 8, v3
	v_cmp_lt_i32_e32 vcc, v9, v8
	v_or_b32_e32 v10, 0x80, v6
	v_mov_b32_e32 v17, 0xc0
	v_cndmask_b32_e32 v9, v3, v9, vcc
	v_lshlrev_b32_e32 v13, 2, v9
	v_xor_b32_e32 v9, 4, v3
	v_cmp_lt_i32_e32 vcc, v9, v8
	v_mov_b32_e32 v18, 0xc61c4000
	v_mov_b32_e32 v19, v4
	v_cndmask_b32_e32 v9, v3, v9, vcc
	v_lshlrev_b32_e32 v14, 2, v9
	v_xor_b32_e32 v9, 2, v3
	v_cmp_lt_i32_e32 vcc, v9, v8
	s_nop 1
	v_cndmask_b32_e32 v9, v3, v9, vcc
	v_lshlrev_b32_e32 v15, 2, v9
	v_xor_b32_e32 v9, 1, v3
	v_cmp_lt_i32_e32 vcc, v9, v8
	s_nop 1
	v_cndmask_b32_e32 v3, v3, v9, vcc
	v_lshlrev_b32_e32 v16, 2, v3
	v_mov_b32_e32 v3, 0
	s_branch .LBB101_14
.LBB101_12:                             ;   in Loop: Header=BB101_14 Depth=1
	v_add_u32_e32 v22, s15, v5
	v_cmp_le_i32_e32 vcc, s13, v8
	v_cmp_gt_i32_e64 s[0:1], s14, v8
	v_ashrrev_i32_e32 v23, 31, v22
	s_and_b64 s[0:1], vcc, s[0:1]
	v_lshlrev_b64 v[22:23], 2, v[22:23]
	v_lshl_add_u64 v[24:25], s[20:21], 0, v[22:23]
	v_subrev_u32_e32 v9, s13, v8
	s_and_b64 vcc, s[22:23], s[0:1]
	global_store_dword v[24:25], v20, off
	v_cndmask_b32_e32 v9, v17, v9, vcc
	v_lshl_add_u64 v[24:25], s[16:17], 0, v[22:23]
	global_store_dword v[24:25], v9, off
	v_add_f32_e32 v9, v3, v20
	v_lshl_add_u64 v[22:23], s[18:19], 0, v[22:23]
	v_cndmask_b32_e64 v3, v3, v9, s[2:3]
	global_store_dword v[22:23], v19, off
.LBB101_13:                             ;   in Loop: Header=BB101_14 Depth=1
	s_or_b64 exec, exec, s[26:27]
	v_ashrrev_i32_e32 v9, 31, v8
	v_lshrrev_b32_e32 v9, 26, v9
	v_add_u32_e32 v9, v8, v9
	v_ashrrev_i32_e32 v20, 6, v9
	v_and_b32_e32 v9, 0xffffffc0, v9
	s_add_i32 s15, s15, 1
	v_sub_u32_e32 v8, v8, v9
	v_cmp_ne_u32_e64 s[0:1], 0, v20
	s_cmp_lt_i32 s15, s12
	v_cmp_eq_u32_e32 vcc, v6, v8
	v_cndmask_b32_e64 v8, v18, v0, s[0:1]
	v_cmp_ne_u32_e64 s[0:1], 1, v20
	s_cselect_b64 s[26:27], -1, 0
	s_and_b64 vcc, s[26:27], vcc
	v_cndmask_b32_e64 v9, v18, v1, s[0:1]
	v_cmp_ne_u32_e64 s[0:1], 2, v20
	v_cndmask_b32_e32 v1, v1, v9, vcc
	v_cndmask_b32_e32 v0, v0, v8, vcc
	v_cndmask_b32_e64 v20, v18, v2, s[0:1]
	v_cndmask_b32_e32 v2, v2, v20, vcc
	s_cmp_eq_u32 s12, s15
	v_add_u32_e32 v19, s30, v19
	s_cbranch_scc1 .LBB101_42
.LBB101_14:                             ; =>This Inner Loop Header: Depth=1
	v_cmp_gt_f32_e32 vcc, v1, v0
	s_nop 1
	v_cndmask_b32_e32 v9, v0, v1, vcc
	v_cndmask_b32_e32 v8, v6, v7, vcc
	v_cmp_gt_f32_e32 vcc, v2, v9
	s_nop 1
	v_cndmask_b32_e32 v20, v9, v2, vcc
	v_cndmask_b32_e32 v8, v8, v10, vcc
	ds_bpermute_b32 v9, v11, v20
	s_waitcnt lgkmcnt(0)
	ds_bpermute_b32 v21, v11, v8
	s_waitcnt lgkmcnt(0)
	v_cmp_lt_f32_e64 s[26:27], v20, v9
	v_cmp_nlt_f32_e32 vcc, v20, v9
	s_and_saveexec_b64 s[28:29], vcc
; %bb.15:                               ;   in Loop: Header=BB101_14 Depth=1
	v_cmp_eq_f32_e32 vcc, v20, v9
	v_cmp_lt_i32_e64 s[0:1], v21, v8
	s_and_b64 s[0:1], vcc, s[0:1]
	s_andn2_b64 s[26:27], s[26:27], exec
	s_and_b64 s[0:1], s[0:1], exec
	s_or_b64 s[26:27], s[26:27], s[0:1]
; %bb.16:                               ;   in Loop: Header=BB101_14 Depth=1
	s_or_b64 exec, exec, s[28:29]
	s_and_saveexec_b64 s[0:1], s[26:27]
; %bb.17:                               ;   in Loop: Header=BB101_14 Depth=1
	v_mov_b32_e32 v20, v9
	v_mov_b32_e32 v8, v21
; %bb.18:                               ;   in Loop: Header=BB101_14 Depth=1
	s_or_b64 exec, exec, s[0:1]
	ds_bpermute_b32 v9, v12, v20
	ds_bpermute_b32 v21, v12, v8
	s_waitcnt lgkmcnt(1)
	v_cmp_lt_f32_e64 s[26:27], v20, v9
	v_cmp_nlt_f32_e32 vcc, v20, v9
	s_and_saveexec_b64 s[28:29], vcc
	s_cbranch_execz .LBB101_20
; %bb.19:                               ;   in Loop: Header=BB101_14 Depth=1
	v_cmp_eq_f32_e32 vcc, v20, v9
	s_waitcnt lgkmcnt(0)
	v_cmp_lt_i32_e64 s[0:1], v21, v8
	s_and_b64 s[0:1], vcc, s[0:1]
	s_andn2_b64 s[26:27], s[26:27], exec
	s_and_b64 s[0:1], s[0:1], exec
	s_or_b64 s[26:27], s[26:27], s[0:1]
.LBB101_20:                             ;   in Loop: Header=BB101_14 Depth=1
	s_or_b64 exec, exec, s[28:29]
	s_and_saveexec_b64 s[0:1], s[26:27]
	s_cbranch_execz .LBB101_22
; %bb.21:                               ;   in Loop: Header=BB101_14 Depth=1
	v_mov_b32_e32 v20, v9
	s_waitcnt lgkmcnt(0)
	v_mov_b32_e32 v8, v21
.LBB101_22:                             ;   in Loop: Header=BB101_14 Depth=1
	s_or_b64 exec, exec, s[0:1]
	ds_bpermute_b32 v9, v13, v20
	s_waitcnt lgkmcnt(1)
	ds_bpermute_b32 v21, v13, v8
	s_waitcnt lgkmcnt(1)
	v_cmp_lt_f32_e64 s[26:27], v20, v9
	v_cmp_nlt_f32_e32 vcc, v20, v9
	s_and_saveexec_b64 s[28:29], vcc
	s_cbranch_execz .LBB101_24
; %bb.23:                               ;   in Loop: Header=BB101_14 Depth=1
	v_cmp_eq_f32_e32 vcc, v20, v9
	s_waitcnt lgkmcnt(0)
	v_cmp_lt_i32_e64 s[0:1], v21, v8
	s_and_b64 s[0:1], vcc, s[0:1]
	s_andn2_b64 s[26:27], s[26:27], exec
	s_and_b64 s[0:1], s[0:1], exec
	s_or_b64 s[26:27], s[26:27], s[0:1]
.LBB101_24:                             ;   in Loop: Header=BB101_14 Depth=1
	s_or_b64 exec, exec, s[28:29]
	s_and_saveexec_b64 s[0:1], s[26:27]
	s_cbranch_execz .LBB101_26
; %bb.25:                               ;   in Loop: Header=BB101_14 Depth=1
	v_mov_b32_e32 v20, v9
	s_waitcnt lgkmcnt(0)
	v_mov_b32_e32 v8, v21
.LBB101_26:                             ;   in Loop: Header=BB101_14 Depth=1
	s_or_b64 exec, exec, s[0:1]
	ds_bpermute_b32 v9, v14, v20
	s_waitcnt lgkmcnt(1)
	;; [unrolled: 26-line block ×4, first 2 shown]
	ds_bpermute_b32 v21, v16, v8
	s_waitcnt lgkmcnt(1)
	v_cmp_lt_f32_e64 s[26:27], v20, v9
	v_cmp_nlt_f32_e32 vcc, v20, v9
	s_and_saveexec_b64 s[28:29], vcc
	s_cbranch_execnz .LBB101_37
; %bb.35:                               ;   in Loop: Header=BB101_14 Depth=1
	s_or_b64 exec, exec, s[28:29]
	s_and_saveexec_b64 s[0:1], s[26:27]
	s_cbranch_execnz .LBB101_38
.LBB101_36:                             ;   in Loop: Header=BB101_14 Depth=1
	s_or_b64 exec, exec, s[0:1]
	s_and_saveexec_b64 s[26:27], s[4:5]
	s_cbranch_execz .LBB101_13
	s_branch .LBB101_39
.LBB101_37:                             ;   in Loop: Header=BB101_14 Depth=1
	v_cmp_eq_f32_e32 vcc, v20, v9
	s_waitcnt lgkmcnt(0)
	v_cmp_lt_i32_e64 s[0:1], v21, v8
	s_and_b64 s[0:1], vcc, s[0:1]
	s_andn2_b64 s[26:27], s[26:27], exec
	s_and_b64 s[0:1], s[0:1], exec
	s_or_b64 s[26:27], s[26:27], s[0:1]
	s_or_b64 exec, exec, s[28:29]
	s_and_saveexec_b64 s[0:1], s[26:27]
	s_cbranch_execz .LBB101_36
.LBB101_38:                             ;   in Loop: Header=BB101_14 Depth=1
	s_waitcnt lgkmcnt(0)
	v_mov_b32_e32 v8, v21
	v_mov_b32_e32 v20, v9
	s_or_b64 exec, exec, s[0:1]
	s_and_saveexec_b64 s[26:27], s[4:5]
	s_cbranch_execz .LBB101_13
.LBB101_39:                             ;   in Loop: Header=BB101_14 Depth=1
	s_and_b64 vcc, exec, s[6:7]
	s_cbranch_vccnz .LBB101_12
; %bb.40:                               ;   in Loop: Header=BB101_14 Depth=1
	v_ashrrev_i32_e32 v9, 31, v8
	v_lshl_add_u64 v[22:23], v[8:9], 2, s[10:11]
	global_load_dword v9, v[22:23], off
	s_waitcnt vmcnt(0)
	v_sub_f32_e32 v20, v20, v9
	s_branch .LBB101_12
.LBB101_41:
	v_mov_b32_e32 v3, 0
.LBB101_42:
	v_cmp_eq_u32_e32 vcc, 0, v6
	s_and_b64 exec, exec, vcc
	s_cbranch_execz .LBB101_55
; %bb.43:
	s_andn2_b64 vcc, exec, s[2:3]
	v_cvt_f32_f64_e32 v0, s[8:9]
	s_cbranch_vccnz .LBB101_45
; %bb.44:
	v_cmp_lt_f32_e32 vcc, 0, v3
	s_nop 1
	v_cndmask_b32_e32 v1, 1.0, v3, vcc
	v_div_scale_f32 v2, s[0:1], v1, v1, v0
	v_rcp_f32_e32 v3, v2
	s_nop 0
	v_fma_f32 v5, -v2, v3, 1.0
	v_fmac_f32_e32 v3, v5, v3
	v_div_scale_f32 v5, vcc, v0, v1, v0
	v_mul_f32_e32 v6, v5, v3
	v_fma_f32 v7, -v2, v6, v5
	v_fmac_f32_e32 v6, v7, v3
	v_fma_f32 v2, -v2, v6, v5
	v_div_fmas_f32 v2, v2, v3, v6
	v_div_fixup_f32 v0, v2, v1, v0
.LBB101_45:
	s_andn2_b64 vcc, exec, s[24:25]
	s_cbranch_vccnz .LBB101_55
; %bb.46:
	v_mul_lo_u32 v2, v4, s12
	s_cmp_gt_u32 s12, 3
	v_ashrrev_i32_e32 v3, 31, v2
	s_cbranch_scc0 .LBB101_50
; %bb.47:
	s_and_b32 s0, s12, 0x7ffffffc
	v_lshl_add_u64 v[4:5], v[2:3], 2, s[20:21]
	v_mov_b32_e32 v1, v0
	v_lshl_add_u64 v[4:5], v[4:5], 0, 8
	s_mov_b32 s1, s0
.LBB101_48:                             ; =>This Inner Loop Header: Depth=1
	global_load_dwordx4 v[6:9], v[4:5], off offset:-8
	s_add_i32 s1, s1, -4
	s_cmp_lg_u32 s1, 0
	s_waitcnt vmcnt(0)
	v_pk_mul_f32 v[6:7], v[0:1], v[6:7]
	v_pk_mul_f32 v[8:9], v[0:1], v[8:9]
	global_store_dwordx4 v[4:5], v[6:9], off offset:-8
	v_lshl_add_u64 v[4:5], v[4:5], 0, 16
	s_cbranch_scc1 .LBB101_48
; %bb.49:
	s_cmp_lg_u32 s0, s12
	s_cselect_b64 s[2:3], -1, 0
	s_branch .LBB101_52
.LBB101_50:
	s_mov_b64 s[2:3], 0
                                        ; implicit-def: $sgpr0
	s_cbranch_execz .LBB101_52
; %bb.51:
	s_mov_b64 s[2:3], -1
	s_mov_b32 s0, 0
.LBB101_52:
	s_andn2_b64 vcc, exec, s[2:3]
	s_cbranch_vccnz .LBB101_55
; %bb.53:
	s_mov_b32 s1, 0
	v_lshl_add_u64 v[2:3], v[2:3], 0, s[0:1]
	s_sub_i32 s2, s12, s0
	v_lshl_add_u64 v[2:3], v[2:3], 2, s[20:21]
.LBB101_54:                             ; =>This Inner Loop Header: Depth=1
	global_load_dword v1, v[2:3], off
	s_add_i32 s2, s2, -1
	s_cmp_lg_u32 s2, 0
	s_waitcnt vmcnt(0)
	v_mul_f32_e32 v1, v0, v1
	global_store_dword v[2:3], v1, off
	v_lshl_add_u64 v[2:3], v[2:3], 0, 4
	s_cbranch_scc1 .LBB101_54
.LBB101_55:
	s_endpgm
	.section	.rodata,"a",@progbits
	.p2align	6, 0x0
	.amdhsa_kernel _ZN4vllm3moe22topkGatingSoftplusSqrtILi3ELi192ELi4ELi4ELi64ELb0EjfEEvPKT6_PKbPfiPT5_PiiiibdPKfPKS8_SE_
		.amdhsa_group_segment_fixed_size 0
		.amdhsa_private_segment_fixed_size 0
		.amdhsa_kernarg_size 96
		.amdhsa_user_sgpr_count 2
		.amdhsa_user_sgpr_dispatch_ptr 0
		.amdhsa_user_sgpr_queue_ptr 0
		.amdhsa_user_sgpr_kernarg_segment_ptr 1
		.amdhsa_user_sgpr_dispatch_id 0
		.amdhsa_user_sgpr_kernarg_preload_length 0
		.amdhsa_user_sgpr_kernarg_preload_offset 0
		.amdhsa_user_sgpr_private_segment_size 0
		.amdhsa_uses_dynamic_stack 0
		.amdhsa_enable_private_segment 0
		.amdhsa_system_sgpr_workgroup_id_x 1
		.amdhsa_system_sgpr_workgroup_id_y 0
		.amdhsa_system_sgpr_workgroup_id_z 0
		.amdhsa_system_sgpr_workgroup_info 0
		.amdhsa_system_vgpr_workitem_id 1
		.amdhsa_next_free_vgpr 26
		.amdhsa_next_free_sgpr 31
		.amdhsa_accum_offset 28
		.amdhsa_reserve_vcc 1
		.amdhsa_float_round_mode_32 0
		.amdhsa_float_round_mode_16_64 0
		.amdhsa_float_denorm_mode_32 3
		.amdhsa_float_denorm_mode_16_64 3
		.amdhsa_dx10_clamp 1
		.amdhsa_ieee_mode 1
		.amdhsa_fp16_overflow 0
		.amdhsa_tg_split 0
		.amdhsa_exception_fp_ieee_invalid_op 0
		.amdhsa_exception_fp_denorm_src 0
		.amdhsa_exception_fp_ieee_div_zero 0
		.amdhsa_exception_fp_ieee_overflow 0
		.amdhsa_exception_fp_ieee_underflow 0
		.amdhsa_exception_fp_ieee_inexact 0
		.amdhsa_exception_int_div_zero 0
	.end_amdhsa_kernel
	.section	.text._ZN4vllm3moe22topkGatingSoftplusSqrtILi3ELi192ELi4ELi4ELi64ELb0EjfEEvPKT6_PKbPfiPT5_PiiiibdPKfPKS8_SE_,"axG",@progbits,_ZN4vllm3moe22topkGatingSoftplusSqrtILi3ELi192ELi4ELi4ELi64ELb0EjfEEvPKT6_PKbPfiPT5_PiiiibdPKfPKS8_SE_,comdat
.Lfunc_end101:
	.size	_ZN4vllm3moe22topkGatingSoftplusSqrtILi3ELi192ELi4ELi4ELi64ELb0EjfEEvPKT6_PKbPfiPT5_PiiiibdPKfPKS8_SE_, .Lfunc_end101-_ZN4vllm3moe22topkGatingSoftplusSqrtILi3ELi192ELi4ELi4ELi64ELb0EjfEEvPKT6_PKbPfiPT5_PiiiibdPKfPKS8_SE_
                                        ; -- End function
	.section	.AMDGPU.csdata,"",@progbits
; Kernel info:
; codeLenInByte = 2656
; NumSgprs: 37
; NumVgprs: 26
; NumAgprs: 0
; TotalNumVgprs: 26
; ScratchSize: 0
; MemoryBound: 0
; FloatMode: 240
; IeeeMode: 1
; LDSByteSize: 0 bytes/workgroup (compile time only)
; SGPRBlocks: 4
; VGPRBlocks: 3
; NumSGPRsForWavesPerEU: 37
; NumVGPRsForWavesPerEU: 26
; AccumOffset: 28
; Occupancy: 8
; WaveLimiterHint : 1
; COMPUTE_PGM_RSRC2:SCRATCH_EN: 0
; COMPUTE_PGM_RSRC2:USER_SGPR: 2
; COMPUTE_PGM_RSRC2:TRAP_HANDLER: 0
; COMPUTE_PGM_RSRC2:TGID_X_EN: 1
; COMPUTE_PGM_RSRC2:TGID_Y_EN: 0
; COMPUTE_PGM_RSRC2:TGID_Z_EN: 0
; COMPUTE_PGM_RSRC2:TIDIG_COMP_CNT: 1
; COMPUTE_PGM_RSRC3_GFX90A:ACCUM_OFFSET: 6
; COMPUTE_PGM_RSRC3_GFX90A:TG_SPLIT: 0
	.section	.text._ZN4vllm3moe22topkGatingSoftplusSqrtILi6ELi192ELi4ELi4ELi32ELb1EjfEEvPKT6_PKbPfiPT5_PiiiibdPKfPKS8_SE_,"axG",@progbits,_ZN4vllm3moe22topkGatingSoftplusSqrtILi6ELi192ELi4ELi4ELi32ELb1EjfEEvPKT6_PKbPfiPT5_PiiiibdPKfPKS8_SE_,comdat
	.protected	_ZN4vllm3moe22topkGatingSoftplusSqrtILi6ELi192ELi4ELi4ELi32ELb1EjfEEvPKT6_PKbPfiPT5_PiiiibdPKfPKS8_SE_ ; -- Begin function _ZN4vllm3moe22topkGatingSoftplusSqrtILi6ELi192ELi4ELi4ELi32ELb1EjfEEvPKT6_PKbPfiPT5_PiiiibdPKfPKS8_SE_
	.globl	_ZN4vllm3moe22topkGatingSoftplusSqrtILi6ELi192ELi4ELi4ELi32ELb1EjfEEvPKT6_PKbPfiPT5_PiiiibdPKfPKS8_SE_
	.p2align	8
	.type	_ZN4vllm3moe22topkGatingSoftplusSqrtILi6ELi192ELi4ELi4ELi32ELb1EjfEEvPKT6_PKbPfiPT5_PiiiibdPKfPKS8_SE_,@function
_ZN4vllm3moe22topkGatingSoftplusSqrtILi6ELi192ELi4ELi4ELi32ELb1EjfEEvPKT6_PKbPfiPT5_PiiiibdPKfPKS8_SE_: ; @_ZN4vllm3moe22topkGatingSoftplusSqrtILi6ELi192ELi4ELi4ELi32ELb1EjfEEvPKT6_PKbPfiPT5_PiiiibdPKfPKS8_SE_
; %bb.0:
	s_load_dword s3, s[0:1], 0x18
	v_and_b32_e32 v1, 0x3ff, v0
	s_lshl_b32 s2, s2, 2
	v_lshrrev_b32_e32 v2, 5, v1
	v_bfe_u32 v0, v0, 10, 10
	v_add3_u32 v0, s2, v0, v2
	s_waitcnt lgkmcnt(0)
	v_cmp_gt_i32_e32 vcc, s3, v0
	s_and_saveexec_b64 s[2:3], vcc
	s_cbranch_execz .LBB102_32
; %bb.1:
	s_load_dwordx2 s[2:3], s[0:1], 0x0
	s_load_dword s24, s[0:1], 0x30
	s_load_dwordx4 s[8:11], s[0:1], 0x50
	s_movk_i32 s4, 0xc0
	v_mul_lo_u32 v2, v0, s4
	v_ashrrev_i32_e32 v3, 31, v2
	v_and_b32_e32 v10, 31, v1
	s_waitcnt lgkmcnt(0)
	v_lshl_add_u64 v[2:3], v[2:3], 2, s[2:3]
	v_lshlrev_b32_e32 v4, 2, v10
	v_mov_b32_e32 v5, 0
	v_lshl_add_u64 v[2:3], v[2:3], 0, v[4:5]
	global_load_dword v8, v[2:3], off
	global_load_dword v9, v[2:3], off offset:128
	global_load_dword v13, v[2:3], off offset:256
	;; [unrolled: 1-line block ×3, first 2 shown]
	v_mov_b32_e32 v6, s8
	v_mov_b32_e32 v7, s9
	v_ashrrev_i32_e32 v1, 31, v0
	v_lshl_add_u64 v[6:7], v[0:1], 2, v[6:7]
	global_load_dword v1, v[6:7], off
	global_load_dword v17, v[2:3], off offset:512
	global_load_dword v18, v[2:3], off offset:640
	s_mov_b32 s15, 0x800000
	v_mov_b32_e32 v15, 0x4f800000
	s_mov_b32 s13, 0x3f317217
	s_mov_b32 s14, 0x7f800000
	v_mov_b32_e32 v16, 0x41b17218
	s_mov_b32 s9, 0x41a00000
	s_mov_b32 s12, 0xf800000
	v_mov_b32_e32 v19, 0x260
	s_cmp_gt_i32 s24, 0
	s_mov_b32 s8, 0
	v_mul_lo_u32 v0, v0, s24
	s_waitcnt vmcnt(6)
	v_mul_f32_e32 v2, 0x3fb8aa3b, v8
	s_waitcnt vmcnt(5)
	v_mul_f32_e32 v3, 0x3fb8aa3b, v9
	v_exp_f32_e32 v2, v2
	v_exp_f32_e32 v3, v3
	s_waitcnt vmcnt(4)
	v_mul_f32_e32 v4, 0x3fb8aa3b, v13
	s_waitcnt vmcnt(3)
	v_mul_f32_e32 v7, 0x3fb8aa3b, v14
	v_exp_f32_e32 v6, v4
	v_exp_f32_e32 v7, v7
	v_pk_add_f32 v[2:3], v[2:3], 1.0 op_sel_hi:[1,0]
	s_waitcnt vmcnt(2)
	v_mul_lo_u32 v4, v1, s24
	v_cmp_gt_f32_e32 vcc, s15, v3
	v_pk_add_f32 v[6:7], v[6:7], 1.0 op_sel_hi:[1,0]
	v_cmp_gt_f32_e64 s[2:3], s15, v2
	v_cndmask_b32_e32 v1, 1.0, v15, vcc
	v_cmp_gt_f32_e64 s[4:5], s15, v7
	v_cndmask_b32_e64 v11, 1.0, v15, s[2:3]
	v_mul_f32_e32 v1, v3, v1
	v_cndmask_b32_e64 v12, 1.0, v15, s[4:5]
	v_mul_f32_e32 v2, v2, v11
	v_log_f32_e32 v1, v1
	v_mul_f32_e32 v7, v7, v12
	v_log_f32_e32 v2, v2
	v_cmp_gt_f32_e64 s[6:7], s15, v6
	v_log_f32_e32 v7, v7
	v_cndmask_b32_e32 v3, 0, v16, vcc
	v_cndmask_b32_e64 v20, 1.0, v15, s[6:7]
	v_mul_f32_e32 v6, v6, v20
	v_mul_f32_e32 v20, 0x3f317217, v1
	;; [unrolled: 1-line block ×3, first 2 shown]
	v_fma_f32 v20, v1, s13, -v20
	v_mul_f32_e32 v22, 0x3f317217, v7
	v_fma_f32 v21, v2, s13, -v21
	v_fmac_f32_e32 v20, 0x3377d1cf, v1
	v_fma_f32 v22, v7, s13, -v22
	v_fmac_f32_e32 v21, 0x3377d1cf, v2
	v_fmac_f32_e32 v20, 0x3f317217, v1
	v_cmp_lt_f32_e64 vcc, |v1|, s14
	v_fmac_f32_e32 v22, 0x3377d1cf, v7
	v_fmac_f32_e32 v21, 0x3f317217, v2
	v_cndmask_b32_e32 v1, v1, v20, vcc
	v_cmp_lt_f32_e64 vcc, |v2|, s14
	v_cndmask_b32_e64 v11, 0, v16, s[2:3]
	v_fmac_f32_e32 v22, 0x3f317217, v7
	v_cndmask_b32_e32 v2, v2, v21, vcc
	v_cmp_lt_f32_e64 vcc, |v7|, s14
	v_sub_f32_e32 v2, v2, v11
	v_sub_f32_e32 v1, v1, v3
	v_cndmask_b32_e32 v7, v7, v22, vcc
	v_cmp_lt_f32_e32 vcc, s9, v8
	v_cndmask_b32_e64 v12, 0, v16, s[4:5]
	v_sub_f32_e32 v7, v7, v12
	v_cndmask_b32_e32 v2, v2, v8, vcc
	v_cmp_lt_f32_e32 vcc, s9, v9
	v_mul_f32_e32 v8, 0x4f800000, v2
	v_cmp_gt_f32_e64 s[2:3], s12, v2
	v_cndmask_b32_e32 v1, v1, v9, vcc
	v_mul_f32_e32 v3, 0x4f800000, v1
	v_cmp_gt_f32_e32 vcc, s12, v1
	v_cndmask_b32_e64 v2, v2, v8, s[2:3]
	v_sqrt_f32_e32 v8, v2
	v_cndmask_b32_e32 v1, v1, v3, vcc
	v_sqrt_f32_e32 v3, v1
	v_log_f32_e32 v6, v6
	v_add_u32_e32 v12, -1, v8
	v_fma_f32 v24, -v12, v8, v2
	v_add_u32_e32 v9, -1, v3
	v_fma_f32 v21, -v9, v3, v1
	v_add_u32_e32 v11, 1, v3
	v_cmp_ge_f32_e64 s[4:5], 0, v21
	v_add_u32_e32 v20, 1, v8
	v_fma_f32 v22, -v11, v3, v1
	v_cndmask_b32_e64 v3, v3, v9, s[4:5]
	v_cmp_ge_f32_e64 s[4:5], 0, v24
	v_fma_f32 v25, -v20, v8, v2
	v_mul_f32_e32 v23, 0x3f317217, v6
	v_cndmask_b32_e64 v8, v8, v12, s[4:5]
	v_cmp_lt_f32_e64 s[4:5], 0, v22
	s_nop 1
	v_cndmask_b32_e64 v3, v3, v11, s[4:5]
	v_cmp_lt_f32_e64 s[4:5], 0, v25
	v_mul_f32_e32 v9, 0x37800000, v3
	v_cndmask_b32_e32 v3, v3, v9, vcc
	v_cndmask_b32_e64 v8, v8, v20, s[4:5]
	v_mul_f32_e32 v11, 0x37800000, v8
	v_cmp_class_f32_e32 vcc, v1, v19
	v_cndmask_b32_e64 v8, v8, v11, s[2:3]
	v_cmp_lt_f32_e64 s[2:3], s9, v13
	v_cndmask_b32_e32 v11, v3, v1, vcc
	v_fma_f32 v1, v6, s13, -v23
	v_cmp_class_f32_e32 vcc, v2, v19
	v_fmac_f32_e32 v1, 0x3377d1cf, v6
	v_fmac_f32_e32 v1, 0x3f317217, v6
	v_cndmask_b32_e32 v12, v8, v2, vcc
	v_cmp_lt_f32_e64 vcc, |v6|, s14
	v_cndmask_b32_e64 v2, 0, v16, s[6:7]
	s_nop 0
	v_cndmask_b32_e32 v1, v6, v1, vcc
	v_cmp_lt_f32_e32 vcc, s9, v14
	v_sub_f32_e32 v1, v1, v2
	v_cndmask_b32_e64 v1, v1, v13, s[2:3]
	v_cndmask_b32_e32 v3, v7, v14, vcc
	v_mul_f32_e32 v6, 0x4f800000, v3
	v_cmp_gt_f32_e32 vcc, s12, v3
	s_nop 1
	v_cndmask_b32_e32 v3, v3, v6, vcc
	v_sqrt_f32_e32 v6, v3
	s_nop 0
	v_add_u32_e32 v2, -1, v6
	v_fma_f32 v7, -v2, v6, v3
	v_cmp_ge_f32_e64 s[2:3], 0, v7
	v_add_u32_e32 v7, 1, v6
	s_nop 0
	v_cndmask_b32_e64 v2, v6, v2, s[2:3]
	v_fma_f32 v6, -v7, v6, v3
	v_cmp_lt_f32_e64 s[2:3], 0, v6
	s_nop 1
	v_cndmask_b32_e64 v2, v2, v7, s[2:3]
	v_mul_f32_e32 v7, 0x4f800000, v1
	v_cmp_gt_f32_e64 s[2:3], s12, v1
	v_mul_f32_e32 v6, 0x37800000, v2
	v_cndmask_b32_e32 v2, v2, v6, vcc
	v_cndmask_b32_e64 v1, v1, v7, s[2:3]
	v_sqrt_f32_e32 v7, v1
	v_cmp_class_f32_e32 vcc, v3, v19
	v_add_u32_e32 v8, 1, v7
	s_nop 0
	v_cndmask_b32_e32 v13, v2, v3, vcc
	v_add_u32_e32 v2, -1, v7
	v_fma_f32 v3, -v2, v7, v1
	v_cmp_ge_f32_e32 vcc, 0, v3
	s_waitcnt vmcnt(0)
	v_mul_f32_e32 v3, 0x3fb8aa3b, v18
	v_exp_f32_e32 v3, v3
	v_cndmask_b32_e32 v6, v7, v2, vcc
	v_mul_f32_e32 v2, 0x3fb8aa3b, v17
	v_exp_f32_e32 v2, v2
	v_fma_f32 v7, -v8, v7, v1
	v_cmp_lt_f32_e32 vcc, 0, v7
	v_pk_add_f32 v[2:3], v[2:3], 1.0 op_sel_hi:[1,0]
	s_nop 0
	v_cndmask_b32_e32 v6, v6, v8, vcc
	v_cmp_gt_f32_e32 vcc, s15, v3
	v_mul_f32_e32 v7, 0x37800000, v6
	v_cndmask_b32_e64 v6, v6, v7, s[2:3]
	v_cndmask_b32_e32 v8, 1.0, v15, vcc
	v_mul_f32_e32 v3, v3, v8
	v_log_f32_e32 v3, v3
	v_cmp_class_f32_e64 s[2:3], v1, v19
	v_cmp_lt_f32_e64 s[4:5], |v3|, s14
	s_nop 0
	v_cndmask_b32_e64 v14, v6, v1, s[2:3]
	v_cmp_gt_f32_e64 s[2:3], s15, v2
	v_mul_f32_e32 v1, 0x3f317217, v3
	v_fma_f32 v1, v3, s13, -v1
	v_cndmask_b32_e64 v6, 1.0, v15, s[2:3]
	v_mul_f32_e32 v2, v2, v6
	v_log_f32_e32 v2, v2
	v_fmac_f32_e32 v1, 0x3377d1cf, v3
	v_fmac_f32_e32 v1, 0x3f317217, v3
	v_cndmask_b32_e64 v1, v3, v1, s[4:5]
	v_cndmask_b32_e32 v3, 0, v16, vcc
	v_sub_f32_e32 v1, v1, v3
	v_mul_f32_e32 v3, 0x3f317217, v2
	v_fma_f32 v3, v2, s13, -v3
	v_fmac_f32_e32 v3, 0x3377d1cf, v2
	v_fmac_f32_e32 v3, 0x3f317217, v2
	v_cmp_lt_f32_e64 vcc, |v2|, s14
	s_cselect_b64 s[4:5], -1, 0
	s_cmp_lt_i32 s24, 1
	v_cndmask_b32_e32 v2, v2, v3, vcc
	v_cmp_lt_f32_e32 vcc, s9, v18
	v_cndmask_b32_e64 v3, 0, v16, s[2:3]
	v_sub_f32_e32 v2, v2, v3
	v_cndmask_b32_e32 v1, v1, v18, vcc
	v_mul_f32_e32 v6, 0x4f800000, v1
	v_cmp_gt_f32_e32 vcc, s12, v1
	v_cmp_lt_f32_e64 s[2:3], s9, v17
	s_nop 0
	v_cndmask_b32_e32 v1, v1, v6, vcc
	v_sqrt_f32_e32 v6, v1
	v_cndmask_b32_e64 v2, v2, v17, s[2:3]
	v_add_u32_e32 v3, -1, v6
	v_fma_f32 v7, -v3, v6, v1
	v_cmp_ge_f32_e64 s[2:3], 0, v7
	v_add_u32_e32 v7, 1, v6
	s_nop 0
	v_cndmask_b32_e64 v3, v6, v3, s[2:3]
	v_fma_f32 v6, -v7, v6, v1
	v_cmp_lt_f32_e64 s[2:3], 0, v6
	s_nop 1
	v_cndmask_b32_e64 v3, v3, v7, s[2:3]
	v_mul_f32_e32 v7, 0x4f800000, v2
	v_cmp_gt_f32_e64 s[2:3], s12, v2
	v_mul_f32_e32 v6, 0x37800000, v3
	v_cndmask_b32_e32 v3, v3, v6, vcc
	v_cndmask_b32_e64 v2, v2, v7, s[2:3]
	v_sqrt_f32_e32 v7, v2
	v_cmp_class_f32_e32 vcc, v1, v19
	s_nop 1
	v_cndmask_b32_e32 v15, v3, v1, vcc
	v_add_u32_e32 v1, -1, v7
	v_fma_f32 v3, -v1, v7, v2
	v_cmp_ge_f32_e32 vcc, 0, v3
	v_add_u32_e32 v3, 1, v7
	v_fma_f32 v6, -v3, v7, v2
	v_cndmask_b32_e32 v1, v7, v1, vcc
	v_cmp_lt_f32_e32 vcc, 0, v6
	s_nop 1
	v_cndmask_b32_e32 v1, v1, v3, vcc
	v_mul_f32_e32 v3, 0x37800000, v1
	v_cndmask_b32_e64 v1, v1, v3, s[2:3]
	v_cmp_class_f32_e32 vcc, v2, v19
	s_nop 1
	v_cndmask_b32_e32 v16, v1, v2, vcc
	v_lshl_add_u64 v[2:3], v[4:5], 2, s[10:11]
	s_cbranch_scc1 .LBB102_29
; %bb.2:
	s_load_dwordx2 s[6:7], s[0:1], 0x20
	s_cmp_lt_u32 s24, 4
	s_cbranch_scc1 .LBB102_21
; %bb.3:
	s_mov_b32 s11, 0
	s_and_b32 s8, s24, 0x7ffffffc
	v_ashrrev_i32_e32 v1, 31, v0
	v_mov_b32_e32 v5, 0
	s_mov_b32 s10, s11
	s_branch .LBB102_5
.LBB102_4:                              ;   in Loop: Header=BB102_5 Depth=1
	s_or_b64 exec, exec, s[12:13]
	s_add_i32 s10, s10, 4
	s_cmp_eq_u32 s10, s8
	s_cbranch_scc1 .LBB102_22
.LBB102_5:                              ; =>This Loop Header: Depth=1
                                        ;     Child Loop BB102_7 Depth 2
                                        ;     Child Loop BB102_11 Depth 2
	;; [unrolled: 1-line block ×4, first 2 shown]
	v_lshl_add_u64 v[6:7], s[10:11], 2, v[2:3]
	global_load_dword v4, v[6:7], off
	v_add_u32_e32 v8, s10, v0
	v_ashrrev_i32_e32 v9, 31, v8
	s_waitcnt lgkmcnt(0)
	v_lshl_add_u64 v[8:9], v[8:9], 2, s[6:7]
	s_mov_b64 s[12:13], 0
	v_mov_b32_e32 v17, v10
	s_mov_b64 s[14:15], 0
	s_waitcnt vmcnt(0)
	s_branch .LBB102_7
.LBB102_6:                              ;   in Loop: Header=BB102_7 Depth=2
	s_or_b64 exec, exec, s[16:17]
	s_cmp_gt_u32 s14, 4
	s_cselect_b64 s[2:3], -1, 0
	s_xor_b64 s[16:17], vcc, -1
	s_or_b64 s[2:3], s[16:17], s[2:3]
	s_add_u32 s14, s14, 1
	s_addc_u32 s15, s15, 0
	s_and_b64 s[2:3], exec, s[2:3]
	s_or_b64 s[12:13], s[2:3], s[12:13]
	v_add_u32_e32 v17, 32, v17
	s_andn2_b64 exec, exec, s[12:13]
	s_cbranch_execz .LBB102_9
.LBB102_7:                              ;   Parent Loop BB102_5 Depth=1
                                        ; =>  This Inner Loop Header: Depth=2
	v_cmp_ne_u32_e32 vcc, v4, v17
	v_cmp_eq_u32_e64 s[2:3], v4, v17
	s_and_saveexec_b64 s[16:17], s[2:3]
	s_cbranch_execz .LBB102_6
; %bb.8:                                ;   in Loop: Header=BB102_7 Depth=2
	s_cmp_eq_u32 s14, 1
	s_cselect_b64 s[2:3], -1, 0
	s_cmp_eq_u32 s14, 2
	v_cndmask_b32_e64 v18, v12, v11, s[2:3]
	s_cselect_b64 s[2:3], -1, 0
	s_cmp_eq_u32 s14, 3
	v_cndmask_b32_e64 v18, v18, v14, s[2:3]
	;; [unrolled: 3-line block ×4, first 2 shown]
	s_cselect_b64 s[2:3], -1, 0
	v_cndmask_b32_e64 v18, v18, v15, s[2:3]
	v_add_f32_e32 v5, v5, v18
	global_store_dword v[8:9], v4, off
	s_branch .LBB102_6
.LBB102_9:                              ;   in Loop: Header=BB102_5 Depth=1
	s_or_b64 exec, exec, s[12:13]
	global_load_dword v4, v[6:7], off offset:4
	s_ashr_i32 s3, s10, 31
	s_mov_b32 s2, s10
	v_lshl_add_u64 v[8:9], s[2:3], 0, v[0:1]
	v_lshl_add_u64 v[8:9], v[8:9], 2, s[6:7]
	s_mov_b64 s[12:13], 0
	v_mov_b32_e32 v17, v10
	s_mov_b64 s[14:15], 0
	s_waitcnt vmcnt(0)
	s_branch .LBB102_11
.LBB102_10:                             ;   in Loop: Header=BB102_11 Depth=2
	s_or_b64 exec, exec, s[16:17]
	s_cmp_gt_u32 s14, 4
	s_cselect_b64 s[2:3], -1, 0
	s_xor_b64 s[16:17], vcc, -1
	s_or_b64 s[2:3], s[16:17], s[2:3]
	s_add_u32 s14, s14, 1
	s_addc_u32 s15, s15, 0
	s_and_b64 s[2:3], exec, s[2:3]
	s_or_b64 s[12:13], s[2:3], s[12:13]
	v_add_u32_e32 v17, 32, v17
	s_andn2_b64 exec, exec, s[12:13]
	s_cbranch_execz .LBB102_13
.LBB102_11:                             ;   Parent Loop BB102_5 Depth=1
                                        ; =>  This Inner Loop Header: Depth=2
	v_cmp_ne_u32_e32 vcc, v4, v17
	v_cmp_eq_u32_e64 s[2:3], v4, v17
	s_and_saveexec_b64 s[16:17], s[2:3]
	s_cbranch_execz .LBB102_10
; %bb.12:                               ;   in Loop: Header=BB102_11 Depth=2
	s_cmp_eq_u32 s14, 1
	s_cselect_b64 s[2:3], -1, 0
	s_cmp_eq_u32 s14, 2
	v_cndmask_b32_e64 v18, v12, v11, s[2:3]
	s_cselect_b64 s[2:3], -1, 0
	s_cmp_eq_u32 s14, 3
	v_cndmask_b32_e64 v18, v18, v14, s[2:3]
	;; [unrolled: 3-line block ×4, first 2 shown]
	s_cselect_b64 s[2:3], -1, 0
	v_cndmask_b32_e64 v18, v18, v15, s[2:3]
	v_add_f32_e32 v5, v5, v18
	global_store_dword v[8:9], v4, off offset:4
	s_branch .LBB102_10
.LBB102_13:                             ;   in Loop: Header=BB102_5 Depth=1
	s_or_b64 exec, exec, s[12:13]
	global_load_dword v4, v[6:7], off offset:8
	s_mov_b64 s[12:13], 0
	v_mov_b32_e32 v17, v10
	s_mov_b64 s[14:15], 0
	s_waitcnt vmcnt(0)
	s_branch .LBB102_15
.LBB102_14:                             ;   in Loop: Header=BB102_15 Depth=2
	s_or_b64 exec, exec, s[16:17]
	s_cmp_gt_u32 s14, 4
	s_cselect_b64 s[2:3], -1, 0
	s_xor_b64 s[16:17], vcc, -1
	s_or_b64 s[2:3], s[16:17], s[2:3]
	s_add_u32 s14, s14, 1
	s_addc_u32 s15, s15, 0
	s_and_b64 s[2:3], exec, s[2:3]
	s_or_b64 s[12:13], s[2:3], s[12:13]
	v_add_u32_e32 v17, 32, v17
	s_andn2_b64 exec, exec, s[12:13]
	s_cbranch_execz .LBB102_17
.LBB102_15:                             ;   Parent Loop BB102_5 Depth=1
                                        ; =>  This Inner Loop Header: Depth=2
	v_cmp_ne_u32_e32 vcc, v4, v17
	v_cmp_eq_u32_e64 s[2:3], v4, v17
	s_and_saveexec_b64 s[16:17], s[2:3]
	s_cbranch_execz .LBB102_14
; %bb.16:                               ;   in Loop: Header=BB102_15 Depth=2
	s_cmp_eq_u32 s14, 1
	s_cselect_b64 s[2:3], -1, 0
	s_cmp_eq_u32 s14, 2
	v_cndmask_b32_e64 v18, v12, v11, s[2:3]
	s_cselect_b64 s[2:3], -1, 0
	s_cmp_eq_u32 s14, 3
	v_cndmask_b32_e64 v18, v18, v14, s[2:3]
	;; [unrolled: 3-line block ×4, first 2 shown]
	s_cselect_b64 s[2:3], -1, 0
	v_cndmask_b32_e64 v18, v18, v15, s[2:3]
	v_add_f32_e32 v5, v5, v18
	global_store_dword v[8:9], v4, off offset:8
	s_branch .LBB102_14
.LBB102_17:                             ;   in Loop: Header=BB102_5 Depth=1
	s_or_b64 exec, exec, s[12:13]
	global_load_dword v4, v[6:7], off offset:12
	s_mov_b64 s[12:13], 0
	v_mov_b32_e32 v6, v10
	s_mov_b64 s[14:15], 0
	s_waitcnt vmcnt(0)
	s_branch .LBB102_19
.LBB102_18:                             ;   in Loop: Header=BB102_19 Depth=2
	s_or_b64 exec, exec, s[16:17]
	s_cmp_gt_u32 s14, 4
	s_cselect_b64 s[2:3], -1, 0
	s_xor_b64 s[16:17], vcc, -1
	s_or_b64 s[2:3], s[16:17], s[2:3]
	s_add_u32 s14, s14, 1
	s_addc_u32 s15, s15, 0
	s_and_b64 s[2:3], exec, s[2:3]
	s_or_b64 s[12:13], s[2:3], s[12:13]
	v_add_u32_e32 v6, 32, v6
	s_andn2_b64 exec, exec, s[12:13]
	s_cbranch_execz .LBB102_4
.LBB102_19:                             ;   Parent Loop BB102_5 Depth=1
                                        ; =>  This Inner Loop Header: Depth=2
	v_cmp_ne_u32_e32 vcc, v4, v6
	v_cmp_eq_u32_e64 s[2:3], v4, v6
	s_and_saveexec_b64 s[16:17], s[2:3]
	s_cbranch_execz .LBB102_18
; %bb.20:                               ;   in Loop: Header=BB102_19 Depth=2
	s_cmp_eq_u32 s14, 1
	s_cselect_b64 s[2:3], -1, 0
	s_cmp_eq_u32 s14, 2
	v_cndmask_b32_e64 v7, v12, v11, s[2:3]
	s_cselect_b64 s[2:3], -1, 0
	s_cmp_eq_u32 s14, 3
	v_cndmask_b32_e64 v7, v7, v14, s[2:3]
	;; [unrolled: 3-line block ×4, first 2 shown]
	s_cselect_b64 s[2:3], -1, 0
	v_cndmask_b32_e64 v7, v7, v15, s[2:3]
	v_add_f32_e32 v5, v5, v7
	global_store_dword v[8:9], v4, off offset:12
	s_branch .LBB102_18
.LBB102_21:
	v_mov_b32_e32 v5, 0
.LBB102_22:
	s_and_b32 s16, s24, 3
	s_cmp_eq_u32 s16, 0
	s_mov_b32 s9, 0
	s_cbranch_scc1 .LBB102_29
; %bb.23:
	s_mov_b32 s17, s9
	s_branch .LBB102_25
.LBB102_24:                             ;   in Loop: Header=BB102_25 Depth=1
	s_or_b64 exec, exec, s[10:11]
	s_add_i32 s8, s8, 1
	s_add_i32 s17, s17, 1
	s_cmp_lg_u32 s17, s16
	s_cbranch_scc0 .LBB102_29
.LBB102_25:                             ; =>This Loop Header: Depth=1
                                        ;     Child Loop BB102_27 Depth 2
	v_lshl_add_u64 v[6:7], s[8:9], 2, v[2:3]
	global_load_dword v1, v[6:7], off
	v_add_u32_e32 v6, s8, v0
	v_ashrrev_i32_e32 v7, 31, v6
	s_waitcnt lgkmcnt(0)
	v_lshl_add_u64 v[6:7], v[6:7], 2, s[6:7]
	s_mov_b64 s[10:11], 0
	v_mov_b32_e32 v4, v10
	s_mov_b64 s[12:13], 0
	s_waitcnt vmcnt(0)
	s_branch .LBB102_27
.LBB102_26:                             ;   in Loop: Header=BB102_27 Depth=2
	s_or_b64 exec, exec, s[14:15]
	s_cmp_gt_u32 s12, 4
	s_cselect_b64 s[2:3], -1, 0
	s_xor_b64 s[14:15], vcc, -1
	s_or_b64 s[2:3], s[14:15], s[2:3]
	s_add_u32 s12, s12, 1
	s_addc_u32 s13, s13, 0
	s_and_b64 s[2:3], exec, s[2:3]
	s_or_b64 s[10:11], s[2:3], s[10:11]
	v_add_u32_e32 v4, 32, v4
	s_andn2_b64 exec, exec, s[10:11]
	s_cbranch_execz .LBB102_24
.LBB102_27:                             ;   Parent Loop BB102_25 Depth=1
                                        ; =>  This Inner Loop Header: Depth=2
	v_cmp_ne_u32_e32 vcc, v1, v4
	v_cmp_eq_u32_e64 s[2:3], v1, v4
	s_and_saveexec_b64 s[14:15], s[2:3]
	s_cbranch_execz .LBB102_26
; %bb.28:                               ;   in Loop: Header=BB102_27 Depth=2
	s_cmp_eq_u32 s12, 1
	s_cselect_b64 s[2:3], -1, 0
	s_cmp_eq_u32 s12, 2
	v_cndmask_b32_e64 v8, v12, v11, s[2:3]
	s_cselect_b64 s[2:3], -1, 0
	s_cmp_eq_u32 s12, 3
	v_cndmask_b32_e64 v8, v8, v14, s[2:3]
	;; [unrolled: 3-line block ×4, first 2 shown]
	s_cselect_b64 s[2:3], -1, 0
	v_cndmask_b32_e64 v8, v8, v15, s[2:3]
	v_add_f32_e32 v5, v5, v8
	global_store_dword v[6:7], v1, off
	s_branch .LBB102_26
.LBB102_29:
	s_waitcnt lgkmcnt(0)
	s_load_dword s6, s[0:1], 0x3c
	s_waitcnt lgkmcnt(0)
	s_bitcmp1_b32 s6, 0
	s_cselect_b64 s[2:3], -1, 0
	s_bitcmp0_b32 s6, 0
	s_cbranch_scc0 .LBB102_33
; %bb.30:
	s_load_dwordx2 s[6:7], s[0:1], 0x40
	s_andn2_b64 vcc, exec, s[2:3]
	s_waitcnt lgkmcnt(0)
	v_cvt_f32_f64_e32 v17, s[6:7]
	s_cbranch_vccz .LBB102_34
.LBB102_31:
	s_andn2_b64 vcc, exec, s[4:5]
	s_cbranch_vccz .LBB102_35
.LBB102_32:
	s_endpgm
.LBB102_33:
	v_mbcnt_lo_u32_b32 v1, -1, 0
	v_mbcnt_hi_u32_b32 v1, -1, v1
	v_and_b32_e32 v4, 0x60, v1
	v_add_u32_e32 v4, 32, v4
	v_xor_b32_e32 v6, 16, v1
	v_cmp_lt_i32_e32 vcc, v6, v4
	v_xor_b32_e32 v7, 8, v1
	s_nop 0
	v_cndmask_b32_e32 v6, v1, v6, vcc
	v_lshlrev_b32_e32 v6, 2, v6
	ds_bpermute_b32 v6, v6, v5
	v_cmp_lt_i32_e32 vcc, v7, v4
	s_waitcnt lgkmcnt(0)
	v_add_f32_e32 v5, v5, v6
	v_cndmask_b32_e32 v6, v1, v7, vcc
	v_lshlrev_b32_e32 v6, 2, v6
	ds_bpermute_b32 v6, v6, v5
	v_xor_b32_e32 v7, 4, v1
	v_cmp_lt_i32_e32 vcc, v7, v4
	s_waitcnt lgkmcnt(0)
	v_add_f32_e32 v5, v5, v6
	v_cndmask_b32_e32 v6, v1, v7, vcc
	v_lshlrev_b32_e32 v6, 2, v6
	ds_bpermute_b32 v6, v6, v5
	v_xor_b32_e32 v7, 2, v1
	;; [unrolled: 7-line block ×3, first 2 shown]
	v_cmp_lt_i32_e32 vcc, v7, v4
	s_waitcnt lgkmcnt(0)
	v_add_f32_e32 v5, v5, v6
	v_cndmask_b32_e32 v1, v1, v7, vcc
	v_lshlrev_b32_e32 v1, 2, v1
	ds_bpermute_b32 v1, v1, v5
	s_waitcnt lgkmcnt(0)
	v_add_f32_e32 v5, v5, v1
	s_load_dwordx2 s[6:7], s[0:1], 0x40
	s_andn2_b64 vcc, exec, s[2:3]
	s_waitcnt lgkmcnt(0)
	v_cvt_f32_f64_e32 v17, s[6:7]
	s_cbranch_vccnz .LBB102_31
.LBB102_34:
	v_cmp_lt_f32_e32 vcc, 0, v5
	s_nop 1
	v_cndmask_b32_e32 v1, 1.0, v5, vcc
	v_div_scale_f32 v4, s[2:3], v1, v1, v17
	v_rcp_f32_e32 v5, v4
	s_nop 0
	v_fma_f32 v6, -v4, v5, 1.0
	v_fmac_f32_e32 v5, v6, v5
	v_div_scale_f32 v6, vcc, v17, v1, v17
	v_mul_f32_e32 v7, v6, v5
	v_fma_f32 v8, -v4, v7, v6
	v_fmac_f32_e32 v7, v8, v5
	v_fma_f32 v4, -v4, v7, v6
	v_div_fmas_f32 v4, v4, v5, v7
	v_div_fixup_f32 v17, v4, v1, v17
	s_andn2_b64 vcc, exec, s[4:5]
	s_cbranch_vccnz .LBB102_32
.LBB102_35:
	s_load_dwordx2 s[8:9], s[0:1], 0x10
	v_or_b32_e32 v22, 32, v10
	v_or_b32_e32 v21, 64, v10
	;; [unrolled: 1-line block ×5, first 2 shown]
	s_cmp_eq_u32 s24, 1
	s_mov_b32 s10, 0
	s_cbranch_scc1 .LBB102_62
; %bb.36:
	v_ashrrev_i32_e32 v1, 31, v0
	s_waitcnt lgkmcnt(0)
	v_lshl_add_u64 v[4:5], v[0:1], 2, s[8:9]
	s_and_b32 s10, s24, 0x7ffffffe
	v_lshl_add_u64 v[4:5], v[4:5], 0, 4
	v_lshl_add_u64 v[6:7], v[2:3], 0, 4
	s_mov_b32 s11, 0
	s_branch .LBB102_38
.LBB102_37:                             ;   in Loop: Header=BB102_38 Depth=1
	s_or_b64 exec, exec, s[0:1]
	s_add_i32 s11, s11, 2
	v_lshl_add_u64 v[4:5], v[4:5], 0, 8
	s_cmp_lg_u32 s10, s11
	v_lshl_add_u64 v[6:7], v[6:7], 0, 8
	s_cbranch_scc0 .LBB102_62
.LBB102_38:                             ; =>This Inner Loop Header: Depth=1
	global_load_dword v1, v[6:7], off offset:-4
	v_mov_b64_e32 v[8:9], 0
	s_waitcnt vmcnt(0)
	v_cmp_eq_u32_e32 vcc, v1, v10
	v_cmp_ne_u32_e64 s[0:1], v1, v10
	s_and_saveexec_b64 s[12:13], s[0:1]
	s_cbranch_execz .LBB102_48
; %bb.39:                               ;   in Loop: Header=BB102_38 Depth=1
	v_cmp_eq_u32_e64 s[0:1], v1, v22
	v_cmp_ne_u32_e64 s[2:3], v1, v22
	v_mov_b64_e32 v[8:9], 1
	s_and_saveexec_b64 s[14:15], s[2:3]
	s_cbranch_execz .LBB102_47
; %bb.40:                               ;   in Loop: Header=BB102_38 Depth=1
	v_cmp_eq_u32_e64 s[2:3], v1, v21
	v_cmp_ne_u32_e64 s[4:5], v1, v21
	v_mov_b64_e32 v[8:9], 2
	;; [unrolled: 6-line block ×4, first 2 shown]
	s_and_saveexec_b64 s[22:23], s[6:7]
	s_xor_b64 s[22:23], exec, s[22:23]
; %bb.43:                               ;   in Loop: Header=BB102_38 Depth=1
	v_cmp_eq_u32_e64 s[6:7], v1, v18
	s_andn2_b64 s[20:21], s[20:21], exec
	s_and_b64 s[6:7], s[6:7], exec
	v_mov_b64_e32 v[8:9], 5
	s_or_b64 s[20:21], s[20:21], s[6:7]
; %bb.44:                               ;   in Loop: Header=BB102_38 Depth=1
	s_or_b64 exec, exec, s[22:23]
	s_andn2_b64 s[4:5], s[4:5], exec
	s_and_b64 s[6:7], s[20:21], exec
	s_or_b64 s[4:5], s[4:5], s[6:7]
.LBB102_45:                             ;   in Loop: Header=BB102_38 Depth=1
	s_or_b64 exec, exec, s[18:19]
	s_andn2_b64 s[2:3], s[2:3], exec
	s_and_b64 s[4:5], s[4:5], exec
	s_or_b64 s[2:3], s[2:3], s[4:5]
.LBB102_46:                             ;   in Loop: Header=BB102_38 Depth=1
	s_or_b64 exec, exec, s[16:17]
	s_andn2_b64 s[0:1], s[0:1], exec
	s_and_b64 s[2:3], s[2:3], exec
	s_or_b64 s[0:1], s[0:1], s[2:3]
.LBB102_47:                             ;   in Loop: Header=BB102_38 Depth=1
	s_or_b64 exec, exec, s[14:15]
	s_andn2_b64 s[2:3], vcc, exec
	s_and_b64 s[0:1], s[0:1], exec
	s_or_b64 vcc, s[2:3], s[0:1]
.LBB102_48:                             ;   in Loop: Header=BB102_38 Depth=1
	s_or_b64 exec, exec, s[12:13]
	s_and_saveexec_b64 s[0:1], vcc
	s_cbranch_execz .LBB102_50
; %bb.49:                               ;   in Loop: Header=BB102_38 Depth=1
	v_cmp_eq_u32_e32 vcc, 1, v8
	v_add_u32_e32 v24, s11, v0
	v_ashrrev_i32_e32 v25, 31, v24
	v_cndmask_b32_e32 v1, v12, v11, vcc
	v_cmp_eq_u32_e32 vcc, 2, v8
	s_nop 1
	v_cndmask_b32_e32 v1, v1, v14, vcc
	v_cmp_eq_u32_e32 vcc, 3, v8
	s_nop 1
	;; [unrolled: 3-line block ×3, first 2 shown]
	v_cndmask_b32_e32 v1, v1, v16, vcc
	v_cmp_eq_u32_e32 vcc, 5, v8
	v_lshl_add_u64 v[8:9], v[24:25], 2, s[8:9]
	s_nop 0
	v_cndmask_b32_e32 v1, v1, v15, vcc
	v_mul_f32_e32 v1, v17, v1
	global_store_dword v[8:9], v1, off
.LBB102_50:                             ;   in Loop: Header=BB102_38 Depth=1
	s_or_b64 exec, exec, s[0:1]
	global_load_dword v1, v[6:7], off
	v_mov_b64_e32 v[8:9], 0
	s_waitcnt vmcnt(0)
	v_cmp_eq_u32_e64 s[4:5], v1, v10
	v_cmp_ne_u32_e32 vcc, v1, v10
	s_and_saveexec_b64 s[6:7], vcc
	s_cbranch_execz .LBB102_60
; %bb.51:                               ;   in Loop: Header=BB102_38 Depth=1
	v_cmp_eq_u32_e32 vcc, v1, v22
	v_cmp_ne_u32_e64 s[0:1], v1, v22
	v_mov_b64_e32 v[8:9], 1
	s_and_saveexec_b64 s[12:13], s[0:1]
	s_cbranch_execz .LBB102_59
; %bb.52:                               ;   in Loop: Header=BB102_38 Depth=1
	v_cmp_eq_u32_e64 s[0:1], v1, v21
	v_cmp_ne_u32_e64 s[2:3], v1, v21
	v_mov_b64_e32 v[8:9], 2
	s_and_saveexec_b64 s[14:15], s[2:3]
	s_cbranch_execz .LBB102_58
; %bb.53:                               ;   in Loop: Header=BB102_38 Depth=1
	v_cmp_eq_u32_e64 s[16:17], v1, v20
	;; [unrolled: 6-line block ×3, first 2 shown]
	v_cmp_ne_u32_e64 s[2:3], v1, v19
	v_mov_b64_e32 v[8:9], 4
	s_and_saveexec_b64 s[22:23], s[2:3]
; %bb.55:                               ;   in Loop: Header=BB102_38 Depth=1
	v_cmp_eq_u32_e64 s[2:3], v1, v18
	s_andn2_b64 s[20:21], s[20:21], exec
	s_and_b64 s[2:3], s[2:3], exec
	v_mov_b64_e32 v[8:9], 5
	s_or_b64 s[20:21], s[20:21], s[2:3]
; %bb.56:                               ;   in Loop: Header=BB102_38 Depth=1
	s_or_b64 exec, exec, s[22:23]
	s_andn2_b64 s[2:3], s[16:17], exec
	s_and_b64 s[16:17], s[20:21], exec
	s_or_b64 s[16:17], s[2:3], s[16:17]
.LBB102_57:                             ;   in Loop: Header=BB102_38 Depth=1
	s_or_b64 exec, exec, s[18:19]
	s_andn2_b64 s[0:1], s[0:1], exec
	s_and_b64 s[2:3], s[16:17], exec
	s_or_b64 s[0:1], s[0:1], s[2:3]
.LBB102_58:                             ;   in Loop: Header=BB102_38 Depth=1
	s_or_b64 exec, exec, s[14:15]
	s_andn2_b64 s[2:3], vcc, exec
	s_and_b64 s[0:1], s[0:1], exec
	s_or_b64 vcc, s[2:3], s[0:1]
.LBB102_59:                             ;   in Loop: Header=BB102_38 Depth=1
	s_or_b64 exec, exec, s[12:13]
	s_andn2_b64 s[0:1], s[4:5], exec
	s_and_b64 s[2:3], vcc, exec
	s_or_b64 s[4:5], s[0:1], s[2:3]
.LBB102_60:                             ;   in Loop: Header=BB102_38 Depth=1
	s_or_b64 exec, exec, s[6:7]
	s_and_saveexec_b64 s[0:1], s[4:5]
	s_cbranch_execz .LBB102_37
; %bb.61:                               ;   in Loop: Header=BB102_38 Depth=1
	v_cmp_eq_u32_e32 vcc, 1, v8
	s_nop 1
	v_cndmask_b32_e32 v1, v12, v11, vcc
	v_cmp_eq_u32_e32 vcc, 2, v8
	s_nop 1
	v_cndmask_b32_e32 v1, v1, v14, vcc
	v_cmp_eq_u32_e32 vcc, 3, v8
	s_nop 1
	v_cndmask_b32_e32 v1, v1, v13, vcc
	v_cmp_eq_u32_e32 vcc, 4, v8
	s_nop 1
	v_cndmask_b32_e32 v1, v1, v16, vcc
	v_cmp_eq_u32_e32 vcc, 5, v8
	s_nop 1
	v_cndmask_b32_e32 v1, v1, v15, vcc
	v_mul_f32_e32 v1, v17, v1
	global_store_dword v[4:5], v1, off
	s_branch .LBB102_37
.LBB102_62:
	s_bitcmp0_b32 s24, 0
	s_mov_b32 s11, 0
	s_cbranch_scc1 .LBB102_32
; %bb.63:
	v_lshl_add_u64 v[2:3], s[10:11], 2, v[2:3]
	global_load_dword v1, v[2:3], off
	v_mov_b64_e32 v[2:3], 0
	s_waitcnt vmcnt(0)
	v_cmp_eq_u32_e64 s[4:5], v1, v10
	v_cmp_ne_u32_e32 vcc, v1, v10
	s_and_saveexec_b64 s[6:7], vcc
	s_cbranch_execz .LBB102_73
; %bb.64:
	v_cmp_eq_u32_e32 vcc, v1, v22
	v_cmp_ne_u32_e64 s[0:1], v1, v22
	v_mov_b64_e32 v[2:3], 1
	s_and_saveexec_b64 s[12:13], s[0:1]
	s_cbranch_execz .LBB102_72
; %bb.65:
	v_cmp_eq_u32_e64 s[0:1], v1, v21
	v_cmp_ne_u32_e64 s[2:3], v1, v21
	v_mov_b64_e32 v[2:3], 2
	s_and_saveexec_b64 s[14:15], s[2:3]
	s_cbranch_execz .LBB102_71
; %bb.66:
	v_cmp_eq_u32_e64 s[16:17], v1, v20
	;; [unrolled: 6-line block ×3, first 2 shown]
	v_cmp_ne_u32_e64 s[2:3], v1, v19
	v_mov_b64_e32 v[2:3], 4
	s_and_saveexec_b64 s[22:23], s[2:3]
; %bb.68:
	v_cmp_eq_u32_e64 s[2:3], v1, v18
	s_andn2_b64 s[20:21], s[20:21], exec
	s_and_b64 s[2:3], s[2:3], exec
	v_mov_b64_e32 v[2:3], 5
	s_or_b64 s[20:21], s[20:21], s[2:3]
; %bb.69:
	s_or_b64 exec, exec, s[22:23]
	s_andn2_b64 s[2:3], s[16:17], exec
	s_and_b64 s[16:17], s[20:21], exec
	s_or_b64 s[16:17], s[2:3], s[16:17]
.LBB102_70:
	s_or_b64 exec, exec, s[18:19]
	s_andn2_b64 s[0:1], s[0:1], exec
	s_and_b64 s[2:3], s[16:17], exec
	s_or_b64 s[0:1], s[0:1], s[2:3]
.LBB102_71:
	s_or_b64 exec, exec, s[14:15]
	s_andn2_b64 s[2:3], vcc, exec
	s_and_b64 s[0:1], s[0:1], exec
	s_or_b64 vcc, s[2:3], s[0:1]
.LBB102_72:
	s_or_b64 exec, exec, s[12:13]
	s_andn2_b64 s[0:1], s[4:5], exec
	s_and_b64 s[2:3], vcc, exec
	s_or_b64 s[4:5], s[0:1], s[2:3]
.LBB102_73:
	s_or_b64 exec, exec, s[6:7]
	s_and_b64 exec, exec, s[4:5]
	s_cbranch_execz .LBB102_32
; %bb.74:
	v_cmp_eq_u32_e32 vcc, 1, v2
	v_add_u32_e32 v0, s10, v0
	s_nop 0
	v_cndmask_b32_e32 v1, v12, v11, vcc
	v_cmp_eq_u32_e32 vcc, 2, v2
	s_nop 1
	v_cndmask_b32_e32 v1, v1, v14, vcc
	v_cmp_eq_u32_e32 vcc, 3, v2
	;; [unrolled: 3-line block ×4, first 2 shown]
	s_nop 1
	v_cndmask_b32_e32 v1, v1, v15, vcc
	v_mul_f32_e32 v2, v17, v1
	v_ashrrev_i32_e32 v1, 31, v0
	s_waitcnt lgkmcnt(0)
	v_lshl_add_u64 v[0:1], v[0:1], 2, s[8:9]
	global_store_dword v[0:1], v2, off
	s_endpgm
	.section	.rodata,"a",@progbits
	.p2align	6, 0x0
	.amdhsa_kernel _ZN4vllm3moe22topkGatingSoftplusSqrtILi6ELi192ELi4ELi4ELi32ELb1EjfEEvPKT6_PKbPfiPT5_PiiiibdPKfPKS8_SE_
		.amdhsa_group_segment_fixed_size 0
		.amdhsa_private_segment_fixed_size 0
		.amdhsa_kernarg_size 96
		.amdhsa_user_sgpr_count 2
		.amdhsa_user_sgpr_dispatch_ptr 0
		.amdhsa_user_sgpr_queue_ptr 0
		.amdhsa_user_sgpr_kernarg_segment_ptr 1
		.amdhsa_user_sgpr_dispatch_id 0
		.amdhsa_user_sgpr_kernarg_preload_length 0
		.amdhsa_user_sgpr_kernarg_preload_offset 0
		.amdhsa_user_sgpr_private_segment_size 0
		.amdhsa_uses_dynamic_stack 0
		.amdhsa_enable_private_segment 0
		.amdhsa_system_sgpr_workgroup_id_x 1
		.amdhsa_system_sgpr_workgroup_id_y 0
		.amdhsa_system_sgpr_workgroup_id_z 0
		.amdhsa_system_sgpr_workgroup_info 0
		.amdhsa_system_vgpr_workitem_id 1
		.amdhsa_next_free_vgpr 26
		.amdhsa_next_free_sgpr 25
		.amdhsa_accum_offset 28
		.amdhsa_reserve_vcc 1
		.amdhsa_float_round_mode_32 0
		.amdhsa_float_round_mode_16_64 0
		.amdhsa_float_denorm_mode_32 3
		.amdhsa_float_denorm_mode_16_64 3
		.amdhsa_dx10_clamp 1
		.amdhsa_ieee_mode 1
		.amdhsa_fp16_overflow 0
		.amdhsa_tg_split 0
		.amdhsa_exception_fp_ieee_invalid_op 0
		.amdhsa_exception_fp_denorm_src 0
		.amdhsa_exception_fp_ieee_div_zero 0
		.amdhsa_exception_fp_ieee_overflow 0
		.amdhsa_exception_fp_ieee_underflow 0
		.amdhsa_exception_fp_ieee_inexact 0
		.amdhsa_exception_int_div_zero 0
	.end_amdhsa_kernel
	.section	.text._ZN4vllm3moe22topkGatingSoftplusSqrtILi6ELi192ELi4ELi4ELi32ELb1EjfEEvPKT6_PKbPfiPT5_PiiiibdPKfPKS8_SE_,"axG",@progbits,_ZN4vllm3moe22topkGatingSoftplusSqrtILi6ELi192ELi4ELi4ELi32ELb1EjfEEvPKT6_PKbPfiPT5_PiiiibdPKfPKS8_SE_,comdat
.Lfunc_end102:
	.size	_ZN4vllm3moe22topkGatingSoftplusSqrtILi6ELi192ELi4ELi4ELi32ELb1EjfEEvPKT6_PKbPfiPT5_PiiiibdPKfPKS8_SE_, .Lfunc_end102-_ZN4vllm3moe22topkGatingSoftplusSqrtILi6ELi192ELi4ELi4ELi32ELb1EjfEEvPKT6_PKbPfiPT5_PiiiibdPKfPKS8_SE_
                                        ; -- End function
	.section	.AMDGPU.csdata,"",@progbits
; Kernel info:
; codeLenInByte = 4284
; NumSgprs: 31
; NumVgprs: 26
; NumAgprs: 0
; TotalNumVgprs: 26
; ScratchSize: 0
; MemoryBound: 0
; FloatMode: 240
; IeeeMode: 1
; LDSByteSize: 0 bytes/workgroup (compile time only)
; SGPRBlocks: 3
; VGPRBlocks: 3
; NumSGPRsForWavesPerEU: 31
; NumVGPRsForWavesPerEU: 26
; AccumOffset: 28
; Occupancy: 8
; WaveLimiterHint : 1
; COMPUTE_PGM_RSRC2:SCRATCH_EN: 0
; COMPUTE_PGM_RSRC2:USER_SGPR: 2
; COMPUTE_PGM_RSRC2:TRAP_HANDLER: 0
; COMPUTE_PGM_RSRC2:TGID_X_EN: 1
; COMPUTE_PGM_RSRC2:TGID_Y_EN: 0
; COMPUTE_PGM_RSRC2:TGID_Z_EN: 0
; COMPUTE_PGM_RSRC2:TIDIG_COMP_CNT: 1
; COMPUTE_PGM_RSRC3_GFX90A:ACCUM_OFFSET: 6
; COMPUTE_PGM_RSRC3_GFX90A:TG_SPLIT: 0
	.section	.text._ZN4vllm3moe22topkGatingSoftplusSqrtILi6ELi192ELi4ELi4ELi32ELb0EjfEEvPKT6_PKbPfiPT5_PiiiibdPKfPKS8_SE_,"axG",@progbits,_ZN4vllm3moe22topkGatingSoftplusSqrtILi6ELi192ELi4ELi4ELi32ELb0EjfEEvPKT6_PKbPfiPT5_PiiiibdPKfPKS8_SE_,comdat
	.protected	_ZN4vllm3moe22topkGatingSoftplusSqrtILi6ELi192ELi4ELi4ELi32ELb0EjfEEvPKT6_PKbPfiPT5_PiiiibdPKfPKS8_SE_ ; -- Begin function _ZN4vllm3moe22topkGatingSoftplusSqrtILi6ELi192ELi4ELi4ELi32ELb0EjfEEvPKT6_PKbPfiPT5_PiiiibdPKfPKS8_SE_
	.globl	_ZN4vllm3moe22topkGatingSoftplusSqrtILi6ELi192ELi4ELi4ELi32ELb0EjfEEvPKT6_PKbPfiPT5_PiiiibdPKfPKS8_SE_
	.p2align	8
	.type	_ZN4vllm3moe22topkGatingSoftplusSqrtILi6ELi192ELi4ELi4ELi32ELb0EjfEEvPKT6_PKbPfiPT5_PiiiibdPKfPKS8_SE_,@function
_ZN4vllm3moe22topkGatingSoftplusSqrtILi6ELi192ELi4ELi4ELi32ELb0EjfEEvPKT6_PKbPfiPT5_PiiiibdPKfPKS8_SE_: ; @_ZN4vllm3moe22topkGatingSoftplusSqrtILi6ELi192ELi4ELi4ELi32ELb0EjfEEvPKT6_PKbPfiPT5_PiiiibdPKfPKS8_SE_
; %bb.0:
	s_load_dword s30, s[0:1], 0x18
	v_and_b32_e32 v1, 0x3ff, v0
	s_lshl_b32 s2, s2, 2
	v_lshrrev_b32_e32 v2, 5, v1
	v_bfe_u32 v0, v0, 10, 10
	v_add3_u32 v6, s2, v0, v2
	s_waitcnt lgkmcnt(0)
	v_cmp_gt_i32_e32 vcc, s30, v6
	s_and_saveexec_b64 s[2:3], vcc
	s_cbranch_execz .LBB103_57
; %bb.1:
	s_load_dwordx4 s[4:7], s[0:1], 0x0
	s_load_dwordx2 s[20:21], s[0:1], 0x10
	s_waitcnt lgkmcnt(0)
	s_cmp_eq_u64 s[6:7], 0
	s_cbranch_scc1 .LBB103_3
; %bb.2:
	v_ashrrev_i32_e32 v7, 31, v6
	v_lshl_add_u64 v[2:3], s[6:7], 0, v[6:7]
	global_load_ubyte v0, v[2:3], off
	s_waitcnt vmcnt(0)
	v_and_b32_e32 v0, 1, v0
	v_cmp_eq_u32_e32 vcc, 1, v0
	s_xor_b64 s[2:3], vcc, -1
	s_orn2_b64 s[22:23], s[2:3], exec
	s_branch .LBB103_4
.LBB103_3:
	s_mov_b64 s[22:23], -1
.LBB103_4:
	s_movk_i32 s2, 0xc0
	v_mul_lo_u32 v4, v6, s2
	v_mov_b32_e32 v2, s4
	v_mov_b32_e32 v3, s5
	v_ashrrev_i32_e32 v5, 31, v4
	v_and_b32_e32 v8, 31, v1
	v_lshl_add_u64 v[2:3], v[4:5], 2, v[2:3]
	v_mov_b32_e32 v11, 0
	v_lshlrev_b32_e32 v10, 2, v8
	v_lshl_add_u64 v[12:13], v[2:3], 0, v[10:11]
	global_load_dword v0, v[12:13], off
	global_load_dword v1, v[12:13], off offset:128
	global_load_dword v2, v[12:13], off offset:256
	;; [unrolled: 1-line block ×5, first 2 shown]
	s_mov_b32 s16, 0x800000
	v_mov_b32_e32 v11, 0x4f800000
	s_mov_b32 s13, 0x3f317217
	s_mov_b32 s14, 0x7f800000
	v_mov_b32_e32 v9, 0x41b17218
	s_mov_b32 s12, 0x41a00000
	s_mov_b32 s15, 0xf800000
	s_load_dwordx4 s[8:11], s[0:1], 0x40
	s_waitcnt lgkmcnt(0)
	s_cmp_lg_u64 s[10:11], 0
	s_cselect_b64 s[6:7], -1, 0
	s_and_b64 s[2:3], exec, s[6:7]
	s_waitcnt vmcnt(5)
	v_mul_f32_e32 v7, 0x3fb8aa3b, v0
	v_exp_f32_e32 v7, v7
	s_nop 0
	v_add_f32_e32 v7, 1.0, v7
	v_cmp_gt_f32_e32 vcc, s16, v7
	s_nop 1
	v_cndmask_b32_e32 v12, 1.0, v11, vcc
	v_mul_f32_e32 v7, v7, v12
	v_log_f32_e32 v12, v7
	v_cndmask_b32_e32 v13, 0, v9, vcc
	v_mov_b32_e32 v7, 0x260
	v_mul_f32_e32 v14, 0x3f317217, v12
	v_fma_f32 v14, v12, s13, -v14
	v_fmac_f32_e32 v14, 0x3377d1cf, v12
	v_fmac_f32_e32 v14, 0x3f317217, v12
	v_cmp_lt_f32_e64 vcc, |v12|, s14
	s_nop 1
	v_cndmask_b32_e32 v12, v12, v14, vcc
	v_sub_f32_e32 v12, v12, v13
	v_cmp_lt_f32_e32 vcc, s12, v0
	s_nop 1
	v_cndmask_b32_e32 v0, v12, v0, vcc
	v_mul_f32_e32 v12, 0x4f800000, v0
	v_cmp_gt_f32_e32 vcc, s15, v0
	s_nop 1
	v_cndmask_b32_e32 v0, v0, v12, vcc
	v_sqrt_f32_e32 v12, v0
	s_nop 0
	v_add_u32_e32 v13, -1, v12
	v_add_u32_e32 v14, 1, v12
	v_fma_f32 v15, -v13, v12, v0
	v_fma_f32 v16, -v14, v12, v0
	v_cmp_ge_f32_e64 s[4:5], 0, v15
	s_nop 1
	v_cndmask_b32_e64 v12, v12, v13, s[4:5]
	v_cmp_lt_f32_e64 s[4:5], 0, v16
	s_nop 1
	v_cndmask_b32_e64 v12, v12, v14, s[4:5]
	v_mul_f32_e32 v13, 0x37800000, v12
	v_cndmask_b32_e32 v12, v12, v13, vcc
	v_cmp_class_f32_e32 vcc, v0, v7
	s_nop 1
	v_cndmask_b32_e32 v0, v12, v0, vcc
	s_mov_b64 vcc, s[2:3]
	s_cbranch_vccz .LBB103_6
; %bb.5:
	global_load_dword v12, v10, s[10:11]
	s_waitcnt vmcnt(0)
	v_add_f32_e32 v0, v0, v12
.LBB103_6:
	s_waitcnt vmcnt(4)
	v_mul_f32_e32 v12, 0x3fb8aa3b, v1
	v_exp_f32_e32 v12, v12
	s_nop 0
	v_add_f32_e32 v12, 1.0, v12
	v_cmp_gt_f32_e32 vcc, s16, v12
	s_nop 1
	v_cndmask_b32_e32 v11, 1.0, v11, vcc
	v_mul_f32_e32 v11, v12, v11
	v_log_f32_e32 v11, v11
	v_cndmask_b32_e32 v9, 0, v9, vcc
	v_mul_f32_e32 v12, 0x3f317217, v11
	v_fma_f32 v12, v11, s13, -v12
	v_fmac_f32_e32 v12, 0x3377d1cf, v11
	v_fmac_f32_e32 v12, 0x3f317217, v11
	v_cmp_lt_f32_e64 vcc, |v11|, s14
	s_nop 1
	v_cndmask_b32_e32 v11, v11, v12, vcc
	v_sub_f32_e32 v9, v11, v9
	v_cmp_lt_f32_e32 vcc, s12, v1
	s_nop 1
	v_cndmask_b32_e32 v1, v9, v1, vcc
	v_mul_f32_e32 v9, 0x4f800000, v1
	v_cmp_gt_f32_e32 vcc, s15, v1
	s_nop 1
	v_cndmask_b32_e32 v1, v1, v9, vcc
	v_sqrt_f32_e32 v9, v1
	v_cmp_class_f32_e64 s[4:5], v1, v7
	v_add_u32_e32 v11, -1, v9
	v_add_u32_e32 v12, 1, v9
	v_fma_f32 v13, -v11, v9, v1
	v_fma_f32 v14, -v12, v9, v1
	v_cmp_ge_f32_e64 s[2:3], 0, v13
	s_nop 1
	v_cndmask_b32_e64 v9, v9, v11, s[2:3]
	v_cmp_lt_f32_e64 s[2:3], 0, v14
	s_nop 1
	v_cndmask_b32_e64 v9, v9, v12, s[2:3]
	v_mul_f32_e32 v11, 0x37800000, v9
	v_cndmask_b32_e32 v9, v9, v11, vcc
	v_cndmask_b32_e64 v11, 0, 1, s[6:7]
	v_cmp_ne_u32_e64 s[2:3], 1, v11
	s_andn2_b64 vcc, exec, s[6:7]
	v_cndmask_b32_e64 v1, v9, v1, s[4:5]
	s_cbranch_vccnz .LBB103_8
; %bb.7:
	global_load_dword v7, v10, s[10:11] offset:128
	s_waitcnt vmcnt(0)
	v_add_f32_e32 v1, v1, v7
.LBB103_8:
	s_waitcnt vmcnt(3)
	v_mul_f32_e32 v7, 0x3fb8aa3b, v2
	v_exp_f32_e32 v7, v7
	s_mov_b32 s14, 0x800000
	v_mov_b32_e32 v9, 0x4f800000
	s_mov_b32 s7, 0x3f317217
	v_add_f32_e32 v7, 1.0, v7
	v_cmp_gt_f32_e32 vcc, s14, v7
	s_mov_b32 s12, 0x7f800000
	s_mov_b32 s6, 0x41a00000
	v_cndmask_b32_e32 v11, 1.0, v9, vcc
	v_mul_f32_e32 v7, v7, v11
	v_log_f32_e32 v7, v7
	s_mov_b32 s13, 0xf800000
	v_mul_f32_e32 v11, 0x3f317217, v7
	v_fma_f32 v11, v7, s7, -v11
	v_fmac_f32_e32 v11, 0x3377d1cf, v7
	v_fmac_f32_e32 v11, 0x3f317217, v7
	v_cmp_lt_f32_e64 s[4:5], |v7|, s12
	s_nop 1
	v_cndmask_b32_e64 v7, v7, v11, s[4:5]
	v_mov_b32_e32 v11, 0x41b17218
	v_cndmask_b32_e32 v12, 0, v11, vcc
	v_sub_f32_e32 v7, v7, v12
	v_cmp_lt_f32_e32 vcc, s6, v2
	s_nop 1
	v_cndmask_b32_e32 v2, v7, v2, vcc
	v_mul_f32_e32 v7, 0x4f800000, v2
	v_cmp_gt_f32_e32 vcc, s13, v2
	s_nop 1
	v_cndmask_b32_e32 v2, v2, v7, vcc
	v_sqrt_f32_e32 v7, v2
	s_nop 0
	v_add_u32_e32 v12, -1, v7
	v_fma_f32 v13, -v12, v7, v2
	v_cmp_ge_f32_e64 s[4:5], 0, v13
	v_add_u32_e32 v13, 1, v7
	s_nop 0
	v_cndmask_b32_e64 v12, v7, v12, s[4:5]
	v_fma_f32 v7, -v13, v7, v2
	v_cmp_lt_f32_e64 s[4:5], 0, v7
	s_nop 1
	v_cndmask_b32_e64 v7, v12, v13, s[4:5]
	v_mul_f32_e32 v12, 0x37800000, v7
	v_cndmask_b32_e32 v12, v7, v12, vcc
	v_mov_b32_e32 v7, 0x260
	v_cmp_class_f32_e64 s[4:5], v2, v7
	s_and_b64 vcc, exec, s[2:3]
	s_nop 0
	v_cndmask_b32_e64 v2, v12, v2, s[4:5]
	s_cbranch_vccnz .LBB103_10
; %bb.9:
	global_load_dword v12, v10, s[10:11] offset:256
	s_waitcnt vmcnt(0)
	v_add_f32_e32 v2, v2, v12
.LBB103_10:
	s_waitcnt vmcnt(2)
	v_mul_f32_e32 v12, 0x3fb8aa3b, v3
	v_exp_f32_e32 v12, v12
	s_nop 0
	v_add_f32_e32 v12, 1.0, v12
	v_cmp_gt_f32_e32 vcc, s14, v12
	s_nop 1
	v_cndmask_b32_e32 v9, 1.0, v9, vcc
	v_mul_f32_e32 v9, v12, v9
	v_log_f32_e32 v9, v9
	v_cndmask_b32_e32 v11, 0, v11, vcc
	v_mul_f32_e32 v12, 0x3f317217, v9
	v_fma_f32 v12, v9, s7, -v12
	v_fmac_f32_e32 v12, 0x3377d1cf, v9
	v_fmac_f32_e32 v12, 0x3f317217, v9
	v_cmp_lt_f32_e64 vcc, |v9|, s12
	s_nop 1
	v_cndmask_b32_e32 v9, v9, v12, vcc
	v_sub_f32_e32 v9, v9, v11
	v_cmp_lt_f32_e32 vcc, s6, v3
	s_nop 1
	v_cndmask_b32_e32 v3, v9, v3, vcc
	v_mul_f32_e32 v9, 0x4f800000, v3
	v_cmp_gt_f32_e32 vcc, s13, v3
	s_nop 1
	v_cndmask_b32_e32 v3, v3, v9, vcc
	v_sqrt_f32_e32 v9, v3
	s_nop 0
	v_add_u32_e32 v11, -1, v9
	v_add_u32_e32 v12, 1, v9
	v_fma_f32 v13, -v11, v9, v3
	v_fma_f32 v14, -v12, v9, v3
	v_cmp_ge_f32_e64 s[4:5], 0, v13
	s_nop 1
	v_cndmask_b32_e64 v9, v9, v11, s[4:5]
	v_cmp_lt_f32_e64 s[4:5], 0, v14
	s_nop 1
	v_cndmask_b32_e64 v9, v9, v12, s[4:5]
	v_mul_f32_e32 v11, 0x37800000, v9
	v_cndmask_b32_e32 v9, v9, v11, vcc
	v_cmp_class_f32_e64 s[4:5], v3, v7
	s_and_b64 vcc, exec, s[2:3]
	s_nop 0
	v_cndmask_b32_e64 v3, v9, v3, s[4:5]
	s_cbranch_vccnz .LBB103_12
; %bb.11:
	global_load_dword v7, v10, s[10:11] offset:384
	s_waitcnt vmcnt(0)
	v_add_f32_e32 v3, v3, v7
.LBB103_12:
	s_waitcnt vmcnt(1)
	v_mul_f32_e32 v7, 0x3fb8aa3b, v4
	v_exp_f32_e32 v7, v7
	v_mov_b32_e32 v9, 0x4f800000
	v_add_f32_e32 v7, 1.0, v7
	v_cmp_gt_f32_e32 vcc, s14, v7
	s_nop 1
	v_cndmask_b32_e32 v11, 1.0, v9, vcc
	v_mul_f32_e32 v7, v7, v11
	v_log_f32_e32 v7, v7
	s_nop 0
	v_mul_f32_e32 v11, 0x3f317217, v7
	v_fma_f32 v11, v7, s7, -v11
	v_fmac_f32_e32 v11, 0x3377d1cf, v7
	v_fmac_f32_e32 v11, 0x3f317217, v7
	v_cmp_lt_f32_e64 s[4:5], |v7|, s12
	s_nop 1
	v_cndmask_b32_e64 v7, v7, v11, s[4:5]
	v_mov_b32_e32 v11, 0x41b17218
	v_cndmask_b32_e32 v12, 0, v11, vcc
	v_sub_f32_e32 v7, v7, v12
	v_cmp_lt_f32_e32 vcc, s6, v4
	s_nop 1
	v_cndmask_b32_e32 v4, v7, v4, vcc
	v_mul_f32_e32 v7, 0x4f800000, v4
	v_cmp_gt_f32_e32 vcc, s13, v4
	s_nop 1
	v_cndmask_b32_e32 v4, v4, v7, vcc
	v_sqrt_f32_e32 v7, v4
	s_nop 0
	v_add_u32_e32 v12, -1, v7
	v_fma_f32 v13, -v12, v7, v4
	v_cmp_ge_f32_e64 s[4:5], 0, v13
	v_add_u32_e32 v13, 1, v7
	s_nop 0
	v_cndmask_b32_e64 v12, v7, v12, s[4:5]
	v_fma_f32 v7, -v13, v7, v4
	v_cmp_lt_f32_e64 s[4:5], 0, v7
	s_nop 1
	v_cndmask_b32_e64 v7, v12, v13, s[4:5]
	v_mul_f32_e32 v12, 0x37800000, v7
	v_cndmask_b32_e32 v12, v7, v12, vcc
	v_mov_b32_e32 v7, 0x260
	v_cmp_class_f32_e64 s[4:5], v4, v7
	s_and_b64 vcc, exec, s[2:3]
	s_nop 0
	v_cndmask_b32_e64 v4, v12, v4, s[4:5]
	s_cbranch_vccnz .LBB103_14
; %bb.13:
	global_load_dword v12, v10, s[10:11] offset:512
	s_waitcnt vmcnt(0)
	v_add_f32_e32 v4, v4, v12
.LBB103_14:
	s_waitcnt vmcnt(0)
	v_mul_f32_e32 v12, 0x3fb8aa3b, v5
	v_exp_f32_e32 v12, v12
	s_nop 0
	v_add_f32_e32 v12, 1.0, v12
	v_cmp_gt_f32_e32 vcc, s14, v12
	s_nop 1
	v_cndmask_b32_e32 v9, 1.0, v9, vcc
	v_mul_f32_e32 v9, v12, v9
	v_log_f32_e32 v9, v9
	v_cndmask_b32_e32 v11, 0, v11, vcc
	v_mul_f32_e32 v12, 0x3f317217, v9
	v_fma_f32 v12, v9, s7, -v12
	v_fmac_f32_e32 v12, 0x3377d1cf, v9
	v_fmac_f32_e32 v12, 0x3f317217, v9
	v_cmp_lt_f32_e64 vcc, |v9|, s12
	s_nop 1
	v_cndmask_b32_e32 v9, v9, v12, vcc
	v_sub_f32_e32 v9, v9, v11
	v_cmp_lt_f32_e32 vcc, s6, v5
	s_nop 1
	v_cndmask_b32_e32 v5, v9, v5, vcc
	v_mul_f32_e32 v9, 0x4f800000, v5
	v_cmp_gt_f32_e32 vcc, s13, v5
	s_nop 1
	v_cndmask_b32_e32 v5, v5, v9, vcc
	v_sqrt_f32_e32 v9, v5
	s_nop 0
	v_add_u32_e32 v11, -1, v9
	v_add_u32_e32 v12, 1, v9
	v_fma_f32 v13, -v11, v9, v5
	v_fma_f32 v14, -v12, v9, v5
	v_cmp_ge_f32_e64 s[4:5], 0, v13
	s_nop 1
	v_cndmask_b32_e64 v9, v9, v11, s[4:5]
	v_cmp_lt_f32_e64 s[4:5], 0, v14
	s_nop 1
	v_cndmask_b32_e64 v9, v9, v12, s[4:5]
	v_mul_f32_e32 v11, 0x37800000, v9
	v_cndmask_b32_e32 v9, v9, v11, vcc
	v_cmp_class_f32_e64 s[4:5], v5, v7
	s_and_b64 vcc, exec, s[2:3]
	s_nop 0
	v_cndmask_b32_e64 v5, v9, v5, s[4:5]
	s_cbranch_vccnz .LBB103_16
; %bb.15:
	global_load_dword v7, v10, s[10:11] offset:640
	s_waitcnt vmcnt(0)
	v_add_f32_e32 v5, v5, v7
.LBB103_16:
	s_load_dwordx4 s[12:15], s[0:1], 0x30
	s_mov_b32 s31, 0
	v_cmp_eq_u32_e64 s[6:7], 0, v8
	s_waitcnt lgkmcnt(0)
	s_bitcmp1_b32 s15, 0
	s_cselect_b64 s[4:5], -1, 0
	s_cmp_gt_i32 s12, 0
	s_cselect_b64 s[24:25], -1, 0
	s_and_b64 vcc, exec, s[24:25]
	s_cbranch_vccz .LBB103_43
; %bb.17:
	v_mbcnt_lo_u32_b32 v7, -1, 0
	v_mbcnt_hi_u32_b32 v7, -1, v7
	v_and_b32_e32 v9, 0x60, v7
	v_add_u32_e32 v10, 32, v9
	v_xor_b32_e32 v11, 16, v7
	v_cmp_lt_i32_e32 vcc, v11, v10
	s_load_dwordx4 s[16:19], s[0:1], 0x20
	v_mul_lo_u32 v9, v6, s12
	v_cndmask_b32_e32 v11, v7, v11, vcc
	v_lshlrev_b32_e32 v17, 2, v11
	v_xor_b32_e32 v11, 8, v7
	v_cmp_lt_i32_e32 vcc, v11, v10
	v_or_b32_e32 v12, 32, v8
	v_or_b32_e32 v13, 64, v8
	v_cndmask_b32_e32 v11, v7, v11, vcc
	v_lshlrev_b32_e32 v18, 2, v11
	v_xor_b32_e32 v11, 4, v7
	v_cmp_lt_i32_e32 vcc, v11, v10
	v_or_b32_e32 v14, 0x60, v8
	v_or_b32_e32 v15, 0x80, v8
	v_cndmask_b32_e32 v11, v7, v11, vcc
	v_lshlrev_b32_e32 v19, 2, v11
	v_xor_b32_e32 v11, 2, v7
	v_cmp_lt_i32_e32 vcc, v11, v10
	v_or_b32_e32 v16, 0xa0, v8
	v_mov_b32_e32 v22, 0xc0
	v_cndmask_b32_e32 v11, v7, v11, vcc
	v_lshlrev_b32_e32 v20, 2, v11
	v_xor_b32_e32 v11, 1, v7
	v_cmp_lt_i32_e32 vcc, v11, v10
	v_mov_b32_e32 v23, 0xc61c4000
	v_mov_b32_e32 v24, v6
	v_cndmask_b32_e32 v7, v7, v11, vcc
	v_lshlrev_b32_e32 v21, 2, v7
	v_mov_b32_e32 v7, 0
	s_branch .LBB103_20
.LBB103_18:                             ;   in Loop: Header=BB103_20 Depth=1
	s_waitcnt lgkmcnt(0)
	v_add_u32_e32 v26, s31, v9
	v_cmp_le_i32_e32 vcc, s13, v10
	v_cmp_gt_i32_e64 s[0:1], s14, v10
	v_ashrrev_i32_e32 v27, 31, v26
	s_and_b64 s[0:1], vcc, s[0:1]
	v_lshlrev_b64 v[26:27], 2, v[26:27]
	v_lshl_add_u64 v[28:29], s[20:21], 0, v[26:27]
	v_subrev_u32_e32 v11, s13, v10
	s_and_b64 vcc, s[22:23], s[0:1]
	global_store_dword v[28:29], v25, off
	v_cndmask_b32_e32 v11, v22, v11, vcc
	v_lshl_add_u64 v[28:29], s[16:17], 0, v[26:27]
	global_store_dword v[28:29], v11, off
	v_add_f32_e32 v11, v7, v25
	v_lshl_add_u64 v[26:27], s[18:19], 0, v[26:27]
	v_cndmask_b32_e64 v7, v7, v11, s[4:5]
	global_store_dword v[26:27], v24, off
.LBB103_19:                             ;   in Loop: Header=BB103_20 Depth=1
	s_or_b64 exec, exec, s[26:27]
	v_ashrrev_i32_e32 v11, 31, v10
	v_lshrrev_b32_e32 v11, 27, v11
	v_add_u32_e32 v11, v10, v11
	v_ashrrev_i32_e32 v25, 5, v11
	v_and_b32_e32 v11, 0xffffffe0, v11
	v_sub_u32_e32 v10, v10, v11
	v_cmp_ne_u32_e64 s[0:1], 0, v25
	v_cmp_eq_u32_e32 vcc, v8, v10
	s_add_i32 s31, s31, 1
	v_cndmask_b32_e64 v10, v23, v0, s[0:1]
	v_cmp_ne_u32_e64 s[0:1], 1, v25
	s_cmp_lt_i32 s31, s12
	s_cselect_b64 s[26:27], -1, 0
	v_cndmask_b32_e64 v11, v23, v1, s[0:1]
	v_cmp_ne_u32_e64 s[0:1], 2, v25
	s_and_b64 vcc, s[26:27], vcc
	v_cndmask_b32_e32 v1, v1, v11, vcc
	s_waitcnt lgkmcnt(0)
	v_cndmask_b32_e64 v26, v23, v2, s[0:1]
	v_cmp_ne_u32_e64 s[0:1], 3, v25
	v_cndmask_b32_e32 v2, v2, v26, vcc
	v_cndmask_b32_e32 v0, v0, v10, vcc
	v_cndmask_b32_e64 v27, v23, v3, s[0:1]
	v_cmp_ne_u32_e64 s[0:1], 4, v25
	v_cndmask_b32_e32 v3, v3, v27, vcc
	s_cmp_eq_u32 s12, s31
	v_cndmask_b32_e64 v28, v23, v4, s[0:1]
	v_cmp_ne_u32_e64 s[0:1], 5, v25
	v_cndmask_b32_e32 v4, v4, v28, vcc
	v_add_u32_e32 v24, s30, v24
	v_cndmask_b32_e64 v25, v23, v5, s[0:1]
	v_cndmask_b32_e32 v5, v5, v25, vcc
	s_cbranch_scc1 .LBB103_44
.LBB103_20:                             ; =>This Inner Loop Header: Depth=1
	v_cmp_gt_f32_e32 vcc, v1, v0
	s_nop 1
	v_cndmask_b32_e32 v11, v0, v1, vcc
	v_cndmask_b32_e32 v10, v8, v12, vcc
	v_cmp_gt_f32_e32 vcc, v2, v11
	s_nop 1
	v_cndmask_b32_e32 v11, v11, v2, vcc
	v_cndmask_b32_e32 v10, v10, v13, vcc
	;; [unrolled: 4-line block ×5, first 2 shown]
	ds_bpermute_b32 v11, v17, v25
	ds_bpermute_b32 v26, v17, v10
	s_waitcnt lgkmcnt(0)
	v_cmp_lt_f32_e64 s[26:27], v25, v11
	v_cmp_nlt_f32_e32 vcc, v25, v11
	s_and_saveexec_b64 s[28:29], vcc
; %bb.21:                               ;   in Loop: Header=BB103_20 Depth=1
	v_cmp_eq_f32_e32 vcc, v25, v11
	v_cmp_lt_i32_e64 s[0:1], v26, v10
	s_and_b64 s[0:1], vcc, s[0:1]
	s_andn2_b64 s[26:27], s[26:27], exec
	s_and_b64 s[0:1], s[0:1], exec
	s_or_b64 s[26:27], s[26:27], s[0:1]
; %bb.22:                               ;   in Loop: Header=BB103_20 Depth=1
	s_or_b64 exec, exec, s[28:29]
	s_and_saveexec_b64 s[0:1], s[26:27]
; %bb.23:                               ;   in Loop: Header=BB103_20 Depth=1
	v_mov_b32_e32 v25, v11
	v_mov_b32_e32 v10, v26
; %bb.24:                               ;   in Loop: Header=BB103_20 Depth=1
	s_or_b64 exec, exec, s[0:1]
	ds_bpermute_b32 v11, v18, v25
	ds_bpermute_b32 v26, v18, v10
	s_waitcnt lgkmcnt(1)
	v_cmp_lt_f32_e64 s[26:27], v25, v11
	v_cmp_nlt_f32_e32 vcc, v25, v11
	s_and_saveexec_b64 s[28:29], vcc
	s_cbranch_execz .LBB103_26
; %bb.25:                               ;   in Loop: Header=BB103_20 Depth=1
	v_cmp_eq_f32_e32 vcc, v25, v11
	s_waitcnt lgkmcnt(0)
	v_cmp_lt_i32_e64 s[0:1], v26, v10
	s_and_b64 s[0:1], vcc, s[0:1]
	s_andn2_b64 s[26:27], s[26:27], exec
	s_and_b64 s[0:1], s[0:1], exec
	s_or_b64 s[26:27], s[26:27], s[0:1]
.LBB103_26:                             ;   in Loop: Header=BB103_20 Depth=1
	s_or_b64 exec, exec, s[28:29]
	s_and_saveexec_b64 s[0:1], s[26:27]
	s_cbranch_execz .LBB103_28
; %bb.27:                               ;   in Loop: Header=BB103_20 Depth=1
	v_mov_b32_e32 v25, v11
	s_waitcnt lgkmcnt(0)
	v_mov_b32_e32 v10, v26
.LBB103_28:                             ;   in Loop: Header=BB103_20 Depth=1
	s_or_b64 exec, exec, s[0:1]
	ds_bpermute_b32 v11, v19, v25
	s_waitcnt lgkmcnt(1)
	ds_bpermute_b32 v26, v19, v10
	s_waitcnt lgkmcnt(1)
	v_cmp_lt_f32_e64 s[26:27], v25, v11
	v_cmp_nlt_f32_e32 vcc, v25, v11
	s_and_saveexec_b64 s[28:29], vcc
	s_cbranch_execz .LBB103_30
; %bb.29:                               ;   in Loop: Header=BB103_20 Depth=1
	v_cmp_eq_f32_e32 vcc, v25, v11
	s_waitcnt lgkmcnt(0)
	v_cmp_lt_i32_e64 s[0:1], v26, v10
	s_and_b64 s[0:1], vcc, s[0:1]
	s_andn2_b64 s[26:27], s[26:27], exec
	s_and_b64 s[0:1], s[0:1], exec
	s_or_b64 s[26:27], s[26:27], s[0:1]
.LBB103_30:                             ;   in Loop: Header=BB103_20 Depth=1
	s_or_b64 exec, exec, s[28:29]
	s_and_saveexec_b64 s[0:1], s[26:27]
	s_cbranch_execz .LBB103_32
; %bb.31:                               ;   in Loop: Header=BB103_20 Depth=1
	v_mov_b32_e32 v25, v11
	s_waitcnt lgkmcnt(0)
	v_mov_b32_e32 v10, v26
.LBB103_32:                             ;   in Loop: Header=BB103_20 Depth=1
	s_or_b64 exec, exec, s[0:1]
	ds_bpermute_b32 v11, v20, v25
	s_waitcnt lgkmcnt(1)
	;; [unrolled: 26-line block ×3, first 2 shown]
	ds_bpermute_b32 v26, v21, v10
	s_waitcnt lgkmcnt(1)
	v_cmp_lt_f32_e64 s[26:27], v25, v11
	v_cmp_nlt_f32_e32 vcc, v25, v11
	s_and_saveexec_b64 s[28:29], vcc
	s_cbranch_execnz .LBB103_39
; %bb.37:                               ;   in Loop: Header=BB103_20 Depth=1
	s_or_b64 exec, exec, s[28:29]
	s_and_saveexec_b64 s[0:1], s[26:27]
	s_cbranch_execnz .LBB103_40
.LBB103_38:                             ;   in Loop: Header=BB103_20 Depth=1
	s_or_b64 exec, exec, s[0:1]
	s_and_saveexec_b64 s[26:27], s[6:7]
	s_cbranch_execz .LBB103_19
	s_branch .LBB103_41
.LBB103_39:                             ;   in Loop: Header=BB103_20 Depth=1
	v_cmp_eq_f32_e32 vcc, v25, v11
	s_waitcnt lgkmcnt(0)
	v_cmp_lt_i32_e64 s[0:1], v26, v10
	s_and_b64 s[0:1], vcc, s[0:1]
	s_andn2_b64 s[26:27], s[26:27], exec
	s_and_b64 s[0:1], s[0:1], exec
	s_or_b64 s[26:27], s[26:27], s[0:1]
	s_or_b64 exec, exec, s[28:29]
	s_and_saveexec_b64 s[0:1], s[26:27]
	s_cbranch_execz .LBB103_38
.LBB103_40:                             ;   in Loop: Header=BB103_20 Depth=1
	s_waitcnt lgkmcnt(0)
	v_mov_b32_e32 v10, v26
	v_mov_b32_e32 v25, v11
	s_or_b64 exec, exec, s[0:1]
	s_and_saveexec_b64 s[26:27], s[6:7]
	s_cbranch_execz .LBB103_19
.LBB103_41:                             ;   in Loop: Header=BB103_20 Depth=1
	s_and_b64 vcc, exec, s[2:3]
	s_cbranch_vccnz .LBB103_18
; %bb.42:                               ;   in Loop: Header=BB103_20 Depth=1
	v_ashrrev_i32_e32 v11, 31, v10
	s_waitcnt lgkmcnt(0)
	v_lshl_add_u64 v[26:27], v[10:11], 2, s[10:11]
	global_load_dword v11, v[26:27], off
	s_waitcnt vmcnt(0)
	v_sub_f32_e32 v25, v25, v11
	s_branch .LBB103_18
.LBB103_43:
	v_mov_b32_e32 v7, 0
.LBB103_44:
	v_cmp_eq_u32_e32 vcc, 0, v8
	s_and_b64 exec, exec, vcc
	s_cbranch_execz .LBB103_57
; %bb.45:
	s_andn2_b64 vcc, exec, s[4:5]
	v_cvt_f32_f64_e32 v0, s[8:9]
	s_cbranch_vccnz .LBB103_47
; %bb.46:
	v_cmp_lt_f32_e32 vcc, 0, v7
	s_nop 1
	v_cndmask_b32_e32 v1, 1.0, v7, vcc
	v_div_scale_f32 v2, s[0:1], v1, v1, v0
	v_rcp_f32_e32 v3, v2
	s_nop 0
	v_fma_f32 v4, -v2, v3, 1.0
	v_fmac_f32_e32 v3, v4, v3
	v_div_scale_f32 v4, vcc, v0, v1, v0
	v_mul_f32_e32 v5, v4, v3
	v_fma_f32 v7, -v2, v5, v4
	v_fmac_f32_e32 v5, v7, v3
	v_fma_f32 v2, -v2, v5, v4
	v_div_fmas_f32 v2, v2, v3, v5
	v_div_fixup_f32 v0, v2, v1, v0
.LBB103_47:
	s_andn2_b64 vcc, exec, s[24:25]
	s_cbranch_vccnz .LBB103_57
; %bb.48:
	v_mul_lo_u32 v2, v6, s12
	s_cmp_gt_u32 s12, 3
	v_ashrrev_i32_e32 v3, 31, v2
	s_cbranch_scc0 .LBB103_52
; %bb.49:
	s_and_b32 s0, s12, 0x7ffffffc
	v_lshl_add_u64 v[4:5], v[2:3], 2, s[20:21]
	v_mov_b32_e32 v1, v0
	v_lshl_add_u64 v[4:5], v[4:5], 0, 8
	s_mov_b32 s1, s0
.LBB103_50:                             ; =>This Inner Loop Header: Depth=1
	global_load_dwordx4 v[6:9], v[4:5], off offset:-8
	s_add_i32 s1, s1, -4
	s_cmp_lg_u32 s1, 0
	s_waitcnt vmcnt(0)
	v_pk_mul_f32 v[6:7], v[0:1], v[6:7]
	v_pk_mul_f32 v[8:9], v[0:1], v[8:9]
	global_store_dwordx4 v[4:5], v[6:9], off offset:-8
	v_lshl_add_u64 v[4:5], v[4:5], 0, 16
	s_cbranch_scc1 .LBB103_50
; %bb.51:
	s_cmp_lg_u32 s0, s12
	s_cselect_b64 s[2:3], -1, 0
	s_branch .LBB103_54
.LBB103_52:
	s_mov_b64 s[2:3], 0
                                        ; implicit-def: $sgpr0
	s_cbranch_execz .LBB103_54
; %bb.53:
	s_mov_b64 s[2:3], -1
	s_mov_b32 s0, 0
.LBB103_54:
	s_andn2_b64 vcc, exec, s[2:3]
	s_cbranch_vccnz .LBB103_57
; %bb.55:
	s_mov_b32 s1, 0
	v_lshl_add_u64 v[2:3], v[2:3], 0, s[0:1]
	s_sub_i32 s2, s12, s0
	v_lshl_add_u64 v[2:3], v[2:3], 2, s[20:21]
.LBB103_56:                             ; =>This Inner Loop Header: Depth=1
	global_load_dword v1, v[2:3], off
	s_add_i32 s2, s2, -1
	s_cmp_lg_u32 s2, 0
	s_waitcnt vmcnt(0)
	v_mul_f32_e32 v1, v0, v1
	global_store_dword v[2:3], v1, off
	v_lshl_add_u64 v[2:3], v[2:3], 0, 4
	s_cbranch_scc1 .LBB103_56
.LBB103_57:
	s_endpgm
	.section	.rodata,"a",@progbits
	.p2align	6, 0x0
	.amdhsa_kernel _ZN4vllm3moe22topkGatingSoftplusSqrtILi6ELi192ELi4ELi4ELi32ELb0EjfEEvPKT6_PKbPfiPT5_PiiiibdPKfPKS8_SE_
		.amdhsa_group_segment_fixed_size 0
		.amdhsa_private_segment_fixed_size 0
		.amdhsa_kernarg_size 96
		.amdhsa_user_sgpr_count 2
		.amdhsa_user_sgpr_dispatch_ptr 0
		.amdhsa_user_sgpr_queue_ptr 0
		.amdhsa_user_sgpr_kernarg_segment_ptr 1
		.amdhsa_user_sgpr_dispatch_id 0
		.amdhsa_user_sgpr_kernarg_preload_length 0
		.amdhsa_user_sgpr_kernarg_preload_offset 0
		.amdhsa_user_sgpr_private_segment_size 0
		.amdhsa_uses_dynamic_stack 0
		.amdhsa_enable_private_segment 0
		.amdhsa_system_sgpr_workgroup_id_x 1
		.amdhsa_system_sgpr_workgroup_id_y 0
		.amdhsa_system_sgpr_workgroup_id_z 0
		.amdhsa_system_sgpr_workgroup_info 0
		.amdhsa_system_vgpr_workitem_id 1
		.amdhsa_next_free_vgpr 30
		.amdhsa_next_free_sgpr 32
		.amdhsa_accum_offset 32
		.amdhsa_reserve_vcc 1
		.amdhsa_float_round_mode_32 0
		.amdhsa_float_round_mode_16_64 0
		.amdhsa_float_denorm_mode_32 3
		.amdhsa_float_denorm_mode_16_64 3
		.amdhsa_dx10_clamp 1
		.amdhsa_ieee_mode 1
		.amdhsa_fp16_overflow 0
		.amdhsa_tg_split 0
		.amdhsa_exception_fp_ieee_invalid_op 0
		.amdhsa_exception_fp_denorm_src 0
		.amdhsa_exception_fp_ieee_div_zero 0
		.amdhsa_exception_fp_ieee_overflow 0
		.amdhsa_exception_fp_ieee_underflow 0
		.amdhsa_exception_fp_ieee_inexact 0
		.amdhsa_exception_int_div_zero 0
	.end_amdhsa_kernel
	.section	.text._ZN4vllm3moe22topkGatingSoftplusSqrtILi6ELi192ELi4ELi4ELi32ELb0EjfEEvPKT6_PKbPfiPT5_PiiiibdPKfPKS8_SE_,"axG",@progbits,_ZN4vllm3moe22topkGatingSoftplusSqrtILi6ELi192ELi4ELi4ELi32ELb0EjfEEvPKT6_PKbPfiPT5_PiiiibdPKfPKS8_SE_,comdat
.Lfunc_end103:
	.size	_ZN4vllm3moe22topkGatingSoftplusSqrtILi6ELi192ELi4ELi4ELi32ELb0EjfEEvPKT6_PKbPfiPT5_PiiiibdPKfPKS8_SE_, .Lfunc_end103-_ZN4vllm3moe22topkGatingSoftplusSqrtILi6ELi192ELi4ELi4ELi32ELb0EjfEEvPKT6_PKbPfiPT5_PiiiibdPKfPKS8_SE_
                                        ; -- End function
	.section	.AMDGPU.csdata,"",@progbits
; Kernel info:
; codeLenInByte = 3492
; NumSgprs: 38
; NumVgprs: 30
; NumAgprs: 0
; TotalNumVgprs: 30
; ScratchSize: 0
; MemoryBound: 0
; FloatMode: 240
; IeeeMode: 1
; LDSByteSize: 0 bytes/workgroup (compile time only)
; SGPRBlocks: 4
; VGPRBlocks: 3
; NumSGPRsForWavesPerEU: 38
; NumVGPRsForWavesPerEU: 30
; AccumOffset: 32
; Occupancy: 8
; WaveLimiterHint : 1
; COMPUTE_PGM_RSRC2:SCRATCH_EN: 0
; COMPUTE_PGM_RSRC2:USER_SGPR: 2
; COMPUTE_PGM_RSRC2:TRAP_HANDLER: 0
; COMPUTE_PGM_RSRC2:TGID_X_EN: 1
; COMPUTE_PGM_RSRC2:TGID_Y_EN: 0
; COMPUTE_PGM_RSRC2:TGID_Z_EN: 0
; COMPUTE_PGM_RSRC2:TIDIG_COMP_CNT: 1
; COMPUTE_PGM_RSRC3_GFX90A:ACCUM_OFFSET: 7
; COMPUTE_PGM_RSRC3_GFX90A:TG_SPLIT: 0
	.section	.text._ZN4vllm3moe22topkGatingSoftplusSqrtILi5ELi320ELi4ELi4ELi64ELb1EjfEEvPKT6_PKbPfiPT5_PiiiibdPKfPKS8_SE_,"axG",@progbits,_ZN4vllm3moe22topkGatingSoftplusSqrtILi5ELi320ELi4ELi4ELi64ELb1EjfEEvPKT6_PKbPfiPT5_PiiiibdPKfPKS8_SE_,comdat
	.protected	_ZN4vllm3moe22topkGatingSoftplusSqrtILi5ELi320ELi4ELi4ELi64ELb1EjfEEvPKT6_PKbPfiPT5_PiiiibdPKfPKS8_SE_ ; -- Begin function _ZN4vllm3moe22topkGatingSoftplusSqrtILi5ELi320ELi4ELi4ELi64ELb1EjfEEvPKT6_PKbPfiPT5_PiiiibdPKfPKS8_SE_
	.globl	_ZN4vllm3moe22topkGatingSoftplusSqrtILi5ELi320ELi4ELi4ELi64ELb1EjfEEvPKT6_PKbPfiPT5_PiiiibdPKfPKS8_SE_
	.p2align	8
	.type	_ZN4vllm3moe22topkGatingSoftplusSqrtILi5ELi320ELi4ELi4ELi64ELb1EjfEEvPKT6_PKbPfiPT5_PiiiibdPKfPKS8_SE_,@function
_ZN4vllm3moe22topkGatingSoftplusSqrtILi5ELi320ELi4ELi4ELi64ELb1EjfEEvPKT6_PKbPfiPT5_PiiiibdPKfPKS8_SE_: ; @_ZN4vllm3moe22topkGatingSoftplusSqrtILi5ELi320ELi4ELi4ELi64ELb1EjfEEvPKT6_PKbPfiPT5_PiiiibdPKfPKS8_SE_
; %bb.0:
	s_load_dword s3, s[0:1], 0x18
	v_and_b32_e32 v1, 0x3ff, v0
	s_lshl_b32 s2, s2, 2
	v_lshrrev_b32_e32 v2, 6, v1
	v_bfe_u32 v0, v0, 10, 10
	v_add3_u32 v0, s2, v0, v2
	s_waitcnt lgkmcnt(0)
	v_cmp_gt_i32_e32 vcc, s3, v0
	s_and_saveexec_b64 s[2:3], vcc
	s_cbranch_execz .LBB104_32
; %bb.1:
	s_load_dwordx2 s[2:3], s[0:1], 0x0
	s_load_dword s20, s[0:1], 0x30
	s_load_dwordx4 s[8:11], s[0:1], 0x50
	s_movk_i32 s4, 0x140
	v_mul_lo_u32 v2, v0, s4
	v_ashrrev_i32_e32 v3, 31, v2
	v_and_b32_e32 v10, 63, v1
	s_waitcnt lgkmcnt(0)
	v_lshl_add_u64 v[2:3], v[2:3], 2, s[2:3]
	v_lshlrev_b32_e32 v4, 2, v10
	v_mov_b32_e32 v5, 0
	v_lshl_add_u64 v[2:3], v[2:3], 0, v[4:5]
	global_load_dword v8, v[2:3], off
	global_load_dword v9, v[2:3], off offset:256
	global_load_dword v13, v[2:3], off offset:512
	;; [unrolled: 1-line block ×3, first 2 shown]
	v_mov_b32_e32 v6, s8
	v_mov_b32_e32 v7, s9
	v_ashrrev_i32_e32 v1, 31, v0
	v_lshl_add_u64 v[6:7], v[0:1], 2, v[6:7]
	global_load_dword v1, v[6:7], off
	global_load_dword v17, v[2:3], off offset:1024
	s_mov_b32 s13, 0x800000
	v_mov_b32_e32 v15, 0x4f800000
	s_mov_b32 s12, 0x3f317217
	s_mov_b32 s14, 0x7f800000
	v_mov_b32_e32 v16, 0x41b17218
	s_mov_b32 s9, 0x41a00000
	s_mov_b32 s15, 0xf800000
	v_mov_b32_e32 v18, 0x260
	s_cmp_gt_i32 s20, 0
	s_mov_b32 s8, 0
	v_mul_lo_u32 v0, v0, s20
	s_waitcnt vmcnt(5)
	v_mul_f32_e32 v2, 0x3fb8aa3b, v8
	s_waitcnt vmcnt(4)
	v_mul_f32_e32 v3, 0x3fb8aa3b, v9
	v_exp_f32_e32 v2, v2
	v_exp_f32_e32 v3, v3
	s_waitcnt vmcnt(3)
	v_mul_f32_e32 v4, 0x3fb8aa3b, v13
	s_waitcnt vmcnt(2)
	v_mul_f32_e32 v7, 0x3fb8aa3b, v14
	v_exp_f32_e32 v6, v4
	v_exp_f32_e32 v7, v7
	v_pk_add_f32 v[2:3], v[2:3], 1.0 op_sel_hi:[1,0]
	s_waitcnt vmcnt(1)
	v_mul_lo_u32 v4, v1, s20
	v_cmp_gt_f32_e32 vcc, s13, v3
	v_pk_add_f32 v[6:7], v[6:7], 1.0 op_sel_hi:[1,0]
	v_cmp_gt_f32_e64 s[2:3], s13, v2
	v_cndmask_b32_e32 v1, 1.0, v15, vcc
	v_cmp_gt_f32_e64 s[4:5], s13, v7
	v_cndmask_b32_e64 v11, 1.0, v15, s[2:3]
	v_mul_f32_e32 v1, v3, v1
	v_cndmask_b32_e64 v12, 1.0, v15, s[4:5]
	v_mul_f32_e32 v2, v2, v11
	v_log_f32_e32 v1, v1
	v_mul_f32_e32 v7, v7, v12
	v_log_f32_e32 v2, v2
	v_cmp_gt_f32_e64 s[6:7], s13, v6
	v_log_f32_e32 v7, v7
	v_cndmask_b32_e32 v3, 0, v16, vcc
	v_cndmask_b32_e64 v19, 1.0, v15, s[6:7]
	v_mul_f32_e32 v6, v6, v19
	v_mul_f32_e32 v19, 0x3f317217, v1
	;; [unrolled: 1-line block ×3, first 2 shown]
	v_fma_f32 v19, v1, s12, -v19
	v_mul_f32_e32 v21, 0x3f317217, v7
	v_fma_f32 v20, v2, s12, -v20
	v_fmac_f32_e32 v19, 0x3377d1cf, v1
	v_fma_f32 v21, v7, s12, -v21
	v_fmac_f32_e32 v20, 0x3377d1cf, v2
	v_fmac_f32_e32 v19, 0x3f317217, v1
	v_cmp_lt_f32_e64 vcc, |v1|, s14
	v_fmac_f32_e32 v21, 0x3377d1cf, v7
	v_fmac_f32_e32 v20, 0x3f317217, v2
	v_cndmask_b32_e32 v1, v1, v19, vcc
	v_cmp_lt_f32_e64 vcc, |v2|, s14
	v_cndmask_b32_e64 v11, 0, v16, s[2:3]
	v_fmac_f32_e32 v21, 0x3f317217, v7
	v_cndmask_b32_e32 v2, v2, v20, vcc
	v_cmp_lt_f32_e64 vcc, |v7|, s14
	v_sub_f32_e32 v2, v2, v11
	v_sub_f32_e32 v1, v1, v3
	v_cndmask_b32_e32 v7, v7, v21, vcc
	v_cmp_lt_f32_e32 vcc, s9, v8
	v_cndmask_b32_e64 v12, 0, v16, s[4:5]
	v_sub_f32_e32 v7, v7, v12
	v_cndmask_b32_e32 v2, v2, v8, vcc
	v_cmp_lt_f32_e32 vcc, s9, v9
	v_mul_f32_e32 v8, 0x4f800000, v2
	v_cmp_gt_f32_e64 s[2:3], s15, v2
	v_cndmask_b32_e32 v1, v1, v9, vcc
	v_mul_f32_e32 v3, 0x4f800000, v1
	v_cmp_gt_f32_e32 vcc, s15, v1
	v_cndmask_b32_e64 v2, v2, v8, s[2:3]
	v_sqrt_f32_e32 v8, v2
	v_cndmask_b32_e32 v1, v1, v3, vcc
	v_sqrt_f32_e32 v3, v1
	v_log_f32_e32 v6, v6
	v_add_u32_e32 v12, -1, v8
	v_fma_f32 v23, -v12, v8, v2
	v_add_u32_e32 v9, -1, v3
	v_fma_f32 v20, -v9, v3, v1
	v_add_u32_e32 v11, 1, v3
	v_cmp_ge_f32_e64 s[4:5], 0, v20
	v_add_u32_e32 v19, 1, v8
	v_fma_f32 v21, -v11, v3, v1
	v_cndmask_b32_e64 v3, v3, v9, s[4:5]
	v_cmp_ge_f32_e64 s[4:5], 0, v23
	v_fma_f32 v24, -v19, v8, v2
	v_mul_f32_e32 v22, 0x3f317217, v6
	v_cndmask_b32_e64 v8, v8, v12, s[4:5]
	v_cmp_lt_f32_e64 s[4:5], 0, v21
	v_fma_f32 v22, v6, s12, -v22
	v_fmac_f32_e32 v22, 0x3377d1cf, v6
	v_cndmask_b32_e64 v3, v3, v11, s[4:5]
	v_cmp_lt_f32_e64 s[4:5], 0, v24
	v_mul_f32_e32 v9, 0x37800000, v3
	v_cndmask_b32_e32 v3, v3, v9, vcc
	v_cndmask_b32_e64 v8, v8, v19, s[4:5]
	v_mul_f32_e32 v11, 0x37800000, v8
	v_cmp_class_f32_e32 vcc, v1, v18
	v_cndmask_b32_e64 v8, v8, v11, s[2:3]
	v_fmac_f32_e32 v22, 0x3f317217, v6
	v_cndmask_b32_e32 v11, v3, v1, vcc
	v_cmp_class_f32_e32 vcc, v2, v18
	v_cmp_lt_f32_e64 s[2:3], s9, v13
	s_nop 0
	v_cndmask_b32_e32 v12, v8, v2, vcc
	v_cmp_lt_f32_e64 vcc, |v6|, s14
	v_cndmask_b32_e64 v2, 0, v16, s[6:7]
	s_nop 0
	v_cndmask_b32_e32 v1, v6, v22, vcc
	v_cmp_lt_f32_e32 vcc, s9, v14
	v_sub_f32_e32 v1, v1, v2
	v_cndmask_b32_e64 v1, v1, v13, s[2:3]
	v_cndmask_b32_e32 v3, v7, v14, vcc
	v_mul_f32_e32 v6, 0x4f800000, v3
	v_cmp_gt_f32_e32 vcc, s15, v3
	s_nop 1
	v_cndmask_b32_e32 v3, v3, v6, vcc
	v_sqrt_f32_e32 v6, v3
	s_nop 0
	v_add_u32_e32 v2, -1, v6
	v_fma_f32 v7, -v2, v6, v3
	v_cmp_ge_f32_e64 s[2:3], 0, v7
	v_add_u32_e32 v7, 1, v6
	s_nop 0
	v_cndmask_b32_e64 v2, v6, v2, s[2:3]
	v_fma_f32 v6, -v7, v6, v3
	v_cmp_lt_f32_e64 s[2:3], 0, v6
	s_nop 1
	v_cndmask_b32_e64 v2, v2, v7, s[2:3]
	v_mul_f32_e32 v7, 0x4f800000, v1
	v_cmp_gt_f32_e64 s[2:3], s15, v1
	v_mul_f32_e32 v6, 0x37800000, v2
	v_cndmask_b32_e32 v2, v2, v6, vcc
	v_cndmask_b32_e64 v1, v1, v7, s[2:3]
	v_sqrt_f32_e32 v7, v1
	s_waitcnt vmcnt(0)
	v_mul_f32_e32 v6, 0x3fb8aa3b, v17
	v_exp_f32_e32 v6, v6
	v_cmp_class_f32_e32 vcc, v3, v18
	v_add_f32_e32 v6, 1.0, v6
	s_nop 0
	v_cndmask_b32_e32 v13, v2, v3, vcc
	v_add_u32_e32 v2, -1, v7
	v_fma_f32 v3, -v2, v7, v1
	v_cmp_ge_f32_e32 vcc, 0, v3
	v_add_u32_e32 v3, 1, v7
	s_nop 0
	v_cndmask_b32_e32 v2, v7, v2, vcc
	v_cmp_gt_f32_e32 vcc, s13, v6
	v_fma_f32 v7, -v3, v7, v1
	v_cmp_lt_f32_e64 s[4:5], 0, v7
	v_cndmask_b32_e32 v8, 1.0, v15, vcc
	v_mul_f32_e32 v6, v6, v8
	v_log_f32_e32 v6, v6
	v_cndmask_b32_e64 v2, v2, v3, s[4:5]
	v_mul_f32_e32 v3, 0x37800000, v2
	v_cndmask_b32_e64 v2, v2, v3, s[2:3]
	v_mul_f32_e32 v7, 0x3f317217, v6
	v_fma_f32 v7, v6, s12, -v7
	v_fmac_f32_e32 v7, 0x3377d1cf, v6
	v_fmac_f32_e32 v7, 0x3f317217, v6
	v_cmp_lt_f32_e64 s[4:5], |v6|, s14
	v_cmp_class_f32_e64 s[2:3], v1, v18
	s_nop 0
	v_cndmask_b32_e64 v6, v6, v7, s[4:5]
	v_cndmask_b32_e32 v7, 0, v16, vcc
	v_sub_f32_e32 v6, v6, v7
	v_cmp_lt_f32_e32 vcc, s9, v17
	v_cndmask_b32_e64 v14, v2, v1, s[2:3]
	s_cselect_b64 s[4:5], -1, 0
	v_cndmask_b32_e32 v6, v6, v17, vcc
	v_mul_f32_e32 v7, 0x4f800000, v6
	v_cmp_gt_f32_e32 vcc, s15, v6
	s_cmp_lt_i32 s20, 1
	s_nop 0
	v_cndmask_b32_e32 v6, v6, v7, vcc
	v_sqrt_f32_e32 v7, v6
	s_nop 0
	v_add_u32_e32 v1, -1, v7
	v_fma_f32 v2, -v1, v7, v6
	v_cmp_ge_f32_e64 s[2:3], 0, v2
	v_add_u32_e32 v2, 1, v7
	v_fma_f32 v3, -v2, v7, v6
	v_cndmask_b32_e64 v1, v7, v1, s[2:3]
	v_cmp_lt_f32_e64 s[2:3], 0, v3
	s_nop 1
	v_cndmask_b32_e64 v1, v1, v2, s[2:3]
	v_mul_f32_e32 v2, 0x37800000, v1
	v_cndmask_b32_e32 v1, v1, v2, vcc
	v_cmp_class_f32_e32 vcc, v6, v18
	v_lshl_add_u64 v[2:3], v[4:5], 2, s[10:11]
	s_nop 0
	v_cndmask_b32_e32 v15, v1, v6, vcc
	s_cbranch_scc1 .LBB104_29
; %bb.2:
	s_load_dwordx2 s[6:7], s[0:1], 0x20
	s_cmp_lt_u32 s20, 4
	s_cbranch_scc1 .LBB104_21
; %bb.3:
	s_mov_b32 s11, 0
	s_and_b32 s8, s20, 0x7ffffffc
	v_ashrrev_i32_e32 v1, 31, v0
	v_mov_b32_e32 v5, 0
	s_mov_b32 s10, s11
	s_branch .LBB104_5
.LBB104_4:                              ;   in Loop: Header=BB104_5 Depth=1
	s_or_b64 exec, exec, s[12:13]
	s_add_i32 s10, s10, 4
	s_cmp_eq_u32 s10, s8
	s_cbranch_scc1 .LBB104_22
.LBB104_5:                              ; =>This Loop Header: Depth=1
                                        ;     Child Loop BB104_7 Depth 2
                                        ;     Child Loop BB104_11 Depth 2
	;; [unrolled: 1-line block ×4, first 2 shown]
	v_lshl_add_u64 v[6:7], s[10:11], 2, v[2:3]
	global_load_dword v4, v[6:7], off
	v_add_u32_e32 v8, s10, v0
	v_ashrrev_i32_e32 v9, 31, v8
	s_waitcnt lgkmcnt(0)
	v_lshl_add_u64 v[8:9], v[8:9], 2, s[6:7]
	s_mov_b64 s[12:13], 0
	v_mov_b32_e32 v16, v10
	s_mov_b64 s[14:15], 0
	s_waitcnt vmcnt(0)
	s_branch .LBB104_7
.LBB104_6:                              ;   in Loop: Header=BB104_7 Depth=2
	s_or_b64 exec, exec, s[16:17]
	s_cmp_gt_u32 s14, 3
	s_cselect_b64 s[2:3], -1, 0
	s_xor_b64 s[16:17], vcc, -1
	s_or_b64 s[2:3], s[16:17], s[2:3]
	s_add_u32 s14, s14, 1
	s_addc_u32 s15, s15, 0
	s_and_b64 s[2:3], exec, s[2:3]
	s_or_b64 s[12:13], s[2:3], s[12:13]
	v_add_u32_e32 v16, 64, v16
	s_andn2_b64 exec, exec, s[12:13]
	s_cbranch_execz .LBB104_9
.LBB104_7:                              ;   Parent Loop BB104_5 Depth=1
                                        ; =>  This Inner Loop Header: Depth=2
	v_cmp_ne_u32_e32 vcc, v4, v16
	v_cmp_eq_u32_e64 s[2:3], v4, v16
	s_and_saveexec_b64 s[16:17], s[2:3]
	s_cbranch_execz .LBB104_6
; %bb.8:                                ;   in Loop: Header=BB104_7 Depth=2
	s_cmp_eq_u32 s14, 1
	s_cselect_b64 s[2:3], -1, 0
	s_cmp_eq_u32 s14, 2
	v_cndmask_b32_e64 v17, v12, v11, s[2:3]
	s_cselect_b64 s[2:3], -1, 0
	s_cmp_eq_u32 s14, 3
	v_cndmask_b32_e64 v17, v17, v14, s[2:3]
	;; [unrolled: 3-line block ×3, first 2 shown]
	s_cselect_b64 s[2:3], -1, 0
	v_cndmask_b32_e64 v17, v17, v15, s[2:3]
	v_add_f32_e32 v5, v5, v17
	global_store_dword v[8:9], v4, off
	s_branch .LBB104_6
.LBB104_9:                              ;   in Loop: Header=BB104_5 Depth=1
	s_or_b64 exec, exec, s[12:13]
	global_load_dword v4, v[6:7], off offset:4
	s_ashr_i32 s3, s10, 31
	s_mov_b32 s2, s10
	v_lshl_add_u64 v[8:9], s[2:3], 0, v[0:1]
	v_lshl_add_u64 v[8:9], v[8:9], 2, s[6:7]
	s_mov_b64 s[12:13], 0
	v_mov_b32_e32 v16, v10
	s_mov_b64 s[14:15], 0
	s_waitcnt vmcnt(0)
	s_branch .LBB104_11
.LBB104_10:                             ;   in Loop: Header=BB104_11 Depth=2
	s_or_b64 exec, exec, s[16:17]
	s_cmp_gt_u32 s14, 3
	s_cselect_b64 s[2:3], -1, 0
	s_xor_b64 s[16:17], vcc, -1
	s_or_b64 s[2:3], s[16:17], s[2:3]
	s_add_u32 s14, s14, 1
	s_addc_u32 s15, s15, 0
	s_and_b64 s[2:3], exec, s[2:3]
	s_or_b64 s[12:13], s[2:3], s[12:13]
	v_add_u32_e32 v16, 64, v16
	s_andn2_b64 exec, exec, s[12:13]
	s_cbranch_execz .LBB104_13
.LBB104_11:                             ;   Parent Loop BB104_5 Depth=1
                                        ; =>  This Inner Loop Header: Depth=2
	v_cmp_ne_u32_e32 vcc, v4, v16
	v_cmp_eq_u32_e64 s[2:3], v4, v16
	s_and_saveexec_b64 s[16:17], s[2:3]
	s_cbranch_execz .LBB104_10
; %bb.12:                               ;   in Loop: Header=BB104_11 Depth=2
	s_cmp_eq_u32 s14, 1
	s_cselect_b64 s[2:3], -1, 0
	s_cmp_eq_u32 s14, 2
	v_cndmask_b32_e64 v17, v12, v11, s[2:3]
	s_cselect_b64 s[2:3], -1, 0
	s_cmp_eq_u32 s14, 3
	v_cndmask_b32_e64 v17, v17, v14, s[2:3]
	;; [unrolled: 3-line block ×3, first 2 shown]
	s_cselect_b64 s[2:3], -1, 0
	v_cndmask_b32_e64 v17, v17, v15, s[2:3]
	v_add_f32_e32 v5, v5, v17
	global_store_dword v[8:9], v4, off offset:4
	s_branch .LBB104_10
.LBB104_13:                             ;   in Loop: Header=BB104_5 Depth=1
	s_or_b64 exec, exec, s[12:13]
	global_load_dword v4, v[6:7], off offset:8
	s_mov_b64 s[12:13], 0
	v_mov_b32_e32 v16, v10
	s_mov_b64 s[14:15], 0
	s_waitcnt vmcnt(0)
	s_branch .LBB104_15
.LBB104_14:                             ;   in Loop: Header=BB104_15 Depth=2
	s_or_b64 exec, exec, s[16:17]
	s_cmp_gt_u32 s14, 3
	s_cselect_b64 s[2:3], -1, 0
	s_xor_b64 s[16:17], vcc, -1
	s_or_b64 s[2:3], s[16:17], s[2:3]
	s_add_u32 s14, s14, 1
	s_addc_u32 s15, s15, 0
	s_and_b64 s[2:3], exec, s[2:3]
	s_or_b64 s[12:13], s[2:3], s[12:13]
	v_add_u32_e32 v16, 64, v16
	s_andn2_b64 exec, exec, s[12:13]
	s_cbranch_execz .LBB104_17
.LBB104_15:                             ;   Parent Loop BB104_5 Depth=1
                                        ; =>  This Inner Loop Header: Depth=2
	v_cmp_ne_u32_e32 vcc, v4, v16
	v_cmp_eq_u32_e64 s[2:3], v4, v16
	s_and_saveexec_b64 s[16:17], s[2:3]
	s_cbranch_execz .LBB104_14
; %bb.16:                               ;   in Loop: Header=BB104_15 Depth=2
	s_cmp_eq_u32 s14, 1
	s_cselect_b64 s[2:3], -1, 0
	s_cmp_eq_u32 s14, 2
	v_cndmask_b32_e64 v17, v12, v11, s[2:3]
	s_cselect_b64 s[2:3], -1, 0
	s_cmp_eq_u32 s14, 3
	v_cndmask_b32_e64 v17, v17, v14, s[2:3]
	;; [unrolled: 3-line block ×3, first 2 shown]
	s_cselect_b64 s[2:3], -1, 0
	v_cndmask_b32_e64 v17, v17, v15, s[2:3]
	v_add_f32_e32 v5, v5, v17
	global_store_dword v[8:9], v4, off offset:8
	s_branch .LBB104_14
.LBB104_17:                             ;   in Loop: Header=BB104_5 Depth=1
	s_or_b64 exec, exec, s[12:13]
	global_load_dword v4, v[6:7], off offset:12
	s_mov_b64 s[12:13], 0
	v_mov_b32_e32 v6, v10
	s_mov_b64 s[14:15], 0
	s_waitcnt vmcnt(0)
	s_branch .LBB104_19
.LBB104_18:                             ;   in Loop: Header=BB104_19 Depth=2
	s_or_b64 exec, exec, s[16:17]
	s_cmp_gt_u32 s14, 3
	s_cselect_b64 s[2:3], -1, 0
	s_xor_b64 s[16:17], vcc, -1
	s_or_b64 s[2:3], s[16:17], s[2:3]
	s_add_u32 s14, s14, 1
	s_addc_u32 s15, s15, 0
	s_and_b64 s[2:3], exec, s[2:3]
	s_or_b64 s[12:13], s[2:3], s[12:13]
	v_add_u32_e32 v6, 64, v6
	s_andn2_b64 exec, exec, s[12:13]
	s_cbranch_execz .LBB104_4
.LBB104_19:                             ;   Parent Loop BB104_5 Depth=1
                                        ; =>  This Inner Loop Header: Depth=2
	v_cmp_ne_u32_e32 vcc, v4, v6
	v_cmp_eq_u32_e64 s[2:3], v4, v6
	s_and_saveexec_b64 s[16:17], s[2:3]
	s_cbranch_execz .LBB104_18
; %bb.20:                               ;   in Loop: Header=BB104_19 Depth=2
	s_cmp_eq_u32 s14, 1
	s_cselect_b64 s[2:3], -1, 0
	s_cmp_eq_u32 s14, 2
	v_cndmask_b32_e64 v7, v12, v11, s[2:3]
	s_cselect_b64 s[2:3], -1, 0
	s_cmp_eq_u32 s14, 3
	v_cndmask_b32_e64 v7, v7, v14, s[2:3]
	;; [unrolled: 3-line block ×3, first 2 shown]
	s_cselect_b64 s[2:3], -1, 0
	v_cndmask_b32_e64 v7, v7, v15, s[2:3]
	v_add_f32_e32 v5, v5, v7
	global_store_dword v[8:9], v4, off offset:12
	s_branch .LBB104_18
.LBB104_21:
	v_mov_b32_e32 v5, 0
.LBB104_22:
	s_and_b32 s16, s20, 3
	s_cmp_eq_u32 s16, 0
	s_mov_b32 s9, 0
	s_cbranch_scc1 .LBB104_29
; %bb.23:
	s_mov_b32 s17, s9
	s_branch .LBB104_25
.LBB104_24:                             ;   in Loop: Header=BB104_25 Depth=1
	s_or_b64 exec, exec, s[10:11]
	s_add_i32 s8, s8, 1
	s_add_i32 s17, s17, 1
	s_cmp_lg_u32 s17, s16
	s_cbranch_scc0 .LBB104_29
.LBB104_25:                             ; =>This Loop Header: Depth=1
                                        ;     Child Loop BB104_27 Depth 2
	v_lshl_add_u64 v[6:7], s[8:9], 2, v[2:3]
	global_load_dword v1, v[6:7], off
	v_add_u32_e32 v6, s8, v0
	v_ashrrev_i32_e32 v7, 31, v6
	s_waitcnt lgkmcnt(0)
	v_lshl_add_u64 v[6:7], v[6:7], 2, s[6:7]
	s_mov_b64 s[10:11], 0
	v_mov_b32_e32 v4, v10
	s_mov_b64 s[12:13], 0
	s_waitcnt vmcnt(0)
	s_branch .LBB104_27
.LBB104_26:                             ;   in Loop: Header=BB104_27 Depth=2
	s_or_b64 exec, exec, s[14:15]
	s_cmp_gt_u32 s12, 3
	s_cselect_b64 s[2:3], -1, 0
	s_xor_b64 s[14:15], vcc, -1
	s_or_b64 s[2:3], s[14:15], s[2:3]
	s_add_u32 s12, s12, 1
	s_addc_u32 s13, s13, 0
	s_and_b64 s[2:3], exec, s[2:3]
	s_or_b64 s[10:11], s[2:3], s[10:11]
	v_add_u32_e32 v4, 64, v4
	s_andn2_b64 exec, exec, s[10:11]
	s_cbranch_execz .LBB104_24
.LBB104_27:                             ;   Parent Loop BB104_25 Depth=1
                                        ; =>  This Inner Loop Header: Depth=2
	v_cmp_ne_u32_e32 vcc, v1, v4
	v_cmp_eq_u32_e64 s[2:3], v1, v4
	s_and_saveexec_b64 s[14:15], s[2:3]
	s_cbranch_execz .LBB104_26
; %bb.28:                               ;   in Loop: Header=BB104_27 Depth=2
	s_cmp_eq_u32 s12, 1
	s_cselect_b64 s[2:3], -1, 0
	s_cmp_eq_u32 s12, 2
	v_cndmask_b32_e64 v8, v12, v11, s[2:3]
	s_cselect_b64 s[2:3], -1, 0
	s_cmp_eq_u32 s12, 3
	v_cndmask_b32_e64 v8, v8, v14, s[2:3]
	;; [unrolled: 3-line block ×3, first 2 shown]
	s_cselect_b64 s[2:3], -1, 0
	v_cndmask_b32_e64 v8, v8, v15, s[2:3]
	v_add_f32_e32 v5, v5, v8
	global_store_dword v[6:7], v1, off
	s_branch .LBB104_26
.LBB104_29:
	s_waitcnt lgkmcnt(0)
	s_load_dword s6, s[0:1], 0x3c
	s_waitcnt lgkmcnt(0)
	s_bitcmp1_b32 s6, 0
	s_cselect_b64 s[2:3], -1, 0
	s_bitcmp0_b32 s6, 0
	s_cbranch_scc0 .LBB104_33
; %bb.30:
	s_load_dwordx2 s[6:7], s[0:1], 0x40
	s_andn2_b64 vcc, exec, s[2:3]
	s_waitcnt lgkmcnt(0)
	v_cvt_f32_f64_e32 v16, s[6:7]
	s_cbranch_vccz .LBB104_34
.LBB104_31:
	s_andn2_b64 vcc, exec, s[4:5]
	s_cbranch_vccz .LBB104_35
.LBB104_32:
	s_endpgm
.LBB104_33:
	v_mbcnt_lo_u32_b32 v1, -1, 0
	v_mbcnt_hi_u32_b32 v1, -1, v1
	v_and_b32_e32 v4, 64, v1
	v_add_u32_e32 v4, 64, v4
	v_xor_b32_e32 v6, 32, v1
	v_cmp_lt_i32_e32 vcc, v6, v4
	v_xor_b32_e32 v7, 16, v1
	s_nop 0
	v_cndmask_b32_e32 v6, v1, v6, vcc
	v_lshlrev_b32_e32 v6, 2, v6
	ds_bpermute_b32 v6, v6, v5
	v_cmp_lt_i32_e32 vcc, v7, v4
	s_waitcnt lgkmcnt(0)
	v_add_f32_e32 v5, v5, v6
	v_cndmask_b32_e32 v6, v1, v7, vcc
	v_lshlrev_b32_e32 v6, 2, v6
	ds_bpermute_b32 v6, v6, v5
	v_xor_b32_e32 v7, 8, v1
	v_cmp_lt_i32_e32 vcc, v7, v4
	s_waitcnt lgkmcnt(0)
	v_add_f32_e32 v5, v5, v6
	v_cndmask_b32_e32 v6, v1, v7, vcc
	v_lshlrev_b32_e32 v6, 2, v6
	ds_bpermute_b32 v6, v6, v5
	v_xor_b32_e32 v7, 4, v1
	;; [unrolled: 7-line block ×4, first 2 shown]
	v_cmp_lt_i32_e32 vcc, v7, v4
	s_waitcnt lgkmcnt(0)
	v_add_f32_e32 v5, v5, v6
	v_cndmask_b32_e32 v1, v1, v7, vcc
	v_lshlrev_b32_e32 v1, 2, v1
	ds_bpermute_b32 v1, v1, v5
	s_waitcnt lgkmcnt(0)
	v_add_f32_e32 v5, v5, v1
	s_load_dwordx2 s[6:7], s[0:1], 0x40
	s_andn2_b64 vcc, exec, s[2:3]
	s_waitcnt lgkmcnt(0)
	v_cvt_f32_f64_e32 v16, s[6:7]
	s_cbranch_vccnz .LBB104_31
.LBB104_34:
	v_cmp_lt_f32_e32 vcc, 0, v5
	s_nop 1
	v_cndmask_b32_e32 v1, 1.0, v5, vcc
	v_div_scale_f32 v4, s[2:3], v1, v1, v16
	v_rcp_f32_e32 v5, v4
	s_nop 0
	v_fma_f32 v6, -v4, v5, 1.0
	v_fmac_f32_e32 v5, v6, v5
	v_div_scale_f32 v6, vcc, v16, v1, v16
	v_mul_f32_e32 v7, v6, v5
	v_fma_f32 v8, -v4, v7, v6
	v_fmac_f32_e32 v7, v8, v5
	v_fma_f32 v4, -v4, v7, v6
	v_div_fmas_f32 v4, v4, v5, v7
	v_div_fixup_f32 v16, v4, v1, v16
	s_andn2_b64 vcc, exec, s[4:5]
	s_cbranch_vccnz .LBB104_32
.LBB104_35:
	s_load_dwordx2 s[6:7], s[0:1], 0x10
	v_or_b32_e32 v20, 64, v10
	v_or_b32_e32 v19, 0x80, v10
	;; [unrolled: 1-line block ×4, first 2 shown]
	s_cmp_eq_u32 s20, 1
	s_mov_b32 s8, 0
	s_cbranch_scc1 .LBB104_58
; %bb.36:
	v_ashrrev_i32_e32 v1, 31, v0
	s_waitcnt lgkmcnt(0)
	v_lshl_add_u64 v[4:5], v[0:1], 2, s[6:7]
	s_and_b32 s8, s20, 0x7ffffffe
	v_lshl_add_u64 v[4:5], v[4:5], 0, 4
	v_lshl_add_u64 v[6:7], v[2:3], 0, 4
	s_mov_b32 s9, 0
	s_branch .LBB104_38
.LBB104_37:                             ;   in Loop: Header=BB104_38 Depth=1
	s_or_b64 exec, exec, s[0:1]
	s_add_i32 s9, s9, 2
	v_lshl_add_u64 v[4:5], v[4:5], 0, 8
	s_cmp_lg_u32 s8, s9
	v_lshl_add_u64 v[6:7], v[6:7], 0, 8
	s_cbranch_scc0 .LBB104_58
.LBB104_38:                             ; =>This Inner Loop Header: Depth=1
	global_load_dword v1, v[6:7], off offset:-4
	v_mov_b64_e32 v[8:9], 0
	s_waitcnt vmcnt(0)
	v_cmp_eq_u32_e32 vcc, v1, v10
	v_cmp_ne_u32_e64 s[0:1], v1, v10
	s_and_saveexec_b64 s[10:11], s[0:1]
	s_cbranch_execz .LBB104_46
; %bb.39:                               ;   in Loop: Header=BB104_38 Depth=1
	v_cmp_eq_u32_e64 s[0:1], v1, v20
	v_cmp_ne_u32_e64 s[2:3], v1, v20
	v_mov_b64_e32 v[8:9], 1
	s_and_saveexec_b64 s[12:13], s[2:3]
	s_cbranch_execz .LBB104_45
; %bb.40:                               ;   in Loop: Header=BB104_38 Depth=1
	v_cmp_eq_u32_e64 s[2:3], v1, v19
	v_cmp_ne_u32_e64 s[4:5], v1, v19
	v_mov_b64_e32 v[8:9], 2
	;; [unrolled: 6-line block ×3, first 2 shown]
	s_and_saveexec_b64 s[18:19], s[4:5]
	s_xor_b64 s[18:19], exec, s[18:19]
; %bb.42:                               ;   in Loop: Header=BB104_38 Depth=1
	v_cmp_eq_u32_e64 s[4:5], v1, v17
	s_andn2_b64 s[16:17], s[16:17], exec
	s_and_b64 s[4:5], s[4:5], exec
	v_mov_b64_e32 v[8:9], 4
	s_or_b64 s[16:17], s[16:17], s[4:5]
; %bb.43:                               ;   in Loop: Header=BB104_38 Depth=1
	s_or_b64 exec, exec, s[18:19]
	s_andn2_b64 s[2:3], s[2:3], exec
	s_and_b64 s[4:5], s[16:17], exec
	s_or_b64 s[2:3], s[2:3], s[4:5]
.LBB104_44:                             ;   in Loop: Header=BB104_38 Depth=1
	s_or_b64 exec, exec, s[14:15]
	s_andn2_b64 s[0:1], s[0:1], exec
	s_and_b64 s[2:3], s[2:3], exec
	s_or_b64 s[0:1], s[0:1], s[2:3]
.LBB104_45:                             ;   in Loop: Header=BB104_38 Depth=1
	s_or_b64 exec, exec, s[12:13]
	s_andn2_b64 s[2:3], vcc, exec
	s_and_b64 s[0:1], s[0:1], exec
	s_or_b64 vcc, s[2:3], s[0:1]
.LBB104_46:                             ;   in Loop: Header=BB104_38 Depth=1
	s_or_b64 exec, exec, s[10:11]
	s_and_saveexec_b64 s[0:1], vcc
	s_cbranch_execz .LBB104_48
; %bb.47:                               ;   in Loop: Header=BB104_38 Depth=1
	v_cmp_eq_u32_e32 vcc, 1, v8
	v_add_u32_e32 v22, s9, v0
	v_ashrrev_i32_e32 v23, 31, v22
	v_cndmask_b32_e32 v1, v12, v11, vcc
	v_cmp_eq_u32_e32 vcc, 2, v8
	s_nop 1
	v_cndmask_b32_e32 v1, v1, v14, vcc
	v_cmp_eq_u32_e32 vcc, 3, v8
	s_nop 1
	v_cndmask_b32_e32 v1, v1, v13, vcc
	v_cmp_eq_u32_e32 vcc, 4, v8
	v_lshl_add_u64 v[8:9], v[22:23], 2, s[6:7]
	s_nop 0
	v_cndmask_b32_e32 v1, v1, v15, vcc
	v_mul_f32_e32 v1, v16, v1
	global_store_dword v[8:9], v1, off
.LBB104_48:                             ;   in Loop: Header=BB104_38 Depth=1
	s_or_b64 exec, exec, s[0:1]
	global_load_dword v1, v[6:7], off
	v_mov_b64_e32 v[8:9], 0
	s_waitcnt vmcnt(0)
	v_cmp_eq_u32_e64 s[2:3], v1, v10
	v_cmp_ne_u32_e32 vcc, v1, v10
	s_and_saveexec_b64 s[4:5], vcc
	s_cbranch_execz .LBB104_56
; %bb.49:                               ;   in Loop: Header=BB104_38 Depth=1
	v_cmp_eq_u32_e32 vcc, v1, v20
	v_cmp_ne_u32_e64 s[0:1], v1, v20
	v_mov_b64_e32 v[8:9], 1
	s_and_saveexec_b64 s[10:11], s[0:1]
	s_cbranch_execz .LBB104_55
; %bb.50:                               ;   in Loop: Header=BB104_38 Depth=1
	v_cmp_eq_u32_e64 s[12:13], v1, v19
	v_cmp_ne_u32_e64 s[0:1], v1, v19
	v_mov_b64_e32 v[8:9], 2
	s_and_saveexec_b64 s[14:15], s[0:1]
	s_cbranch_execz .LBB104_54
; %bb.51:                               ;   in Loop: Header=BB104_38 Depth=1
	v_cmp_eq_u32_e64 s[16:17], v1, v18
	v_cmp_ne_u32_e64 s[0:1], v1, v18
	v_mov_b64_e32 v[8:9], 3
	s_and_saveexec_b64 s[18:19], s[0:1]
; %bb.52:                               ;   in Loop: Header=BB104_38 Depth=1
	v_cmp_eq_u32_e64 s[0:1], v1, v17
	s_andn2_b64 s[16:17], s[16:17], exec
	s_and_b64 s[0:1], s[0:1], exec
	v_mov_b64_e32 v[8:9], 4
	s_or_b64 s[16:17], s[16:17], s[0:1]
; %bb.53:                               ;   in Loop: Header=BB104_38 Depth=1
	s_or_b64 exec, exec, s[18:19]
	s_andn2_b64 s[0:1], s[12:13], exec
	s_and_b64 s[12:13], s[16:17], exec
	s_or_b64 s[12:13], s[0:1], s[12:13]
.LBB104_54:                             ;   in Loop: Header=BB104_38 Depth=1
	s_or_b64 exec, exec, s[14:15]
	s_andn2_b64 s[0:1], vcc, exec
	s_and_b64 s[12:13], s[12:13], exec
	s_or_b64 vcc, s[0:1], s[12:13]
.LBB104_55:                             ;   in Loop: Header=BB104_38 Depth=1
	s_or_b64 exec, exec, s[10:11]
	s_andn2_b64 s[0:1], s[2:3], exec
	s_and_b64 s[2:3], vcc, exec
	s_or_b64 s[2:3], s[0:1], s[2:3]
.LBB104_56:                             ;   in Loop: Header=BB104_38 Depth=1
	s_or_b64 exec, exec, s[4:5]
	s_and_saveexec_b64 s[0:1], s[2:3]
	s_cbranch_execz .LBB104_37
; %bb.57:                               ;   in Loop: Header=BB104_38 Depth=1
	v_cmp_eq_u32_e32 vcc, 1, v8
	s_nop 1
	v_cndmask_b32_e32 v1, v12, v11, vcc
	v_cmp_eq_u32_e32 vcc, 2, v8
	s_nop 1
	v_cndmask_b32_e32 v1, v1, v14, vcc
	;; [unrolled: 3-line block ×4, first 2 shown]
	v_mul_f32_e32 v1, v16, v1
	global_store_dword v[4:5], v1, off
	s_branch .LBB104_37
.LBB104_58:
	s_bitcmp0_b32 s20, 0
	s_mov_b32 s9, 0
	s_cbranch_scc1 .LBB104_32
; %bb.59:
	v_lshl_add_u64 v[2:3], s[8:9], 2, v[2:3]
	global_load_dword v1, v[2:3], off
	v_mov_b64_e32 v[2:3], 0
	s_waitcnt vmcnt(0)
	v_cmp_eq_u32_e64 s[2:3], v1, v10
	v_cmp_ne_u32_e32 vcc, v1, v10
	s_and_saveexec_b64 s[4:5], vcc
	s_cbranch_execz .LBB104_67
; %bb.60:
	v_cmp_eq_u32_e32 vcc, v1, v20
	v_cmp_ne_u32_e64 s[0:1], v1, v20
	v_mov_b64_e32 v[2:3], 1
	s_and_saveexec_b64 s[10:11], s[0:1]
	s_cbranch_execz .LBB104_66
; %bb.61:
	v_cmp_eq_u32_e64 s[12:13], v1, v19
	v_cmp_ne_u32_e64 s[0:1], v1, v19
	v_mov_b64_e32 v[2:3], 2
	s_and_saveexec_b64 s[14:15], s[0:1]
	s_cbranch_execz .LBB104_65
; %bb.62:
	v_cmp_eq_u32_e64 s[16:17], v1, v18
	v_cmp_ne_u32_e64 s[0:1], v1, v18
	v_mov_b64_e32 v[2:3], 3
	s_and_saveexec_b64 s[18:19], s[0:1]
; %bb.63:
	v_cmp_eq_u32_e64 s[0:1], v1, v17
	s_andn2_b64 s[16:17], s[16:17], exec
	s_and_b64 s[0:1], s[0:1], exec
	v_mov_b64_e32 v[2:3], 4
	s_or_b64 s[16:17], s[16:17], s[0:1]
; %bb.64:
	s_or_b64 exec, exec, s[18:19]
	s_andn2_b64 s[0:1], s[12:13], exec
	s_and_b64 s[12:13], s[16:17], exec
	s_or_b64 s[12:13], s[0:1], s[12:13]
.LBB104_65:
	s_or_b64 exec, exec, s[14:15]
	s_andn2_b64 s[0:1], vcc, exec
	s_and_b64 s[12:13], s[12:13], exec
	s_or_b64 vcc, s[0:1], s[12:13]
.LBB104_66:
	s_or_b64 exec, exec, s[10:11]
	s_andn2_b64 s[0:1], s[2:3], exec
	s_and_b64 s[2:3], vcc, exec
	s_or_b64 s[2:3], s[0:1], s[2:3]
.LBB104_67:
	s_or_b64 exec, exec, s[4:5]
	s_and_b64 exec, exec, s[2:3]
	s_cbranch_execz .LBB104_32
; %bb.68:
	v_cmp_eq_u32_e32 vcc, 1, v2
	v_add_u32_e32 v0, s8, v0
	s_nop 0
	v_cndmask_b32_e32 v1, v12, v11, vcc
	v_cmp_eq_u32_e32 vcc, 2, v2
	s_nop 1
	v_cndmask_b32_e32 v1, v1, v14, vcc
	v_cmp_eq_u32_e32 vcc, 3, v2
	;; [unrolled: 3-line block ×3, first 2 shown]
	s_nop 1
	v_cndmask_b32_e32 v1, v1, v15, vcc
	v_mul_f32_e32 v2, v16, v1
	v_ashrrev_i32_e32 v1, 31, v0
	s_waitcnt lgkmcnt(0)
	v_lshl_add_u64 v[0:1], v[0:1], 2, s[6:7]
	global_store_dword v[0:1], v2, off
	s_endpgm
	.section	.rodata,"a",@progbits
	.p2align	6, 0x0
	.amdhsa_kernel _ZN4vllm3moe22topkGatingSoftplusSqrtILi5ELi320ELi4ELi4ELi64ELb1EjfEEvPKT6_PKbPfiPT5_PiiiibdPKfPKS8_SE_
		.amdhsa_group_segment_fixed_size 0
		.amdhsa_private_segment_fixed_size 0
		.amdhsa_kernarg_size 96
		.amdhsa_user_sgpr_count 2
		.amdhsa_user_sgpr_dispatch_ptr 0
		.amdhsa_user_sgpr_queue_ptr 0
		.amdhsa_user_sgpr_kernarg_segment_ptr 1
		.amdhsa_user_sgpr_dispatch_id 0
		.amdhsa_user_sgpr_kernarg_preload_length 0
		.amdhsa_user_sgpr_kernarg_preload_offset 0
		.amdhsa_user_sgpr_private_segment_size 0
		.amdhsa_uses_dynamic_stack 0
		.amdhsa_enable_private_segment 0
		.amdhsa_system_sgpr_workgroup_id_x 1
		.amdhsa_system_sgpr_workgroup_id_y 0
		.amdhsa_system_sgpr_workgroup_id_z 0
		.amdhsa_system_sgpr_workgroup_info 0
		.amdhsa_system_vgpr_workitem_id 1
		.amdhsa_next_free_vgpr 25
		.amdhsa_next_free_sgpr 21
		.amdhsa_accum_offset 28
		.amdhsa_reserve_vcc 1
		.amdhsa_float_round_mode_32 0
		.amdhsa_float_round_mode_16_64 0
		.amdhsa_float_denorm_mode_32 3
		.amdhsa_float_denorm_mode_16_64 3
		.amdhsa_dx10_clamp 1
		.amdhsa_ieee_mode 1
		.amdhsa_fp16_overflow 0
		.amdhsa_tg_split 0
		.amdhsa_exception_fp_ieee_invalid_op 0
		.amdhsa_exception_fp_denorm_src 0
		.amdhsa_exception_fp_ieee_div_zero 0
		.amdhsa_exception_fp_ieee_overflow 0
		.amdhsa_exception_fp_ieee_underflow 0
		.amdhsa_exception_fp_ieee_inexact 0
		.amdhsa_exception_int_div_zero 0
	.end_amdhsa_kernel
	.section	.text._ZN4vllm3moe22topkGatingSoftplusSqrtILi5ELi320ELi4ELi4ELi64ELb1EjfEEvPKT6_PKbPfiPT5_PiiiibdPKfPKS8_SE_,"axG",@progbits,_ZN4vllm3moe22topkGatingSoftplusSqrtILi5ELi320ELi4ELi4ELi64ELb1EjfEEvPKT6_PKbPfiPT5_PiiiibdPKfPKS8_SE_,comdat
.Lfunc_end104:
	.size	_ZN4vllm3moe22topkGatingSoftplusSqrtILi5ELi320ELi4ELi4ELi64ELb1EjfEEvPKT6_PKbPfiPT5_PiiiibdPKfPKS8_SE_, .Lfunc_end104-_ZN4vllm3moe22topkGatingSoftplusSqrtILi5ELi320ELi4ELi4ELi64ELb1EjfEEvPKT6_PKbPfiPT5_PiiiibdPKfPKS8_SE_
                                        ; -- End function
	.section	.AMDGPU.csdata,"",@progbits
; Kernel info:
; codeLenInByte = 3848
; NumSgprs: 27
; NumVgprs: 25
; NumAgprs: 0
; TotalNumVgprs: 25
; ScratchSize: 0
; MemoryBound: 0
; FloatMode: 240
; IeeeMode: 1
; LDSByteSize: 0 bytes/workgroup (compile time only)
; SGPRBlocks: 3
; VGPRBlocks: 3
; NumSGPRsForWavesPerEU: 27
; NumVGPRsForWavesPerEU: 25
; AccumOffset: 28
; Occupancy: 8
; WaveLimiterHint : 1
; COMPUTE_PGM_RSRC2:SCRATCH_EN: 0
; COMPUTE_PGM_RSRC2:USER_SGPR: 2
; COMPUTE_PGM_RSRC2:TRAP_HANDLER: 0
; COMPUTE_PGM_RSRC2:TGID_X_EN: 1
; COMPUTE_PGM_RSRC2:TGID_Y_EN: 0
; COMPUTE_PGM_RSRC2:TGID_Z_EN: 0
; COMPUTE_PGM_RSRC2:TIDIG_COMP_CNT: 1
; COMPUTE_PGM_RSRC3_GFX90A:ACCUM_OFFSET: 6
; COMPUTE_PGM_RSRC3_GFX90A:TG_SPLIT: 0
	.section	.text._ZN4vllm3moe22topkGatingSoftplusSqrtILi5ELi320ELi4ELi4ELi64ELb0EjfEEvPKT6_PKbPfiPT5_PiiiibdPKfPKS8_SE_,"axG",@progbits,_ZN4vllm3moe22topkGatingSoftplusSqrtILi5ELi320ELi4ELi4ELi64ELb0EjfEEvPKT6_PKbPfiPT5_PiiiibdPKfPKS8_SE_,comdat
	.protected	_ZN4vllm3moe22topkGatingSoftplusSqrtILi5ELi320ELi4ELi4ELi64ELb0EjfEEvPKT6_PKbPfiPT5_PiiiibdPKfPKS8_SE_ ; -- Begin function _ZN4vllm3moe22topkGatingSoftplusSqrtILi5ELi320ELi4ELi4ELi64ELb0EjfEEvPKT6_PKbPfiPT5_PiiiibdPKfPKS8_SE_
	.globl	_ZN4vllm3moe22topkGatingSoftplusSqrtILi5ELi320ELi4ELi4ELi64ELb0EjfEEvPKT6_PKbPfiPT5_PiiiibdPKfPKS8_SE_
	.p2align	8
	.type	_ZN4vllm3moe22topkGatingSoftplusSqrtILi5ELi320ELi4ELi4ELi64ELb0EjfEEvPKT6_PKbPfiPT5_PiiiibdPKfPKS8_SE_,@function
_ZN4vllm3moe22topkGatingSoftplusSqrtILi5ELi320ELi4ELi4ELi64ELb0EjfEEvPKT6_PKbPfiPT5_PiiiibdPKfPKS8_SE_: ; @_ZN4vllm3moe22topkGatingSoftplusSqrtILi5ELi320ELi4ELi4ELi64ELb0EjfEEvPKT6_PKbPfiPT5_PiiiibdPKfPKS8_SE_
; %bb.0:
	s_load_dword s30, s[0:1], 0x18
	v_and_b32_e32 v1, 0x3ff, v0
	s_lshl_b32 s2, s2, 2
	v_lshrrev_b32_e32 v2, 6, v1
	v_bfe_u32 v0, v0, 10, 10
	v_add3_u32 v6, s2, v0, v2
	s_waitcnt lgkmcnt(0)
	v_cmp_gt_i32_e32 vcc, s30, v6
	s_and_saveexec_b64 s[2:3], vcc
	s_cbranch_execz .LBB105_59
; %bb.1:
	s_load_dwordx4 s[4:7], s[0:1], 0x0
	s_load_dwordx2 s[20:21], s[0:1], 0x10
	s_waitcnt lgkmcnt(0)
	s_cmp_eq_u64 s[6:7], 0
	s_cbranch_scc1 .LBB105_3
; %bb.2:
	v_ashrrev_i32_e32 v7, 31, v6
	v_lshl_add_u64 v[2:3], s[6:7], 0, v[6:7]
	global_load_ubyte v0, v[2:3], off
	s_waitcnt vmcnt(0)
	v_and_b32_e32 v0, 1, v0
	v_cmp_eq_u32_e32 vcc, 1, v0
	s_xor_b64 s[2:3], vcc, -1
	s_orn2_b64 s[22:23], s[2:3], exec
	s_branch .LBB105_4
.LBB105_3:
	s_mov_b64 s[22:23], -1
.LBB105_4:
	s_movk_i32 s2, 0x140
	v_mul_lo_u32 v4, v6, s2
	v_mov_b32_e32 v2, s4
	v_mov_b32_e32 v3, s5
	v_ashrrev_i32_e32 v5, 31, v4
	v_and_b32_e32 v8, 63, v1
	v_lshl_add_u64 v[2:3], v[4:5], 2, v[2:3]
	v_mov_b32_e32 v11, 0
	v_lshlrev_b32_e32 v10, 2, v8
	v_lshl_add_u64 v[12:13], v[2:3], 0, v[10:11]
	global_load_dword v0, v[12:13], off
	global_load_dword v1, v[12:13], off offset:256
	global_load_dword v2, v[12:13], off offset:512
	;; [unrolled: 1-line block ×4, first 2 shown]
	s_mov_b32 s16, 0x800000
	v_mov_b32_e32 v9, 0x4f800000
	s_mov_b32 s7, 0x3f317217
	s_mov_b32 s14, 0x7f800000
	v_mov_b32_e32 v7, 0x41b17218
	s_mov_b32 s6, 0x41a00000
	s_mov_b32 s15, 0xf800000
	s_load_dwordx4 s[8:11], s[0:1], 0x40
	s_waitcnt lgkmcnt(0)
	s_cmp_lg_u64 s[10:11], 0
	s_cselect_b64 s[12:13], -1, 0
	s_and_b64 s[2:3], exec, s[12:13]
	s_waitcnt vmcnt(4)
	v_mul_f32_e32 v5, 0x3fb8aa3b, v0
	v_exp_f32_e32 v5, v5
	s_nop 0
	v_add_f32_e32 v5, 1.0, v5
	v_cmp_gt_f32_e32 vcc, s16, v5
	s_nop 1
	v_cndmask_b32_e32 v11, 1.0, v9, vcc
	v_mul_f32_e32 v5, v5, v11
	v_log_f32_e32 v11, v5
	v_cndmask_b32_e32 v12, 0, v7, vcc
	v_mov_b32_e32 v5, 0x260
	v_mul_f32_e32 v13, 0x3f317217, v11
	v_fma_f32 v13, v11, s7, -v13
	v_fmac_f32_e32 v13, 0x3377d1cf, v11
	v_fmac_f32_e32 v13, 0x3f317217, v11
	v_cmp_lt_f32_e64 vcc, |v11|, s14
	s_nop 1
	v_cndmask_b32_e32 v11, v11, v13, vcc
	v_sub_f32_e32 v11, v11, v12
	v_cmp_lt_f32_e32 vcc, s6, v0
	s_nop 1
	v_cndmask_b32_e32 v0, v11, v0, vcc
	v_mul_f32_e32 v11, 0x4f800000, v0
	v_cmp_gt_f32_e32 vcc, s15, v0
	s_nop 1
	v_cndmask_b32_e32 v0, v0, v11, vcc
	v_sqrt_f32_e32 v11, v0
	s_nop 0
	v_add_u32_e32 v12, -1, v11
	v_add_u32_e32 v13, 1, v11
	v_fma_f32 v14, -v12, v11, v0
	v_fma_f32 v15, -v13, v11, v0
	v_cmp_ge_f32_e64 s[4:5], 0, v14
	s_nop 1
	v_cndmask_b32_e64 v11, v11, v12, s[4:5]
	v_cmp_lt_f32_e64 s[4:5], 0, v15
	s_nop 1
	v_cndmask_b32_e64 v11, v11, v13, s[4:5]
	v_mul_f32_e32 v12, 0x37800000, v11
	v_cndmask_b32_e32 v11, v11, v12, vcc
	v_cmp_class_f32_e32 vcc, v0, v5
	s_nop 1
	v_cndmask_b32_e32 v0, v11, v0, vcc
	s_mov_b64 vcc, s[2:3]
	s_cbranch_vccz .LBB105_6
; %bb.5:
	global_load_dword v11, v10, s[10:11]
	s_waitcnt vmcnt(0)
	v_add_f32_e32 v0, v0, v11
.LBB105_6:
	s_waitcnt vmcnt(3)
	v_mul_f32_e32 v11, 0x3fb8aa3b, v1
	v_exp_f32_e32 v11, v11
	s_nop 0
	v_add_f32_e32 v11, 1.0, v11
	v_cmp_gt_f32_e32 vcc, s16, v11
	s_nop 1
	v_cndmask_b32_e32 v9, 1.0, v9, vcc
	v_mul_f32_e32 v9, v11, v9
	v_log_f32_e32 v9, v9
	v_cndmask_b32_e32 v7, 0, v7, vcc
	v_mul_f32_e32 v11, 0x3f317217, v9
	v_fma_f32 v11, v9, s7, -v11
	v_fmac_f32_e32 v11, 0x3377d1cf, v9
	v_fmac_f32_e32 v11, 0x3f317217, v9
	v_cmp_lt_f32_e64 vcc, |v9|, s14
	s_nop 1
	v_cndmask_b32_e32 v9, v9, v11, vcc
	v_sub_f32_e32 v7, v9, v7
	v_cmp_lt_f32_e32 vcc, s6, v1
	s_nop 1
	v_cndmask_b32_e32 v1, v7, v1, vcc
	v_mul_f32_e32 v7, 0x4f800000, v1
	v_cmp_gt_f32_e32 vcc, s15, v1
	s_nop 1
	v_cndmask_b32_e32 v1, v1, v7, vcc
	v_sqrt_f32_e32 v7, v1
	s_nop 0
	v_add_u32_e32 v9, -1, v7
	v_add_u32_e32 v11, 1, v7
	v_fma_f32 v12, -v9, v7, v1
	v_fma_f32 v13, -v11, v7, v1
	v_cmp_ge_f32_e64 s[2:3], 0, v12
	s_nop 1
	v_cndmask_b32_e64 v7, v7, v9, s[2:3]
	v_cmp_lt_f32_e64 s[2:3], 0, v13
	s_nop 1
	v_cndmask_b32_e64 v7, v7, v11, s[2:3]
	v_mul_f32_e32 v9, 0x37800000, v7
	v_cndmask_b32_e32 v7, v7, v9, vcc
	v_cndmask_b32_e64 v9, 0, 1, s[12:13]
	v_cmp_class_f32_e64 s[2:3], v1, v5
	v_cmp_ne_u32_e64 s[6:7], 1, v9
	s_andn2_b64 vcc, exec, s[12:13]
	v_cndmask_b32_e64 v1, v7, v1, s[2:3]
	s_cbranch_vccnz .LBB105_8
; %bb.7:
	global_load_dword v5, v10, s[10:11] offset:256
	s_waitcnt vmcnt(0)
	v_add_f32_e32 v1, v1, v5
.LBB105_8:
	s_waitcnt vmcnt(2)
	v_mul_f32_e32 v5, 0x3fb8aa3b, v2
	v_exp_f32_e32 v5, v5
	s_mov_b32 s14, 0x800000
	v_mov_b32_e32 v7, 0x4f800000
	s_mov_b32 s5, 0x3f317217
	v_add_f32_e32 v5, 1.0, v5
	v_cmp_gt_f32_e32 vcc, s14, v5
	s_mov_b32 s12, 0x7f800000
	s_mov_b32 s4, 0x41a00000
	v_cndmask_b32_e32 v9, 1.0, v7, vcc
	v_mul_f32_e32 v5, v5, v9
	v_log_f32_e32 v5, v5
	s_mov_b32 s13, 0xf800000
	v_mul_f32_e32 v9, 0x3f317217, v5
	v_fma_f32 v9, v5, s5, -v9
	v_fmac_f32_e32 v9, 0x3377d1cf, v5
	v_fmac_f32_e32 v9, 0x3f317217, v5
	v_cmp_lt_f32_e64 s[2:3], |v5|, s12
	s_nop 1
	v_cndmask_b32_e64 v5, v5, v9, s[2:3]
	v_mov_b32_e32 v9, 0x41b17218
	v_cndmask_b32_e32 v11, 0, v9, vcc
	v_sub_f32_e32 v5, v5, v11
	v_cmp_lt_f32_e32 vcc, s4, v2
	s_nop 1
	v_cndmask_b32_e32 v2, v5, v2, vcc
	v_mul_f32_e32 v5, 0x4f800000, v2
	v_cmp_gt_f32_e32 vcc, s13, v2
	s_nop 1
	v_cndmask_b32_e32 v2, v2, v5, vcc
	v_sqrt_f32_e32 v5, v2
	s_nop 0
	v_add_u32_e32 v11, -1, v5
	v_fma_f32 v12, -v11, v5, v2
	v_cmp_ge_f32_e64 s[2:3], 0, v12
	v_add_u32_e32 v12, 1, v5
	s_nop 0
	v_cndmask_b32_e64 v11, v5, v11, s[2:3]
	v_fma_f32 v5, -v12, v5, v2
	v_cmp_lt_f32_e64 s[2:3], 0, v5
	s_nop 1
	v_cndmask_b32_e64 v5, v11, v12, s[2:3]
	v_mul_f32_e32 v11, 0x37800000, v5
	v_cndmask_b32_e32 v11, v5, v11, vcc
	v_mov_b32_e32 v5, 0x260
	v_cmp_class_f32_e64 s[2:3], v2, v5
	s_and_b64 vcc, exec, s[6:7]
	s_nop 0
	v_cndmask_b32_e64 v2, v11, v2, s[2:3]
	s_cbranch_vccnz .LBB105_10
; %bb.9:
	global_load_dword v11, v10, s[10:11] offset:512
	s_waitcnt vmcnt(0)
	v_add_f32_e32 v2, v2, v11
.LBB105_10:
	s_waitcnt vmcnt(1)
	v_mul_f32_e32 v11, 0x3fb8aa3b, v3
	v_exp_f32_e32 v11, v11
	s_nop 0
	v_add_f32_e32 v11, 1.0, v11
	v_cmp_gt_f32_e32 vcc, s14, v11
	s_nop 1
	v_cndmask_b32_e32 v7, 1.0, v7, vcc
	v_mul_f32_e32 v7, v11, v7
	v_log_f32_e32 v7, v7
	v_cndmask_b32_e32 v9, 0, v9, vcc
	v_mul_f32_e32 v11, 0x3f317217, v7
	v_fma_f32 v11, v7, s5, -v11
	v_fmac_f32_e32 v11, 0x3377d1cf, v7
	v_fmac_f32_e32 v11, 0x3f317217, v7
	v_cmp_lt_f32_e64 vcc, |v7|, s12
	s_nop 1
	v_cndmask_b32_e32 v7, v7, v11, vcc
	v_sub_f32_e32 v7, v7, v9
	v_cmp_lt_f32_e32 vcc, s4, v3
	s_nop 1
	v_cndmask_b32_e32 v3, v7, v3, vcc
	v_mul_f32_e32 v7, 0x4f800000, v3
	v_cmp_gt_f32_e32 vcc, s13, v3
	s_nop 1
	v_cndmask_b32_e32 v3, v3, v7, vcc
	v_sqrt_f32_e32 v7, v3
	s_nop 0
	v_add_u32_e32 v9, -1, v7
	v_add_u32_e32 v11, 1, v7
	v_fma_f32 v12, -v9, v7, v3
	v_fma_f32 v13, -v11, v7, v3
	v_cmp_ge_f32_e64 s[2:3], 0, v12
	s_nop 1
	v_cndmask_b32_e64 v7, v7, v9, s[2:3]
	v_cmp_lt_f32_e64 s[2:3], 0, v13
	s_nop 1
	v_cndmask_b32_e64 v7, v7, v11, s[2:3]
	v_mul_f32_e32 v9, 0x37800000, v7
	v_cndmask_b32_e32 v7, v7, v9, vcc
	v_cmp_class_f32_e64 s[2:3], v3, v5
	s_and_b64 vcc, exec, s[6:7]
	s_nop 0
	v_cndmask_b32_e64 v3, v7, v3, s[2:3]
	s_cbranch_vccnz .LBB105_12
; %bb.11:
	global_load_dword v5, v10, s[10:11] offset:768
	s_waitcnt vmcnt(0)
	v_add_f32_e32 v3, v3, v5
.LBB105_12:
	s_waitcnt vmcnt(0)
	v_mul_f32_e32 v5, 0x3fb8aa3b, v4
	v_exp_f32_e32 v5, v5
	s_mov_b32 s2, 0x800000
	v_mov_b32_e32 v7, 0x4f800000
	s_mov_b32 s3, 0x7f800000
	v_add_f32_e32 v5, 1.0, v5
	v_cmp_gt_f32_e32 vcc, s2, v5
	s_mov_b32 s2, 0x3f317217
	s_nop 0
	v_cndmask_b32_e32 v7, 1.0, v7, vcc
	v_mul_f32_e32 v5, v5, v7
	v_log_f32_e32 v5, v5
	s_nop 0
	v_mul_f32_e32 v7, 0x3f317217, v5
	v_fma_f32 v7, v5, s2, -v7
	v_fmamk_f32 v7, v5, 0x3377d1cf, v7
	v_fmac_f32_e32 v7, 0x3f317217, v5
	v_cmp_lt_f32_e64 s[2:3], |v5|, s3
	s_nop 1
	v_cndmask_b32_e64 v5, v5, v7, s[2:3]
	v_mov_b32_e32 v7, 0x41b17218
	v_cndmask_b32_e32 v7, 0, v7, vcc
	v_sub_f32_e32 v5, v5, v7
	v_cmp_lt_f32_e32 vcc, s4, v4
	s_mov_b32 s2, 0xf800000
	s_nop 0
	v_cndmask_b32_e32 v4, v5, v4, vcc
	v_mul_f32_e32 v5, 0x4f800000, v4
	v_cmp_gt_f32_e32 vcc, s2, v4
	s_nop 1
	v_cndmask_b32_e32 v4, v4, v5, vcc
	v_sqrt_f32_e32 v5, v4
	s_nop 0
	v_add_u32_e32 v7, -1, v5
	v_fma_f32 v9, -v7, v5, v4
	v_cmp_ge_f32_e64 s[2:3], 0, v9
	v_add_u32_e32 v9, 1, v5
	s_nop 0
	v_cndmask_b32_e64 v7, v5, v7, s[2:3]
	v_fma_f32 v5, -v9, v5, v4
	v_cmp_lt_f32_e64 s[2:3], 0, v5
	s_nop 1
	v_cndmask_b32_e64 v5, v7, v9, s[2:3]
	v_mul_f32_e32 v7, 0x37800000, v5
	v_cndmask_b32_e32 v5, v5, v7, vcc
	v_mov_b32_e32 v7, 0x260
	v_cmp_class_f32_e64 s[2:3], v4, v7
	s_and_b64 vcc, exec, s[6:7]
	s_nop 0
	v_cndmask_b32_e64 v4, v5, v4, s[2:3]
	s_cbranch_vccnz .LBB105_14
; %bb.13:
	global_load_dword v5, v10, s[10:11] offset:1024
	s_waitcnt vmcnt(0)
	v_add_f32_e32 v4, v4, v5
.LBB105_14:
	s_load_dwordx4 s[12:15], s[0:1], 0x30
	v_cmp_eq_u32_e64 s[4:5], 0, v8
	s_waitcnt lgkmcnt(0)
	s_bitcmp1_b32 s15, 0
	s_cselect_b64 s[2:3], -1, 0
	s_cmp_gt_i32 s12, 0
	s_cselect_b64 s[24:25], -1, 0
	s_and_b64 vcc, exec, s[24:25]
	s_cbranch_vccz .LBB105_45
; %bb.15:
	v_mbcnt_lo_u32_b32 v5, -1, 0
	v_mbcnt_hi_u32_b32 v7, -1, v5
	v_and_b32_e32 v5, 64, v7
	v_add_u32_e32 v10, 64, v5
	v_xor_b32_e32 v11, 32, v7
	v_cmp_lt_i32_e32 vcc, v11, v10
	s_load_dwordx4 s[16:19], s[0:1], 0x20
	s_mov_b32 s15, 0
	v_cndmask_b32_e32 v11, v7, v11, vcc
	v_lshlrev_b32_e32 v15, 2, v11
	v_xor_b32_e32 v11, 16, v7
	v_cmp_lt_i32_e32 vcc, v11, v10
	v_mul_lo_u32 v5, v6, s12
	v_or_b32_e32 v9, 64, v8
	v_cndmask_b32_e32 v11, v7, v11, vcc
	v_lshlrev_b32_e32 v16, 2, v11
	v_xor_b32_e32 v11, 8, v7
	v_cmp_lt_i32_e32 vcc, v11, v10
	v_or_b32_e32 v12, 0x80, v8
	v_or_b32_e32 v13, 0xc0, v8
	v_cndmask_b32_e32 v11, v7, v11, vcc
	v_lshlrev_b32_e32 v17, 2, v11
	v_xor_b32_e32 v11, 4, v7
	v_cmp_lt_i32_e32 vcc, v11, v10
	v_or_b32_e32 v14, 0x100, v8
	v_mov_b32_e32 v21, 0x140
	v_cndmask_b32_e32 v11, v7, v11, vcc
	v_lshlrev_b32_e32 v18, 2, v11
	v_xor_b32_e32 v11, 2, v7
	v_cmp_lt_i32_e32 vcc, v11, v10
	v_mov_b32_e32 v22, 0xc61c4000
	v_mov_b32_e32 v23, v6
	v_cndmask_b32_e32 v11, v7, v11, vcc
	v_lshlrev_b32_e32 v19, 2, v11
	v_xor_b32_e32 v11, 1, v7
	v_cmp_lt_i32_e32 vcc, v11, v10
	s_nop 1
	v_cndmask_b32_e32 v7, v7, v11, vcc
	v_lshlrev_b32_e32 v20, 2, v7
	v_mov_b32_e32 v7, 0
	s_branch .LBB105_18
.LBB105_16:                             ;   in Loop: Header=BB105_18 Depth=1
	v_add_u32_e32 v26, s15, v5
	v_cmp_le_i32_e32 vcc, s13, v10
	v_cmp_gt_i32_e64 s[0:1], s14, v10
	v_ashrrev_i32_e32 v27, 31, v26
	s_and_b64 s[0:1], vcc, s[0:1]
	v_lshlrev_b64 v[26:27], 2, v[26:27]
	v_lshl_add_u64 v[28:29], s[20:21], 0, v[26:27]
	v_subrev_u32_e32 v11, s13, v10
	s_and_b64 vcc, s[22:23], s[0:1]
	global_store_dword v[28:29], v24, off
	v_cndmask_b32_e32 v11, v21, v11, vcc
	v_lshl_add_u64 v[28:29], s[16:17], 0, v[26:27]
	global_store_dword v[28:29], v11, off
	v_add_f32_e32 v11, v7, v24
	v_lshl_add_u64 v[26:27], s[18:19], 0, v[26:27]
	v_cndmask_b32_e64 v7, v7, v11, s[2:3]
	global_store_dword v[26:27], v23, off
.LBB105_17:                             ;   in Loop: Header=BB105_18 Depth=1
	s_or_b64 exec, exec, s[26:27]
	v_ashrrev_i32_e32 v11, 31, v10
	v_lshrrev_b32_e32 v11, 26, v11
	v_add_u32_e32 v11, v10, v11
	v_ashrrev_i32_e32 v24, 6, v11
	v_and_b32_e32 v11, 0xffffffc0, v11
	v_sub_u32_e32 v10, v10, v11
	v_cmp_ne_u32_e64 s[0:1], 0, v24
	v_cmp_eq_u32_e32 vcc, v8, v10
	s_add_i32 s15, s15, 1
	v_cndmask_b32_e64 v10, v22, v0, s[0:1]
	v_cmp_ne_u32_e64 s[0:1], 1, v24
	s_cmp_lt_i32 s15, s12
	s_cselect_b64 s[26:27], -1, 0
	v_cndmask_b32_e64 v11, v22, v1, s[0:1]
	v_cmp_ne_u32_e64 s[0:1], 2, v24
	s_and_b64 vcc, s[26:27], vcc
	v_cndmask_b32_e32 v1, v1, v11, vcc
	s_waitcnt lgkmcnt(0)
	v_cndmask_b32_e64 v25, v22, v2, s[0:1]
	v_cmp_ne_u32_e64 s[0:1], 3, v24
	v_cndmask_b32_e32 v2, v2, v25, vcc
	v_cndmask_b32_e32 v0, v0, v10, vcc
	v_cndmask_b32_e64 v26, v22, v3, s[0:1]
	v_cmp_ne_u32_e64 s[0:1], 4, v24
	v_cndmask_b32_e32 v3, v3, v26, vcc
	s_cmp_eq_u32 s12, s15
	v_cndmask_b32_e64 v24, v22, v4, s[0:1]
	v_cndmask_b32_e32 v4, v4, v24, vcc
	v_add_u32_e32 v23, s30, v23
	s_cbranch_scc1 .LBB105_46
.LBB105_18:                             ; =>This Inner Loop Header: Depth=1
	v_cmp_gt_f32_e32 vcc, v1, v0
	s_nop 1
	v_cndmask_b32_e32 v11, v0, v1, vcc
	v_cndmask_b32_e32 v10, v8, v9, vcc
	v_cmp_gt_f32_e32 vcc, v2, v11
	s_nop 1
	v_cndmask_b32_e32 v11, v11, v2, vcc
	v_cndmask_b32_e32 v10, v10, v12, vcc
	;; [unrolled: 4-line block ×4, first 2 shown]
	ds_bpermute_b32 v11, v15, v24
	ds_bpermute_b32 v25, v15, v10
	s_waitcnt lgkmcnt(0)
	v_cmp_lt_f32_e64 s[26:27], v24, v11
	v_cmp_nlt_f32_e32 vcc, v24, v11
	s_and_saveexec_b64 s[28:29], vcc
; %bb.19:                               ;   in Loop: Header=BB105_18 Depth=1
	v_cmp_eq_f32_e32 vcc, v24, v11
	v_cmp_lt_i32_e64 s[0:1], v25, v10
	s_and_b64 s[0:1], vcc, s[0:1]
	s_andn2_b64 s[26:27], s[26:27], exec
	s_and_b64 s[0:1], s[0:1], exec
	s_or_b64 s[26:27], s[26:27], s[0:1]
; %bb.20:                               ;   in Loop: Header=BB105_18 Depth=1
	s_or_b64 exec, exec, s[28:29]
	s_and_saveexec_b64 s[0:1], s[26:27]
; %bb.21:                               ;   in Loop: Header=BB105_18 Depth=1
	v_mov_b32_e32 v24, v11
	v_mov_b32_e32 v10, v25
; %bb.22:                               ;   in Loop: Header=BB105_18 Depth=1
	s_or_b64 exec, exec, s[0:1]
	ds_bpermute_b32 v11, v16, v24
	ds_bpermute_b32 v25, v16, v10
	s_waitcnt lgkmcnt(1)
	v_cmp_lt_f32_e64 s[26:27], v24, v11
	v_cmp_nlt_f32_e32 vcc, v24, v11
	s_and_saveexec_b64 s[28:29], vcc
	s_cbranch_execz .LBB105_24
; %bb.23:                               ;   in Loop: Header=BB105_18 Depth=1
	v_cmp_eq_f32_e32 vcc, v24, v11
	s_waitcnt lgkmcnt(0)
	v_cmp_lt_i32_e64 s[0:1], v25, v10
	s_and_b64 s[0:1], vcc, s[0:1]
	s_andn2_b64 s[26:27], s[26:27], exec
	s_and_b64 s[0:1], s[0:1], exec
	s_or_b64 s[26:27], s[26:27], s[0:1]
.LBB105_24:                             ;   in Loop: Header=BB105_18 Depth=1
	s_or_b64 exec, exec, s[28:29]
	s_and_saveexec_b64 s[0:1], s[26:27]
	s_cbranch_execz .LBB105_26
; %bb.25:                               ;   in Loop: Header=BB105_18 Depth=1
	v_mov_b32_e32 v24, v11
	s_waitcnt lgkmcnt(0)
	v_mov_b32_e32 v10, v25
.LBB105_26:                             ;   in Loop: Header=BB105_18 Depth=1
	s_or_b64 exec, exec, s[0:1]
	ds_bpermute_b32 v11, v17, v24
	s_waitcnt lgkmcnt(1)
	ds_bpermute_b32 v25, v17, v10
	s_waitcnt lgkmcnt(1)
	v_cmp_lt_f32_e64 s[26:27], v24, v11
	v_cmp_nlt_f32_e32 vcc, v24, v11
	s_and_saveexec_b64 s[28:29], vcc
	s_cbranch_execz .LBB105_28
; %bb.27:                               ;   in Loop: Header=BB105_18 Depth=1
	v_cmp_eq_f32_e32 vcc, v24, v11
	s_waitcnt lgkmcnt(0)
	v_cmp_lt_i32_e64 s[0:1], v25, v10
	s_and_b64 s[0:1], vcc, s[0:1]
	s_andn2_b64 s[26:27], s[26:27], exec
	s_and_b64 s[0:1], s[0:1], exec
	s_or_b64 s[26:27], s[26:27], s[0:1]
.LBB105_28:                             ;   in Loop: Header=BB105_18 Depth=1
	s_or_b64 exec, exec, s[28:29]
	s_and_saveexec_b64 s[0:1], s[26:27]
	s_cbranch_execz .LBB105_30
; %bb.29:                               ;   in Loop: Header=BB105_18 Depth=1
	v_mov_b32_e32 v24, v11
	s_waitcnt lgkmcnt(0)
	v_mov_b32_e32 v10, v25
.LBB105_30:                             ;   in Loop: Header=BB105_18 Depth=1
	s_or_b64 exec, exec, s[0:1]
	ds_bpermute_b32 v11, v18, v24
	s_waitcnt lgkmcnt(1)
	ds_bpermute_b32 v25, v18, v10
	s_waitcnt lgkmcnt(1)
	v_cmp_lt_f32_e64 s[26:27], v24, v11
	v_cmp_nlt_f32_e32 vcc, v24, v11
	s_and_saveexec_b64 s[28:29], vcc
	s_cbranch_execz .LBB105_32
; %bb.31:                               ;   in Loop: Header=BB105_18 Depth=1
	v_cmp_eq_f32_e32 vcc, v24, v11
	s_waitcnt lgkmcnt(0)
	v_cmp_lt_i32_e64 s[0:1], v25, v10
	s_and_b64 s[0:1], vcc, s[0:1]
	s_andn2_b64 s[26:27], s[26:27], exec
	s_and_b64 s[0:1], s[0:1], exec
	s_or_b64 s[26:27], s[26:27], s[0:1]
.LBB105_32:                             ;   in Loop: Header=BB105_18 Depth=1
	s_or_b64 exec, exec, s[28:29]
	s_and_saveexec_b64 s[0:1], s[26:27]
	s_cbranch_execz .LBB105_34
; %bb.33:                               ;   in Loop: Header=BB105_18 Depth=1
	v_mov_b32_e32 v24, v11
	s_waitcnt lgkmcnt(0)
	v_mov_b32_e32 v10, v25
.LBB105_34:                             ;   in Loop: Header=BB105_18 Depth=1
	s_or_b64 exec, exec, s[0:1]
	ds_bpermute_b32 v11, v19, v24
	s_waitcnt lgkmcnt(1)
	ds_bpermute_b32 v25, v19, v10
	s_waitcnt lgkmcnt(1)
	v_cmp_lt_f32_e64 s[26:27], v24, v11
	v_cmp_nlt_f32_e32 vcc, v24, v11
	s_and_saveexec_b64 s[28:29], vcc
	s_cbranch_execz .LBB105_36
; %bb.35:                               ;   in Loop: Header=BB105_18 Depth=1
	v_cmp_eq_f32_e32 vcc, v24, v11
	s_waitcnt lgkmcnt(0)
	v_cmp_lt_i32_e64 s[0:1], v25, v10
	s_and_b64 s[0:1], vcc, s[0:1]
	s_andn2_b64 s[26:27], s[26:27], exec
	s_and_b64 s[0:1], s[0:1], exec
	s_or_b64 s[26:27], s[26:27], s[0:1]
.LBB105_36:                             ;   in Loop: Header=BB105_18 Depth=1
	s_or_b64 exec, exec, s[28:29]
	s_and_saveexec_b64 s[0:1], s[26:27]
	s_cbranch_execz .LBB105_38
; %bb.37:                               ;   in Loop: Header=BB105_18 Depth=1
	v_mov_b32_e32 v24, v11
	s_waitcnt lgkmcnt(0)
	v_mov_b32_e32 v10, v25
.LBB105_38:                             ;   in Loop: Header=BB105_18 Depth=1
	s_or_b64 exec, exec, s[0:1]
	ds_bpermute_b32 v11, v20, v24
	s_waitcnt lgkmcnt(1)
	ds_bpermute_b32 v25, v20, v10
	s_waitcnt lgkmcnt(1)
	v_cmp_lt_f32_e64 s[26:27], v24, v11
	v_cmp_nlt_f32_e32 vcc, v24, v11
	s_and_saveexec_b64 s[28:29], vcc
	s_cbranch_execnz .LBB105_41
; %bb.39:                               ;   in Loop: Header=BB105_18 Depth=1
	s_or_b64 exec, exec, s[28:29]
	s_and_saveexec_b64 s[0:1], s[26:27]
	s_cbranch_execnz .LBB105_42
.LBB105_40:                             ;   in Loop: Header=BB105_18 Depth=1
	s_or_b64 exec, exec, s[0:1]
	s_and_saveexec_b64 s[26:27], s[4:5]
	s_cbranch_execz .LBB105_17
	s_branch .LBB105_43
.LBB105_41:                             ;   in Loop: Header=BB105_18 Depth=1
	v_cmp_eq_f32_e32 vcc, v24, v11
	s_waitcnt lgkmcnt(0)
	v_cmp_lt_i32_e64 s[0:1], v25, v10
	s_and_b64 s[0:1], vcc, s[0:1]
	s_andn2_b64 s[26:27], s[26:27], exec
	s_and_b64 s[0:1], s[0:1], exec
	s_or_b64 s[26:27], s[26:27], s[0:1]
	s_or_b64 exec, exec, s[28:29]
	s_and_saveexec_b64 s[0:1], s[26:27]
	s_cbranch_execz .LBB105_40
.LBB105_42:                             ;   in Loop: Header=BB105_18 Depth=1
	s_waitcnt lgkmcnt(0)
	v_mov_b32_e32 v10, v25
	v_mov_b32_e32 v24, v11
	s_or_b64 exec, exec, s[0:1]
	s_and_saveexec_b64 s[26:27], s[4:5]
	s_cbranch_execz .LBB105_17
.LBB105_43:                             ;   in Loop: Header=BB105_18 Depth=1
	s_and_b64 vcc, exec, s[6:7]
	s_cbranch_vccnz .LBB105_16
; %bb.44:                               ;   in Loop: Header=BB105_18 Depth=1
	v_ashrrev_i32_e32 v11, 31, v10
	v_lshl_add_u64 v[26:27], v[10:11], 2, s[10:11]
	global_load_dword v11, v[26:27], off
	s_waitcnt vmcnt(0)
	v_sub_f32_e32 v24, v24, v11
	s_branch .LBB105_16
.LBB105_45:
	v_mov_b32_e32 v7, 0
.LBB105_46:
	v_cmp_eq_u32_e32 vcc, 0, v8
	s_and_b64 exec, exec, vcc
	s_cbranch_execz .LBB105_59
; %bb.47:
	s_andn2_b64 vcc, exec, s[2:3]
	v_cvt_f32_f64_e32 v0, s[8:9]
	s_cbranch_vccnz .LBB105_49
; %bb.48:
	v_cmp_lt_f32_e32 vcc, 0, v7
	s_nop 1
	v_cndmask_b32_e32 v1, 1.0, v7, vcc
	v_div_scale_f32 v2, s[0:1], v1, v1, v0
	v_rcp_f32_e32 v3, v2
	s_nop 0
	v_fma_f32 v4, -v2, v3, 1.0
	v_fmac_f32_e32 v3, v4, v3
	v_div_scale_f32 v4, vcc, v0, v1, v0
	v_mul_f32_e32 v5, v4, v3
	v_fma_f32 v7, -v2, v5, v4
	v_fmac_f32_e32 v5, v7, v3
	v_fma_f32 v2, -v2, v5, v4
	v_div_fmas_f32 v2, v2, v3, v5
	v_div_fixup_f32 v0, v2, v1, v0
.LBB105_49:
	s_andn2_b64 vcc, exec, s[24:25]
	s_cbranch_vccnz .LBB105_59
; %bb.50:
	v_mul_lo_u32 v2, v6, s12
	s_cmp_gt_u32 s12, 3
	v_ashrrev_i32_e32 v3, 31, v2
	s_cbranch_scc0 .LBB105_54
; %bb.51:
	s_and_b32 s0, s12, 0x7ffffffc
	v_lshl_add_u64 v[4:5], v[2:3], 2, s[20:21]
	v_mov_b32_e32 v1, v0
	v_lshl_add_u64 v[4:5], v[4:5], 0, 8
	s_mov_b32 s1, s0
.LBB105_52:                             ; =>This Inner Loop Header: Depth=1
	global_load_dwordx4 v[6:9], v[4:5], off offset:-8
	s_add_i32 s1, s1, -4
	s_cmp_lg_u32 s1, 0
	s_waitcnt vmcnt(0)
	v_pk_mul_f32 v[6:7], v[0:1], v[6:7]
	v_pk_mul_f32 v[8:9], v[0:1], v[8:9]
	global_store_dwordx4 v[4:5], v[6:9], off offset:-8
	v_lshl_add_u64 v[4:5], v[4:5], 0, 16
	s_cbranch_scc1 .LBB105_52
; %bb.53:
	s_cmp_lg_u32 s0, s12
	s_cselect_b64 s[2:3], -1, 0
	s_branch .LBB105_56
.LBB105_54:
	s_mov_b64 s[2:3], 0
                                        ; implicit-def: $sgpr0
	s_cbranch_execz .LBB105_56
; %bb.55:
	s_mov_b64 s[2:3], -1
	s_mov_b32 s0, 0
.LBB105_56:
	s_andn2_b64 vcc, exec, s[2:3]
	s_cbranch_vccnz .LBB105_59
; %bb.57:
	s_mov_b32 s1, 0
	v_lshl_add_u64 v[2:3], v[2:3], 0, s[0:1]
	s_sub_i32 s2, s12, s0
	v_lshl_add_u64 v[2:3], v[2:3], 2, s[20:21]
.LBB105_58:                             ; =>This Inner Loop Header: Depth=1
	global_load_dword v1, v[2:3], off
	s_add_i32 s2, s2, -1
	s_cmp_lg_u32 s2, 0
	s_waitcnt vmcnt(0)
	v_mul_f32_e32 v1, v0, v1
	global_store_dword v[2:3], v1, off
	v_lshl_add_u64 v[2:3], v[2:3], 0, 4
	s_cbranch_scc1 .LBB105_58
.LBB105_59:
	s_endpgm
	.section	.rodata,"a",@progbits
	.p2align	6, 0x0
	.amdhsa_kernel _ZN4vllm3moe22topkGatingSoftplusSqrtILi5ELi320ELi4ELi4ELi64ELb0EjfEEvPKT6_PKbPfiPT5_PiiiibdPKfPKS8_SE_
		.amdhsa_group_segment_fixed_size 0
		.amdhsa_private_segment_fixed_size 0
		.amdhsa_kernarg_size 96
		.amdhsa_user_sgpr_count 2
		.amdhsa_user_sgpr_dispatch_ptr 0
		.amdhsa_user_sgpr_queue_ptr 0
		.amdhsa_user_sgpr_kernarg_segment_ptr 1
		.amdhsa_user_sgpr_dispatch_id 0
		.amdhsa_user_sgpr_kernarg_preload_length 0
		.amdhsa_user_sgpr_kernarg_preload_offset 0
		.amdhsa_user_sgpr_private_segment_size 0
		.amdhsa_uses_dynamic_stack 0
		.amdhsa_enable_private_segment 0
		.amdhsa_system_sgpr_workgroup_id_x 1
		.amdhsa_system_sgpr_workgroup_id_y 0
		.amdhsa_system_sgpr_workgroup_id_z 0
		.amdhsa_system_sgpr_workgroup_info 0
		.amdhsa_system_vgpr_workitem_id 1
		.amdhsa_next_free_vgpr 30
		.amdhsa_next_free_sgpr 31
		.amdhsa_accum_offset 32
		.amdhsa_reserve_vcc 1
		.amdhsa_float_round_mode_32 0
		.amdhsa_float_round_mode_16_64 0
		.amdhsa_float_denorm_mode_32 3
		.amdhsa_float_denorm_mode_16_64 3
		.amdhsa_dx10_clamp 1
		.amdhsa_ieee_mode 1
		.amdhsa_fp16_overflow 0
		.amdhsa_tg_split 0
		.amdhsa_exception_fp_ieee_invalid_op 0
		.amdhsa_exception_fp_denorm_src 0
		.amdhsa_exception_fp_ieee_div_zero 0
		.amdhsa_exception_fp_ieee_overflow 0
		.amdhsa_exception_fp_ieee_underflow 0
		.amdhsa_exception_fp_ieee_inexact 0
		.amdhsa_exception_int_div_zero 0
	.end_amdhsa_kernel
	.section	.text._ZN4vllm3moe22topkGatingSoftplusSqrtILi5ELi320ELi4ELi4ELi64ELb0EjfEEvPKT6_PKbPfiPT5_PiiiibdPKfPKS8_SE_,"axG",@progbits,_ZN4vllm3moe22topkGatingSoftplusSqrtILi5ELi320ELi4ELi4ELi64ELb0EjfEEvPKT6_PKbPfiPT5_PiiiibdPKfPKS8_SE_,comdat
.Lfunc_end105:
	.size	_ZN4vllm3moe22topkGatingSoftplusSqrtILi5ELi320ELi4ELi4ELi64ELb0EjfEEvPKT6_PKbPfiPT5_PiiiibdPKfPKS8_SE_, .Lfunc_end105-_ZN4vllm3moe22topkGatingSoftplusSqrtILi5ELi320ELi4ELi4ELi64ELb0EjfEEvPKT6_PKbPfiPT5_PiiiibdPKfPKS8_SE_
                                        ; -- End function
	.section	.AMDGPU.csdata,"",@progbits
; Kernel info:
; codeLenInByte = 3332
; NumSgprs: 37
; NumVgprs: 30
; NumAgprs: 0
; TotalNumVgprs: 30
; ScratchSize: 0
; MemoryBound: 0
; FloatMode: 240
; IeeeMode: 1
; LDSByteSize: 0 bytes/workgroup (compile time only)
; SGPRBlocks: 4
; VGPRBlocks: 3
; NumSGPRsForWavesPerEU: 37
; NumVGPRsForWavesPerEU: 30
; AccumOffset: 32
; Occupancy: 8
; WaveLimiterHint : 1
; COMPUTE_PGM_RSRC2:SCRATCH_EN: 0
; COMPUTE_PGM_RSRC2:USER_SGPR: 2
; COMPUTE_PGM_RSRC2:TRAP_HANDLER: 0
; COMPUTE_PGM_RSRC2:TGID_X_EN: 1
; COMPUTE_PGM_RSRC2:TGID_Y_EN: 0
; COMPUTE_PGM_RSRC2:TGID_Z_EN: 0
; COMPUTE_PGM_RSRC2:TIDIG_COMP_CNT: 1
; COMPUTE_PGM_RSRC3_GFX90A:ACCUM_OFFSET: 7
; COMPUTE_PGM_RSRC3_GFX90A:TG_SPLIT: 0
	.section	.text._ZN4vllm3moe22topkGatingSoftplusSqrtILi10ELi320ELi4ELi4ELi32ELb1EjfEEvPKT6_PKbPfiPT5_PiiiibdPKfPKS8_SE_,"axG",@progbits,_ZN4vllm3moe22topkGatingSoftplusSqrtILi10ELi320ELi4ELi4ELi32ELb1EjfEEvPKT6_PKbPfiPT5_PiiiibdPKfPKS8_SE_,comdat
	.protected	_ZN4vllm3moe22topkGatingSoftplusSqrtILi10ELi320ELi4ELi4ELi32ELb1EjfEEvPKT6_PKbPfiPT5_PiiiibdPKfPKS8_SE_ ; -- Begin function _ZN4vllm3moe22topkGatingSoftplusSqrtILi10ELi320ELi4ELi4ELi32ELb1EjfEEvPKT6_PKbPfiPT5_PiiiibdPKfPKS8_SE_
	.globl	_ZN4vllm3moe22topkGatingSoftplusSqrtILi10ELi320ELi4ELi4ELi32ELb1EjfEEvPKT6_PKbPfiPT5_PiiiibdPKfPKS8_SE_
	.p2align	8
	.type	_ZN4vllm3moe22topkGatingSoftplusSqrtILi10ELi320ELi4ELi4ELi32ELb1EjfEEvPKT6_PKbPfiPT5_PiiiibdPKfPKS8_SE_,@function
_ZN4vllm3moe22topkGatingSoftplusSqrtILi10ELi320ELi4ELi4ELi32ELb1EjfEEvPKT6_PKbPfiPT5_PiiiibdPKfPKS8_SE_: ; @_ZN4vllm3moe22topkGatingSoftplusSqrtILi10ELi320ELi4ELi4ELi32ELb1EjfEEvPKT6_PKbPfiPT5_PiiiibdPKfPKS8_SE_
; %bb.0:
	s_load_dword s3, s[0:1], 0x18
	v_and_b32_e32 v1, 0x3ff, v0
	s_lshl_b32 s2, s2, 2
	v_lshrrev_b32_e32 v2, 5, v1
	v_bfe_u32 v0, v0, 10, 10
	v_add3_u32 v10, s2, v0, v2
	s_waitcnt lgkmcnt(0)
	v_cmp_gt_i32_e32 vcc, s3, v10
	s_and_saveexec_b64 s[2:3], vcc
	s_cbranch_execz .LBB106_32
; %bb.1:
	s_load_dwordx2 s[2:3], s[0:1], 0x0
	s_load_dword s19, s[0:1], 0x30
	s_load_dwordx4 s[8:11], s[0:1], 0x50
	s_movk_i32 s4, 0x140
	v_mul_lo_u32 v2, v10, s4
	v_ashrrev_i32_e32 v3, 31, v2
	v_and_b32_e32 v20, 31, v1
	s_waitcnt lgkmcnt(0)
	v_lshl_add_u64 v[2:3], v[2:3], 2, s[2:3]
	v_lshlrev_b32_e32 v14, 2, v20
	v_mov_b32_e32 v15, 0
	v_lshl_add_u64 v[0:1], v[2:3], 0, v[14:15]
	global_load_dword v6, v[0:1], off
	global_load_dword v7, v[0:1], off offset:128
	global_load_dword v8, v[0:1], off offset:256
	;; [unrolled: 1-line block ×3, first 2 shown]
	v_mov_b32_e32 v2, s8
	v_mov_b32_e32 v3, s9
	v_ashrrev_i32_e32 v11, 31, v10
	v_lshl_add_u64 v[2:3], v[10:11], 2, v[2:3]
	global_load_dword v11, v[2:3], off
	global_load_dword v17, v[0:1], off offset:512
	global_load_dword v18, v[0:1], off offset:640
	;; [unrolled: 1-line block ×4, first 2 shown]
	s_mov_b32 s17, 0x800000
	global_load_dword v22, v[0:1], off offset:1024
	global_load_dword v23, v[0:1], off offset:1152
	v_mov_b32_e32 v12, 0x4f800000
	s_mov_b32 s15, 0x3f317217
	s_mov_b32 s16, 0x7f800000
	v_mov_b32_e32 v13, 0x41b17218
	s_mov_b32 s13, 0x41a00000
	s_mov_b32 s14, 0xf800000
	v_mov_b32_e32 v16, 0x260
	s_cmp_gt_i32 s19, 0
	s_mov_b32 s12, 0
	v_mul_lo_u32 v10, v10, s19
	s_waitcnt vmcnt(10)
	v_mul_f32_e32 v2, 0x3fb8aa3b, v6
	s_waitcnt vmcnt(9)
	v_mul_f32_e32 v3, 0x3fb8aa3b, v7
	v_exp_f32_e32 v2, v2
	v_exp_f32_e32 v3, v3
	s_waitcnt vmcnt(8)
	v_mul_f32_e32 v4, 0x3fb8aa3b, v8
	s_waitcnt vmcnt(7)
	v_mul_f32_e32 v5, 0x3fb8aa3b, v9
	v_exp_f32_e32 v4, v4
	v_exp_f32_e32 v5, v5
	v_pk_add_f32 v[0:1], v[2:3], 1.0 op_sel_hi:[1,0]
	s_waitcnt vmcnt(6)
	v_mul_lo_u32 v14, v11, s19
	v_cmp_gt_f32_e32 vcc, s17, v1
	v_pk_add_f32 v[2:3], v[4:5], 1.0 op_sel_hi:[1,0]
	v_cmp_gt_f32_e64 s[2:3], s17, v0
	v_cndmask_b32_e32 v4, 1.0, v12, vcc
	v_mul_f32_e32 v1, v1, v4
	v_cndmask_b32_e64 v5, 1.0, v12, s[2:3]
	v_mul_f32_e32 v0, v0, v5
	v_log_f32_e32 v1, v1
	v_log_f32_e32 v0, v0
	v_cmp_gt_f32_e64 s[4:5], s17, v3
	v_cmp_gt_f32_e64 s[6:7], s17, v2
	v_cndmask_b32_e32 v4, 0, v13, vcc
	v_cndmask_b32_e64 v11, 1.0, v12, s[4:5]
	v_cndmask_b32_e64 v24, 1.0, v12, s[6:7]
	v_mul_f32_e32 v3, v3, v11
	v_mul_f32_e32 v11, 0x3f317217, v1
	;; [unrolled: 1-line block ×4, first 2 shown]
	v_fma_f32 v11, v1, s15, -v11
	v_fma_f32 v24, v0, s15, -v24
	v_fmac_f32_e32 v11, 0x3377d1cf, v1
	v_fmac_f32_e32 v24, 0x3377d1cf, v0
	;; [unrolled: 1-line block ×3, first 2 shown]
	v_cmp_lt_f32_e64 vcc, |v1|, s16
	v_fmac_f32_e32 v24, 0x3f317217, v0
	v_cndmask_b32_e64 v5, 0, v13, s[2:3]
	v_cndmask_b32_e32 v1, v1, v11, vcc
	v_cmp_lt_f32_e64 vcc, |v0|, s16
	v_sub_f32_e32 v1, v1, v4
	v_log_f32_e32 v3, v3
	v_cndmask_b32_e32 v0, v0, v24, vcc
	v_sub_f32_e32 v0, v0, v5
	v_cmp_lt_f32_e32 vcc, s13, v6
	v_mul_f32_e32 v25, 0x3f317217, v3
	v_log_f32_e32 v2, v2
	v_cndmask_b32_e32 v0, v0, v6, vcc
	v_cmp_lt_f32_e32 vcc, s13, v7
	v_mul_f32_e32 v5, 0x4f800000, v0
	v_cmp_gt_f32_e64 s[2:3], s14, v0
	v_cndmask_b32_e32 v1, v1, v7, vcc
	v_mul_f32_e32 v4, 0x4f800000, v1
	v_cmp_gt_f32_e32 vcc, s14, v1
	v_cndmask_b32_e64 v0, v0, v5, s[2:3]
	v_sqrt_f32_e32 v5, v0
	v_cndmask_b32_e32 v1, v1, v4, vcc
	v_sqrt_f32_e32 v4, v1
	v_fma_f32 v25, v3, s15, -v25
	v_add_u32_e32 v11, -1, v5
	v_fma_f32 v28, -v11, v5, v0
	v_add_u32_e32 v6, -1, v4
	v_fma_f32 v26, -v6, v4, v1
	v_add_u32_e32 v7, 1, v4
	v_cmp_ge_f32_e64 s[8:9], 0, v26
	v_add_u32_e32 v24, 1, v5
	v_fma_f32 v27, -v7, v4, v1
	v_cndmask_b32_e64 v4, v4, v6, s[8:9]
	v_cmp_ge_f32_e64 s[8:9], 0, v28
	v_fma_f32 v29, -v24, v5, v0
	v_fmac_f32_e32 v25, 0x3377d1cf, v3
	v_cndmask_b32_e64 v5, v5, v11, s[8:9]
	v_cmp_lt_f32_e64 s[8:9], 0, v27
	v_fmac_f32_e32 v25, 0x3f317217, v3
	s_nop 0
	v_cndmask_b32_e64 v4, v4, v7, s[8:9]
	v_cmp_lt_f32_e64 s[8:9], 0, v29
	v_mul_f32_e32 v6, 0x37800000, v4
	v_cndmask_b32_e32 v4, v4, v6, vcc
	v_cndmask_b32_e64 v5, v5, v24, s[8:9]
	v_mul_f32_e32 v7, 0x37800000, v5
	v_cmp_class_f32_e32 vcc, v1, v16
	v_cndmask_b32_e64 v5, v5, v7, s[2:3]
	v_cmp_lt_f32_e64 s[2:3], s13, v8
	v_cndmask_b32_e32 v1, v4, v1, vcc
	v_cmp_class_f32_e32 vcc, v0, v16
	v_cndmask_b32_e64 v4, 0, v13, s[4:5]
	s_nop 0
	v_cndmask_b32_e32 v0, v5, v0, vcc
	v_cmp_lt_f32_e64 vcc, |v3|, s16
	s_nop 1
	v_cndmask_b32_e32 v3, v3, v25, vcc
	v_sub_f32_e32 v3, v3, v4
	v_mul_f32_e32 v4, 0x3f317217, v2
	v_fma_f32 v4, v2, s15, -v4
	v_fmac_f32_e32 v4, 0x3377d1cf, v2
	v_fmac_f32_e32 v4, 0x3f317217, v2
	v_cmp_lt_f32_e64 vcc, |v2|, s16
	s_nop 1
	v_cndmask_b32_e32 v2, v2, v4, vcc
	v_cmp_lt_f32_e32 vcc, s13, v9
	v_cndmask_b32_e64 v4, 0, v13, s[6:7]
	v_sub_f32_e32 v2, v2, v4
	v_cndmask_b32_e32 v3, v3, v9, vcc
	v_mul_f32_e32 v5, 0x4f800000, v3
	v_cmp_gt_f32_e32 vcc, s14, v3
	v_cndmask_b32_e64 v2, v2, v8, s[2:3]
	s_nop 0
	v_cndmask_b32_e32 v3, v3, v5, vcc
	v_sqrt_f32_e32 v5, v3
	s_nop 0
	v_add_u32_e32 v4, -1, v5
	v_fma_f32 v6, -v4, v5, v3
	v_cmp_ge_f32_e64 s[2:3], 0, v6
	v_add_u32_e32 v6, 1, v5
	s_nop 0
	v_cndmask_b32_e64 v4, v5, v4, s[2:3]
	v_fma_f32 v5, -v6, v5, v3
	v_cmp_lt_f32_e64 s[2:3], 0, v5
	s_nop 1
	v_cndmask_b32_e64 v4, v4, v6, s[2:3]
	v_mul_f32_e32 v6, 0x4f800000, v2
	v_cmp_gt_f32_e64 s[2:3], s14, v2
	v_mul_f32_e32 v5, 0x37800000, v4
	v_cndmask_b32_e32 v4, v4, v5, vcc
	v_cndmask_b32_e64 v2, v2, v6, s[2:3]
	v_sqrt_f32_e32 v6, v2
	v_cmp_class_f32_e32 vcc, v3, v16
	v_add_u32_e32 v8, 1, v6
	s_nop 0
	v_cndmask_b32_e32 v3, v4, v3, vcc
	v_add_u32_e32 v4, -1, v6
	v_fma_f32 v5, -v4, v6, v2
	v_cmp_ge_f32_e32 vcc, 0, v5
	s_waitcnt vmcnt(4)
	v_mul_f32_e32 v5, 0x3fb8aa3b, v18
	v_exp_f32_e32 v5, v5
	v_cndmask_b32_e32 v7, v6, v4, vcc
	v_mul_f32_e32 v4, 0x3fb8aa3b, v17
	v_exp_f32_e32 v4, v4
	v_fma_f32 v6, -v8, v6, v2
	v_cmp_lt_f32_e32 vcc, 0, v6
	v_pk_add_f32 v[4:5], v[4:5], 1.0 op_sel_hi:[1,0]
	s_nop 0
	v_cndmask_b32_e32 v6, v7, v8, vcc
	v_cmp_gt_f32_e32 vcc, s17, v5
	v_mul_f32_e32 v7, 0x37800000, v6
	v_cndmask_b32_e64 v6, v6, v7, s[2:3]
	v_cndmask_b32_e32 v8, 1.0, v12, vcc
	v_mul_f32_e32 v5, v5, v8
	v_log_f32_e32 v5, v5
	v_cmp_class_f32_e64 s[2:3], v2, v16
	v_cmp_lt_f32_e64 s[4:5], |v5|, s16
	s_nop 0
	v_cndmask_b32_e64 v2, v6, v2, s[2:3]
	v_cmp_gt_f32_e64 s[2:3], s17, v4
	v_mul_f32_e32 v6, 0x3f317217, v5
	v_fma_f32 v6, v5, s15, -v6
	v_cndmask_b32_e64 v7, 1.0, v12, s[2:3]
	v_mul_f32_e32 v4, v4, v7
	v_log_f32_e32 v4, v4
	v_fmac_f32_e32 v6, 0x3377d1cf, v5
	v_fmac_f32_e32 v6, 0x3f317217, v5
	v_cndmask_b32_e64 v5, v5, v6, s[4:5]
	v_cndmask_b32_e32 v6, 0, v13, vcc
	v_sub_f32_e32 v5, v5, v6
	v_mul_f32_e32 v6, 0x3f317217, v4
	v_fma_f32 v6, v4, s15, -v6
	v_fmac_f32_e32 v6, 0x3377d1cf, v4
	v_fmac_f32_e32 v6, 0x3f317217, v4
	v_cmp_lt_f32_e64 vcc, |v4|, s16
	s_nop 1
	v_cndmask_b32_e32 v4, v4, v6, vcc
	v_cmp_lt_f32_e32 vcc, s13, v18
	v_cndmask_b32_e64 v6, 0, v13, s[2:3]
	v_sub_f32_e32 v4, v4, v6
	v_cndmask_b32_e32 v5, v5, v18, vcc
	v_mul_f32_e32 v7, 0x4f800000, v5
	v_cmp_gt_f32_e32 vcc, s14, v5
	v_cmp_lt_f32_e64 s[2:3], s13, v17
	s_nop 0
	v_cndmask_b32_e32 v5, v5, v7, vcc
	v_sqrt_f32_e32 v7, v5
	v_cndmask_b32_e64 v4, v4, v17, s[2:3]
	v_add_u32_e32 v6, -1, v7
	v_fma_f32 v8, -v6, v7, v5
	v_cmp_ge_f32_e64 s[2:3], 0, v8
	v_add_u32_e32 v8, 1, v7
	s_nop 0
	v_cndmask_b32_e64 v6, v7, v6, s[2:3]
	v_fma_f32 v7, -v8, v7, v5
	v_cmp_lt_f32_e64 s[2:3], 0, v7
	s_nop 1
	v_cndmask_b32_e64 v6, v6, v8, s[2:3]
	v_mul_f32_e32 v8, 0x4f800000, v4
	v_cmp_gt_f32_e64 s[2:3], s14, v4
	v_mul_f32_e32 v7, 0x37800000, v6
	v_cndmask_b32_e32 v6, v6, v7, vcc
	v_cndmask_b32_e64 v4, v4, v8, s[2:3]
	v_sqrt_f32_e32 v8, v4
	v_cmp_class_f32_e32 vcc, v5, v16
	v_add_u32_e32 v11, 1, v8
	s_nop 0
	v_cndmask_b32_e32 v5, v6, v5, vcc
	v_add_u32_e32 v6, -1, v8
	v_fma_f32 v7, -v6, v8, v4
	v_cmp_ge_f32_e32 vcc, 0, v7
	s_waitcnt vmcnt(2)
	v_mul_f32_e32 v7, 0x3fb8aa3b, v21
	v_exp_f32_e32 v7, v7
	v_cndmask_b32_e32 v9, v8, v6, vcc
	v_mul_f32_e32 v6, 0x3fb8aa3b, v19
	v_exp_f32_e32 v6, v6
	v_fma_f32 v8, -v11, v8, v4
	v_cmp_lt_f32_e32 vcc, 0, v8
	v_pk_add_f32 v[6:7], v[6:7], 1.0 op_sel_hi:[1,0]
	s_nop 0
	v_cndmask_b32_e32 v8, v9, v11, vcc
	v_cmp_gt_f32_e32 vcc, s17, v7
	v_mul_f32_e32 v9, 0x37800000, v8
	v_cndmask_b32_e64 v8, v8, v9, s[2:3]
	v_cndmask_b32_e32 v11, 1.0, v12, vcc
	v_mul_f32_e32 v7, v7, v11
	v_log_f32_e32 v7, v7
	v_cmp_class_f32_e64 s[2:3], v4, v16
	v_cmp_lt_f32_e64 s[4:5], |v7|, s16
	s_nop 0
	v_cndmask_b32_e64 v4, v8, v4, s[2:3]
	v_cmp_gt_f32_e64 s[2:3], s17, v6
	v_mul_f32_e32 v8, 0x3f317217, v7
	v_fma_f32 v8, v7, s15, -v8
	v_cndmask_b32_e64 v9, 1.0, v12, s[2:3]
	v_mul_f32_e32 v6, v6, v9
	v_log_f32_e32 v6, v6
	v_fmac_f32_e32 v8, 0x3377d1cf, v7
	v_fmac_f32_e32 v8, 0x3f317217, v7
	v_cndmask_b32_e64 v7, v7, v8, s[4:5]
	v_cndmask_b32_e32 v8, 0, v13, vcc
	v_sub_f32_e32 v7, v7, v8
	v_mul_f32_e32 v8, 0x3f317217, v6
	v_fma_f32 v8, v6, s15, -v8
	v_fmac_f32_e32 v8, 0x3377d1cf, v6
	v_fmac_f32_e32 v8, 0x3f317217, v6
	v_cmp_lt_f32_e64 vcc, |v6|, s16
	s_nop 1
	v_cndmask_b32_e32 v6, v6, v8, vcc
	v_cmp_lt_f32_e32 vcc, s13, v21
	v_cndmask_b32_e64 v8, 0, v13, s[2:3]
	v_sub_f32_e32 v6, v6, v8
	v_cndmask_b32_e32 v7, v7, v21, vcc
	v_mul_f32_e32 v9, 0x4f800000, v7
	v_cmp_gt_f32_e32 vcc, s14, v7
	v_cmp_lt_f32_e64 s[2:3], s13, v19
	s_nop 0
	v_cndmask_b32_e32 v7, v7, v9, vcc
	v_sqrt_f32_e32 v9, v7
	v_cndmask_b32_e64 v6, v6, v19, s[2:3]
	v_add_u32_e32 v8, -1, v9
	v_fma_f32 v11, -v8, v9, v7
	v_cmp_ge_f32_e64 s[2:3], 0, v11
	v_add_u32_e32 v11, 1, v9
	s_nop 0
	v_cndmask_b32_e64 v8, v9, v8, s[2:3]
	v_fma_f32 v9, -v11, v9, v7
	v_cmp_lt_f32_e64 s[2:3], 0, v9
	s_nop 1
	v_cndmask_b32_e64 v8, v8, v11, s[2:3]
	v_mul_f32_e32 v11, 0x4f800000, v6
	v_cmp_gt_f32_e64 s[2:3], s14, v6
	v_mul_f32_e32 v9, 0x37800000, v8
	v_cndmask_b32_e32 v8, v8, v9, vcc
	v_cndmask_b32_e64 v6, v6, v11, s[2:3]
	v_sqrt_f32_e32 v11, v6
	v_cmp_class_f32_e32 vcc, v7, v16
	v_add_u32_e32 v18, 1, v11
	s_nop 0
	v_cndmask_b32_e32 v7, v8, v7, vcc
	v_add_u32_e32 v8, -1, v11
	v_fma_f32 v9, -v8, v11, v6
	v_cmp_ge_f32_e32 vcc, 0, v9
	s_waitcnt vmcnt(0)
	v_mul_f32_e32 v9, 0x3fb8aa3b, v23
	v_exp_f32_e32 v9, v9
	v_cndmask_b32_e32 v17, v11, v8, vcc
	v_mul_f32_e32 v8, 0x3fb8aa3b, v22
	v_exp_f32_e32 v8, v8
	v_fma_f32 v11, -v18, v11, v6
	v_cmp_lt_f32_e32 vcc, 0, v11
	v_pk_add_f32 v[8:9], v[8:9], 1.0 op_sel_hi:[1,0]
	s_nop 0
	v_cndmask_b32_e32 v11, v17, v18, vcc
	v_cmp_gt_f32_e32 vcc, s17, v9
	v_mul_f32_e32 v17, 0x37800000, v11
	v_cndmask_b32_e64 v11, v11, v17, s[2:3]
	v_cndmask_b32_e32 v18, 1.0, v12, vcc
	v_mul_f32_e32 v9, v9, v18
	v_log_f32_e32 v9, v9
	v_cmp_class_f32_e64 s[2:3], v6, v16
	v_cmp_lt_f32_e64 s[4:5], |v9|, s16
	s_nop 0
	v_cndmask_b32_e64 v6, v11, v6, s[2:3]
	v_cmp_gt_f32_e64 s[2:3], s17, v8
	v_mul_f32_e32 v11, 0x3f317217, v9
	v_fma_f32 v11, v9, s15, -v11
	v_cndmask_b32_e64 v12, 1.0, v12, s[2:3]
	v_mul_f32_e32 v8, v8, v12
	v_log_f32_e32 v8, v8
	v_fmac_f32_e32 v11, 0x3377d1cf, v9
	v_fmac_f32_e32 v11, 0x3f317217, v9
	v_cndmask_b32_e64 v9, v9, v11, s[4:5]
	v_cndmask_b32_e32 v11, 0, v13, vcc
	v_sub_f32_e32 v9, v9, v11
	v_mul_f32_e32 v11, 0x3f317217, v8
	v_fma_f32 v11, v8, s15, -v11
	v_fmac_f32_e32 v11, 0x3377d1cf, v8
	v_fmac_f32_e32 v11, 0x3f317217, v8
	v_cmp_lt_f32_e64 vcc, |v8|, s16
	s_cselect_b64 s[4:5], -1, 0
	s_cmp_lt_i32 s19, 1
	v_cndmask_b32_e32 v8, v8, v11, vcc
	v_cmp_lt_f32_e32 vcc, s13, v23
	v_cndmask_b32_e64 v11, 0, v13, s[2:3]
	v_sub_f32_e32 v8, v8, v11
	v_cndmask_b32_e32 v9, v9, v23, vcc
	v_mul_f32_e32 v12, 0x4f800000, v9
	v_cmp_gt_f32_e32 vcc, s14, v9
	v_cmp_lt_f32_e64 s[2:3], s13, v22
	s_nop 0
	v_cndmask_b32_e32 v9, v9, v12, vcc
	v_sqrt_f32_e32 v12, v9
	v_cndmask_b32_e64 v8, v8, v22, s[2:3]
	v_add_u32_e32 v11, -1, v12
	v_fma_f32 v13, -v11, v12, v9
	v_cmp_ge_f32_e64 s[2:3], 0, v13
	v_add_u32_e32 v13, 1, v12
	s_nop 0
	v_cndmask_b32_e64 v11, v12, v11, s[2:3]
	v_fma_f32 v12, -v13, v12, v9
	v_cmp_lt_f32_e64 s[2:3], 0, v12
	s_nop 1
	v_cndmask_b32_e64 v11, v11, v13, s[2:3]
	v_mul_f32_e32 v13, 0x4f800000, v8
	v_cmp_gt_f32_e64 s[2:3], s14, v8
	v_mul_f32_e32 v12, 0x37800000, v11
	v_cndmask_b32_e32 v11, v11, v12, vcc
	v_cndmask_b32_e64 v8, v8, v13, s[2:3]
	v_sqrt_f32_e32 v13, v8
	v_cmp_class_f32_e32 vcc, v9, v16
	s_nop 1
	v_cndmask_b32_e32 v9, v11, v9, vcc
	v_add_u32_e32 v11, -1, v13
	v_fma_f32 v12, -v11, v13, v8
	v_cmp_ge_f32_e32 vcc, 0, v12
	v_add_u32_e32 v12, 1, v13
	s_nop 0
	v_cndmask_b32_e32 v11, v13, v11, vcc
	v_fma_f32 v13, -v12, v13, v8
	v_cmp_lt_f32_e32 vcc, 0, v13
	s_nop 1
	v_cndmask_b32_e32 v11, v11, v12, vcc
	v_mul_f32_e32 v12, 0x37800000, v11
	v_cndmask_b32_e64 v11, v11, v12, s[2:3]
	v_cmp_class_f32_e32 vcc, v8, v16
	v_lshl_add_u64 v[12:13], v[14:15], 2, s[10:11]
	s_nop 0
	v_cndmask_b32_e32 v8, v11, v8, vcc
	s_cbranch_scc1 .LBB106_29
; %bb.2:
	s_load_dwordx2 s[6:7], s[0:1], 0x20
	s_cmp_lt_u32 s19, 4
	s_cbranch_scc1 .LBB106_21
; %bb.3:
	s_mov_b32 s9, 0
	s_and_b32 s12, s19, 0x7ffffffc
	v_ashrrev_i32_e32 v11, 31, v10
	v_mov_b32_e32 v15, 0
	s_mov_b32 s8, s9
	s_branch .LBB106_5
.LBB106_4:                              ;   in Loop: Header=BB106_5 Depth=1
	s_or_b64 exec, exec, s[10:11]
	s_add_i32 s8, s8, 4
	s_cmp_eq_u32 s8, s12
	s_cbranch_scc1 .LBB106_22
.LBB106_5:                              ; =>This Loop Header: Depth=1
                                        ;     Child Loop BB106_7 Depth 2
                                        ;     Child Loop BB106_11 Depth 2
	;; [unrolled: 1-line block ×4, first 2 shown]
	v_lshl_add_u64 v[16:17], s[8:9], 2, v[12:13]
	global_load_dword v14, v[16:17], off
	v_add_u32_e32 v18, s8, v10
	v_ashrrev_i32_e32 v19, 31, v18
	s_waitcnt lgkmcnt(0)
	v_lshl_add_u64 v[18:19], v[18:19], 2, s[6:7]
	s_mov_b64 s[10:11], 0
	v_mov_b32_e32 v21, v20
	s_mov_b64 s[14:15], 0
	s_waitcnt vmcnt(0)
	s_branch .LBB106_7
.LBB106_6:                              ;   in Loop: Header=BB106_7 Depth=2
	s_or_b64 exec, exec, s[16:17]
	s_cmp_gt_u32 s14, 8
	s_cselect_b64 s[2:3], -1, 0
	s_xor_b64 s[16:17], vcc, -1
	s_or_b64 s[2:3], s[16:17], s[2:3]
	s_add_u32 s14, s14, 1
	s_addc_u32 s15, s15, 0
	s_and_b64 s[2:3], exec, s[2:3]
	s_or_b64 s[10:11], s[2:3], s[10:11]
	v_add_u32_e32 v21, 32, v21
	s_andn2_b64 exec, exec, s[10:11]
	s_cbranch_execz .LBB106_9
.LBB106_7:                              ;   Parent Loop BB106_5 Depth=1
                                        ; =>  This Inner Loop Header: Depth=2
	v_cmp_ne_u32_e32 vcc, v14, v21
	v_cmp_eq_u32_e64 s[2:3], v14, v21
	s_and_saveexec_b64 s[16:17], s[2:3]
	s_cbranch_execz .LBB106_6
; %bb.8:                                ;   in Loop: Header=BB106_7 Depth=2
	s_set_gpr_idx_on s14, gpr_idx(SRC0)
	v_mov_b32_e32 v22, v0
	s_set_gpr_idx_off
	v_add_f32_e32 v15, v15, v22
	global_store_dword v[18:19], v14, off
	s_branch .LBB106_6
.LBB106_9:                              ;   in Loop: Header=BB106_5 Depth=1
	s_or_b64 exec, exec, s[10:11]
	global_load_dword v14, v[16:17], off offset:4
	s_ashr_i32 s3, s8, 31
	s_mov_b32 s2, s8
	v_lshl_add_u64 v[18:19], s[2:3], 0, v[10:11]
	v_lshl_add_u64 v[18:19], v[18:19], 2, s[6:7]
	s_mov_b64 s[10:11], 0
	v_mov_b32_e32 v21, v20
	s_mov_b64 s[14:15], 0
	s_waitcnt vmcnt(0)
	s_branch .LBB106_11
.LBB106_10:                             ;   in Loop: Header=BB106_11 Depth=2
	s_or_b64 exec, exec, s[16:17]
	s_cmp_gt_u32 s14, 8
	s_cselect_b64 s[2:3], -1, 0
	s_xor_b64 s[16:17], vcc, -1
	s_or_b64 s[2:3], s[16:17], s[2:3]
	s_add_u32 s14, s14, 1
	s_addc_u32 s15, s15, 0
	s_and_b64 s[2:3], exec, s[2:3]
	s_or_b64 s[10:11], s[2:3], s[10:11]
	v_add_u32_e32 v21, 32, v21
	s_andn2_b64 exec, exec, s[10:11]
	s_cbranch_execz .LBB106_13
.LBB106_11:                             ;   Parent Loop BB106_5 Depth=1
                                        ; =>  This Inner Loop Header: Depth=2
	v_cmp_ne_u32_e32 vcc, v14, v21
	v_cmp_eq_u32_e64 s[2:3], v14, v21
	s_and_saveexec_b64 s[16:17], s[2:3]
	s_cbranch_execz .LBB106_10
; %bb.12:                               ;   in Loop: Header=BB106_11 Depth=2
	s_set_gpr_idx_on s14, gpr_idx(SRC0)
	v_mov_b32_e32 v22, v0
	s_set_gpr_idx_off
	v_add_f32_e32 v15, v15, v22
	global_store_dword v[18:19], v14, off offset:4
	s_branch .LBB106_10
.LBB106_13:                             ;   in Loop: Header=BB106_5 Depth=1
	s_or_b64 exec, exec, s[10:11]
	global_load_dword v14, v[16:17], off offset:8
	s_mov_b64 s[10:11], 0
	v_mov_b32_e32 v21, v20
	s_mov_b64 s[14:15], 0
	s_waitcnt vmcnt(0)
	s_branch .LBB106_15
.LBB106_14:                             ;   in Loop: Header=BB106_15 Depth=2
	s_or_b64 exec, exec, s[16:17]
	s_cmp_gt_u32 s14, 8
	s_cselect_b64 s[2:3], -1, 0
	s_xor_b64 s[16:17], vcc, -1
	s_or_b64 s[2:3], s[16:17], s[2:3]
	s_add_u32 s14, s14, 1
	s_addc_u32 s15, s15, 0
	s_and_b64 s[2:3], exec, s[2:3]
	s_or_b64 s[10:11], s[2:3], s[10:11]
	v_add_u32_e32 v21, 32, v21
	s_andn2_b64 exec, exec, s[10:11]
	s_cbranch_execz .LBB106_17
.LBB106_15:                             ;   Parent Loop BB106_5 Depth=1
                                        ; =>  This Inner Loop Header: Depth=2
	v_cmp_ne_u32_e32 vcc, v14, v21
	v_cmp_eq_u32_e64 s[2:3], v14, v21
	s_and_saveexec_b64 s[16:17], s[2:3]
	s_cbranch_execz .LBB106_14
; %bb.16:                               ;   in Loop: Header=BB106_15 Depth=2
	s_set_gpr_idx_on s14, gpr_idx(SRC0)
	v_mov_b32_e32 v22, v0
	s_set_gpr_idx_off
	v_add_f32_e32 v15, v15, v22
	global_store_dword v[18:19], v14, off offset:8
	s_branch .LBB106_14
.LBB106_17:                             ;   in Loop: Header=BB106_5 Depth=1
	s_or_b64 exec, exec, s[10:11]
	global_load_dword v14, v[16:17], off offset:12
	s_mov_b64 s[10:11], 0
	v_mov_b32_e32 v16, v20
	s_mov_b64 s[14:15], 0
	s_waitcnt vmcnt(0)
	s_branch .LBB106_19
.LBB106_18:                             ;   in Loop: Header=BB106_19 Depth=2
	s_or_b64 exec, exec, s[16:17]
	s_cmp_gt_u32 s14, 8
	s_cselect_b64 s[2:3], -1, 0
	s_xor_b64 s[16:17], vcc, -1
	s_or_b64 s[2:3], s[16:17], s[2:3]
	s_add_u32 s14, s14, 1
	s_addc_u32 s15, s15, 0
	s_and_b64 s[2:3], exec, s[2:3]
	s_or_b64 s[10:11], s[2:3], s[10:11]
	v_add_u32_e32 v16, 32, v16
	s_andn2_b64 exec, exec, s[10:11]
	s_cbranch_execz .LBB106_4
.LBB106_19:                             ;   Parent Loop BB106_5 Depth=1
                                        ; =>  This Inner Loop Header: Depth=2
	v_cmp_ne_u32_e32 vcc, v14, v16
	v_cmp_eq_u32_e64 s[2:3], v14, v16
	s_and_saveexec_b64 s[16:17], s[2:3]
	s_cbranch_execz .LBB106_18
; %bb.20:                               ;   in Loop: Header=BB106_19 Depth=2
	s_set_gpr_idx_on s14, gpr_idx(SRC0)
	v_mov_b32_e32 v17, v0
	s_set_gpr_idx_off
	v_add_f32_e32 v15, v15, v17
	global_store_dword v[18:19], v14, off offset:12
	s_branch .LBB106_18
.LBB106_21:
	v_mov_b32_e32 v15, 0
.LBB106_22:
	s_and_b32 s16, s19, 3
	s_cmp_eq_u32 s16, 0
	s_mov_b32 s13, 0
	s_cbranch_scc1 .LBB106_29
; %bb.23:
	s_mov_b32 s17, s13
	s_branch .LBB106_25
.LBB106_24:                             ;   in Loop: Header=BB106_25 Depth=1
	s_or_b64 exec, exec, s[8:9]
	s_add_i32 s12, s12, 1
	s_add_i32 s17, s17, 1
	s_cmp_lg_u32 s17, s16
	s_cbranch_scc0 .LBB106_29
.LBB106_25:                             ; =>This Loop Header: Depth=1
                                        ;     Child Loop BB106_27 Depth 2
	v_lshl_add_u64 v[16:17], s[12:13], 2, v[12:13]
	global_load_dword v11, v[16:17], off
	v_add_u32_e32 v16, s12, v10
	v_ashrrev_i32_e32 v17, 31, v16
	s_waitcnt lgkmcnt(0)
	v_lshl_add_u64 v[16:17], v[16:17], 2, s[6:7]
	s_mov_b64 s[8:9], 0
	v_mov_b32_e32 v14, v20
	s_mov_b64 s[10:11], 0
	s_waitcnt vmcnt(0)
	s_branch .LBB106_27
.LBB106_26:                             ;   in Loop: Header=BB106_27 Depth=2
	s_or_b64 exec, exec, s[14:15]
	s_cmp_gt_u32 s10, 8
	s_cselect_b64 s[2:3], -1, 0
	s_xor_b64 s[14:15], vcc, -1
	s_or_b64 s[2:3], s[14:15], s[2:3]
	s_add_u32 s10, s10, 1
	s_addc_u32 s11, s11, 0
	s_and_b64 s[2:3], exec, s[2:3]
	s_or_b64 s[8:9], s[2:3], s[8:9]
	v_add_u32_e32 v14, 32, v14
	s_andn2_b64 exec, exec, s[8:9]
	s_cbranch_execz .LBB106_24
.LBB106_27:                             ;   Parent Loop BB106_25 Depth=1
                                        ; =>  This Inner Loop Header: Depth=2
	v_cmp_ne_u32_e32 vcc, v11, v14
	v_cmp_eq_u32_e64 s[2:3], v11, v14
	s_and_saveexec_b64 s[14:15], s[2:3]
	s_cbranch_execz .LBB106_26
; %bb.28:                               ;   in Loop: Header=BB106_27 Depth=2
	s_set_gpr_idx_on s10, gpr_idx(SRC0)
	v_mov_b32_e32 v18, v0
	s_set_gpr_idx_off
	v_add_f32_e32 v15, v15, v18
	global_store_dword v[16:17], v11, off
	s_branch .LBB106_26
.LBB106_29:
	s_waitcnt lgkmcnt(0)
	s_load_dword s6, s[0:1], 0x3c
	s_waitcnt lgkmcnt(0)
	s_bitcmp1_b32 s6, 0
	s_cselect_b64 s[2:3], -1, 0
	s_bitcmp0_b32 s6, 0
	s_cbranch_scc0 .LBB106_33
; %bb.30:
	s_load_dwordx2 s[6:7], s[0:1], 0x40
	s_andn2_b64 vcc, exec, s[2:3]
	s_waitcnt lgkmcnt(0)
	v_cvt_f32_f64_e32 v21, s[6:7]
	s_cbranch_vccz .LBB106_34
.LBB106_31:
	s_andn2_b64 vcc, exec, s[4:5]
	s_cbranch_vccz .LBB106_35
.LBB106_32:
	s_endpgm
.LBB106_33:
	v_mbcnt_lo_u32_b32 v11, -1, 0
	v_mbcnt_hi_u32_b32 v11, -1, v11
	v_and_b32_e32 v14, 0x60, v11
	v_add_u32_e32 v14, 32, v14
	v_xor_b32_e32 v16, 16, v11
	v_cmp_lt_i32_e32 vcc, v16, v14
	v_xor_b32_e32 v17, 8, v11
	s_nop 0
	v_cndmask_b32_e32 v16, v11, v16, vcc
	v_lshlrev_b32_e32 v16, 2, v16
	ds_bpermute_b32 v16, v16, v15
	v_cmp_lt_i32_e32 vcc, v17, v14
	s_waitcnt lgkmcnt(0)
	v_add_f32_e32 v15, v15, v16
	v_cndmask_b32_e32 v16, v11, v17, vcc
	v_lshlrev_b32_e32 v16, 2, v16
	ds_bpermute_b32 v16, v16, v15
	v_xor_b32_e32 v17, 4, v11
	v_cmp_lt_i32_e32 vcc, v17, v14
	s_waitcnt lgkmcnt(0)
	v_add_f32_e32 v15, v15, v16
	v_cndmask_b32_e32 v16, v11, v17, vcc
	v_lshlrev_b32_e32 v16, 2, v16
	ds_bpermute_b32 v16, v16, v15
	v_xor_b32_e32 v17, 2, v11
	;; [unrolled: 7-line block ×3, first 2 shown]
	v_cmp_lt_i32_e32 vcc, v17, v14
	s_waitcnt lgkmcnt(0)
	v_add_f32_e32 v15, v15, v16
	v_cndmask_b32_e32 v11, v11, v17, vcc
	v_lshlrev_b32_e32 v11, 2, v11
	ds_bpermute_b32 v11, v11, v15
	s_waitcnt lgkmcnt(0)
	v_add_f32_e32 v15, v15, v11
	s_load_dwordx2 s[6:7], s[0:1], 0x40
	s_andn2_b64 vcc, exec, s[2:3]
	s_waitcnt lgkmcnt(0)
	v_cvt_f32_f64_e32 v21, s[6:7]
	s_cbranch_vccnz .LBB106_31
.LBB106_34:
	v_cmp_lt_f32_e32 vcc, 0, v15
	s_nop 1
	v_cndmask_b32_e32 v11, 1.0, v15, vcc
	v_div_scale_f32 v14, s[2:3], v11, v11, v21
	v_rcp_f32_e32 v15, v14
	s_nop 0
	v_fma_f32 v16, -v14, v15, 1.0
	v_fmac_f32_e32 v15, v16, v15
	v_div_scale_f32 v16, vcc, v21, v11, v21
	v_mul_f32_e32 v17, v16, v15
	v_fma_f32 v18, -v14, v17, v16
	v_fmac_f32_e32 v17, v18, v15
	v_fma_f32 v14, -v14, v17, v16
	v_div_fmas_f32 v14, v14, v15, v17
	v_div_fixup_f32 v21, v14, v11, v21
	s_andn2_b64 vcc, exec, s[4:5]
	s_cbranch_vccnz .LBB106_32
.LBB106_35:
	s_load_dwordx2 s[16:17], s[0:1], 0x10
	v_or_b32_e32 v30, 32, v20
	v_or_b32_e32 v29, 64, v20
	v_or_b32_e32 v28, 0x60, v20
	v_or_b32_e32 v27, 0x80, v20
	v_or_b32_e32 v26, 0xa0, v20
	v_or_b32_e32 v25, 0xc0, v20
	v_or_b32_e32 v24, 0xe0, v20
	v_or_b32_e32 v23, 0x100, v20
	v_or_b32_e32 v22, 0x120, v20
	s_cmp_eq_u32 s19, 1
	s_mov_b32 s18, 0
	s_cbranch_scc1 .LBB106_78
; %bb.36:
	v_ashrrev_i32_e32 v11, 31, v10
	s_waitcnt lgkmcnt(0)
	v_lshl_add_u64 v[14:15], v[10:11], 2, s[16:17]
	s_and_b32 s18, s19, 0x7ffffffe
	v_lshl_add_u64 v[14:15], v[14:15], 0, 4
	v_lshl_add_u64 v[16:17], v[12:13], 0, 4
	s_mov_b32 s33, 0
	s_branch .LBB106_38
.LBB106_37:                             ;   in Loop: Header=BB106_38 Depth=1
	s_or_b64 exec, exec, s[0:1]
	s_add_i32 s33, s33, 2
	v_lshl_add_u64 v[14:15], v[14:15], 0, 8
	s_cmp_lg_u32 s18, s33
	v_lshl_add_u64 v[16:17], v[16:17], 0, 8
	s_cbranch_scc0 .LBB106_78
.LBB106_38:                             ; =>This Inner Loop Header: Depth=1
	global_load_dword v11, v[16:17], off offset:-4
	v_mov_b64_e32 v[18:19], 0
	s_waitcnt vmcnt(0)
	v_cmp_eq_u32_e32 vcc, v11, v20
	v_cmp_ne_u32_e64 s[0:1], v11, v20
	s_and_saveexec_b64 s[20:21], s[0:1]
	s_cbranch_execz .LBB106_56
; %bb.39:                               ;   in Loop: Header=BB106_38 Depth=1
	v_cmp_eq_u32_e64 s[0:1], v11, v30
	v_cmp_ne_u32_e64 s[2:3], v11, v30
	v_mov_b64_e32 v[18:19], 1
	s_and_saveexec_b64 s[22:23], s[2:3]
	s_cbranch_execz .LBB106_55
; %bb.40:                               ;   in Loop: Header=BB106_38 Depth=1
	v_cmp_eq_u32_e64 s[2:3], v11, v29
	v_cmp_ne_u32_e64 s[4:5], v11, v29
	v_mov_b64_e32 v[18:19], 2
	;; [unrolled: 6-line block ×8, first 2 shown]
	s_and_saveexec_b64 s[40:41], s[14:15]
	s_xor_b64 s[40:41], exec, s[40:41]
; %bb.47:                               ;   in Loop: Header=BB106_38 Depth=1
	v_cmp_eq_u32_e64 s[14:15], v11, v22
	s_andn2_b64 s[38:39], s[38:39], exec
	s_and_b64 s[14:15], s[14:15], exec
	v_mov_b64_e32 v[18:19], 9
	s_or_b64 s[38:39], s[38:39], s[14:15]
; %bb.48:                               ;   in Loop: Header=BB106_38 Depth=1
	s_or_b64 exec, exec, s[40:41]
	s_andn2_b64 s[12:13], s[12:13], exec
	s_and_b64 s[14:15], s[38:39], exec
	s_or_b64 s[12:13], s[12:13], s[14:15]
.LBB106_49:                             ;   in Loop: Header=BB106_38 Depth=1
	s_or_b64 exec, exec, s[36:37]
	s_andn2_b64 s[10:11], s[10:11], exec
	s_and_b64 s[12:13], s[12:13], exec
	s_or_b64 s[10:11], s[10:11], s[12:13]
.LBB106_50:                             ;   in Loop: Header=BB106_38 Depth=1
	s_or_b64 exec, exec, s[34:35]
	s_andn2_b64 s[8:9], s[8:9], exec
	s_and_b64 s[10:11], s[10:11], exec
	s_or_b64 s[8:9], s[8:9], s[10:11]
.LBB106_51:                             ;   in Loop: Header=BB106_38 Depth=1
	s_or_b64 exec, exec, s[30:31]
	s_andn2_b64 s[6:7], s[6:7], exec
	s_and_b64 s[8:9], s[8:9], exec
	s_or_b64 s[6:7], s[6:7], s[8:9]
.LBB106_52:                             ;   in Loop: Header=BB106_38 Depth=1
	s_or_b64 exec, exec, s[28:29]
	s_andn2_b64 s[4:5], s[4:5], exec
	s_and_b64 s[6:7], s[6:7], exec
	s_or_b64 s[4:5], s[4:5], s[6:7]
.LBB106_53:                             ;   in Loop: Header=BB106_38 Depth=1
	s_or_b64 exec, exec, s[26:27]
	s_andn2_b64 s[2:3], s[2:3], exec
	s_and_b64 s[4:5], s[4:5], exec
	s_or_b64 s[2:3], s[2:3], s[4:5]
.LBB106_54:                             ;   in Loop: Header=BB106_38 Depth=1
	s_or_b64 exec, exec, s[24:25]
	s_andn2_b64 s[0:1], s[0:1], exec
	s_and_b64 s[2:3], s[2:3], exec
	s_or_b64 s[0:1], s[0:1], s[2:3]
.LBB106_55:                             ;   in Loop: Header=BB106_38 Depth=1
	s_or_b64 exec, exec, s[22:23]
	s_andn2_b64 s[2:3], vcc, exec
	s_and_b64 s[0:1], s[0:1], exec
	s_or_b64 vcc, s[2:3], s[0:1]
.LBB106_56:                             ;   in Loop: Header=BB106_38 Depth=1
	s_or_b64 exec, exec, s[20:21]
	s_and_saveexec_b64 s[0:1], vcc
	s_cbranch_execz .LBB106_58
; %bb.57:                               ;   in Loop: Header=BB106_38 Depth=1
	v_cmp_eq_u32_e32 vcc, 1, v18
	v_add_u32_e32 v32, s33, v10
	v_ashrrev_i32_e32 v33, 31, v32
	v_cndmask_b32_e32 v11, v0, v1, vcc
	v_cmp_eq_u32_e32 vcc, 2, v18
	s_nop 1
	v_cndmask_b32_e32 v11, v11, v2, vcc
	v_cmp_eq_u32_e32 vcc, 3, v18
	s_nop 1
	;; [unrolled: 3-line block ×7, first 2 shown]
	v_cndmask_b32_e32 v11, v11, v8, vcc
	v_cmp_eq_u32_e32 vcc, 9, v18
	v_lshl_add_u64 v[18:19], v[32:33], 2, s[16:17]
	s_nop 0
	v_cndmask_b32_e32 v11, v11, v9, vcc
	v_mul_f32_e32 v11, v21, v11
	global_store_dword v[18:19], v11, off
.LBB106_58:                             ;   in Loop: Header=BB106_38 Depth=1
	s_or_b64 exec, exec, s[0:1]
	global_load_dword v11, v[16:17], off
	v_mov_b64_e32 v[18:19], 0
	s_waitcnt vmcnt(0)
	v_cmp_eq_u32_e64 s[12:13], v11, v20
	v_cmp_ne_u32_e32 vcc, v11, v20
	s_and_saveexec_b64 s[14:15], vcc
	s_cbranch_execz .LBB106_76
; %bb.59:                               ;   in Loop: Header=BB106_38 Depth=1
	v_cmp_eq_u32_e32 vcc, v11, v30
	v_cmp_ne_u32_e64 s[0:1], v11, v30
	v_mov_b64_e32 v[18:19], 1
	s_and_saveexec_b64 s[20:21], s[0:1]
	s_cbranch_execz .LBB106_75
; %bb.60:                               ;   in Loop: Header=BB106_38 Depth=1
	v_cmp_eq_u32_e64 s[0:1], v11, v29
	v_cmp_ne_u32_e64 s[2:3], v11, v29
	v_mov_b64_e32 v[18:19], 2
	s_and_saveexec_b64 s[22:23], s[2:3]
	s_cbranch_execz .LBB106_74
; %bb.61:                               ;   in Loop: Header=BB106_38 Depth=1
	v_cmp_eq_u32_e64 s[2:3], v11, v28
	;; [unrolled: 6-line block ×7, first 2 shown]
	v_cmp_ne_u32_e64 s[10:11], v11, v23
	v_mov_b64_e32 v[18:19], 8
	s_and_saveexec_b64 s[40:41], s[10:11]
; %bb.67:                               ;   in Loop: Header=BB106_38 Depth=1
	v_cmp_eq_u32_e64 s[10:11], v11, v22
	s_andn2_b64 s[38:39], s[38:39], exec
	s_and_b64 s[10:11], s[10:11], exec
	v_mov_b64_e32 v[18:19], 9
	s_or_b64 s[38:39], s[38:39], s[10:11]
; %bb.68:                               ;   in Loop: Header=BB106_38 Depth=1
	s_or_b64 exec, exec, s[40:41]
	s_andn2_b64 s[10:11], s[34:35], exec
	s_and_b64 s[34:35], s[38:39], exec
	s_or_b64 s[34:35], s[10:11], s[34:35]
.LBB106_69:                             ;   in Loop: Header=BB106_38 Depth=1
	s_or_b64 exec, exec, s[36:37]
	s_andn2_b64 s[8:9], s[8:9], exec
	s_and_b64 s[10:11], s[34:35], exec
	s_or_b64 s[8:9], s[8:9], s[10:11]
.LBB106_70:                             ;   in Loop: Header=BB106_38 Depth=1
	s_or_b64 exec, exec, s[30:31]
	s_andn2_b64 s[6:7], s[6:7], exec
	s_and_b64 s[8:9], s[8:9], exec
	s_or_b64 s[6:7], s[6:7], s[8:9]
.LBB106_71:                             ;   in Loop: Header=BB106_38 Depth=1
	s_or_b64 exec, exec, s[28:29]
	s_andn2_b64 s[4:5], s[4:5], exec
	s_and_b64 s[6:7], s[6:7], exec
	s_or_b64 s[4:5], s[4:5], s[6:7]
.LBB106_72:                             ;   in Loop: Header=BB106_38 Depth=1
	s_or_b64 exec, exec, s[26:27]
	s_andn2_b64 s[2:3], s[2:3], exec
	s_and_b64 s[4:5], s[4:5], exec
	s_or_b64 s[2:3], s[2:3], s[4:5]
.LBB106_73:                             ;   in Loop: Header=BB106_38 Depth=1
	s_or_b64 exec, exec, s[24:25]
	s_andn2_b64 s[0:1], s[0:1], exec
	s_and_b64 s[2:3], s[2:3], exec
	s_or_b64 s[0:1], s[0:1], s[2:3]
.LBB106_74:                             ;   in Loop: Header=BB106_38 Depth=1
	s_or_b64 exec, exec, s[22:23]
	s_andn2_b64 s[2:3], vcc, exec
	s_and_b64 s[0:1], s[0:1], exec
	s_or_b64 vcc, s[2:3], s[0:1]
.LBB106_75:                             ;   in Loop: Header=BB106_38 Depth=1
	s_or_b64 exec, exec, s[20:21]
	s_andn2_b64 s[0:1], s[12:13], exec
	s_and_b64 s[2:3], vcc, exec
	s_or_b64 s[12:13], s[0:1], s[2:3]
.LBB106_76:                             ;   in Loop: Header=BB106_38 Depth=1
	s_or_b64 exec, exec, s[14:15]
	s_and_saveexec_b64 s[0:1], s[12:13]
	s_cbranch_execz .LBB106_37
; %bb.77:                               ;   in Loop: Header=BB106_38 Depth=1
	v_cmp_eq_u32_e32 vcc, 1, v18
	s_nop 1
	v_cndmask_b32_e32 v11, v0, v1, vcc
	v_cmp_eq_u32_e32 vcc, 2, v18
	s_nop 1
	v_cndmask_b32_e32 v11, v11, v2, vcc
	;; [unrolled: 3-line block ×9, first 2 shown]
	v_mul_f32_e32 v11, v21, v11
	global_store_dword v[14:15], v11, off
	s_branch .LBB106_37
.LBB106_78:
	s_bitcmp0_b32 s19, 0
	s_mov_b32 s19, 0
	s_cbranch_scc1 .LBB106_32
; %bb.79:
	v_lshl_add_u64 v[12:13], s[18:19], 2, v[12:13]
	global_load_dword v11, v[12:13], off
	v_mov_b64_e32 v[12:13], 0
	s_waitcnt vmcnt(0)
	v_cmp_eq_u32_e64 s[12:13], v11, v20
	v_cmp_ne_u32_e32 vcc, v11, v20
	s_and_saveexec_b64 s[14:15], vcc
	s_cbranch_execz .LBB106_97
; %bb.80:
	v_cmp_eq_u32_e32 vcc, v11, v30
	v_cmp_ne_u32_e64 s[0:1], v11, v30
	v_mov_b64_e32 v[12:13], 1
	s_and_saveexec_b64 s[20:21], s[0:1]
	s_cbranch_execz .LBB106_96
; %bb.81:
	v_cmp_eq_u32_e64 s[0:1], v11, v29
	v_cmp_ne_u32_e64 s[2:3], v11, v29
	v_mov_b64_e32 v[12:13], 2
	s_and_saveexec_b64 s[22:23], s[2:3]
	s_cbranch_execz .LBB106_95
; %bb.82:
	v_cmp_eq_u32_e64 s[2:3], v11, v28
	;; [unrolled: 6-line block ×7, first 2 shown]
	v_cmp_ne_u32_e64 s[10:11], v11, v23
	v_mov_b64_e32 v[12:13], 8
	s_and_saveexec_b64 s[40:41], s[10:11]
; %bb.88:
	v_cmp_eq_u32_e64 s[10:11], v11, v22
	s_andn2_b64 s[38:39], s[38:39], exec
	s_and_b64 s[10:11], s[10:11], exec
	v_mov_b64_e32 v[12:13], 9
	s_or_b64 s[38:39], s[38:39], s[10:11]
; %bb.89:
	s_or_b64 exec, exec, s[40:41]
	s_andn2_b64 s[10:11], s[34:35], exec
	s_and_b64 s[34:35], s[38:39], exec
	s_or_b64 s[34:35], s[10:11], s[34:35]
.LBB106_90:
	s_or_b64 exec, exec, s[36:37]
	s_andn2_b64 s[8:9], s[8:9], exec
	s_and_b64 s[10:11], s[34:35], exec
	s_or_b64 s[8:9], s[8:9], s[10:11]
.LBB106_91:
	s_or_b64 exec, exec, s[30:31]
	s_andn2_b64 s[6:7], s[6:7], exec
	s_and_b64 s[8:9], s[8:9], exec
	s_or_b64 s[6:7], s[6:7], s[8:9]
.LBB106_92:
	s_or_b64 exec, exec, s[28:29]
	s_andn2_b64 s[4:5], s[4:5], exec
	s_and_b64 s[6:7], s[6:7], exec
	s_or_b64 s[4:5], s[4:5], s[6:7]
.LBB106_93:
	s_or_b64 exec, exec, s[26:27]
	s_andn2_b64 s[2:3], s[2:3], exec
	s_and_b64 s[4:5], s[4:5], exec
	s_or_b64 s[2:3], s[2:3], s[4:5]
.LBB106_94:
	s_or_b64 exec, exec, s[24:25]
	s_andn2_b64 s[0:1], s[0:1], exec
	s_and_b64 s[2:3], s[2:3], exec
	s_or_b64 s[0:1], s[0:1], s[2:3]
.LBB106_95:
	s_or_b64 exec, exec, s[22:23]
	s_andn2_b64 s[2:3], vcc, exec
	s_and_b64 s[0:1], s[0:1], exec
	s_or_b64 vcc, s[2:3], s[0:1]
.LBB106_96:
	s_or_b64 exec, exec, s[20:21]
	s_andn2_b64 s[0:1], s[12:13], exec
	s_and_b64 s[2:3], vcc, exec
	s_or_b64 s[12:13], s[0:1], s[2:3]
.LBB106_97:
	s_or_b64 exec, exec, s[14:15]
	s_and_b64 exec, exec, s[12:13]
	s_cbranch_execz .LBB106_32
; %bb.98:
	v_cmp_eq_u32_e32 vcc, 1, v12
	v_add_u32_e32 v10, s18, v10
	v_ashrrev_i32_e32 v11, 31, v10
	v_cndmask_b32_e32 v0, v0, v1, vcc
	v_cmp_eq_u32_e32 vcc, 2, v12
	s_nop 1
	v_cndmask_b32_e32 v0, v0, v2, vcc
	v_cmp_eq_u32_e32 vcc, 3, v12
	s_nop 1
	;; [unrolled: 3-line block ×8, first 2 shown]
	v_cndmask_b32_e32 v0, v0, v9, vcc
	v_mul_f32_e32 v2, v21, v0
	s_waitcnt lgkmcnt(0)
	v_lshl_add_u64 v[0:1], v[10:11], 2, s[16:17]
	global_store_dword v[0:1], v2, off
	s_endpgm
	.section	.rodata,"a",@progbits
	.p2align	6, 0x0
	.amdhsa_kernel _ZN4vllm3moe22topkGatingSoftplusSqrtILi10ELi320ELi4ELi4ELi32ELb1EjfEEvPKT6_PKbPfiPT5_PiiiibdPKfPKS8_SE_
		.amdhsa_group_segment_fixed_size 0
		.amdhsa_private_segment_fixed_size 0
		.amdhsa_kernarg_size 96
		.amdhsa_user_sgpr_count 2
		.amdhsa_user_sgpr_dispatch_ptr 0
		.amdhsa_user_sgpr_queue_ptr 0
		.amdhsa_user_sgpr_kernarg_segment_ptr 1
		.amdhsa_user_sgpr_dispatch_id 0
		.amdhsa_user_sgpr_kernarg_preload_length 0
		.amdhsa_user_sgpr_kernarg_preload_offset 0
		.amdhsa_user_sgpr_private_segment_size 0
		.amdhsa_uses_dynamic_stack 0
		.amdhsa_enable_private_segment 0
		.amdhsa_system_sgpr_workgroup_id_x 1
		.amdhsa_system_sgpr_workgroup_id_y 0
		.amdhsa_system_sgpr_workgroup_id_z 0
		.amdhsa_system_sgpr_workgroup_info 0
		.amdhsa_system_vgpr_workitem_id 1
		.amdhsa_next_free_vgpr 34
		.amdhsa_next_free_sgpr 42
		.amdhsa_accum_offset 36
		.amdhsa_reserve_vcc 1
		.amdhsa_float_round_mode_32 0
		.amdhsa_float_round_mode_16_64 0
		.amdhsa_float_denorm_mode_32 3
		.amdhsa_float_denorm_mode_16_64 3
		.amdhsa_dx10_clamp 1
		.amdhsa_ieee_mode 1
		.amdhsa_fp16_overflow 0
		.amdhsa_tg_split 0
		.amdhsa_exception_fp_ieee_invalid_op 0
		.amdhsa_exception_fp_denorm_src 0
		.amdhsa_exception_fp_ieee_div_zero 0
		.amdhsa_exception_fp_ieee_overflow 0
		.amdhsa_exception_fp_ieee_underflow 0
		.amdhsa_exception_fp_ieee_inexact 0
		.amdhsa_exception_int_div_zero 0
	.end_amdhsa_kernel
	.section	.text._ZN4vllm3moe22topkGatingSoftplusSqrtILi10ELi320ELi4ELi4ELi32ELb1EjfEEvPKT6_PKbPfiPT5_PiiiibdPKfPKS8_SE_,"axG",@progbits,_ZN4vllm3moe22topkGatingSoftplusSqrtILi10ELi320ELi4ELi4ELi32ELb1EjfEEvPKT6_PKbPfiPT5_PiiiibdPKfPKS8_SE_,comdat
.Lfunc_end106:
	.size	_ZN4vllm3moe22topkGatingSoftplusSqrtILi10ELi320ELi4ELi4ELi32ELb1EjfEEvPKT6_PKbPfiPT5_PiiiibdPKfPKS8_SE_, .Lfunc_end106-_ZN4vllm3moe22topkGatingSoftplusSqrtILi10ELi320ELi4ELi4ELi32ELb1EjfEEvPKT6_PKbPfiPT5_PiiiibdPKfPKS8_SE_
                                        ; -- End function
	.section	.AMDGPU.csdata,"",@progbits
; Kernel info:
; codeLenInByte = 5560
; NumSgprs: 48
; NumVgprs: 34
; NumAgprs: 0
; TotalNumVgprs: 34
; ScratchSize: 0
; MemoryBound: 0
; FloatMode: 240
; IeeeMode: 1
; LDSByteSize: 0 bytes/workgroup (compile time only)
; SGPRBlocks: 5
; VGPRBlocks: 4
; NumSGPRsForWavesPerEU: 48
; NumVGPRsForWavesPerEU: 34
; AccumOffset: 36
; Occupancy: 8
; WaveLimiterHint : 1
; COMPUTE_PGM_RSRC2:SCRATCH_EN: 0
; COMPUTE_PGM_RSRC2:USER_SGPR: 2
; COMPUTE_PGM_RSRC2:TRAP_HANDLER: 0
; COMPUTE_PGM_RSRC2:TGID_X_EN: 1
; COMPUTE_PGM_RSRC2:TGID_Y_EN: 0
; COMPUTE_PGM_RSRC2:TGID_Z_EN: 0
; COMPUTE_PGM_RSRC2:TIDIG_COMP_CNT: 1
; COMPUTE_PGM_RSRC3_GFX90A:ACCUM_OFFSET: 8
; COMPUTE_PGM_RSRC3_GFX90A:TG_SPLIT: 0
	.section	.text._ZN4vllm3moe22topkGatingSoftplusSqrtILi10ELi320ELi4ELi4ELi32ELb0EjfEEvPKT6_PKbPfiPT5_PiiiibdPKfPKS8_SE_,"axG",@progbits,_ZN4vllm3moe22topkGatingSoftplusSqrtILi10ELi320ELi4ELi4ELi32ELb0EjfEEvPKT6_PKbPfiPT5_PiiiibdPKfPKS8_SE_,comdat
	.protected	_ZN4vllm3moe22topkGatingSoftplusSqrtILi10ELi320ELi4ELi4ELi32ELb0EjfEEvPKT6_PKbPfiPT5_PiiiibdPKfPKS8_SE_ ; -- Begin function _ZN4vllm3moe22topkGatingSoftplusSqrtILi10ELi320ELi4ELi4ELi32ELb0EjfEEvPKT6_PKbPfiPT5_PiiiibdPKfPKS8_SE_
	.globl	_ZN4vllm3moe22topkGatingSoftplusSqrtILi10ELi320ELi4ELi4ELi32ELb0EjfEEvPKT6_PKbPfiPT5_PiiiibdPKfPKS8_SE_
	.p2align	8
	.type	_ZN4vllm3moe22topkGatingSoftplusSqrtILi10ELi320ELi4ELi4ELi32ELb0EjfEEvPKT6_PKbPfiPT5_PiiiibdPKfPKS8_SE_,@function
_ZN4vllm3moe22topkGatingSoftplusSqrtILi10ELi320ELi4ELi4ELi32ELb0EjfEEvPKT6_PKbPfiPT5_PiiiibdPKfPKS8_SE_: ; @_ZN4vllm3moe22topkGatingSoftplusSqrtILi10ELi320ELi4ELi4ELi32ELb0EjfEEvPKT6_PKbPfiPT5_PiiiibdPKfPKS8_SE_
; %bb.0:
	s_load_dword s30, s[0:1], 0x18
	v_and_b32_e32 v1, 0x3ff, v0
	s_lshl_b32 s2, s2, 2
	v_lshrrev_b32_e32 v2, 5, v1
	v_bfe_u32 v0, v0, 10, 10
	v_add3_u32 v10, s2, v0, v2
	s_waitcnt lgkmcnt(0)
	v_cmp_gt_i32_e32 vcc, s30, v10
	s_and_saveexec_b64 s[2:3], vcc
	s_cbranch_execz .LBB107_65
; %bb.1:
	s_load_dwordx4 s[4:7], s[0:1], 0x0
	s_load_dwordx2 s[20:21], s[0:1], 0x10
	s_waitcnt lgkmcnt(0)
	s_cmp_eq_u64 s[6:7], 0
	s_cbranch_scc1 .LBB107_3
; %bb.2:
	v_ashrrev_i32_e32 v11, 31, v10
	v_lshl_add_u64 v[2:3], s[6:7], 0, v[10:11]
	global_load_ubyte v0, v[2:3], off
	s_waitcnt vmcnt(0)
	v_and_b32_e32 v0, 1, v0
	v_cmp_eq_u32_e32 vcc, 1, v0
	s_xor_b64 s[2:3], vcc, -1
	s_orn2_b64 s[22:23], s[2:3], exec
	s_branch .LBB107_4
.LBB107_3:
	s_mov_b64 s[22:23], -1
.LBB107_4:
	s_movk_i32 s2, 0x140
	v_mul_lo_u32 v4, v10, s2
	v_mov_b32_e32 v2, s4
	v_mov_b32_e32 v3, s5
	v_ashrrev_i32_e32 v5, 31, v4
	v_and_b32_e32 v12, 31, v1
	v_lshl_add_u64 v[2:3], v[4:5], 2, v[2:3]
	v_mov_b32_e32 v15, 0
	v_lshlrev_b32_e32 v14, 2, v12
	v_lshl_add_u64 v[16:17], v[2:3], 0, v[14:15]
	global_load_dword v0, v[16:17], off
	global_load_dword v1, v[16:17], off offset:128
	global_load_dword v2, v[16:17], off offset:256
	global_load_dword v3, v[16:17], off offset:384
	global_load_dword v4, v[16:17], off offset:512
	global_load_dword v5, v[16:17], off offset:640
	global_load_dword v6, v[16:17], off offset:768
	global_load_dword v7, v[16:17], off offset:896
	global_load_dword v8, v[16:17], off offset:1024
	global_load_dword v9, v[16:17], off offset:1152
	s_mov_b32 s16, 0x800000
	v_mov_b32_e32 v15, 0x4f800000
	s_mov_b32 s13, 0x3f317217
	s_mov_b32 s14, 0x7f800000
	v_mov_b32_e32 v13, 0x41b17218
	s_mov_b32 s12, 0x41a00000
	s_mov_b32 s15, 0xf800000
	s_load_dwordx4 s[8:11], s[0:1], 0x40
	s_waitcnt lgkmcnt(0)
	s_cmp_lg_u64 s[10:11], 0
	s_cselect_b64 s[6:7], -1, 0
	s_and_b64 s[2:3], exec, s[6:7]
	s_waitcnt vmcnt(9)
	v_mul_f32_e32 v11, 0x3fb8aa3b, v0
	v_exp_f32_e32 v11, v11
	s_nop 0
	v_add_f32_e32 v11, 1.0, v11
	v_cmp_gt_f32_e32 vcc, s16, v11
	s_nop 1
	v_cndmask_b32_e32 v16, 1.0, v15, vcc
	v_mul_f32_e32 v11, v11, v16
	v_log_f32_e32 v16, v11
	v_cndmask_b32_e32 v17, 0, v13, vcc
	v_mov_b32_e32 v11, 0x260
	v_mul_f32_e32 v18, 0x3f317217, v16
	v_fma_f32 v18, v16, s13, -v18
	v_fmac_f32_e32 v18, 0x3377d1cf, v16
	v_fmac_f32_e32 v18, 0x3f317217, v16
	v_cmp_lt_f32_e64 vcc, |v16|, s14
	s_nop 1
	v_cndmask_b32_e32 v16, v16, v18, vcc
	v_sub_f32_e32 v16, v16, v17
	v_cmp_lt_f32_e32 vcc, s12, v0
	s_nop 1
	v_cndmask_b32_e32 v0, v16, v0, vcc
	v_mul_f32_e32 v16, 0x4f800000, v0
	v_cmp_gt_f32_e32 vcc, s15, v0
	s_nop 1
	v_cndmask_b32_e32 v0, v0, v16, vcc
	v_sqrt_f32_e32 v16, v0
	s_nop 0
	v_add_u32_e32 v17, -1, v16
	v_add_u32_e32 v18, 1, v16
	v_fma_f32 v19, -v17, v16, v0
	v_fma_f32 v20, -v18, v16, v0
	v_cmp_ge_f32_e64 s[4:5], 0, v19
	s_nop 1
	v_cndmask_b32_e64 v16, v16, v17, s[4:5]
	v_cmp_lt_f32_e64 s[4:5], 0, v20
	s_nop 1
	v_cndmask_b32_e64 v16, v16, v18, s[4:5]
	v_mul_f32_e32 v17, 0x37800000, v16
	v_cndmask_b32_e32 v16, v16, v17, vcc
	v_cmp_class_f32_e32 vcc, v0, v11
	s_nop 1
	v_cndmask_b32_e32 v0, v16, v0, vcc
	s_mov_b64 vcc, s[2:3]
	s_cbranch_vccz .LBB107_6
; %bb.5:
	global_load_dword v16, v14, s[10:11]
	s_waitcnt vmcnt(0)
	v_add_f32_e32 v0, v0, v16
.LBB107_6:
	s_waitcnt vmcnt(8)
	v_mul_f32_e32 v16, 0x3fb8aa3b, v1
	v_exp_f32_e32 v16, v16
	s_nop 0
	v_add_f32_e32 v16, 1.0, v16
	v_cmp_gt_f32_e32 vcc, s16, v16
	s_nop 1
	v_cndmask_b32_e32 v15, 1.0, v15, vcc
	v_mul_f32_e32 v15, v16, v15
	v_log_f32_e32 v15, v15
	v_cndmask_b32_e32 v13, 0, v13, vcc
	v_mul_f32_e32 v16, 0x3f317217, v15
	v_fma_f32 v16, v15, s13, -v16
	v_fmac_f32_e32 v16, 0x3377d1cf, v15
	v_fmac_f32_e32 v16, 0x3f317217, v15
	v_cmp_lt_f32_e64 vcc, |v15|, s14
	s_nop 1
	v_cndmask_b32_e32 v15, v15, v16, vcc
	v_sub_f32_e32 v13, v15, v13
	v_cmp_lt_f32_e32 vcc, s12, v1
	s_nop 1
	v_cndmask_b32_e32 v1, v13, v1, vcc
	v_mul_f32_e32 v13, 0x4f800000, v1
	v_cmp_gt_f32_e32 vcc, s15, v1
	s_nop 1
	v_cndmask_b32_e32 v1, v1, v13, vcc
	v_sqrt_f32_e32 v13, v1
	v_cmp_class_f32_e64 s[4:5], v1, v11
	v_add_u32_e32 v15, -1, v13
	v_add_u32_e32 v16, 1, v13
	v_fma_f32 v17, -v15, v13, v1
	v_fma_f32 v18, -v16, v13, v1
	v_cmp_ge_f32_e64 s[2:3], 0, v17
	s_nop 1
	v_cndmask_b32_e64 v13, v13, v15, s[2:3]
	v_cmp_lt_f32_e64 s[2:3], 0, v18
	s_nop 1
	v_cndmask_b32_e64 v13, v13, v16, s[2:3]
	v_mul_f32_e32 v15, 0x37800000, v13
	v_cndmask_b32_e32 v13, v13, v15, vcc
	v_cndmask_b32_e64 v15, 0, 1, s[6:7]
	v_cmp_ne_u32_e64 s[2:3], 1, v15
	s_andn2_b64 vcc, exec, s[6:7]
	v_cndmask_b32_e64 v1, v13, v1, s[4:5]
	s_cbranch_vccnz .LBB107_8
; %bb.7:
	global_load_dword v11, v14, s[10:11] offset:128
	s_waitcnt vmcnt(0)
	v_add_f32_e32 v1, v1, v11
.LBB107_8:
	s_waitcnt vmcnt(7)
	v_mul_f32_e32 v11, 0x3fb8aa3b, v2
	v_exp_f32_e32 v11, v11
	s_mov_b32 s14, 0x800000
	v_mov_b32_e32 v13, 0x4f800000
	s_mov_b32 s7, 0x3f317217
	v_add_f32_e32 v11, 1.0, v11
	v_cmp_gt_f32_e32 vcc, s14, v11
	s_mov_b32 s12, 0x7f800000
	s_mov_b32 s6, 0x41a00000
	v_cndmask_b32_e32 v15, 1.0, v13, vcc
	v_mul_f32_e32 v11, v11, v15
	v_log_f32_e32 v11, v11
	s_mov_b32 s13, 0xf800000
	v_mul_f32_e32 v15, 0x3f317217, v11
	v_fma_f32 v15, v11, s7, -v15
	v_fmac_f32_e32 v15, 0x3377d1cf, v11
	v_fmac_f32_e32 v15, 0x3f317217, v11
	v_cmp_lt_f32_e64 s[4:5], |v11|, s12
	s_nop 1
	v_cndmask_b32_e64 v11, v11, v15, s[4:5]
	v_mov_b32_e32 v15, 0x41b17218
	v_cndmask_b32_e32 v16, 0, v15, vcc
	v_sub_f32_e32 v11, v11, v16
	v_cmp_lt_f32_e32 vcc, s6, v2
	s_nop 1
	v_cndmask_b32_e32 v2, v11, v2, vcc
	v_mul_f32_e32 v11, 0x4f800000, v2
	v_cmp_gt_f32_e32 vcc, s13, v2
	s_nop 1
	v_cndmask_b32_e32 v2, v2, v11, vcc
	v_sqrt_f32_e32 v11, v2
	s_nop 0
	v_add_u32_e32 v16, -1, v11
	v_fma_f32 v17, -v16, v11, v2
	v_cmp_ge_f32_e64 s[4:5], 0, v17
	v_add_u32_e32 v17, 1, v11
	s_nop 0
	v_cndmask_b32_e64 v16, v11, v16, s[4:5]
	v_fma_f32 v11, -v17, v11, v2
	v_cmp_lt_f32_e64 s[4:5], 0, v11
	s_nop 1
	v_cndmask_b32_e64 v11, v16, v17, s[4:5]
	v_mul_f32_e32 v16, 0x37800000, v11
	v_cndmask_b32_e32 v16, v11, v16, vcc
	v_mov_b32_e32 v11, 0x260
	v_cmp_class_f32_e64 s[4:5], v2, v11
	s_and_b64 vcc, exec, s[2:3]
	s_nop 0
	v_cndmask_b32_e64 v2, v16, v2, s[4:5]
	s_cbranch_vccnz .LBB107_10
; %bb.9:
	global_load_dword v16, v14, s[10:11] offset:256
	s_waitcnt vmcnt(0)
	v_add_f32_e32 v2, v2, v16
.LBB107_10:
	s_waitcnt vmcnt(6)
	v_mul_f32_e32 v16, 0x3fb8aa3b, v3
	v_exp_f32_e32 v16, v16
	s_nop 0
	v_add_f32_e32 v16, 1.0, v16
	v_cmp_gt_f32_e32 vcc, s14, v16
	s_nop 1
	v_cndmask_b32_e32 v13, 1.0, v13, vcc
	v_mul_f32_e32 v13, v16, v13
	v_log_f32_e32 v13, v13
	v_cndmask_b32_e32 v15, 0, v15, vcc
	v_mul_f32_e32 v16, 0x3f317217, v13
	v_fma_f32 v16, v13, s7, -v16
	v_fmac_f32_e32 v16, 0x3377d1cf, v13
	v_fmac_f32_e32 v16, 0x3f317217, v13
	v_cmp_lt_f32_e64 vcc, |v13|, s12
	s_nop 1
	v_cndmask_b32_e32 v13, v13, v16, vcc
	v_sub_f32_e32 v13, v13, v15
	v_cmp_lt_f32_e32 vcc, s6, v3
	s_nop 1
	v_cndmask_b32_e32 v3, v13, v3, vcc
	v_mul_f32_e32 v13, 0x4f800000, v3
	v_cmp_gt_f32_e32 vcc, s13, v3
	s_nop 1
	v_cndmask_b32_e32 v3, v3, v13, vcc
	v_sqrt_f32_e32 v13, v3
	s_nop 0
	v_add_u32_e32 v15, -1, v13
	v_add_u32_e32 v16, 1, v13
	v_fma_f32 v17, -v15, v13, v3
	v_fma_f32 v18, -v16, v13, v3
	v_cmp_ge_f32_e64 s[4:5], 0, v17
	s_nop 1
	v_cndmask_b32_e64 v13, v13, v15, s[4:5]
	v_cmp_lt_f32_e64 s[4:5], 0, v18
	s_nop 1
	v_cndmask_b32_e64 v13, v13, v16, s[4:5]
	v_mul_f32_e32 v15, 0x37800000, v13
	v_cndmask_b32_e32 v13, v13, v15, vcc
	v_cmp_class_f32_e64 s[4:5], v3, v11
	s_and_b64 vcc, exec, s[2:3]
	s_nop 0
	v_cndmask_b32_e64 v3, v13, v3, s[4:5]
	s_cbranch_vccnz .LBB107_12
; %bb.11:
	global_load_dword v11, v14, s[10:11] offset:384
	s_waitcnt vmcnt(0)
	v_add_f32_e32 v3, v3, v11
.LBB107_12:
	s_waitcnt vmcnt(5)
	v_mul_f32_e32 v11, 0x3fb8aa3b, v4
	v_exp_f32_e32 v11, v11
	v_mov_b32_e32 v13, 0x4f800000
	v_add_f32_e32 v11, 1.0, v11
	v_cmp_gt_f32_e32 vcc, s14, v11
	s_nop 1
	v_cndmask_b32_e32 v15, 1.0, v13, vcc
	v_mul_f32_e32 v11, v11, v15
	v_log_f32_e32 v11, v11
	s_nop 0
	v_mul_f32_e32 v15, 0x3f317217, v11
	v_fma_f32 v15, v11, s7, -v15
	v_fmac_f32_e32 v15, 0x3377d1cf, v11
	v_fmac_f32_e32 v15, 0x3f317217, v11
	v_cmp_lt_f32_e64 s[4:5], |v11|, s12
	s_nop 1
	v_cndmask_b32_e64 v11, v11, v15, s[4:5]
	v_mov_b32_e32 v15, 0x41b17218
	v_cndmask_b32_e32 v16, 0, v15, vcc
	v_sub_f32_e32 v11, v11, v16
	v_cmp_lt_f32_e32 vcc, s6, v4
	s_nop 1
	v_cndmask_b32_e32 v4, v11, v4, vcc
	v_mul_f32_e32 v11, 0x4f800000, v4
	v_cmp_gt_f32_e32 vcc, s13, v4
	s_nop 1
	v_cndmask_b32_e32 v4, v4, v11, vcc
	v_sqrt_f32_e32 v11, v4
	s_nop 0
	v_add_u32_e32 v16, -1, v11
	v_fma_f32 v17, -v16, v11, v4
	v_cmp_ge_f32_e64 s[4:5], 0, v17
	v_add_u32_e32 v17, 1, v11
	s_nop 0
	v_cndmask_b32_e64 v16, v11, v16, s[4:5]
	v_fma_f32 v11, -v17, v11, v4
	v_cmp_lt_f32_e64 s[4:5], 0, v11
	s_nop 1
	v_cndmask_b32_e64 v11, v16, v17, s[4:5]
	v_mul_f32_e32 v16, 0x37800000, v11
	v_cndmask_b32_e32 v16, v11, v16, vcc
	v_mov_b32_e32 v11, 0x260
	v_cmp_class_f32_e64 s[4:5], v4, v11
	s_and_b64 vcc, exec, s[2:3]
	s_nop 0
	v_cndmask_b32_e64 v4, v16, v4, s[4:5]
	s_cbranch_vccnz .LBB107_14
; %bb.13:
	global_load_dword v16, v14, s[10:11] offset:512
	s_waitcnt vmcnt(0)
	v_add_f32_e32 v4, v4, v16
.LBB107_14:
	s_waitcnt vmcnt(4)
	v_mul_f32_e32 v16, 0x3fb8aa3b, v5
	v_exp_f32_e32 v16, v16
	s_nop 0
	v_add_f32_e32 v16, 1.0, v16
	v_cmp_gt_f32_e32 vcc, s14, v16
	s_nop 1
	v_cndmask_b32_e32 v13, 1.0, v13, vcc
	v_mul_f32_e32 v13, v16, v13
	v_log_f32_e32 v13, v13
	v_cndmask_b32_e32 v15, 0, v15, vcc
	v_mul_f32_e32 v16, 0x3f317217, v13
	v_fma_f32 v16, v13, s7, -v16
	v_fmac_f32_e32 v16, 0x3377d1cf, v13
	v_fmac_f32_e32 v16, 0x3f317217, v13
	v_cmp_lt_f32_e64 vcc, |v13|, s12
	s_nop 1
	v_cndmask_b32_e32 v13, v13, v16, vcc
	v_sub_f32_e32 v13, v13, v15
	v_cmp_lt_f32_e32 vcc, s6, v5
	s_nop 1
	v_cndmask_b32_e32 v5, v13, v5, vcc
	v_mul_f32_e32 v13, 0x4f800000, v5
	v_cmp_gt_f32_e32 vcc, s13, v5
	s_nop 1
	v_cndmask_b32_e32 v5, v5, v13, vcc
	v_sqrt_f32_e32 v13, v5
	s_nop 0
	v_add_u32_e32 v15, -1, v13
	v_add_u32_e32 v16, 1, v13
	v_fma_f32 v17, -v15, v13, v5
	v_fma_f32 v18, -v16, v13, v5
	v_cmp_ge_f32_e64 s[4:5], 0, v17
	s_nop 1
	v_cndmask_b32_e64 v13, v13, v15, s[4:5]
	v_cmp_lt_f32_e64 s[4:5], 0, v18
	s_nop 1
	v_cndmask_b32_e64 v13, v13, v16, s[4:5]
	v_mul_f32_e32 v15, 0x37800000, v13
	v_cndmask_b32_e32 v13, v13, v15, vcc
	v_cmp_class_f32_e64 s[4:5], v5, v11
	s_and_b64 vcc, exec, s[2:3]
	s_nop 0
	v_cndmask_b32_e64 v5, v13, v5, s[4:5]
	s_cbranch_vccnz .LBB107_16
; %bb.15:
	global_load_dword v11, v14, s[10:11] offset:640
	s_waitcnt vmcnt(0)
	v_add_f32_e32 v5, v5, v11
.LBB107_16:
	s_waitcnt vmcnt(3)
	v_mul_f32_e32 v11, 0x3fb8aa3b, v6
	v_exp_f32_e32 v11, v11
	v_mov_b32_e32 v13, 0x4f800000
	v_add_f32_e32 v11, 1.0, v11
	v_cmp_gt_f32_e32 vcc, s14, v11
	s_nop 1
	v_cndmask_b32_e32 v15, 1.0, v13, vcc
	v_mul_f32_e32 v11, v11, v15
	v_log_f32_e32 v11, v11
	s_nop 0
	v_mul_f32_e32 v15, 0x3f317217, v11
	v_fma_f32 v15, v11, s7, -v15
	v_fmac_f32_e32 v15, 0x3377d1cf, v11
	v_fmac_f32_e32 v15, 0x3f317217, v11
	v_cmp_lt_f32_e64 s[4:5], |v11|, s12
	s_nop 1
	v_cndmask_b32_e64 v11, v11, v15, s[4:5]
	v_mov_b32_e32 v15, 0x41b17218
	v_cndmask_b32_e32 v16, 0, v15, vcc
	v_sub_f32_e32 v11, v11, v16
	v_cmp_lt_f32_e32 vcc, s6, v6
	s_nop 1
	v_cndmask_b32_e32 v6, v11, v6, vcc
	v_mul_f32_e32 v11, 0x4f800000, v6
	v_cmp_gt_f32_e32 vcc, s13, v6
	s_nop 1
	v_cndmask_b32_e32 v6, v6, v11, vcc
	v_sqrt_f32_e32 v11, v6
	s_nop 0
	v_add_u32_e32 v16, -1, v11
	v_fma_f32 v17, -v16, v11, v6
	v_cmp_ge_f32_e64 s[4:5], 0, v17
	v_add_u32_e32 v17, 1, v11
	s_nop 0
	v_cndmask_b32_e64 v16, v11, v16, s[4:5]
	v_fma_f32 v11, -v17, v11, v6
	v_cmp_lt_f32_e64 s[4:5], 0, v11
	s_nop 1
	v_cndmask_b32_e64 v11, v16, v17, s[4:5]
	v_mul_f32_e32 v16, 0x37800000, v11
	v_cndmask_b32_e32 v16, v11, v16, vcc
	v_mov_b32_e32 v11, 0x260
	v_cmp_class_f32_e64 s[4:5], v6, v11
	s_and_b64 vcc, exec, s[2:3]
	s_nop 0
	v_cndmask_b32_e64 v6, v16, v6, s[4:5]
	s_cbranch_vccnz .LBB107_18
; %bb.17:
	global_load_dword v16, v14, s[10:11] offset:768
	s_waitcnt vmcnt(0)
	v_add_f32_e32 v6, v6, v16
.LBB107_18:
	s_waitcnt vmcnt(2)
	v_mul_f32_e32 v16, 0x3fb8aa3b, v7
	v_exp_f32_e32 v16, v16
	s_nop 0
	v_add_f32_e32 v16, 1.0, v16
	v_cmp_gt_f32_e32 vcc, s14, v16
	s_nop 1
	v_cndmask_b32_e32 v13, 1.0, v13, vcc
	v_mul_f32_e32 v13, v16, v13
	v_log_f32_e32 v13, v13
	v_cndmask_b32_e32 v15, 0, v15, vcc
	v_mul_f32_e32 v16, 0x3f317217, v13
	v_fma_f32 v16, v13, s7, -v16
	v_fmac_f32_e32 v16, 0x3377d1cf, v13
	v_fmac_f32_e32 v16, 0x3f317217, v13
	v_cmp_lt_f32_e64 vcc, |v13|, s12
	s_nop 1
	v_cndmask_b32_e32 v13, v13, v16, vcc
	v_sub_f32_e32 v13, v13, v15
	v_cmp_lt_f32_e32 vcc, s6, v7
	s_nop 1
	v_cndmask_b32_e32 v7, v13, v7, vcc
	v_mul_f32_e32 v13, 0x4f800000, v7
	v_cmp_gt_f32_e32 vcc, s13, v7
	s_nop 1
	v_cndmask_b32_e32 v7, v7, v13, vcc
	v_sqrt_f32_e32 v13, v7
	s_nop 0
	v_add_u32_e32 v15, -1, v13
	v_add_u32_e32 v16, 1, v13
	v_fma_f32 v17, -v15, v13, v7
	v_fma_f32 v18, -v16, v13, v7
	v_cmp_ge_f32_e64 s[4:5], 0, v17
	s_nop 1
	v_cndmask_b32_e64 v13, v13, v15, s[4:5]
	v_cmp_lt_f32_e64 s[4:5], 0, v18
	s_nop 1
	v_cndmask_b32_e64 v13, v13, v16, s[4:5]
	v_mul_f32_e32 v15, 0x37800000, v13
	v_cndmask_b32_e32 v13, v13, v15, vcc
	v_cmp_class_f32_e64 s[4:5], v7, v11
	s_and_b64 vcc, exec, s[2:3]
	s_nop 0
	v_cndmask_b32_e64 v7, v13, v7, s[4:5]
	s_cbranch_vccnz .LBB107_20
; %bb.19:
	global_load_dword v11, v14, s[10:11] offset:896
	s_waitcnt vmcnt(0)
	v_add_f32_e32 v7, v7, v11
.LBB107_20:
	s_waitcnt vmcnt(1)
	v_mul_f32_e32 v11, 0x3fb8aa3b, v8
	v_exp_f32_e32 v11, v11
	v_mov_b32_e32 v13, 0x4f800000
	v_add_f32_e32 v11, 1.0, v11
	v_cmp_gt_f32_e32 vcc, s14, v11
	s_nop 1
	v_cndmask_b32_e32 v15, 1.0, v13, vcc
	v_mul_f32_e32 v11, v11, v15
	v_log_f32_e32 v11, v11
	s_nop 0
	v_mul_f32_e32 v15, 0x3f317217, v11
	v_fma_f32 v15, v11, s7, -v15
	v_fmac_f32_e32 v15, 0x3377d1cf, v11
	v_fmac_f32_e32 v15, 0x3f317217, v11
	v_cmp_lt_f32_e64 s[4:5], |v11|, s12
	s_nop 1
	v_cndmask_b32_e64 v11, v11, v15, s[4:5]
	v_mov_b32_e32 v15, 0x41b17218
	v_cndmask_b32_e32 v16, 0, v15, vcc
	v_sub_f32_e32 v11, v11, v16
	v_cmp_lt_f32_e32 vcc, s6, v8
	s_nop 1
	v_cndmask_b32_e32 v8, v11, v8, vcc
	v_mul_f32_e32 v11, 0x4f800000, v8
	v_cmp_gt_f32_e32 vcc, s13, v8
	s_nop 1
	v_cndmask_b32_e32 v8, v8, v11, vcc
	v_sqrt_f32_e32 v11, v8
	s_nop 0
	v_add_u32_e32 v16, -1, v11
	v_fma_f32 v17, -v16, v11, v8
	v_cmp_ge_f32_e64 s[4:5], 0, v17
	v_add_u32_e32 v17, 1, v11
	s_nop 0
	v_cndmask_b32_e64 v16, v11, v16, s[4:5]
	v_fma_f32 v11, -v17, v11, v8
	v_cmp_lt_f32_e64 s[4:5], 0, v11
	s_nop 1
	v_cndmask_b32_e64 v11, v16, v17, s[4:5]
	v_mul_f32_e32 v16, 0x37800000, v11
	v_cndmask_b32_e32 v16, v11, v16, vcc
	v_mov_b32_e32 v11, 0x260
	v_cmp_class_f32_e64 s[4:5], v8, v11
	s_and_b64 vcc, exec, s[2:3]
	s_nop 0
	v_cndmask_b32_e64 v8, v16, v8, s[4:5]
	s_cbranch_vccnz .LBB107_22
; %bb.21:
	global_load_dword v16, v14, s[10:11] offset:1024
	s_waitcnt vmcnt(0)
	v_add_f32_e32 v8, v8, v16
.LBB107_22:
	s_waitcnt vmcnt(0)
	v_mul_f32_e32 v16, 0x3fb8aa3b, v9
	v_exp_f32_e32 v16, v16
	s_nop 0
	v_add_f32_e32 v16, 1.0, v16
	v_cmp_gt_f32_e32 vcc, s14, v16
	s_nop 1
	v_cndmask_b32_e32 v13, 1.0, v13, vcc
	v_mul_f32_e32 v13, v16, v13
	v_log_f32_e32 v13, v13
	v_cndmask_b32_e32 v15, 0, v15, vcc
	v_mul_f32_e32 v16, 0x3f317217, v13
	v_fma_f32 v16, v13, s7, -v16
	v_fmac_f32_e32 v16, 0x3377d1cf, v13
	v_fmac_f32_e32 v16, 0x3f317217, v13
	v_cmp_lt_f32_e64 vcc, |v13|, s12
	s_nop 1
	v_cndmask_b32_e32 v13, v13, v16, vcc
	v_sub_f32_e32 v13, v13, v15
	v_cmp_lt_f32_e32 vcc, s6, v9
	s_nop 1
	v_cndmask_b32_e32 v9, v13, v9, vcc
	v_mul_f32_e32 v13, 0x4f800000, v9
	v_cmp_gt_f32_e32 vcc, s13, v9
	s_nop 1
	v_cndmask_b32_e32 v9, v9, v13, vcc
	v_sqrt_f32_e32 v13, v9
	s_nop 0
	v_add_u32_e32 v15, -1, v13
	v_add_u32_e32 v16, 1, v13
	v_fma_f32 v17, -v15, v13, v9
	v_fma_f32 v18, -v16, v13, v9
	v_cmp_ge_f32_e64 s[4:5], 0, v17
	s_nop 1
	v_cndmask_b32_e64 v13, v13, v15, s[4:5]
	v_cmp_lt_f32_e64 s[4:5], 0, v18
	s_nop 1
	v_cndmask_b32_e64 v13, v13, v16, s[4:5]
	v_mul_f32_e32 v15, 0x37800000, v13
	v_cndmask_b32_e32 v13, v13, v15, vcc
	v_cmp_class_f32_e64 s[4:5], v9, v11
	s_and_b64 vcc, exec, s[2:3]
	s_nop 0
	v_cndmask_b32_e64 v9, v13, v9, s[4:5]
	s_cbranch_vccnz .LBB107_24
; %bb.23:
	global_load_dword v11, v14, s[10:11] offset:1152
	s_waitcnt vmcnt(0)
	v_add_f32_e32 v9, v9, v11
.LBB107_24:
	s_load_dwordx4 s[12:15], s[0:1], 0x30
	s_mov_b32 s31, 0
	v_cmp_eq_u32_e64 s[6:7], 0, v12
	s_waitcnt lgkmcnt(0)
	s_bitcmp1_b32 s15, 0
	s_cselect_b64 s[4:5], -1, 0
	s_cmp_gt_i32 s12, 0
	s_cselect_b64 s[24:25], -1, 0
	s_and_b64 vcc, exec, s[24:25]
	s_cbranch_vccz .LBB107_51
; %bb.25:
	v_mbcnt_lo_u32_b32 v11, -1, 0
	v_mbcnt_hi_u32_b32 v14, -1, v11
	v_and_b32_e32 v11, 0x60, v14
	v_add_u32_e32 v15, 32, v11
	v_xor_b32_e32 v16, 16, v14
	v_cmp_lt_i32_e32 vcc, v16, v15
	s_load_dwordx4 s[16:19], s[0:1], 0x20
	v_mul_lo_u32 v11, v10, s12
	v_cndmask_b32_e32 v16, v14, v16, vcc
	v_lshlrev_b32_e32 v25, 2, v16
	v_xor_b32_e32 v16, 8, v14
	v_cmp_lt_i32_e32 vcc, v16, v15
	v_or_b32_e32 v13, 32, v12
	v_or_b32_e32 v17, 64, v12
	v_cndmask_b32_e32 v16, v14, v16, vcc
	v_lshlrev_b32_e32 v26, 2, v16
	v_xor_b32_e32 v16, 4, v14
	v_cmp_lt_i32_e32 vcc, v16, v15
	v_or_b32_e32 v18, 0x60, v12
	v_or_b32_e32 v19, 0x80, v12
	;; [unrolled: 6-line block ×4, first 2 shown]
	v_cndmask_b32_e32 v14, v14, v16, vcc
	v_or_b32_e32 v24, 0x120, v12
	v_lshlrev_b32_e32 v29, 2, v14
	v_mov_b32_e32 v16, 0
	v_mov_b32_e32 v30, 0x140
	;; [unrolled: 1-line block ×4, first 2 shown]
	s_branch .LBB107_28
.LBB107_26:                             ;   in Loop: Header=BB107_28 Depth=1
	s_waitcnt lgkmcnt(0)
	v_add_u32_e32 v34, s31, v11
	v_cmp_le_i32_e32 vcc, s13, v14
	v_cmp_gt_i32_e64 s[0:1], s14, v14
	v_ashrrev_i32_e32 v35, 31, v34
	s_and_b64 s[0:1], vcc, s[0:1]
	v_lshlrev_b64 v[34:35], 2, v[34:35]
	v_lshl_add_u64 v[36:37], s[20:21], 0, v[34:35]
	v_subrev_u32_e32 v15, s13, v14
	s_and_b64 vcc, s[22:23], s[0:1]
	global_store_dword v[36:37], v33, off
	v_cndmask_b32_e32 v15, v30, v15, vcc
	v_lshl_add_u64 v[36:37], s[16:17], 0, v[34:35]
	global_store_dword v[36:37], v15, off
	v_add_f32_e32 v15, v16, v33
	v_lshl_add_u64 v[34:35], s[18:19], 0, v[34:35]
	v_cndmask_b32_e64 v16, v16, v15, s[4:5]
	global_store_dword v[34:35], v32, off
.LBB107_27:                             ;   in Loop: Header=BB107_28 Depth=1
	s_or_b64 exec, exec, s[26:27]
	v_ashrrev_i32_e32 v15, 31, v14
	v_lshrrev_b32_e32 v15, 27, v15
	v_add_u32_e32 v15, v14, v15
	v_and_b32_e32 v33, 0xffffffe0, v15
	v_sub_u32_e32 v14, v14, v33
	s_add_i32 s31, s31, 1
	v_cmp_eq_u32_e32 vcc, v12, v14
	s_cmp_lt_i32 s31, s12
	v_ashrrev_i32_e32 v14, 5, v15
	s_cselect_b64 s[26:27], -1, 0
	v_cmp_ne_u32_e64 s[0:1], 9, v14
	s_and_b64 vcc, s[26:27], vcc
	s_cmp_eq_u32 s12, s31
	v_cndmask_b32_e64 v15, v31, v9, s[0:1]
	v_cmp_ne_u32_e64 s[0:1], 8, v14
	v_cndmask_b32_e32 v9, v9, v15, vcc
	v_add_u32_e32 v32, s30, v32
	v_cndmask_b32_e64 v15, v31, v8, s[0:1]
	v_cmp_ne_u32_e64 s[0:1], 7, v14
	v_cndmask_b32_e32 v8, v8, v15, vcc
	s_nop 0
	v_cndmask_b32_e64 v15, v31, v7, s[0:1]
	v_cmp_ne_u32_e64 s[0:1], 6, v14
	v_cndmask_b32_e32 v7, v7, v15, vcc
	s_nop 0
	;; [unrolled: 4-line block ×8, first 2 shown]
	v_cndmask_b32_e64 v14, v31, v0, s[0:1]
	v_cndmask_b32_e32 v0, v0, v14, vcc
	s_cbranch_scc1 .LBB107_52
.LBB107_28:                             ; =>This Inner Loop Header: Depth=1
	v_cmp_gt_f32_e32 vcc, v1, v0
	s_nop 1
	v_cndmask_b32_e32 v15, v0, v1, vcc
	v_cndmask_b32_e32 v14, v12, v13, vcc
	v_cmp_gt_f32_e32 vcc, v2, v15
	s_nop 1
	v_cndmask_b32_e32 v15, v15, v2, vcc
	v_cndmask_b32_e32 v14, v14, v17, vcc
	;; [unrolled: 4-line block ×9, first 2 shown]
	ds_bpermute_b32 v15, v25, v33
	s_waitcnt lgkmcnt(0)
	ds_bpermute_b32 v34, v25, v14
	s_waitcnt lgkmcnt(0)
	v_cmp_lt_f32_e64 s[26:27], v33, v15
	v_cmp_nlt_f32_e32 vcc, v33, v15
	s_and_saveexec_b64 s[28:29], vcc
; %bb.29:                               ;   in Loop: Header=BB107_28 Depth=1
	v_cmp_eq_f32_e32 vcc, v33, v15
	v_cmp_lt_i32_e64 s[0:1], v34, v14
	s_and_b64 s[0:1], vcc, s[0:1]
	s_andn2_b64 s[26:27], s[26:27], exec
	s_and_b64 s[0:1], s[0:1], exec
	s_or_b64 s[26:27], s[26:27], s[0:1]
; %bb.30:                               ;   in Loop: Header=BB107_28 Depth=1
	s_or_b64 exec, exec, s[28:29]
	s_and_saveexec_b64 s[0:1], s[26:27]
; %bb.31:                               ;   in Loop: Header=BB107_28 Depth=1
	v_mov_b32_e32 v33, v15
	v_mov_b32_e32 v14, v34
; %bb.32:                               ;   in Loop: Header=BB107_28 Depth=1
	s_or_b64 exec, exec, s[0:1]
	ds_bpermute_b32 v15, v26, v33
	ds_bpermute_b32 v34, v26, v14
	s_waitcnt lgkmcnt(1)
	v_cmp_lt_f32_e64 s[26:27], v33, v15
	v_cmp_nlt_f32_e32 vcc, v33, v15
	s_and_saveexec_b64 s[28:29], vcc
	s_cbranch_execz .LBB107_34
; %bb.33:                               ;   in Loop: Header=BB107_28 Depth=1
	v_cmp_eq_f32_e32 vcc, v33, v15
	s_waitcnt lgkmcnt(0)
	v_cmp_lt_i32_e64 s[0:1], v34, v14
	s_and_b64 s[0:1], vcc, s[0:1]
	s_andn2_b64 s[26:27], s[26:27], exec
	s_and_b64 s[0:1], s[0:1], exec
	s_or_b64 s[26:27], s[26:27], s[0:1]
.LBB107_34:                             ;   in Loop: Header=BB107_28 Depth=1
	s_or_b64 exec, exec, s[28:29]
	s_and_saveexec_b64 s[0:1], s[26:27]
	s_cbranch_execz .LBB107_36
; %bb.35:                               ;   in Loop: Header=BB107_28 Depth=1
	v_mov_b32_e32 v33, v15
	s_waitcnt lgkmcnt(0)
	v_mov_b32_e32 v14, v34
.LBB107_36:                             ;   in Loop: Header=BB107_28 Depth=1
	s_or_b64 exec, exec, s[0:1]
	ds_bpermute_b32 v15, v27, v33
	s_waitcnt lgkmcnt(1)
	ds_bpermute_b32 v34, v27, v14
	s_waitcnt lgkmcnt(1)
	v_cmp_lt_f32_e64 s[26:27], v33, v15
	v_cmp_nlt_f32_e32 vcc, v33, v15
	s_and_saveexec_b64 s[28:29], vcc
	s_cbranch_execz .LBB107_38
; %bb.37:                               ;   in Loop: Header=BB107_28 Depth=1
	v_cmp_eq_f32_e32 vcc, v33, v15
	s_waitcnt lgkmcnt(0)
	v_cmp_lt_i32_e64 s[0:1], v34, v14
	s_and_b64 s[0:1], vcc, s[0:1]
	s_andn2_b64 s[26:27], s[26:27], exec
	s_and_b64 s[0:1], s[0:1], exec
	s_or_b64 s[26:27], s[26:27], s[0:1]
.LBB107_38:                             ;   in Loop: Header=BB107_28 Depth=1
	s_or_b64 exec, exec, s[28:29]
	s_and_saveexec_b64 s[0:1], s[26:27]
	s_cbranch_execz .LBB107_40
; %bb.39:                               ;   in Loop: Header=BB107_28 Depth=1
	v_mov_b32_e32 v33, v15
	s_waitcnt lgkmcnt(0)
	v_mov_b32_e32 v14, v34
.LBB107_40:                             ;   in Loop: Header=BB107_28 Depth=1
	s_or_b64 exec, exec, s[0:1]
	ds_bpermute_b32 v15, v28, v33
	s_waitcnt lgkmcnt(1)
	;; [unrolled: 26-line block ×3, first 2 shown]
	ds_bpermute_b32 v34, v29, v14
	s_waitcnt lgkmcnt(1)
	v_cmp_lt_f32_e64 s[26:27], v33, v15
	v_cmp_nlt_f32_e32 vcc, v33, v15
	s_and_saveexec_b64 s[28:29], vcc
	s_cbranch_execnz .LBB107_47
; %bb.45:                               ;   in Loop: Header=BB107_28 Depth=1
	s_or_b64 exec, exec, s[28:29]
	s_and_saveexec_b64 s[0:1], s[26:27]
	s_cbranch_execnz .LBB107_48
.LBB107_46:                             ;   in Loop: Header=BB107_28 Depth=1
	s_or_b64 exec, exec, s[0:1]
	s_and_saveexec_b64 s[26:27], s[6:7]
	s_cbranch_execz .LBB107_27
	s_branch .LBB107_49
.LBB107_47:                             ;   in Loop: Header=BB107_28 Depth=1
	v_cmp_eq_f32_e32 vcc, v33, v15
	s_waitcnt lgkmcnt(0)
	v_cmp_lt_i32_e64 s[0:1], v34, v14
	s_and_b64 s[0:1], vcc, s[0:1]
	s_andn2_b64 s[26:27], s[26:27], exec
	s_and_b64 s[0:1], s[0:1], exec
	s_or_b64 s[26:27], s[26:27], s[0:1]
	s_or_b64 exec, exec, s[28:29]
	s_and_saveexec_b64 s[0:1], s[26:27]
	s_cbranch_execz .LBB107_46
.LBB107_48:                             ;   in Loop: Header=BB107_28 Depth=1
	s_waitcnt lgkmcnt(0)
	v_mov_b32_e32 v14, v34
	v_mov_b32_e32 v33, v15
	s_or_b64 exec, exec, s[0:1]
	s_and_saveexec_b64 s[26:27], s[6:7]
	s_cbranch_execz .LBB107_27
.LBB107_49:                             ;   in Loop: Header=BB107_28 Depth=1
	s_and_b64 vcc, exec, s[2:3]
	s_cbranch_vccnz .LBB107_26
; %bb.50:                               ;   in Loop: Header=BB107_28 Depth=1
	v_ashrrev_i32_e32 v15, 31, v14
	s_waitcnt lgkmcnt(0)
	v_lshl_add_u64 v[34:35], v[14:15], 2, s[10:11]
	global_load_dword v15, v[34:35], off
	s_waitcnt vmcnt(0)
	v_sub_f32_e32 v33, v33, v15
	s_branch .LBB107_26
.LBB107_51:
	v_mov_b32_e32 v16, 0
.LBB107_52:
	v_cmp_eq_u32_e32 vcc, 0, v12
	s_and_b64 exec, exec, vcc
	s_cbranch_execz .LBB107_65
; %bb.53:
	s_andn2_b64 vcc, exec, s[4:5]
	v_cvt_f32_f64_e32 v0, s[8:9]
	s_cbranch_vccnz .LBB107_55
; %bb.54:
	v_cmp_lt_f32_e32 vcc, 0, v16
	s_nop 1
	v_cndmask_b32_e32 v1, 1.0, v16, vcc
	v_div_scale_f32 v2, s[0:1], v1, v1, v0
	v_rcp_f32_e32 v3, v2
	s_nop 0
	v_fma_f32 v4, -v2, v3, 1.0
	v_fmac_f32_e32 v3, v4, v3
	v_div_scale_f32 v4, vcc, v0, v1, v0
	v_mul_f32_e32 v5, v4, v3
	v_fma_f32 v6, -v2, v5, v4
	v_fmac_f32_e32 v5, v6, v3
	v_fma_f32 v2, -v2, v5, v4
	v_div_fmas_f32 v2, v2, v3, v5
	v_div_fixup_f32 v0, v2, v1, v0
.LBB107_55:
	s_andn2_b64 vcc, exec, s[24:25]
	s_cbranch_vccnz .LBB107_65
; %bb.56:
	v_mul_lo_u32 v2, v10, s12
	s_cmp_gt_u32 s12, 3
	v_ashrrev_i32_e32 v3, 31, v2
	s_cbranch_scc0 .LBB107_60
; %bb.57:
	s_and_b32 s0, s12, 0x7ffffffc
	v_lshl_add_u64 v[4:5], v[2:3], 2, s[20:21]
	v_mov_b32_e32 v1, v0
	v_lshl_add_u64 v[4:5], v[4:5], 0, 8
	s_mov_b32 s1, s0
.LBB107_58:                             ; =>This Inner Loop Header: Depth=1
	global_load_dwordx4 v[6:9], v[4:5], off offset:-8
	s_add_i32 s1, s1, -4
	s_cmp_lg_u32 s1, 0
	s_waitcnt vmcnt(0)
	v_pk_mul_f32 v[6:7], v[0:1], v[6:7]
	v_pk_mul_f32 v[8:9], v[0:1], v[8:9]
	global_store_dwordx4 v[4:5], v[6:9], off offset:-8
	v_lshl_add_u64 v[4:5], v[4:5], 0, 16
	s_cbranch_scc1 .LBB107_58
; %bb.59:
	s_cmp_lg_u32 s0, s12
	s_cselect_b64 s[2:3], -1, 0
	s_branch .LBB107_62
.LBB107_60:
	s_mov_b64 s[2:3], 0
                                        ; implicit-def: $sgpr0
	s_cbranch_execz .LBB107_62
; %bb.61:
	s_mov_b64 s[2:3], -1
	s_mov_b32 s0, 0
.LBB107_62:
	s_andn2_b64 vcc, exec, s[2:3]
	s_cbranch_vccnz .LBB107_65
; %bb.63:
	s_mov_b32 s1, 0
	v_lshl_add_u64 v[2:3], v[2:3], 0, s[0:1]
	s_sub_i32 s2, s12, s0
	v_lshl_add_u64 v[2:3], v[2:3], 2, s[20:21]
.LBB107_64:                             ; =>This Inner Loop Header: Depth=1
	global_load_dword v1, v[2:3], off
	s_add_i32 s2, s2, -1
	s_cmp_lg_u32 s2, 0
	s_waitcnt vmcnt(0)
	v_mul_f32_e32 v1, v0, v1
	global_store_dword v[2:3], v1, off
	v_lshl_add_u64 v[2:3], v[2:3], 0, 4
	s_cbranch_scc1 .LBB107_64
.LBB107_65:
	s_endpgm
	.section	.rodata,"a",@progbits
	.p2align	6, 0x0
	.amdhsa_kernel _ZN4vllm3moe22topkGatingSoftplusSqrtILi10ELi320ELi4ELi4ELi32ELb0EjfEEvPKT6_PKbPfiPT5_PiiiibdPKfPKS8_SE_
		.amdhsa_group_segment_fixed_size 0
		.amdhsa_private_segment_fixed_size 0
		.amdhsa_kernarg_size 96
		.amdhsa_user_sgpr_count 2
		.amdhsa_user_sgpr_dispatch_ptr 0
		.amdhsa_user_sgpr_queue_ptr 0
		.amdhsa_user_sgpr_kernarg_segment_ptr 1
		.amdhsa_user_sgpr_dispatch_id 0
		.amdhsa_user_sgpr_kernarg_preload_length 0
		.amdhsa_user_sgpr_kernarg_preload_offset 0
		.amdhsa_user_sgpr_private_segment_size 0
		.amdhsa_uses_dynamic_stack 0
		.amdhsa_enable_private_segment 0
		.amdhsa_system_sgpr_workgroup_id_x 1
		.amdhsa_system_sgpr_workgroup_id_y 0
		.amdhsa_system_sgpr_workgroup_id_z 0
		.amdhsa_system_sgpr_workgroup_info 0
		.amdhsa_system_vgpr_workitem_id 1
		.amdhsa_next_free_vgpr 38
		.amdhsa_next_free_sgpr 32
		.amdhsa_accum_offset 40
		.amdhsa_reserve_vcc 1
		.amdhsa_float_round_mode_32 0
		.amdhsa_float_round_mode_16_64 0
		.amdhsa_float_denorm_mode_32 3
		.amdhsa_float_denorm_mode_16_64 3
		.amdhsa_dx10_clamp 1
		.amdhsa_ieee_mode 1
		.amdhsa_fp16_overflow 0
		.amdhsa_tg_split 0
		.amdhsa_exception_fp_ieee_invalid_op 0
		.amdhsa_exception_fp_denorm_src 0
		.amdhsa_exception_fp_ieee_div_zero 0
		.amdhsa_exception_fp_ieee_overflow 0
		.amdhsa_exception_fp_ieee_underflow 0
		.amdhsa_exception_fp_ieee_inexact 0
		.amdhsa_exception_int_div_zero 0
	.end_amdhsa_kernel
	.section	.text._ZN4vllm3moe22topkGatingSoftplusSqrtILi10ELi320ELi4ELi4ELi32ELb0EjfEEvPKT6_PKbPfiPT5_PiiiibdPKfPKS8_SE_,"axG",@progbits,_ZN4vllm3moe22topkGatingSoftplusSqrtILi10ELi320ELi4ELi4ELi32ELb0EjfEEvPKT6_PKbPfiPT5_PiiiibdPKfPKS8_SE_,comdat
.Lfunc_end107:
	.size	_ZN4vllm3moe22topkGatingSoftplusSqrtILi10ELi320ELi4ELi4ELi32ELb0EjfEEvPKT6_PKbPfiPT5_PiiiibdPKfPKS8_SE_, .Lfunc_end107-_ZN4vllm3moe22topkGatingSoftplusSqrtILi10ELi320ELi4ELi4ELi32ELb0EjfEEvPKT6_PKbPfiPT5_PiiiibdPKfPKS8_SE_
                                        ; -- End function
	.section	.AMDGPU.csdata,"",@progbits
; Kernel info:
; codeLenInByte = 4828
; NumSgprs: 38
; NumVgprs: 38
; NumAgprs: 0
; TotalNumVgprs: 38
; ScratchSize: 0
; MemoryBound: 0
; FloatMode: 240
; IeeeMode: 1
; LDSByteSize: 0 bytes/workgroup (compile time only)
; SGPRBlocks: 4
; VGPRBlocks: 4
; NumSGPRsForWavesPerEU: 38
; NumVGPRsForWavesPerEU: 38
; AccumOffset: 40
; Occupancy: 8
; WaveLimiterHint : 1
; COMPUTE_PGM_RSRC2:SCRATCH_EN: 0
; COMPUTE_PGM_RSRC2:USER_SGPR: 2
; COMPUTE_PGM_RSRC2:TRAP_HANDLER: 0
; COMPUTE_PGM_RSRC2:TGID_X_EN: 1
; COMPUTE_PGM_RSRC2:TGID_Y_EN: 0
; COMPUTE_PGM_RSRC2:TGID_Z_EN: 0
; COMPUTE_PGM_RSRC2:TIDIG_COMP_CNT: 1
; COMPUTE_PGM_RSRC3_GFX90A:ACCUM_OFFSET: 9
; COMPUTE_PGM_RSRC3_GFX90A:TG_SPLIT: 0
	.section	.text._ZN4vllm3moe22topkGatingSoftplusSqrtILi6ELi384ELi4ELi8ELi64ELb1EjfEEvPKT6_PKbPfiPT5_PiiiibdPKfPKS8_SE_,"axG",@progbits,_ZN4vllm3moe22topkGatingSoftplusSqrtILi6ELi384ELi4ELi8ELi64ELb1EjfEEvPKT6_PKbPfiPT5_PiiiibdPKfPKS8_SE_,comdat
	.protected	_ZN4vllm3moe22topkGatingSoftplusSqrtILi6ELi384ELi4ELi8ELi64ELb1EjfEEvPKT6_PKbPfiPT5_PiiiibdPKfPKS8_SE_ ; -- Begin function _ZN4vllm3moe22topkGatingSoftplusSqrtILi6ELi384ELi4ELi8ELi64ELb1EjfEEvPKT6_PKbPfiPT5_PiiiibdPKfPKS8_SE_
	.globl	_ZN4vllm3moe22topkGatingSoftplusSqrtILi6ELi384ELi4ELi8ELi64ELb1EjfEEvPKT6_PKbPfiPT5_PiiiibdPKfPKS8_SE_
	.p2align	8
	.type	_ZN4vllm3moe22topkGatingSoftplusSqrtILi6ELi384ELi4ELi8ELi64ELb1EjfEEvPKT6_PKbPfiPT5_PiiiibdPKfPKS8_SE_,@function
_ZN4vllm3moe22topkGatingSoftplusSqrtILi6ELi384ELi4ELi8ELi64ELb1EjfEEvPKT6_PKbPfiPT5_PiiiibdPKfPKS8_SE_: ; @_ZN4vllm3moe22topkGatingSoftplusSqrtILi6ELi384ELi4ELi8ELi64ELb1EjfEEvPKT6_PKbPfiPT5_PiiiibdPKfPKS8_SE_
; %bb.0:
	s_load_dword s3, s[0:1], 0x18
	v_and_b32_e32 v1, 0x3ff, v0
	s_lshl_b32 s2, s2, 2
	v_lshrrev_b32_e32 v2, 6, v1
	v_bfe_u32 v0, v0, 10, 10
	v_add3_u32 v0, s2, v0, v2
	s_waitcnt lgkmcnt(0)
	v_cmp_gt_i32_e32 vcc, s3, v0
	s_and_saveexec_b64 s[2:3], vcc
	s_cbranch_execz .LBB108_32
; %bb.1:
	s_load_dwordx2 s[2:3], s[0:1], 0x0
	s_load_dword s24, s[0:1], 0x30
	s_load_dwordx4 s[8:11], s[0:1], 0x50
	s_movk_i32 s4, 0x180
	v_mul_lo_u32 v2, v0, s4
	v_lshlrev_b32_e32 v1, 1, v1
	v_ashrrev_i32_e32 v3, 31, v2
	v_and_b32_e32 v10, 0x7e, v1
	s_waitcnt lgkmcnt(0)
	v_lshl_add_u64 v[2:3], v[2:3], 2, s[2:3]
	v_lshlrev_b32_e32 v4, 2, v10
	v_mov_b32_e32 v5, 0
	v_lshl_add_u64 v[2:3], v[2:3], 0, v[4:5]
	global_load_dwordx2 v[6:7], v[2:3], off
	global_load_dwordx2 v[8:9], v[2:3], off offset:512
	v_mov_b32_e32 v12, s8
	v_mov_b32_e32 v13, s9
	v_ashrrev_i32_e32 v1, 31, v0
	v_lshl_add_u64 v[12:13], v[0:1], 2, v[12:13]
	global_load_dword v1, v[12:13], off
	s_mov_b32 s15, 0x800000
	global_load_dwordx2 v[2:3], v[2:3], off offset:1024
	v_mov_b32_e32 v11, 0x4f800000
	s_mov_b32 s13, 0x3f317217
	s_mov_b32 s14, 0x7f800000
	v_mov_b32_e32 v16, 0x41b17218
	s_mov_b32 s9, 0x41a00000
	s_mov_b32 s12, 0xf800000
	v_mov_b32_e32 v17, 0x260
	s_cmp_gt_i32 s24, 0
	s_mov_b32 s8, 0
	v_mul_lo_u32 v0, v0, s24
	s_waitcnt vmcnt(3)
	v_mul_f32_e32 v4, 0x3fb8aa3b, v6
	v_mul_f32_e32 v13, 0x3fb8aa3b, v7
	v_exp_f32_e32 v12, v4
	v_exp_f32_e32 v13, v13
	s_waitcnt vmcnt(2)
	v_mul_f32_e32 v14, 0x3fb8aa3b, v8
	v_mul_f32_e32 v15, 0x3fb8aa3b, v9
	v_exp_f32_e32 v14, v14
	v_exp_f32_e32 v15, v15
	v_pk_add_f32 v[12:13], v[12:13], 1.0 op_sel_hi:[1,0]
	s_waitcnt vmcnt(1)
	v_mul_lo_u32 v4, v1, s24
	v_cmp_gt_f32_e32 vcc, s15, v13
	v_pk_add_f32 v[14:15], v[14:15], 1.0 op_sel_hi:[1,0]
	v_cmp_gt_f32_e64 s[2:3], s15, v12
	v_cndmask_b32_e32 v1, 1.0, v11, vcc
	v_cmp_gt_f32_e64 s[4:5], s15, v15
	v_cndmask_b32_e64 v18, 1.0, v11, s[2:3]
	v_mul_f32_e32 v1, v13, v1
	v_cndmask_b32_e64 v19, 1.0, v11, s[4:5]
	v_mul_f32_e32 v12, v12, v18
	v_log_f32_e32 v1, v1
	v_mul_f32_e32 v15, v15, v19
	v_log_f32_e32 v12, v12
	v_cmp_gt_f32_e64 s[6:7], s15, v14
	v_log_f32_e32 v15, v15
	v_cndmask_b32_e32 v13, 0, v16, vcc
	v_cndmask_b32_e64 v20, 1.0, v11, s[6:7]
	v_mul_f32_e32 v14, v14, v20
	v_mul_f32_e32 v20, 0x3f317217, v1
	;; [unrolled: 1-line block ×3, first 2 shown]
	v_fma_f32 v20, v1, s13, -v20
	v_mul_f32_e32 v22, 0x3f317217, v15
	v_fma_f32 v21, v12, s13, -v21
	v_fmac_f32_e32 v20, 0x3377d1cf, v1
	v_fma_f32 v22, v15, s13, -v22
	v_fmac_f32_e32 v21, 0x3377d1cf, v12
	v_fmac_f32_e32 v20, 0x3f317217, v1
	v_cmp_lt_f32_e64 vcc, |v1|, s14
	v_fmac_f32_e32 v22, 0x3377d1cf, v15
	v_fmac_f32_e32 v21, 0x3f317217, v12
	v_cndmask_b32_e32 v1, v1, v20, vcc
	v_cmp_lt_f32_e64 vcc, |v12|, s14
	v_cndmask_b32_e64 v18, 0, v16, s[2:3]
	v_fmac_f32_e32 v22, 0x3f317217, v15
	v_cndmask_b32_e32 v12, v12, v21, vcc
	v_cmp_lt_f32_e64 vcc, |v15|, s14
	v_sub_f32_e32 v12, v12, v18
	v_sub_f32_e32 v1, v1, v13
	v_cndmask_b32_e32 v15, v15, v22, vcc
	v_cmp_lt_f32_e32 vcc, s9, v6
	v_cndmask_b32_e64 v19, 0, v16, s[4:5]
	v_sub_f32_e32 v13, v15, v19
	v_cndmask_b32_e32 v6, v12, v6, vcc
	v_cmp_lt_f32_e32 vcc, s9, v7
	v_mul_f32_e32 v12, 0x4f800000, v6
	v_cmp_gt_f32_e64 s[2:3], s12, v6
	v_cndmask_b32_e32 v1, v1, v7, vcc
	v_mul_f32_e32 v7, 0x4f800000, v1
	v_cmp_gt_f32_e32 vcc, s12, v1
	v_cndmask_b32_e64 v6, v6, v12, s[2:3]
	v_sqrt_f32_e32 v12, v6
	v_cndmask_b32_e32 v1, v1, v7, vcc
	v_sqrt_f32_e32 v7, v1
	v_log_f32_e32 v14, v14
	v_add_u32_e32 v19, -1, v12
	v_fma_f32 v24, -v19, v12, v6
	v_add_u32_e32 v15, -1, v7
	v_fma_f32 v21, -v15, v7, v1
	v_add_u32_e32 v18, 1, v7
	v_cmp_ge_f32_e64 s[4:5], 0, v21
	v_add_u32_e32 v20, 1, v12
	v_fma_f32 v22, -v18, v7, v1
	v_cndmask_b32_e64 v7, v7, v15, s[4:5]
	v_cmp_ge_f32_e64 s[4:5], 0, v24
	v_fma_f32 v25, -v20, v12, v6
	v_mul_f32_e32 v23, 0x3f317217, v14
	v_cndmask_b32_e64 v12, v12, v19, s[4:5]
	v_cmp_lt_f32_e64 s[4:5], 0, v22
	v_fma_f32 v23, v14, s13, -v23
	v_fmac_f32_e32 v23, 0x3377d1cf, v14
	v_cndmask_b32_e64 v7, v7, v18, s[4:5]
	v_cmp_lt_f32_e64 s[4:5], 0, v25
	v_mul_f32_e32 v15, 0x37800000, v7
	v_cndmask_b32_e32 v7, v7, v15, vcc
	v_cndmask_b32_e64 v12, v12, v20, s[4:5]
	v_mul_f32_e32 v18, 0x37800000, v12
	v_cmp_class_f32_e32 vcc, v1, v17
	v_cndmask_b32_e64 v12, v12, v18, s[2:3]
	v_fmac_f32_e32 v23, 0x3f317217, v14
	v_cndmask_b32_e32 v7, v7, v1, vcc
	v_cmp_class_f32_e32 vcc, v6, v17
	v_cmp_lt_f32_e64 s[2:3], s9, v8
	s_nop 0
	v_cndmask_b32_e32 v6, v12, v6, vcc
	v_cmp_lt_f32_e64 vcc, |v14|, s14
	v_cndmask_b32_e64 v12, 0, v16, s[6:7]
	s_nop 0
	v_cndmask_b32_e32 v1, v14, v23, vcc
	v_cmp_lt_f32_e32 vcc, s9, v9
	v_sub_f32_e32 v1, v1, v12
	v_cndmask_b32_e64 v1, v1, v8, s[2:3]
	v_cndmask_b32_e32 v9, v13, v9, vcc
	v_mul_f32_e32 v13, 0x4f800000, v9
	v_cmp_gt_f32_e32 vcc, s12, v9
	s_nop 1
	v_cndmask_b32_e32 v9, v9, v13, vcc
	v_sqrt_f32_e32 v13, v9
	s_nop 0
	v_add_u32_e32 v8, -1, v13
	v_fma_f32 v12, -v8, v13, v9
	v_cmp_ge_f32_e64 s[2:3], 0, v12
	v_add_u32_e32 v12, 1, v13
	s_nop 0
	v_cndmask_b32_e64 v8, v13, v8, s[2:3]
	v_fma_f32 v13, -v12, v13, v9
	v_cmp_lt_f32_e64 s[2:3], 0, v13
	v_mul_f32_e32 v13, 0x4f800000, v1
	s_nop 0
	v_cndmask_b32_e64 v8, v8, v12, s[2:3]
	v_cmp_gt_f32_e64 s[2:3], s12, v1
	v_mul_f32_e32 v12, 0x37800000, v8
	v_cndmask_b32_e32 v8, v8, v12, vcc
	v_cndmask_b32_e64 v1, v1, v13, s[2:3]
	v_sqrt_f32_e32 v13, v1
	v_cmp_class_f32_e32 vcc, v9, v17
	v_add_u32_e32 v14, 1, v13
	s_nop 0
	v_cndmask_b32_e32 v9, v8, v9, vcc
	v_add_u32_e32 v8, -1, v13
	v_fma_f32 v12, -v8, v13, v1
	v_cmp_ge_f32_e32 vcc, 0, v12
	v_fma_f32 v15, -v14, v13, v1
	s_waitcnt vmcnt(0)
	v_mul_f32_e32 v12, 0x3fb8aa3b, v2
	v_cndmask_b32_e32 v8, v13, v8, vcc
	v_mul_f32_e32 v13, 0x3fb8aa3b, v3
	v_exp_f32_e32 v12, v12
	v_exp_f32_e32 v13, v13
	v_cmp_lt_f32_e32 vcc, 0, v15
	v_pk_add_f32 v[12:13], v[12:13], 1.0 op_sel_hi:[1,0]
	s_nop 0
	v_cndmask_b32_e32 v8, v8, v14, vcc
	v_mul_f32_e32 v14, 0x37800000, v8
	v_cmp_gt_f32_e32 vcc, s15, v13
	v_cndmask_b32_e64 v8, v8, v14, s[2:3]
	v_cmp_class_f32_e64 s[2:3], v1, v17
	v_cndmask_b32_e32 v14, 1.0, v11, vcc
	v_mul_f32_e32 v13, v13, v14
	v_log_f32_e32 v13, v13
	v_cndmask_b32_e64 v8, v8, v1, s[2:3]
	v_cmp_gt_f32_e64 s[2:3], s15, v12
	scratch_store_dwordx4 off, v[6:9], off
	v_mul_f32_e32 v1, 0x3f317217, v13
	v_fma_f32 v1, v13, s13, -v1
	v_cndmask_b32_e64 v6, 1.0, v11, s[2:3]
	v_mul_f32_e32 v6, v12, v6
	v_log_f32_e32 v6, v6
	v_fmac_f32_e32 v1, 0x3377d1cf, v13
	v_fmac_f32_e32 v1, 0x3f317217, v13
	v_cmp_lt_f32_e64 s[4:5], |v13|, s14
	v_cndmask_b32_e32 v7, 0, v16, vcc
	v_cmp_lt_f32_e64 vcc, |v6|, s14
	v_cndmask_b32_e64 v1, v13, v1, s[4:5]
	v_sub_f32_e32 v1, v1, v7
	v_mul_f32_e32 v7, 0x3f317217, v6
	v_fma_f32 v7, v6, s13, -v7
	v_fmac_f32_e32 v7, 0x3377d1cf, v6
	v_fmac_f32_e32 v7, 0x3f317217, v6
	v_cndmask_b32_e32 v6, v6, v7, vcc
	v_cmp_lt_f32_e32 vcc, s9, v3
	v_cndmask_b32_e64 v7, 0, v16, s[2:3]
	v_sub_f32_e32 v6, v6, v7
	v_cndmask_b32_e32 v1, v1, v3, vcc
	v_mul_f32_e32 v3, 0x4f800000, v1
	v_cmp_gt_f32_e32 vcc, s12, v1
	v_cmp_lt_f32_e64 s[2:3], s9, v2
	s_cselect_b64 s[4:5], -1, 0
	v_cndmask_b32_e32 v1, v1, v3, vcc
	v_sqrt_f32_e32 v3, v1
	v_cndmask_b32_e64 v2, v6, v2, s[2:3]
	s_cmp_lt_i32 s24, 1
	v_add_u32_e32 v6, -1, v3
	v_fma_f32 v7, -v6, v3, v1
	v_cmp_ge_f32_e64 s[2:3], 0, v7
	v_add_u32_e32 v7, 1, v3
	s_nop 0
	v_cndmask_b32_e64 v6, v3, v6, s[2:3]
	v_fma_f32 v3, -v7, v3, v1
	v_cmp_lt_f32_e64 s[2:3], 0, v3
	s_nop 1
	v_cndmask_b32_e64 v3, v6, v7, s[2:3]
	v_mul_f32_e32 v7, 0x4f800000, v2
	v_cmp_gt_f32_e64 s[2:3], s12, v2
	v_mul_f32_e32 v6, 0x37800000, v3
	v_cndmask_b32_e32 v3, v3, v6, vcc
	v_cndmask_b32_e64 v2, v2, v7, s[2:3]
	v_sqrt_f32_e32 v7, v2
	v_cmp_class_f32_e32 vcc, v1, v17
	s_nop 1
	v_cndmask_b32_e32 v3, v3, v1, vcc
	v_add_u32_e32 v1, -1, v7
	v_fma_f32 v6, -v1, v7, v2
	v_cmp_ge_f32_e32 vcc, 0, v6
	v_add_u32_e32 v6, 1, v7
	s_nop 0
	v_cndmask_b32_e32 v1, v7, v1, vcc
	v_fma_f32 v7, -v6, v7, v2
	v_cmp_lt_f32_e32 vcc, 0, v7
	s_nop 1
	v_cndmask_b32_e32 v1, v1, v6, vcc
	v_mul_f32_e32 v6, 0x37800000, v1
	v_cndmask_b32_e64 v1, v1, v6, s[2:3]
	v_cmp_class_f32_e32 vcc, v2, v17
	s_nop 1
	v_cndmask_b32_e32 v2, v1, v2, vcc
	scratch_store_dwordx2 off, v[2:3], off offset:16
	v_lshl_add_u64 v[2:3], v[4:5], 2, s[10:11]
	s_cbranch_scc1 .LBB108_29
; %bb.2:
	s_load_dwordx2 s[6:7], s[0:1], 0x20
	s_cmp_lt_u32 s24, 4
	s_cbranch_scc1 .LBB108_21
; %bb.3:
	s_mov_b32 s11, 0
	s_and_b32 s8, s24, 0x7ffffffc
	v_ashrrev_i32_e32 v1, 31, v0
	v_mov_b32_e32 v5, 0
	s_mov_b32 s10, s11
	s_branch .LBB108_5
.LBB108_4:                              ;   in Loop: Header=BB108_5 Depth=1
	s_or_b64 exec, exec, s[12:13]
	s_add_i32 s10, s10, 4
	s_cmp_eq_u32 s10, s8
	s_cbranch_scc1 .LBB108_22
.LBB108_5:                              ; =>This Loop Header: Depth=1
                                        ;     Child Loop BB108_7 Depth 2
                                        ;     Child Loop BB108_11 Depth 2
	;; [unrolled: 1-line block ×4, first 2 shown]
	v_lshl_add_u64 v[6:7], s[10:11], 2, v[2:3]
	global_load_dword v4, v[6:7], off
	v_add_u32_e32 v8, s10, v0
	v_ashrrev_i32_e32 v9, 31, v8
	s_waitcnt lgkmcnt(0)
	v_lshl_add_u64 v[8:9], v[8:9], 2, s[6:7]
	v_mov_b32_e32 v11, 0
	s_mov_b64 s[12:13], 0
	s_mov_b32 s9, 0
	s_mov_b32 s16, 0
	s_branch .LBB108_7
.LBB108_6:                              ;   in Loop: Header=BB108_7 Depth=2
	s_or_b64 exec, exec, s[14:15]
	s_add_i32 s17, s16, 1
	s_cmp_gt_u32 s16, 4
	s_cselect_b64 s[2:3], -1, 0
	s_xor_b64 s[14:15], vcc, -1
	s_or_b64 s[2:3], s[14:15], s[2:3]
	s_add_i32 s9, s9, 64
	s_and_b64 s[2:3], exec, s[2:3]
	v_add_u32_e32 v11, 4, v11
	s_or_b64 s[12:13], s[2:3], s[12:13]
	s_mov_b32 s16, s17
	s_andn2_b64 exec, exec, s[12:13]
	s_cbranch_execz .LBB108_9
.LBB108_7:                              ;   Parent Loop BB108_5 Depth=1
                                        ; =>  This Inner Loop Header: Depth=2
	s_and_b32 s2, s16, 1
	s_and_b32 s3, s9, 0x180
	s_or_b32 s2, s2, s3
	v_or_b32_e32 v12, s2, v10
	s_waitcnt vmcnt(0)
	v_cmp_ne_u32_e32 vcc, v4, v12
	v_cmp_eq_u32_e64 s[2:3], v4, v12
	s_and_saveexec_b64 s[14:15], s[2:3]
	s_cbranch_execz .LBB108_6
; %bb.8:                                ;   in Loop: Header=BB108_7 Depth=2
	scratch_load_dword v12, v11, off
	s_waitcnt vmcnt(0)
	v_add_f32_e32 v5, v5, v12
	global_store_dword v[8:9], v4, off
	s_branch .LBB108_6
.LBB108_9:                              ;   in Loop: Header=BB108_5 Depth=1
	s_or_b64 exec, exec, s[12:13]
	global_load_dword v4, v[6:7], off offset:4
	s_ashr_i32 s3, s10, 31
	s_mov_b32 s2, s10
	v_lshl_add_u64 v[8:9], s[2:3], 0, v[0:1]
	v_lshl_add_u64 v[8:9], v[8:9], 2, s[6:7]
	v_mov_b32_e32 v11, 0
	s_mov_b32 s9, 0
	s_mov_b64 s[12:13], 0
	s_mov_b32 s16, 0
	s_branch .LBB108_11
.LBB108_10:                             ;   in Loop: Header=BB108_11 Depth=2
	s_or_b64 exec, exec, s[14:15]
	s_add_i32 s17, s16, 1
	s_cmp_gt_u32 s16, 4
	s_cselect_b64 s[2:3], -1, 0
	s_xor_b64 s[14:15], vcc, -1
	s_or_b64 s[2:3], s[14:15], s[2:3]
	s_add_i32 s9, s9, 64
	s_and_b64 s[2:3], exec, s[2:3]
	v_add_u32_e32 v11, 4, v11
	s_or_b64 s[12:13], s[2:3], s[12:13]
	s_mov_b32 s16, s17
	s_andn2_b64 exec, exec, s[12:13]
	s_cbranch_execz .LBB108_13
.LBB108_11:                             ;   Parent Loop BB108_5 Depth=1
                                        ; =>  This Inner Loop Header: Depth=2
	s_and_b32 s2, s16, 1
	s_and_b32 s3, s9, 0x180
	s_or_b32 s2, s2, s3
	v_or_b32_e32 v12, s2, v10
	s_waitcnt vmcnt(0)
	v_cmp_ne_u32_e32 vcc, v4, v12
	v_cmp_eq_u32_e64 s[2:3], v4, v12
	s_and_saveexec_b64 s[14:15], s[2:3]
	s_cbranch_execz .LBB108_10
; %bb.12:                               ;   in Loop: Header=BB108_11 Depth=2
	scratch_load_dword v12, v11, off
	s_waitcnt vmcnt(0)
	v_add_f32_e32 v5, v5, v12
	global_store_dword v[8:9], v4, off offset:4
	s_branch .LBB108_10
.LBB108_13:                             ;   in Loop: Header=BB108_5 Depth=1
	s_or_b64 exec, exec, s[12:13]
	global_load_dword v4, v[6:7], off offset:8
	v_mov_b32_e32 v11, 0
	s_mov_b32 s9, 0
	s_mov_b64 s[12:13], 0
	s_mov_b32 s16, 0
	s_branch .LBB108_15
.LBB108_14:                             ;   in Loop: Header=BB108_15 Depth=2
	s_or_b64 exec, exec, s[14:15]
	s_add_i32 s17, s16, 1
	s_cmp_gt_u32 s16, 4
	s_cselect_b64 s[2:3], -1, 0
	s_xor_b64 s[14:15], vcc, -1
	s_or_b64 s[2:3], s[14:15], s[2:3]
	s_add_i32 s9, s9, 64
	s_and_b64 s[2:3], exec, s[2:3]
	v_add_u32_e32 v11, 4, v11
	s_or_b64 s[12:13], s[2:3], s[12:13]
	s_mov_b32 s16, s17
	s_andn2_b64 exec, exec, s[12:13]
	s_cbranch_execz .LBB108_17
.LBB108_15:                             ;   Parent Loop BB108_5 Depth=1
                                        ; =>  This Inner Loop Header: Depth=2
	s_and_b32 s2, s16, 1
	s_and_b32 s3, s9, 0x180
	s_or_b32 s2, s2, s3
	v_or_b32_e32 v12, s2, v10
	s_waitcnt vmcnt(0)
	v_cmp_ne_u32_e32 vcc, v4, v12
	v_cmp_eq_u32_e64 s[2:3], v4, v12
	s_and_saveexec_b64 s[14:15], s[2:3]
	s_cbranch_execz .LBB108_14
; %bb.16:                               ;   in Loop: Header=BB108_15 Depth=2
	scratch_load_dword v12, v11, off
	s_waitcnt vmcnt(0)
	v_add_f32_e32 v5, v5, v12
	global_store_dword v[8:9], v4, off offset:8
	s_branch .LBB108_14
.LBB108_17:                             ;   in Loop: Header=BB108_5 Depth=1
	s_or_b64 exec, exec, s[12:13]
	global_load_dword v4, v[6:7], off offset:12
	v_mov_b32_e32 v6, 0
	s_mov_b32 s9, 0
	s_mov_b64 s[12:13], 0
	s_mov_b32 s16, 0
	s_branch .LBB108_19
.LBB108_18:                             ;   in Loop: Header=BB108_19 Depth=2
	s_or_b64 exec, exec, s[14:15]
	s_add_i32 s17, s16, 1
	s_cmp_gt_u32 s16, 4
	s_cselect_b64 s[2:3], -1, 0
	s_xor_b64 s[14:15], vcc, -1
	s_or_b64 s[2:3], s[14:15], s[2:3]
	s_add_i32 s9, s9, 64
	s_and_b64 s[2:3], exec, s[2:3]
	v_add_u32_e32 v6, 4, v6
	s_or_b64 s[12:13], s[2:3], s[12:13]
	s_mov_b32 s16, s17
	s_andn2_b64 exec, exec, s[12:13]
	s_cbranch_execz .LBB108_4
.LBB108_19:                             ;   Parent Loop BB108_5 Depth=1
                                        ; =>  This Inner Loop Header: Depth=2
	s_and_b32 s2, s16, 1
	s_and_b32 s3, s9, 0x180
	s_or_b32 s2, s2, s3
	v_or_b32_e32 v7, s2, v10
	s_waitcnt vmcnt(0)
	v_cmp_ne_u32_e32 vcc, v4, v7
	v_cmp_eq_u32_e64 s[2:3], v4, v7
	s_and_saveexec_b64 s[14:15], s[2:3]
	s_cbranch_execz .LBB108_18
; %bb.20:                               ;   in Loop: Header=BB108_19 Depth=2
	scratch_load_dword v7, v6, off
	s_waitcnt vmcnt(0)
	v_add_f32_e32 v5, v5, v7
	global_store_dword v[8:9], v4, off offset:12
	s_branch .LBB108_18
.LBB108_21:
	v_mov_b32_e32 v5, 0
.LBB108_22:
	s_and_b32 s14, s24, 3
	s_cmp_eq_u32 s14, 0
	s_mov_b32 s9, 0
	s_cbranch_scc1 .LBB108_29
; %bb.23:
	s_mov_b32 s15, s9
	s_branch .LBB108_25
.LBB108_24:                             ;   in Loop: Header=BB108_25 Depth=1
	s_or_b64 exec, exec, s[10:11]
	s_add_i32 s8, s8, 1
	s_add_i32 s15, s15, 1
	s_cmp_lg_u32 s15, s14
	s_cbranch_scc0 .LBB108_29
.LBB108_25:                             ; =>This Loop Header: Depth=1
                                        ;     Child Loop BB108_27 Depth 2
	v_lshl_add_u64 v[6:7], s[8:9], 2, v[2:3]
	global_load_dword v1, v[6:7], off
	v_add_u32_e32 v6, s8, v0
	v_ashrrev_i32_e32 v7, 31, v6
	s_waitcnt lgkmcnt(0)
	v_lshl_add_u64 v[6:7], v[6:7], 2, s[6:7]
	v_mov_b32_e32 v4, 0
	s_mov_b32 s16, 0
	s_mov_b64 s[10:11], 0
	s_mov_b32 s17, 0
	s_branch .LBB108_27
.LBB108_26:                             ;   in Loop: Header=BB108_27 Depth=2
	s_or_b64 exec, exec, s[12:13]
	s_add_i32 s18, s17, 1
	s_cmp_gt_u32 s17, 4
	s_cselect_b64 s[2:3], -1, 0
	s_xor_b64 s[12:13], vcc, -1
	s_or_b64 s[2:3], s[12:13], s[2:3]
	s_add_i32 s16, s16, 64
	s_and_b64 s[2:3], exec, s[2:3]
	v_add_u32_e32 v4, 4, v4
	s_or_b64 s[10:11], s[2:3], s[10:11]
	s_mov_b32 s17, s18
	s_andn2_b64 exec, exec, s[10:11]
	s_cbranch_execz .LBB108_24
.LBB108_27:                             ;   Parent Loop BB108_25 Depth=1
                                        ; =>  This Inner Loop Header: Depth=2
	s_and_b32 s2, s17, 1
	s_and_b32 s3, s16, 0x180
	s_or_b32 s2, s2, s3
	v_or_b32_e32 v8, s2, v10
	s_waitcnt vmcnt(0)
	v_cmp_ne_u32_e32 vcc, v1, v8
	v_cmp_eq_u32_e64 s[2:3], v1, v8
	s_and_saveexec_b64 s[12:13], s[2:3]
	s_cbranch_execz .LBB108_26
; %bb.28:                               ;   in Loop: Header=BB108_27 Depth=2
	scratch_load_dword v8, v4, off
	s_waitcnt vmcnt(0)
	v_add_f32_e32 v5, v5, v8
	global_store_dword v[6:7], v1, off
	s_branch .LBB108_26
.LBB108_29:
	s_waitcnt lgkmcnt(0)
	s_load_dword s6, s[0:1], 0x3c
	s_waitcnt lgkmcnt(0)
	s_bitcmp1_b32 s6, 0
	s_cselect_b64 s[2:3], -1, 0
	s_bitcmp0_b32 s6, 0
	s_cbranch_scc0 .LBB108_33
; %bb.30:
	s_load_dwordx2 s[6:7], s[0:1], 0x40
	s_andn2_b64 vcc, exec, s[2:3]
	s_waitcnt lgkmcnt(0)
	v_cvt_f32_f64_e32 v8, s[6:7]
	s_cbranch_vccz .LBB108_34
.LBB108_31:
	s_andn2_b64 vcc, exec, s[4:5]
	s_cbranch_vccz .LBB108_35
.LBB108_32:
	s_endpgm
.LBB108_33:
	v_mbcnt_lo_u32_b32 v1, -1, 0
	v_mbcnt_hi_u32_b32 v1, -1, v1
	v_and_b32_e32 v4, 64, v1
	v_add_u32_e32 v4, 64, v4
	v_xor_b32_e32 v6, 32, v1
	v_cmp_lt_i32_e32 vcc, v6, v4
	v_xor_b32_e32 v7, 16, v1
	s_nop 0
	v_cndmask_b32_e32 v6, v1, v6, vcc
	v_lshlrev_b32_e32 v6, 2, v6
	ds_bpermute_b32 v6, v6, v5
	v_cmp_lt_i32_e32 vcc, v7, v4
	s_waitcnt lgkmcnt(0)
	v_add_f32_e32 v5, v5, v6
	v_cndmask_b32_e32 v6, v1, v7, vcc
	v_lshlrev_b32_e32 v6, 2, v6
	ds_bpermute_b32 v6, v6, v5
	v_xor_b32_e32 v7, 8, v1
	v_cmp_lt_i32_e32 vcc, v7, v4
	s_waitcnt lgkmcnt(0)
	v_add_f32_e32 v5, v5, v6
	v_cndmask_b32_e32 v6, v1, v7, vcc
	v_lshlrev_b32_e32 v6, 2, v6
	ds_bpermute_b32 v6, v6, v5
	v_xor_b32_e32 v7, 4, v1
	;; [unrolled: 7-line block ×4, first 2 shown]
	v_cmp_lt_i32_e32 vcc, v7, v4
	s_waitcnt lgkmcnt(0)
	v_add_f32_e32 v5, v5, v6
	v_cndmask_b32_e32 v1, v1, v7, vcc
	v_lshlrev_b32_e32 v1, 2, v1
	ds_bpermute_b32 v1, v1, v5
	s_waitcnt lgkmcnt(0)
	v_add_f32_e32 v5, v5, v1
	s_load_dwordx2 s[6:7], s[0:1], 0x40
	s_andn2_b64 vcc, exec, s[2:3]
	s_waitcnt lgkmcnt(0)
	v_cvt_f32_f64_e32 v8, s[6:7]
	s_cbranch_vccnz .LBB108_31
.LBB108_34:
	v_cmp_lt_f32_e32 vcc, 0, v5
	s_nop 1
	v_cndmask_b32_e32 v1, 1.0, v5, vcc
	v_div_scale_f32 v4, s[2:3], v1, v1, v8
	v_rcp_f32_e32 v5, v4
	s_nop 0
	v_fma_f32 v6, -v4, v5, 1.0
	v_fmac_f32_e32 v5, v6, v5
	v_div_scale_f32 v6, vcc, v8, v1, v8
	v_mul_f32_e32 v7, v6, v5
	v_fma_f32 v9, -v4, v7, v6
	v_fmac_f32_e32 v7, v9, v5
	v_fma_f32 v4, -v4, v7, v6
	v_div_fmas_f32 v4, v4, v5, v7
	v_div_fixup_f32 v8, v4, v1, v8
	s_andn2_b64 vcc, exec, s[4:5]
	s_cbranch_vccnz .LBB108_32
.LBB108_35:
	s_load_dwordx2 s[8:9], s[0:1], 0x10
	v_mov_b32_e32 v1, 0
	v_or_b32_e32 v16, 4, v1
	v_or_b32_e32 v14, 8, v1
	;; [unrolled: 1-line block ×3, first 2 shown]
	v_add_u32_e32 v9, 16, v1
	v_add_u32_e32 v11, 20, v1
	v_or_b32_e32 v19, 1, v10
	v_or_b32_e32 v18, 0x80, v10
	;; [unrolled: 1-line block ×5, first 2 shown]
	s_cmp_eq_u32 s24, 1
	s_mov_b32 s10, 0
	s_cbranch_scc1 .LBB108_62
; %bb.36:
	v_ashrrev_i32_e32 v1, 31, v0
	s_waitcnt lgkmcnt(0)
	v_lshl_add_u64 v[4:5], v[0:1], 2, s[8:9]
	s_and_b32 s10, s24, 0x7ffffffe
	v_lshl_add_u64 v[4:5], v[4:5], 0, 4
	v_lshl_add_u64 v[6:7], v[2:3], 0, 4
	s_mov_b32 s11, 0
	s_branch .LBB108_38
.LBB108_37:                             ;   in Loop: Header=BB108_38 Depth=1
	s_or_b64 exec, exec, s[0:1]
	s_add_i32 s11, s11, 2
	v_lshl_add_u64 v[4:5], v[4:5], 0, 8
	s_cmp_eq_u32 s10, s11
	v_lshl_add_u64 v[6:7], v[6:7], 0, 8
	s_cbranch_scc1 .LBB108_62
.LBB108_38:                             ; =>This Inner Loop Header: Depth=1
	global_load_dword v20, v[6:7], off offset:-4
	v_mov_b32_e32 v1, 0
	s_waitcnt vmcnt(0)
	v_cmp_eq_u32_e32 vcc, v20, v10
	v_cmp_ne_u32_e64 s[0:1], v20, v10
	s_and_saveexec_b64 s[12:13], s[0:1]
	s_cbranch_execz .LBB108_48
; %bb.39:                               ;   in Loop: Header=BB108_38 Depth=1
	v_cmp_eq_u32_e64 s[0:1], v20, v19
	v_cmp_ne_u32_e64 s[2:3], v20, v19
	v_mov_b32_e32 v1, v16
	s_and_saveexec_b64 s[14:15], s[2:3]
	s_cbranch_execz .LBB108_47
; %bb.40:                               ;   in Loop: Header=BB108_38 Depth=1
	v_cmp_eq_u32_e64 s[2:3], v20, v18
	v_cmp_ne_u32_e64 s[4:5], v20, v18
	v_mov_b32_e32 v1, v14
	;; [unrolled: 6-line block ×4, first 2 shown]
	s_and_saveexec_b64 s[22:23], s[6:7]
	s_xor_b64 s[22:23], exec, s[22:23]
; %bb.43:                               ;   in Loop: Header=BB108_38 Depth=1
	v_cmp_eq_u32_e64 s[6:7], v20, v13
	s_andn2_b64 s[20:21], s[20:21], exec
	s_and_b64 s[6:7], s[6:7], exec
	s_or_b64 s[20:21], s[20:21], s[6:7]
	v_mov_b32_e32 v1, v11
; %bb.44:                               ;   in Loop: Header=BB108_38 Depth=1
	s_or_b64 exec, exec, s[22:23]
	s_andn2_b64 s[4:5], s[4:5], exec
	s_and_b64 s[6:7], s[20:21], exec
	s_or_b64 s[4:5], s[4:5], s[6:7]
.LBB108_45:                             ;   in Loop: Header=BB108_38 Depth=1
	s_or_b64 exec, exec, s[18:19]
	s_andn2_b64 s[2:3], s[2:3], exec
	s_and_b64 s[4:5], s[4:5], exec
	s_or_b64 s[2:3], s[2:3], s[4:5]
.LBB108_46:                             ;   in Loop: Header=BB108_38 Depth=1
	s_or_b64 exec, exec, s[16:17]
	s_andn2_b64 s[0:1], s[0:1], exec
	s_and_b64 s[2:3], s[2:3], exec
	s_or_b64 s[0:1], s[0:1], s[2:3]
.LBB108_47:                             ;   in Loop: Header=BB108_38 Depth=1
	s_or_b64 exec, exec, s[14:15]
	s_andn2_b64 s[2:3], vcc, exec
	s_and_b64 s[0:1], s[0:1], exec
	s_or_b64 vcc, s[2:3], s[0:1]
.LBB108_48:                             ;   in Loop: Header=BB108_38 Depth=1
	s_or_b64 exec, exec, s[12:13]
	s_and_saveexec_b64 s[0:1], vcc
	s_cbranch_execz .LBB108_50
; %bb.49:                               ;   in Loop: Header=BB108_38 Depth=1
	scratch_load_dword v1, v1, off
	v_add_u32_e32 v20, s11, v0
	v_ashrrev_i32_e32 v21, 31, v20
	v_lshl_add_u64 v[20:21], v[20:21], 2, s[8:9]
	s_waitcnt vmcnt(0)
	v_mul_f32_e32 v1, v8, v1
	global_store_dword v[20:21], v1, off
.LBB108_50:                             ;   in Loop: Header=BB108_38 Depth=1
	s_or_b64 exec, exec, s[0:1]
	global_load_dword v20, v[6:7], off
	v_mov_b32_e32 v1, 0
	s_waitcnt vmcnt(0)
	v_cmp_eq_u32_e64 s[4:5], v20, v10
	v_cmp_ne_u32_e32 vcc, v20, v10
	s_and_saveexec_b64 s[6:7], vcc
	s_cbranch_execz .LBB108_60
; %bb.51:                               ;   in Loop: Header=BB108_38 Depth=1
	v_cmp_eq_u32_e32 vcc, v20, v19
	v_cmp_ne_u32_e64 s[0:1], v20, v19
	v_mov_b32_e32 v1, v16
	s_and_saveexec_b64 s[12:13], s[0:1]
	s_cbranch_execz .LBB108_59
; %bb.52:                               ;   in Loop: Header=BB108_38 Depth=1
	v_cmp_eq_u32_e64 s[0:1], v20, v18
	v_cmp_ne_u32_e64 s[2:3], v20, v18
	v_mov_b32_e32 v1, v14
	s_and_saveexec_b64 s[14:15], s[2:3]
	s_cbranch_execz .LBB108_58
; %bb.53:                               ;   in Loop: Header=BB108_38 Depth=1
	v_cmp_eq_u32_e64 s[16:17], v20, v17
	;; [unrolled: 6-line block ×3, first 2 shown]
	v_cmp_ne_u32_e64 s[2:3], v20, v15
	v_mov_b32_e32 v1, v9
	s_and_saveexec_b64 s[22:23], s[2:3]
; %bb.55:                               ;   in Loop: Header=BB108_38 Depth=1
	v_cmp_eq_u32_e64 s[2:3], v20, v13
	s_andn2_b64 s[20:21], s[20:21], exec
	s_and_b64 s[2:3], s[2:3], exec
	s_or_b64 s[20:21], s[20:21], s[2:3]
	v_mov_b32_e32 v1, v11
; %bb.56:                               ;   in Loop: Header=BB108_38 Depth=1
	s_or_b64 exec, exec, s[22:23]
	s_andn2_b64 s[2:3], s[16:17], exec
	s_and_b64 s[16:17], s[20:21], exec
	s_or_b64 s[16:17], s[2:3], s[16:17]
.LBB108_57:                             ;   in Loop: Header=BB108_38 Depth=1
	s_or_b64 exec, exec, s[18:19]
	s_andn2_b64 s[0:1], s[0:1], exec
	s_and_b64 s[2:3], s[16:17], exec
	s_or_b64 s[0:1], s[0:1], s[2:3]
.LBB108_58:                             ;   in Loop: Header=BB108_38 Depth=1
	s_or_b64 exec, exec, s[14:15]
	s_andn2_b64 s[2:3], vcc, exec
	s_and_b64 s[0:1], s[0:1], exec
	s_or_b64 vcc, s[2:3], s[0:1]
.LBB108_59:                             ;   in Loop: Header=BB108_38 Depth=1
	s_or_b64 exec, exec, s[12:13]
	s_andn2_b64 s[0:1], s[4:5], exec
	s_and_b64 s[2:3], vcc, exec
	s_or_b64 s[4:5], s[0:1], s[2:3]
.LBB108_60:                             ;   in Loop: Header=BB108_38 Depth=1
	s_or_b64 exec, exec, s[6:7]
	s_and_saveexec_b64 s[0:1], s[4:5]
	s_cbranch_execz .LBB108_37
; %bb.61:                               ;   in Loop: Header=BB108_38 Depth=1
	scratch_load_dword v1, v1, off
	s_waitcnt vmcnt(0)
	v_mul_f32_e32 v1, v8, v1
	global_store_dword v[4:5], v1, off
	s_branch .LBB108_37
.LBB108_62:
	s_bitcmp0_b32 s24, 0
	s_mov_b32 s11, 0
	s_cbranch_scc1 .LBB108_32
; %bb.63:
	v_lshl_add_u64 v[2:3], s[10:11], 2, v[2:3]
	global_load_dword v1, v[2:3], off
	v_mov_b32_e32 v2, 0
	s_waitcnt vmcnt(0)
	v_cmp_eq_u32_e64 s[4:5], v1, v10
	v_cmp_ne_u32_e32 vcc, v1, v10
	s_and_saveexec_b64 s[6:7], vcc
	s_cbranch_execz .LBB108_73
; %bb.64:
	v_cmp_eq_u32_e32 vcc, v1, v19
	v_cmp_ne_u32_e64 s[0:1], v1, v19
	s_and_saveexec_b64 s[12:13], s[0:1]
	s_cbranch_execz .LBB108_72
; %bb.65:
	v_cmp_eq_u32_e64 s[0:1], v1, v18
	v_cmp_ne_u32_e64 s[2:3], v1, v18
	s_and_saveexec_b64 s[14:15], s[2:3]
	s_cbranch_execz .LBB108_71
; %bb.66:
	v_cmp_eq_u32_e64 s[16:17], v1, v17
	;; [unrolled: 5-line block ×3, first 2 shown]
	v_cmp_ne_u32_e64 s[2:3], v1, v15
	s_and_saveexec_b64 s[22:23], s[2:3]
; %bb.68:
	v_cmp_eq_u32_e64 s[2:3], v1, v13
	s_andn2_b64 s[20:21], s[20:21], exec
	s_and_b64 s[2:3], s[2:3], exec
	s_or_b64 s[20:21], s[20:21], s[2:3]
	v_mov_b32_e32 v9, v11
; %bb.69:
	s_or_b64 exec, exec, s[22:23]
	s_andn2_b64 s[2:3], s[16:17], exec
	s_and_b64 s[16:17], s[20:21], exec
	s_or_b64 s[16:17], s[2:3], s[16:17]
	v_mov_b32_e32 v12, v9
.LBB108_70:
	s_or_b64 exec, exec, s[18:19]
	s_andn2_b64 s[0:1], s[0:1], exec
	s_and_b64 s[2:3], s[16:17], exec
	s_or_b64 s[0:1], s[0:1], s[2:3]
	v_mov_b32_e32 v14, v12
.LBB108_71:
	s_or_b64 exec, exec, s[14:15]
	s_andn2_b64 s[2:3], vcc, exec
	s_and_b64 s[0:1], s[0:1], exec
	s_or_b64 vcc, s[2:3], s[0:1]
	v_mov_b32_e32 v16, v14
.LBB108_72:
	s_or_b64 exec, exec, s[12:13]
	s_andn2_b64 s[0:1], s[4:5], exec
	s_and_b64 s[2:3], vcc, exec
	s_or_b64 s[4:5], s[0:1], s[2:3]
	v_mov_b32_e32 v2, v16
.LBB108_73:
	s_or_b64 exec, exec, s[6:7]
	s_and_b64 exec, exec, s[4:5]
	s_cbranch_execz .LBB108_32
; %bb.74:
	scratch_load_dword v2, v2, off
	v_add_u32_e32 v0, s10, v0
	v_ashrrev_i32_e32 v1, 31, v0
	s_waitcnt lgkmcnt(0)
	v_lshl_add_u64 v[0:1], v[0:1], 2, s[8:9]
	s_waitcnt vmcnt(0)
	v_mul_f32_e32 v2, v8, v2
	global_store_dword v[0:1], v2, off
	s_endpgm
	.section	.rodata,"a",@progbits
	.p2align	6, 0x0
	.amdhsa_kernel _ZN4vllm3moe22topkGatingSoftplusSqrtILi6ELi384ELi4ELi8ELi64ELb1EjfEEvPKT6_PKbPfiPT5_PiiiibdPKfPKS8_SE_
		.amdhsa_group_segment_fixed_size 0
		.amdhsa_private_segment_fixed_size 32
		.amdhsa_kernarg_size 96
		.amdhsa_user_sgpr_count 2
		.amdhsa_user_sgpr_dispatch_ptr 0
		.amdhsa_user_sgpr_queue_ptr 0
		.amdhsa_user_sgpr_kernarg_segment_ptr 1
		.amdhsa_user_sgpr_dispatch_id 0
		.amdhsa_user_sgpr_kernarg_preload_length 0
		.amdhsa_user_sgpr_kernarg_preload_offset 0
		.amdhsa_user_sgpr_private_segment_size 0
		.amdhsa_uses_dynamic_stack 0
		.amdhsa_enable_private_segment 1
		.amdhsa_system_sgpr_workgroup_id_x 1
		.amdhsa_system_sgpr_workgroup_id_y 0
		.amdhsa_system_sgpr_workgroup_id_z 0
		.amdhsa_system_sgpr_workgroup_info 0
		.amdhsa_system_vgpr_workitem_id 1
		.amdhsa_next_free_vgpr 26
		.amdhsa_next_free_sgpr 25
		.amdhsa_accum_offset 28
		.amdhsa_reserve_vcc 1
		.amdhsa_float_round_mode_32 0
		.amdhsa_float_round_mode_16_64 0
		.amdhsa_float_denorm_mode_32 3
		.amdhsa_float_denorm_mode_16_64 3
		.amdhsa_dx10_clamp 1
		.amdhsa_ieee_mode 1
		.amdhsa_fp16_overflow 0
		.amdhsa_tg_split 0
		.amdhsa_exception_fp_ieee_invalid_op 0
		.amdhsa_exception_fp_denorm_src 0
		.amdhsa_exception_fp_ieee_div_zero 0
		.amdhsa_exception_fp_ieee_overflow 0
		.amdhsa_exception_fp_ieee_underflow 0
		.amdhsa_exception_fp_ieee_inexact 0
		.amdhsa_exception_int_div_zero 0
	.end_amdhsa_kernel
	.section	.text._ZN4vllm3moe22topkGatingSoftplusSqrtILi6ELi384ELi4ELi8ELi64ELb1EjfEEvPKT6_PKbPfiPT5_PiiiibdPKfPKS8_SE_,"axG",@progbits,_ZN4vllm3moe22topkGatingSoftplusSqrtILi6ELi384ELi4ELi8ELi64ELb1EjfEEvPKT6_PKbPfiPT5_PiiiibdPKfPKS8_SE_,comdat
.Lfunc_end108:
	.size	_ZN4vllm3moe22topkGatingSoftplusSqrtILi6ELi384ELi4ELi8ELi64ELb1EjfEEvPKT6_PKbPfiPT5_PiiiibdPKfPKS8_SE_, .Lfunc_end108-_ZN4vllm3moe22topkGatingSoftplusSqrtILi6ELi384ELi4ELi8ELi64ELb1EjfEEvPKT6_PKbPfiPT5_PiiiibdPKfPKS8_SE_
                                        ; -- End function
	.section	.AMDGPU.csdata,"",@progbits
; Kernel info:
; codeLenInByte = 3988
; NumSgprs: 31
; NumVgprs: 26
; NumAgprs: 0
; TotalNumVgprs: 26
; ScratchSize: 32
; MemoryBound: 0
; FloatMode: 240
; IeeeMode: 1
; LDSByteSize: 0 bytes/workgroup (compile time only)
; SGPRBlocks: 3
; VGPRBlocks: 3
; NumSGPRsForWavesPerEU: 31
; NumVGPRsForWavesPerEU: 26
; AccumOffset: 28
; Occupancy: 8
; WaveLimiterHint : 1
; COMPUTE_PGM_RSRC2:SCRATCH_EN: 1
; COMPUTE_PGM_RSRC2:USER_SGPR: 2
; COMPUTE_PGM_RSRC2:TRAP_HANDLER: 0
; COMPUTE_PGM_RSRC2:TGID_X_EN: 1
; COMPUTE_PGM_RSRC2:TGID_Y_EN: 0
; COMPUTE_PGM_RSRC2:TGID_Z_EN: 0
; COMPUTE_PGM_RSRC2:TIDIG_COMP_CNT: 1
; COMPUTE_PGM_RSRC3_GFX90A:ACCUM_OFFSET: 6
; COMPUTE_PGM_RSRC3_GFX90A:TG_SPLIT: 0
	.section	.text._ZN4vllm3moe22topkGatingSoftplusSqrtILi6ELi384ELi4ELi8ELi64ELb0EjfEEvPKT6_PKbPfiPT5_PiiiibdPKfPKS8_SE_,"axG",@progbits,_ZN4vllm3moe22topkGatingSoftplusSqrtILi6ELi384ELi4ELi8ELi64ELb0EjfEEvPKT6_PKbPfiPT5_PiiiibdPKfPKS8_SE_,comdat
	.protected	_ZN4vllm3moe22topkGatingSoftplusSqrtILi6ELi384ELi4ELi8ELi64ELb0EjfEEvPKT6_PKbPfiPT5_PiiiibdPKfPKS8_SE_ ; -- Begin function _ZN4vllm3moe22topkGatingSoftplusSqrtILi6ELi384ELi4ELi8ELi64ELb0EjfEEvPKT6_PKbPfiPT5_PiiiibdPKfPKS8_SE_
	.globl	_ZN4vllm3moe22topkGatingSoftplusSqrtILi6ELi384ELi4ELi8ELi64ELb0EjfEEvPKT6_PKbPfiPT5_PiiiibdPKfPKS8_SE_
	.p2align	8
	.type	_ZN4vllm3moe22topkGatingSoftplusSqrtILi6ELi384ELi4ELi8ELi64ELb0EjfEEvPKT6_PKbPfiPT5_PiiiibdPKfPKS8_SE_,@function
_ZN4vllm3moe22topkGatingSoftplusSqrtILi6ELi384ELi4ELi8ELi64ELb0EjfEEvPKT6_PKbPfiPT5_PiiiibdPKfPKS8_SE_: ; @_ZN4vllm3moe22topkGatingSoftplusSqrtILi6ELi384ELi4ELi8ELi64ELb0EjfEEvPKT6_PKbPfiPT5_PiiiibdPKfPKS8_SE_
; %bb.0:
	s_load_dword s30, s[0:1], 0x18
	v_and_b32_e32 v1, 0x3ff, v0
	s_lshl_b32 s2, s2, 2
	v_lshrrev_b32_e32 v2, 6, v1
	v_bfe_u32 v0, v0, 10, 10
	v_add3_u32 v6, s2, v0, v2
	s_waitcnt lgkmcnt(0)
	v_cmp_gt_i32_e32 vcc, s30, v6
	s_and_saveexec_b64 s[2:3], vcc
	s_cbranch_execz .LBB109_65
; %bb.1:
	s_load_dwordx4 s[4:7], s[0:1], 0x0
	s_load_dwordx2 s[20:21], s[0:1], 0x10
	s_waitcnt lgkmcnt(0)
	s_cmp_eq_u64 s[6:7], 0
	s_cbranch_scc1 .LBB109_3
; %bb.2:
	v_ashrrev_i32_e32 v7, 31, v6
	v_lshl_add_u64 v[2:3], s[6:7], 0, v[6:7]
	global_load_ubyte v0, v[2:3], off
	s_waitcnt vmcnt(0)
	v_and_b32_e32 v0, 1, v0
	v_cmp_eq_u32_e32 vcc, 1, v0
	s_xor_b64 s[2:3], vcc, -1
	s_orn2_b64 s[22:23], s[2:3], exec
	s_branch .LBB109_4
.LBB109_3:
	s_mov_b64 s[22:23], -1
.LBB109_4:
	s_movk_i32 s2, 0x180
	v_mul_lo_u32 v4, v6, s2
	v_mov_b32_e32 v2, s4
	v_mov_b32_e32 v3, s5
	v_ashrrev_i32_e32 v5, 31, v4
	v_and_b32_e32 v7, 63, v1
	v_lshl_add_u64 v[2:3], v[4:5], 2, v[2:3]
	v_mov_b32_e32 v1, 0
	v_lshlrev_b32_e32 v0, 3, v7
	v_lshl_add_u64 v[8:9], v[2:3], 0, v[0:1]
	global_load_dwordx2 v[0:1], v[8:9], off
	global_load_dwordx2 v[2:3], v[8:9], off offset:512
	global_load_dwordx2 v[4:5], v[8:9], off offset:1024
	s_mov_b32 s16, 0x800000
	v_mov_b32_e32 v12, 0x4f800000
	s_mov_b32 s13, 0x3f317217
	s_mov_b32 s14, 0x7f800000
	v_mov_b32_e32 v11, 0x41b17218
	s_mov_b32 s12, 0x41a00000
	s_mov_b32 s15, 0xf800000
	s_load_dwordx4 s[8:11], s[0:1], 0x40
	v_mov_b32_e32 v9, 0x260
	s_waitcnt lgkmcnt(0)
	s_cmp_lg_u64 s[10:11], 0
	s_cselect_b64 s[6:7], -1, 0
	s_and_b64 s[2:3], exec, s[6:7]
	s_waitcnt vmcnt(2)
	v_mul_f32_e32 v8, 0x3fb8aa3b, v0
	v_exp_f32_e32 v8, v8
	s_nop 0
	v_add_f32_e32 v8, 1.0, v8
	v_cmp_gt_f32_e32 vcc, s16, v8
	s_nop 1
	v_cndmask_b32_e32 v10, 1.0, v12, vcc
	v_mul_f32_e32 v8, v8, v10
	v_log_f32_e32 v13, v8
	v_cndmask_b32_e32 v14, 0, v11, vcc
	v_lshlrev_b32_e32 v10, 1, v7
	v_lshlrev_b32_e32 v8, 2, v10
	v_mul_f32_e32 v15, 0x3f317217, v13
	v_fma_f32 v15, v13, s13, -v15
	v_fmac_f32_e32 v15, 0x3377d1cf, v13
	v_fmac_f32_e32 v15, 0x3f317217, v13
	v_cmp_lt_f32_e64 vcc, |v13|, s14
	s_nop 1
	v_cndmask_b32_e32 v13, v13, v15, vcc
	v_sub_f32_e32 v13, v13, v14
	v_cmp_lt_f32_e32 vcc, s12, v0
	s_nop 1
	v_cndmask_b32_e32 v0, v13, v0, vcc
	v_mul_f32_e32 v13, 0x4f800000, v0
	v_cmp_gt_f32_e32 vcc, s15, v0
	s_nop 1
	v_cndmask_b32_e32 v0, v0, v13, vcc
	v_sqrt_f32_e32 v13, v0
	s_nop 0
	v_add_u32_e32 v14, -1, v13
	v_add_u32_e32 v15, 1, v13
	v_fma_f32 v16, -v14, v13, v0
	v_fma_f32 v17, -v15, v13, v0
	v_cmp_ge_f32_e64 s[4:5], 0, v16
	s_nop 1
	v_cndmask_b32_e64 v13, v13, v14, s[4:5]
	v_cmp_lt_f32_e64 s[4:5], 0, v17
	s_nop 1
	v_cndmask_b32_e64 v13, v13, v15, s[4:5]
	v_mul_f32_e32 v14, 0x37800000, v13
	v_cndmask_b32_e32 v13, v13, v14, vcc
	v_cmp_class_f32_e32 vcc, v0, v9
	s_nop 1
	v_cndmask_b32_e32 v0, v13, v0, vcc
	s_mov_b64 vcc, s[2:3]
	s_cbranch_vccz .LBB109_6
; %bb.5:
	global_load_dword v13, v8, s[10:11]
	s_waitcnt vmcnt(0)
	v_add_f32_e32 v0, v0, v13
.LBB109_6:
	v_mul_f32_e32 v13, 0x3fb8aa3b, v1
	v_exp_f32_e32 v13, v13
	s_nop 0
	v_add_f32_e32 v13, 1.0, v13
	v_cmp_gt_f32_e32 vcc, s16, v13
	s_nop 1
	v_cndmask_b32_e32 v12, 1.0, v12, vcc
	v_mul_f32_e32 v12, v13, v12
	v_log_f32_e32 v12, v12
	v_cndmask_b32_e32 v11, 0, v11, vcc
	v_mul_f32_e32 v13, 0x3f317217, v12
	v_fma_f32 v13, v12, s13, -v13
	v_fmac_f32_e32 v13, 0x3377d1cf, v12
	v_fmac_f32_e32 v13, 0x3f317217, v12
	v_cmp_lt_f32_e64 vcc, |v12|, s14
	s_nop 1
	v_cndmask_b32_e32 v12, v12, v13, vcc
	v_sub_f32_e32 v11, v12, v11
	v_cmp_lt_f32_e32 vcc, s12, v1
	s_nop 1
	v_cndmask_b32_e32 v1, v11, v1, vcc
	v_mul_f32_e32 v11, 0x4f800000, v1
	v_cmp_gt_f32_e32 vcc, s15, v1
	s_nop 1
	v_cndmask_b32_e32 v1, v1, v11, vcc
	v_sqrt_f32_e32 v11, v1
	s_nop 0
	v_add_u32_e32 v12, -1, v11
	v_add_u32_e32 v13, 1, v11
	v_fma_f32 v14, -v12, v11, v1
	v_fma_f32 v15, -v13, v11, v1
	v_cmp_ge_f32_e64 s[2:3], 0, v14
	s_nop 1
	v_cndmask_b32_e64 v11, v11, v12, s[2:3]
	v_cmp_lt_f32_e64 s[2:3], 0, v15
	s_nop 1
	v_cndmask_b32_e64 v11, v11, v13, s[2:3]
	v_mul_f32_e32 v12, 0x37800000, v11
	v_cndmask_b32_e32 v11, v11, v12, vcc
	v_cndmask_b32_e64 v12, 0, 1, s[6:7]
	v_cmp_class_f32_e64 s[2:3], v1, v9
	v_cmp_ne_u32_e64 s[4:5], 1, v12
	s_andn2_b64 vcc, exec, s[6:7]
	v_cndmask_b32_e64 v1, v11, v1, s[2:3]
	s_cbranch_vccnz .LBB109_8
; %bb.7:
	global_load_dword v9, v8, s[10:11] offset:4
	s_waitcnt vmcnt(0)
	v_add_f32_e32 v1, v1, v9
.LBB109_8:
	s_waitcnt vmcnt(1)
	v_mul_f32_e32 v9, 0x3fb8aa3b, v2
	v_exp_f32_e32 v9, v9
	s_mov_b32 s14, 0x800000
	v_mov_b32_e32 v11, 0x4f800000
	s_mov_b32 s7, 0x3f317217
	v_add_f32_e32 v9, 1.0, v9
	v_cmp_gt_f32_e32 vcc, s14, v9
	s_mov_b32 s12, 0x7f800000
	s_mov_b32 s6, 0x41a00000
	v_cndmask_b32_e32 v12, 1.0, v11, vcc
	v_mul_f32_e32 v9, v9, v12
	v_log_f32_e32 v9, v9
	s_mov_b32 s13, 0xf800000
	v_mul_f32_e32 v12, 0x3f317217, v9
	v_fma_f32 v12, v9, s7, -v12
	v_fmac_f32_e32 v12, 0x3377d1cf, v9
	v_fmac_f32_e32 v12, 0x3f317217, v9
	v_cmp_lt_f32_e64 s[2:3], |v9|, s12
	s_nop 1
	v_cndmask_b32_e64 v9, v9, v12, s[2:3]
	v_mov_b32_e32 v12, 0x41b17218
	v_cndmask_b32_e32 v13, 0, v12, vcc
	v_sub_f32_e32 v9, v9, v13
	v_cmp_lt_f32_e32 vcc, s6, v2
	s_nop 1
	v_cndmask_b32_e32 v2, v9, v2, vcc
	v_mul_f32_e32 v9, 0x4f800000, v2
	v_cmp_gt_f32_e32 vcc, s13, v2
	s_nop 1
	v_cndmask_b32_e32 v2, v2, v9, vcc
	v_sqrt_f32_e32 v9, v2
	s_nop 0
	v_add_u32_e32 v13, -1, v9
	v_fma_f32 v14, -v13, v9, v2
	v_cmp_ge_f32_e64 s[2:3], 0, v14
	v_add_u32_e32 v14, 1, v9
	s_nop 0
	v_cndmask_b32_e64 v13, v9, v13, s[2:3]
	v_fma_f32 v9, -v14, v9, v2
	v_cmp_lt_f32_e64 s[2:3], 0, v9
	s_nop 1
	v_cndmask_b32_e64 v9, v13, v14, s[2:3]
	v_mul_f32_e32 v13, 0x37800000, v9
	v_cndmask_b32_e32 v13, v9, v13, vcc
	v_mov_b32_e32 v9, 0x260
	v_cmp_class_f32_e64 s[2:3], v2, v9
	s_and_b64 vcc, exec, s[4:5]
	s_nop 0
	v_cndmask_b32_e64 v2, v13, v2, s[2:3]
	s_cbranch_vccnz .LBB109_10
; %bb.9:
	global_load_dword v13, v8, s[10:11] offset:512
	s_waitcnt vmcnt(0)
	v_add_f32_e32 v2, v2, v13
.LBB109_10:
	v_mul_f32_e32 v13, 0x3fb8aa3b, v3
	v_exp_f32_e32 v13, v13
	s_nop 0
	v_add_f32_e32 v13, 1.0, v13
	v_cmp_gt_f32_e32 vcc, s14, v13
	s_nop 1
	v_cndmask_b32_e32 v11, 1.0, v11, vcc
	v_mul_f32_e32 v11, v13, v11
	v_log_f32_e32 v11, v11
	v_cndmask_b32_e32 v12, 0, v12, vcc
	v_mul_f32_e32 v13, 0x3f317217, v11
	v_fma_f32 v13, v11, s7, -v13
	v_fmac_f32_e32 v13, 0x3377d1cf, v11
	v_fmac_f32_e32 v13, 0x3f317217, v11
	v_cmp_lt_f32_e64 vcc, |v11|, s12
	s_nop 1
	v_cndmask_b32_e32 v11, v11, v13, vcc
	v_sub_f32_e32 v11, v11, v12
	v_cmp_lt_f32_e32 vcc, s6, v3
	s_nop 1
	v_cndmask_b32_e32 v3, v11, v3, vcc
	v_mul_f32_e32 v11, 0x4f800000, v3
	v_cmp_gt_f32_e32 vcc, s13, v3
	s_nop 1
	v_cndmask_b32_e32 v3, v3, v11, vcc
	v_sqrt_f32_e32 v11, v3
	s_nop 0
	v_add_u32_e32 v12, -1, v11
	v_add_u32_e32 v13, 1, v11
	v_fma_f32 v14, -v12, v11, v3
	v_fma_f32 v15, -v13, v11, v3
	v_cmp_ge_f32_e64 s[2:3], 0, v14
	s_nop 1
	v_cndmask_b32_e64 v11, v11, v12, s[2:3]
	v_cmp_lt_f32_e64 s[2:3], 0, v15
	s_nop 1
	v_cndmask_b32_e64 v11, v11, v13, s[2:3]
	v_mul_f32_e32 v12, 0x37800000, v11
	v_cndmask_b32_e32 v11, v11, v12, vcc
	v_cmp_class_f32_e64 s[2:3], v3, v9
	s_and_b64 vcc, exec, s[4:5]
	s_nop 0
	v_cndmask_b32_e64 v3, v11, v3, s[2:3]
	s_cbranch_vccnz .LBB109_12
; %bb.11:
	global_load_dword v9, v8, s[10:11] offset:516
	s_waitcnt vmcnt(0)
	v_add_f32_e32 v3, v3, v9
.LBB109_12:
	s_waitcnt vmcnt(0)
	v_mul_f32_e32 v9, 0x3fb8aa3b, v4
	v_exp_f32_e32 v9, v9
	v_mov_b32_e32 v11, 0x4f800000
	v_add_f32_e32 v9, 1.0, v9
	v_cmp_gt_f32_e32 vcc, s14, v9
	s_nop 1
	v_cndmask_b32_e32 v12, 1.0, v11, vcc
	v_mul_f32_e32 v9, v9, v12
	v_log_f32_e32 v9, v9
	s_nop 0
	v_mul_f32_e32 v12, 0x3f317217, v9
	v_fma_f32 v12, v9, s7, -v12
	v_fmac_f32_e32 v12, 0x3377d1cf, v9
	v_fmac_f32_e32 v12, 0x3f317217, v9
	v_cmp_lt_f32_e64 s[2:3], |v9|, s12
	s_nop 1
	v_cndmask_b32_e64 v9, v9, v12, s[2:3]
	v_mov_b32_e32 v12, 0x41b17218
	v_cndmask_b32_e32 v13, 0, v12, vcc
	v_sub_f32_e32 v9, v9, v13
	v_cmp_lt_f32_e32 vcc, s6, v4
	s_nop 1
	v_cndmask_b32_e32 v4, v9, v4, vcc
	v_mul_f32_e32 v9, 0x4f800000, v4
	v_cmp_gt_f32_e32 vcc, s13, v4
	s_nop 1
	v_cndmask_b32_e32 v4, v4, v9, vcc
	v_sqrt_f32_e32 v9, v4
	s_nop 0
	v_add_u32_e32 v13, -1, v9
	v_fma_f32 v14, -v13, v9, v4
	v_cmp_ge_f32_e64 s[2:3], 0, v14
	v_add_u32_e32 v14, 1, v9
	s_nop 0
	v_cndmask_b32_e64 v13, v9, v13, s[2:3]
	v_fma_f32 v9, -v14, v9, v4
	v_cmp_lt_f32_e64 s[2:3], 0, v9
	s_nop 1
	v_cndmask_b32_e64 v9, v13, v14, s[2:3]
	v_mul_f32_e32 v13, 0x37800000, v9
	v_cndmask_b32_e32 v13, v9, v13, vcc
	v_mov_b32_e32 v9, 0x260
	v_cmp_class_f32_e64 s[2:3], v4, v9
	s_and_b64 vcc, exec, s[4:5]
	s_nop 0
	v_cndmask_b32_e64 v4, v13, v4, s[2:3]
	s_cbranch_vccnz .LBB109_14
; %bb.13:
	global_load_dword v13, v8, s[10:11] offset:1024
	s_waitcnt vmcnt(0)
	v_add_f32_e32 v4, v4, v13
.LBB109_14:
	v_mul_f32_e32 v13, 0x3fb8aa3b, v5
	v_exp_f32_e32 v13, v13
	s_nop 0
	v_add_f32_e32 v13, 1.0, v13
	v_cmp_gt_f32_e32 vcc, s14, v13
	s_nop 1
	v_cndmask_b32_e32 v11, 1.0, v11, vcc
	v_mul_f32_e32 v11, v13, v11
	v_log_f32_e32 v11, v11
	v_cndmask_b32_e32 v12, 0, v12, vcc
	v_mul_f32_e32 v13, 0x3f317217, v11
	v_fma_f32 v13, v11, s7, -v13
	v_fmac_f32_e32 v13, 0x3377d1cf, v11
	v_fmac_f32_e32 v13, 0x3f317217, v11
	v_cmp_lt_f32_e64 vcc, |v11|, s12
	s_nop 1
	v_cndmask_b32_e32 v11, v11, v13, vcc
	v_sub_f32_e32 v11, v11, v12
	v_cmp_lt_f32_e32 vcc, s6, v5
	s_nop 1
	v_cndmask_b32_e32 v5, v11, v5, vcc
	v_mul_f32_e32 v11, 0x4f800000, v5
	v_cmp_gt_f32_e32 vcc, s13, v5
	s_nop 1
	v_cndmask_b32_e32 v5, v5, v11, vcc
	v_sqrt_f32_e32 v11, v5
	s_nop 0
	v_add_u32_e32 v12, -1, v11
	v_add_u32_e32 v13, 1, v11
	v_fma_f32 v14, -v12, v11, v5
	v_fma_f32 v15, -v13, v11, v5
	v_cmp_ge_f32_e64 s[2:3], 0, v14
	s_nop 1
	v_cndmask_b32_e64 v11, v11, v12, s[2:3]
	v_cmp_lt_f32_e64 s[2:3], 0, v15
	s_nop 1
	v_cndmask_b32_e64 v11, v11, v13, s[2:3]
	v_mul_f32_e32 v12, 0x37800000, v11
	v_cndmask_b32_e32 v11, v11, v12, vcc
	v_cmp_class_f32_e64 s[2:3], v5, v9
	s_and_b64 vcc, exec, s[4:5]
	s_nop 0
	v_cndmask_b32_e64 v5, v11, v5, s[2:3]
	s_cbranch_vccnz .LBB109_16
; %bb.15:
	global_load_dword v8, v8, s[10:11] offset:1028
	s_waitcnt vmcnt(0)
	v_add_f32_e32 v5, v5, v8
.LBB109_16:
	s_load_dwordx4 s[12:15], s[0:1], 0x30
	s_mov_b32 s31, 0
	v_cmp_eq_u32_e64 s[6:7], 0, v7
	s_waitcnt lgkmcnt(0)
	s_bitcmp1_b32 s15, 0
	s_cselect_b64 s[2:3], -1, 0
	s_cmp_gt_i32 s12, 0
	s_cselect_b64 s[24:25], -1, 0
	s_and_b64 vcc, exec, s[24:25]
	s_cbranch_vccz .LBB109_51
; %bb.17:
	v_mbcnt_lo_u32_b32 v8, -1, 0
	v_mbcnt_hi_u32_b32 v8, -1, v8
	v_and_b32_e32 v9, 64, v8
	v_add_u32_e32 v9, 64, v9
	v_xor_b32_e32 v11, 32, v8
	v_cmp_lt_i32_e32 vcc, v11, v9
	s_load_dwordx4 s[16:19], s[0:1], 0x20
	v_mul_lo_u32 v12, v6, s12
	v_cndmask_b32_e32 v11, v8, v11, vcc
	v_lshlrev_b32_e32 v13, 2, v11
	v_xor_b32_e32 v11, 16, v8
	v_cmp_lt_i32_e32 vcc, v11, v9
	v_mov_b32_e32 v19, 0x80
	v_mov_b32_e32 v20, 0x81
	v_cndmask_b32_e32 v11, v8, v11, vcc
	v_lshlrev_b32_e32 v14, 2, v11
	v_xor_b32_e32 v11, 8, v8
	v_cmp_lt_i32_e32 vcc, v11, v9
	v_mov_b32_e32 v21, 0x100
	v_mov_b32_e32 v22, 0x101
	v_cndmask_b32_e32 v11, v8, v11, vcc
	v_lshlrev_b32_e32 v15, 2, v11
	v_xor_b32_e32 v11, 4, v8
	v_cmp_lt_i32_e32 vcc, v11, v9
	v_mov_b32_e32 v23, 0x180
	v_mov_b32_e32 v24, 0xc61c4000
	v_cndmask_b32_e32 v11, v8, v11, vcc
	v_lshlrev_b32_e32 v16, 2, v11
	v_xor_b32_e32 v11, 2, v8
	v_cmp_lt_i32_e32 vcc, v11, v9
	v_mov_b32_e32 v25, v6
	s_nop 0
	v_cndmask_b32_e32 v11, v8, v11, vcc
	v_lshlrev_b32_e32 v17, 2, v11
	v_xor_b32_e32 v11, 1, v8
	v_cmp_lt_i32_e32 vcc, v11, v9
	s_nop 1
	v_cndmask_b32_e32 v8, v8, v11, vcc
	v_lshlrev_b32_e32 v18, 2, v8
	v_mov_b32_e32 v11, 0
	s_branch .LBB109_20
.LBB109_18:                             ;   in Loop: Header=BB109_20 Depth=1
	s_or_b64 exec, exec, s[0:1]
.LBB109_19:                             ;   in Loop: Header=BB109_20 Depth=1
	s_cmp_eq_u32 s12, s31
	v_add_u32_e32 v25, s30, v25
	s_cbranch_scc1 .LBB109_52
.LBB109_20:                             ; =>This Inner Loop Header: Depth=1
	v_cmp_gt_f32_e32 vcc, v1, v0
	s_nop 1
	v_cndmask_b32_e32 v9, v0, v1, vcc
	v_cndmask_b32_e64 v8, 0, 1, vcc
	v_cmp_gt_f32_e32 vcc, v2, v9
	s_nop 1
	v_cndmask_b32_e32 v9, v9, v2, vcc
	v_cndmask_b32_e32 v8, v8, v19, vcc
	v_cmp_gt_f32_e32 vcc, v3, v9
	s_nop 1
	v_cndmask_b32_e32 v9, v9, v3, vcc
	v_cndmask_b32_e32 v8, v8, v20, vcc
	;; [unrolled: 4-line block ×4, first 2 shown]
	ds_bpermute_b32 v9, v13, v26
	v_or_b32_e32 v8, v10, v8
	s_waitcnt lgkmcnt(0)
	ds_bpermute_b32 v27, v13, v8
	s_waitcnt lgkmcnt(0)
	v_cmp_lt_f32_e64 s[26:27], v26, v9
	v_cmp_nlt_f32_e32 vcc, v26, v9
	s_and_saveexec_b64 s[28:29], vcc
; %bb.21:                               ;   in Loop: Header=BB109_20 Depth=1
	v_cmp_eq_f32_e32 vcc, v26, v9
	v_cmp_lt_i32_e64 s[0:1], v27, v8
	s_and_b64 s[0:1], vcc, s[0:1]
	s_andn2_b64 s[26:27], s[26:27], exec
	s_and_b64 s[0:1], s[0:1], exec
	s_or_b64 s[26:27], s[26:27], s[0:1]
; %bb.22:                               ;   in Loop: Header=BB109_20 Depth=1
	s_or_b64 exec, exec, s[28:29]
	s_and_saveexec_b64 s[0:1], s[26:27]
; %bb.23:                               ;   in Loop: Header=BB109_20 Depth=1
	v_mov_b32_e32 v26, v9
	v_mov_b32_e32 v8, v27
; %bb.24:                               ;   in Loop: Header=BB109_20 Depth=1
	s_or_b64 exec, exec, s[0:1]
	ds_bpermute_b32 v9, v14, v26
	ds_bpermute_b32 v27, v14, v8
	s_waitcnt lgkmcnt(1)
	v_cmp_lt_f32_e64 s[26:27], v26, v9
	v_cmp_nlt_f32_e32 vcc, v26, v9
	s_and_saveexec_b64 s[28:29], vcc
	s_cbranch_execz .LBB109_26
; %bb.25:                               ;   in Loop: Header=BB109_20 Depth=1
	v_cmp_eq_f32_e32 vcc, v26, v9
	s_waitcnt lgkmcnt(0)
	v_cmp_lt_i32_e64 s[0:1], v27, v8
	s_and_b64 s[0:1], vcc, s[0:1]
	s_andn2_b64 s[26:27], s[26:27], exec
	s_and_b64 s[0:1], s[0:1], exec
	s_or_b64 s[26:27], s[26:27], s[0:1]
.LBB109_26:                             ;   in Loop: Header=BB109_20 Depth=1
	s_or_b64 exec, exec, s[28:29]
	s_and_saveexec_b64 s[0:1], s[26:27]
	s_cbranch_execz .LBB109_28
; %bb.27:                               ;   in Loop: Header=BB109_20 Depth=1
	v_mov_b32_e32 v26, v9
	s_waitcnt lgkmcnt(0)
	v_mov_b32_e32 v8, v27
.LBB109_28:                             ;   in Loop: Header=BB109_20 Depth=1
	s_or_b64 exec, exec, s[0:1]
	ds_bpermute_b32 v9, v15, v26
	s_waitcnt lgkmcnt(1)
	ds_bpermute_b32 v27, v15, v8
	s_waitcnt lgkmcnt(1)
	v_cmp_lt_f32_e64 s[26:27], v26, v9
	v_cmp_nlt_f32_e32 vcc, v26, v9
	s_and_saveexec_b64 s[28:29], vcc
	s_cbranch_execz .LBB109_30
; %bb.29:                               ;   in Loop: Header=BB109_20 Depth=1
	v_cmp_eq_f32_e32 vcc, v26, v9
	s_waitcnt lgkmcnt(0)
	v_cmp_lt_i32_e64 s[0:1], v27, v8
	s_and_b64 s[0:1], vcc, s[0:1]
	s_andn2_b64 s[26:27], s[26:27], exec
	s_and_b64 s[0:1], s[0:1], exec
	s_or_b64 s[26:27], s[26:27], s[0:1]
.LBB109_30:                             ;   in Loop: Header=BB109_20 Depth=1
	s_or_b64 exec, exec, s[28:29]
	s_and_saveexec_b64 s[0:1], s[26:27]
	s_cbranch_execz .LBB109_32
; %bb.31:                               ;   in Loop: Header=BB109_20 Depth=1
	v_mov_b32_e32 v26, v9
	s_waitcnt lgkmcnt(0)
	v_mov_b32_e32 v8, v27
.LBB109_32:                             ;   in Loop: Header=BB109_20 Depth=1
	s_or_b64 exec, exec, s[0:1]
	ds_bpermute_b32 v9, v16, v26
	s_waitcnt lgkmcnt(1)
	;; [unrolled: 26-line block ×4, first 2 shown]
	ds_bpermute_b32 v27, v18, v8
	s_waitcnt lgkmcnt(1)
	v_cmp_lt_f32_e64 s[26:27], v26, v9
	v_cmp_nlt_f32_e32 vcc, v26, v9
	s_and_saveexec_b64 s[28:29], vcc
	s_cbranch_execnz .LBB109_44
; %bb.41:                               ;   in Loop: Header=BB109_20 Depth=1
	s_or_b64 exec, exec, s[28:29]
	s_and_saveexec_b64 s[0:1], s[26:27]
	s_cbranch_execnz .LBB109_45
.LBB109_42:                             ;   in Loop: Header=BB109_20 Depth=1
	s_or_b64 exec, exec, s[0:1]
	s_and_saveexec_b64 s[26:27], s[6:7]
	s_cbranch_execnz .LBB109_46
.LBB109_43:                             ;   in Loop: Header=BB109_20 Depth=1
	s_or_b64 exec, exec, s[26:27]
	s_add_i32 s31, s31, 1
	s_cmp_ge_i32 s31, s12
	s_cbranch_scc1 .LBB109_19
	s_branch .LBB109_49
.LBB109_44:                             ;   in Loop: Header=BB109_20 Depth=1
	v_cmp_eq_f32_e32 vcc, v26, v9
	s_waitcnt lgkmcnt(0)
	v_cmp_lt_i32_e64 s[0:1], v27, v8
	s_and_b64 s[0:1], vcc, s[0:1]
	s_andn2_b64 s[26:27], s[26:27], exec
	s_and_b64 s[0:1], s[0:1], exec
	s_or_b64 s[26:27], s[26:27], s[0:1]
	s_or_b64 exec, exec, s[28:29]
	s_and_saveexec_b64 s[0:1], s[26:27]
	s_cbranch_execz .LBB109_42
.LBB109_45:                             ;   in Loop: Header=BB109_20 Depth=1
	s_waitcnt lgkmcnt(0)
	v_mov_b32_e32 v8, v27
	v_mov_b32_e32 v26, v9
	s_or_b64 exec, exec, s[0:1]
	s_and_saveexec_b64 s[26:27], s[6:7]
	s_cbranch_execz .LBB109_43
.LBB109_46:                             ;   in Loop: Header=BB109_20 Depth=1
	s_and_b64 vcc, exec, s[4:5]
	s_cbranch_vccnz .LBB109_48
; %bb.47:                               ;   in Loop: Header=BB109_20 Depth=1
	v_ashrrev_i32_e32 v9, 31, v8
	v_lshl_add_u64 v[28:29], v[8:9], 2, s[10:11]
	global_load_dword v9, v[28:29], off
	s_waitcnt vmcnt(0)
	v_sub_f32_e32 v26, v26, v9
.LBB109_48:                             ;   in Loop: Header=BB109_20 Depth=1
	v_add_u32_e32 v28, s31, v12
	v_cmp_le_i32_e32 vcc, s13, v8
	v_cmp_gt_i32_e64 s[0:1], s14, v8
	v_ashrrev_i32_e32 v29, 31, v28
	s_and_b64 s[0:1], vcc, s[0:1]
	v_lshlrev_b64 v[28:29], 2, v[28:29]
	v_lshl_add_u64 v[30:31], s[20:21], 0, v[28:29]
	v_subrev_u32_e32 v9, s13, v8
	s_and_b64 vcc, s[22:23], s[0:1]
	global_store_dword v[30:31], v26, off
	v_cndmask_b32_e32 v9, v23, v9, vcc
	v_lshl_add_u64 v[30:31], s[16:17], 0, v[28:29]
	global_store_dword v[30:31], v9, off
	v_add_f32_e32 v9, v11, v26
	v_lshl_add_u64 v[28:29], s[18:19], 0, v[28:29]
	v_cndmask_b32_e64 v11, v11, v9, s[2:3]
	global_store_dword v[28:29], v25, off
	s_or_b64 exec, exec, s[26:27]
	s_add_i32 s31, s31, 1
	s_cmp_ge_i32 s31, s12
	s_cbranch_scc1 .LBB109_19
.LBB109_49:                             ;   in Loop: Header=BB109_20 Depth=1
	v_lshrrev_b32_e32 v9, 31, v8
	v_add_u32_e32 v26, v8, v9
	v_ashrrev_i32_e32 v9, 1, v26
	v_ashrrev_i32_e32 v26, 31, v26
	v_lshrrev_b32_e32 v26, 26, v26
	v_add_u32_e32 v26, v9, v26
	v_and_b32_e32 v26, 0xffffffc0, v26
	v_sub_u32_e32 v26, v9, v26
	v_cmp_eq_u32_e32 vcc, v7, v26
	s_and_saveexec_b64 s[0:1], vcc
	s_cbranch_execz .LBB109_18
; %bb.50:                               ;   in Loop: Header=BB109_20 Depth=1
	v_ashrrev_i32_e32 v26, 31, v8
	v_lshrrev_b32_e32 v26, 25, v26
	v_add_u32_e32 v26, v8, v26
	v_lshlrev_b32_e32 v9, 1, v9
	v_ashrrev_i32_e32 v26, 7, v26
	v_sub_u32_e32 v8, v8, v9
	v_lshl_add_u32 v8, v26, 1, v8
	v_cmp_ne_u32_e32 vcc, 5, v8
	s_nop 1
	v_cndmask_b32_e32 v5, v24, v5, vcc
	v_cmp_ne_u32_e32 vcc, 4, v8
	s_nop 1
	v_cndmask_b32_e32 v4, v24, v4, vcc
	v_cmp_ne_u32_e32 vcc, 3, v8
	s_nop 1
	v_cndmask_b32_e32 v3, v24, v3, vcc
	v_cmp_ne_u32_e32 vcc, 2, v8
	s_nop 1
	v_cndmask_b32_e32 v2, v24, v2, vcc
	v_cmp_ne_u32_e32 vcc, 1, v8
	s_nop 1
	v_cndmask_b32_e32 v1, v24, v1, vcc
	v_cmp_ne_u32_e32 vcc, 0, v8
	s_nop 1
	v_cndmask_b32_e32 v0, v24, v0, vcc
	s_branch .LBB109_18
.LBB109_51:
	v_mov_b32_e32 v11, 0
.LBB109_52:
	v_cmp_eq_u32_e32 vcc, 0, v7
	s_and_b64 exec, exec, vcc
	s_cbranch_execz .LBB109_65
; %bb.53:
	s_andn2_b64 vcc, exec, s[2:3]
	v_cvt_f32_f64_e32 v0, s[8:9]
	s_cbranch_vccnz .LBB109_55
; %bb.54:
	v_cmp_lt_f32_e32 vcc, 0, v11
	s_nop 1
	v_cndmask_b32_e32 v1, 1.0, v11, vcc
	v_div_scale_f32 v2, s[0:1], v1, v1, v0
	v_rcp_f32_e32 v3, v2
	s_nop 0
	v_fma_f32 v4, -v2, v3, 1.0
	v_fmac_f32_e32 v3, v4, v3
	v_div_scale_f32 v4, vcc, v0, v1, v0
	v_mul_f32_e32 v5, v4, v3
	v_fma_f32 v7, -v2, v5, v4
	v_fmac_f32_e32 v5, v7, v3
	v_fma_f32 v2, -v2, v5, v4
	v_div_fmas_f32 v2, v2, v3, v5
	v_div_fixup_f32 v0, v2, v1, v0
.LBB109_55:
	s_andn2_b64 vcc, exec, s[24:25]
	s_cbranch_vccnz .LBB109_65
; %bb.56:
	v_mul_lo_u32 v2, v6, s12
	s_cmp_gt_u32 s12, 3
	v_ashrrev_i32_e32 v3, 31, v2
	s_cbranch_scc0 .LBB109_60
; %bb.57:
	s_and_b32 s0, s12, 0x7ffffffc
	v_lshl_add_u64 v[4:5], v[2:3], 2, s[20:21]
	v_mov_b32_e32 v1, v0
	v_lshl_add_u64 v[4:5], v[4:5], 0, 8
	s_mov_b32 s1, s0
.LBB109_58:                             ; =>This Inner Loop Header: Depth=1
	global_load_dwordx4 v[6:9], v[4:5], off offset:-8
	s_add_i32 s1, s1, -4
	s_cmp_lg_u32 s1, 0
	s_waitcnt vmcnt(0)
	v_pk_mul_f32 v[6:7], v[0:1], v[6:7]
	v_pk_mul_f32 v[8:9], v[0:1], v[8:9]
	global_store_dwordx4 v[4:5], v[6:9], off offset:-8
	v_lshl_add_u64 v[4:5], v[4:5], 0, 16
	s_cbranch_scc1 .LBB109_58
; %bb.59:
	s_cmp_lg_u32 s0, s12
	s_cselect_b64 s[2:3], -1, 0
	s_branch .LBB109_62
.LBB109_60:
	s_mov_b64 s[2:3], 0
                                        ; implicit-def: $sgpr0
	s_cbranch_execz .LBB109_62
; %bb.61:
	s_mov_b64 s[2:3], -1
	s_mov_b32 s0, 0
.LBB109_62:
	s_andn2_b64 vcc, exec, s[2:3]
	s_cbranch_vccnz .LBB109_65
; %bb.63:
	s_mov_b32 s1, 0
	v_lshl_add_u64 v[2:3], v[2:3], 0, s[0:1]
	s_sub_i32 s2, s12, s0
	v_lshl_add_u64 v[2:3], v[2:3], 2, s[20:21]
.LBB109_64:                             ; =>This Inner Loop Header: Depth=1
	global_load_dword v1, v[2:3], off
	s_add_i32 s2, s2, -1
	s_cmp_lg_u32 s2, 0
	s_waitcnt vmcnt(0)
	v_mul_f32_e32 v1, v0, v1
	global_store_dword v[2:3], v1, off
	v_lshl_add_u64 v[2:3], v[2:3], 0, 4
	s_cbranch_scc1 .LBB109_64
.LBB109_65:
	s_endpgm
	.section	.rodata,"a",@progbits
	.p2align	6, 0x0
	.amdhsa_kernel _ZN4vllm3moe22topkGatingSoftplusSqrtILi6ELi384ELi4ELi8ELi64ELb0EjfEEvPKT6_PKbPfiPT5_PiiiibdPKfPKS8_SE_
		.amdhsa_group_segment_fixed_size 0
		.amdhsa_private_segment_fixed_size 0
		.amdhsa_kernarg_size 96
		.amdhsa_user_sgpr_count 2
		.amdhsa_user_sgpr_dispatch_ptr 0
		.amdhsa_user_sgpr_queue_ptr 0
		.amdhsa_user_sgpr_kernarg_segment_ptr 1
		.amdhsa_user_sgpr_dispatch_id 0
		.amdhsa_user_sgpr_kernarg_preload_length 0
		.amdhsa_user_sgpr_kernarg_preload_offset 0
		.amdhsa_user_sgpr_private_segment_size 0
		.amdhsa_uses_dynamic_stack 0
		.amdhsa_enable_private_segment 0
		.amdhsa_system_sgpr_workgroup_id_x 1
		.amdhsa_system_sgpr_workgroup_id_y 0
		.amdhsa_system_sgpr_workgroup_id_z 0
		.amdhsa_system_sgpr_workgroup_info 0
		.amdhsa_system_vgpr_workitem_id 1
		.amdhsa_next_free_vgpr 32
		.amdhsa_next_free_sgpr 32
		.amdhsa_accum_offset 32
		.amdhsa_reserve_vcc 1
		.amdhsa_float_round_mode_32 0
		.amdhsa_float_round_mode_16_64 0
		.amdhsa_float_denorm_mode_32 3
		.amdhsa_float_denorm_mode_16_64 3
		.amdhsa_dx10_clamp 1
		.amdhsa_ieee_mode 1
		.amdhsa_fp16_overflow 0
		.amdhsa_tg_split 0
		.amdhsa_exception_fp_ieee_invalid_op 0
		.amdhsa_exception_fp_denorm_src 0
		.amdhsa_exception_fp_ieee_div_zero 0
		.amdhsa_exception_fp_ieee_overflow 0
		.amdhsa_exception_fp_ieee_underflow 0
		.amdhsa_exception_fp_ieee_inexact 0
		.amdhsa_exception_int_div_zero 0
	.end_amdhsa_kernel
	.section	.text._ZN4vllm3moe22topkGatingSoftplusSqrtILi6ELi384ELi4ELi8ELi64ELb0EjfEEvPKT6_PKbPfiPT5_PiiiibdPKfPKS8_SE_,"axG",@progbits,_ZN4vllm3moe22topkGatingSoftplusSqrtILi6ELi384ELi4ELi8ELi64ELb0EjfEEvPKT6_PKbPfiPT5_PiiiibdPKfPKS8_SE_,comdat
.Lfunc_end109:
	.size	_ZN4vllm3moe22topkGatingSoftplusSqrtILi6ELi384ELi4ELi8ELi64ELb0EjfEEvPKT6_PKbPfiPT5_PiiiibdPKfPKS8_SE_, .Lfunc_end109-_ZN4vllm3moe22topkGatingSoftplusSqrtILi6ELi384ELi4ELi8ELi64ELb0EjfEEvPKT6_PKbPfiPT5_PiiiibdPKfPKS8_SE_
                                        ; -- End function
	.section	.AMDGPU.csdata,"",@progbits
; Kernel info:
; codeLenInByte = 3608
; NumSgprs: 38
; NumVgprs: 32
; NumAgprs: 0
; TotalNumVgprs: 32
; ScratchSize: 0
; MemoryBound: 0
; FloatMode: 240
; IeeeMode: 1
; LDSByteSize: 0 bytes/workgroup (compile time only)
; SGPRBlocks: 4
; VGPRBlocks: 3
; NumSGPRsForWavesPerEU: 38
; NumVGPRsForWavesPerEU: 32
; AccumOffset: 32
; Occupancy: 8
; WaveLimiterHint : 1
; COMPUTE_PGM_RSRC2:SCRATCH_EN: 0
; COMPUTE_PGM_RSRC2:USER_SGPR: 2
; COMPUTE_PGM_RSRC2:TRAP_HANDLER: 0
; COMPUTE_PGM_RSRC2:TGID_X_EN: 1
; COMPUTE_PGM_RSRC2:TGID_Y_EN: 0
; COMPUTE_PGM_RSRC2:TGID_Z_EN: 0
; COMPUTE_PGM_RSRC2:TIDIG_COMP_CNT: 1
; COMPUTE_PGM_RSRC3_GFX90A:ACCUM_OFFSET: 7
; COMPUTE_PGM_RSRC3_GFX90A:TG_SPLIT: 0
	.section	.text._ZN4vllm3moe22topkGatingSoftplusSqrtILi12ELi384ELi4ELi8ELi32ELb1EjfEEvPKT6_PKbPfiPT5_PiiiibdPKfPKS8_SE_,"axG",@progbits,_ZN4vllm3moe22topkGatingSoftplusSqrtILi12ELi384ELi4ELi8ELi32ELb1EjfEEvPKT6_PKbPfiPT5_PiiiibdPKfPKS8_SE_,comdat
	.protected	_ZN4vllm3moe22topkGatingSoftplusSqrtILi12ELi384ELi4ELi8ELi32ELb1EjfEEvPKT6_PKbPfiPT5_PiiiibdPKfPKS8_SE_ ; -- Begin function _ZN4vllm3moe22topkGatingSoftplusSqrtILi12ELi384ELi4ELi8ELi32ELb1EjfEEvPKT6_PKbPfiPT5_PiiiibdPKfPKS8_SE_
	.globl	_ZN4vllm3moe22topkGatingSoftplusSqrtILi12ELi384ELi4ELi8ELi32ELb1EjfEEvPKT6_PKbPfiPT5_PiiiibdPKfPKS8_SE_
	.p2align	8
	.type	_ZN4vllm3moe22topkGatingSoftplusSqrtILi12ELi384ELi4ELi8ELi32ELb1EjfEEvPKT6_PKbPfiPT5_PiiiibdPKfPKS8_SE_,@function
_ZN4vllm3moe22topkGatingSoftplusSqrtILi12ELi384ELi4ELi8ELi32ELb1EjfEEvPKT6_PKbPfiPT5_PiiiibdPKfPKS8_SE_: ; @_ZN4vllm3moe22topkGatingSoftplusSqrtILi12ELi384ELi4ELi8ELi32ELb1EjfEEvPKT6_PKbPfiPT5_PiiiibdPKfPKS8_SE_
; %bb.0:
	s_load_dword s3, s[0:1], 0x18
	v_and_b32_e32 v1, 0x3ff, v0
	s_lshl_b32 s2, s2, 2
	v_lshrrev_b32_e32 v2, 5, v1
	v_bfe_u32 v0, v0, 10, 10
	v_add3_u32 v6, s2, v0, v2
	s_waitcnt lgkmcnt(0)
	v_cmp_gt_i32_e32 vcc, s3, v6
	s_and_saveexec_b64 s[2:3], vcc
	s_cbranch_execz .LBB110_60
; %bb.1:
	s_load_dwordx2 s[2:3], s[0:1], 0x0
	s_load_dword s33, s[0:1], 0x30
	s_load_dwordx4 s[4:7], s[0:1], 0x50
	s_movk_i32 s8, 0x180
	v_mul_lo_u32 v2, v6, s8
	v_lshlrev_b32_e32 v0, 1, v1
	v_ashrrev_i32_e32 v3, 31, v2
	v_and_b32_e32 v12, 62, v0
	s_waitcnt lgkmcnt(0)
	v_lshl_add_u64 v[2:3], v[2:3], 2, s[2:3]
	v_lshlrev_b32_e32 v4, 2, v12
	v_mov_b32_e32 v5, 0
	v_lshl_add_u64 v[16:17], v[2:3], 0, v[4:5]
	global_load_dwordx2 v[18:19], v[16:17], off
	global_load_dwordx2 v[20:21], v[16:17], off offset:256
	global_load_dwordx2 v[0:1], v[16:17], off offset:1024
	;; [unrolled: 1-line block ×3, first 2 shown]
	v_mov_b32_e32 v8, s4
	v_mov_b32_e32 v9, s5
	v_ashrrev_i32_e32 v7, 31, v6
	v_lshl_add_u64 v[8:9], v[6:7], 2, v[8:9]
	global_load_dword v4, v[8:9], off
	global_load_dwordx2 v[22:23], v[16:17], off offset:512
	global_load_dwordx2 v[10:11], v[16:17], off offset:768
	s_mov_b32 s15, 0x800000
	v_mov_b32_e32 v14, 0x4f800000
	v_mov_b32_e32 v8, s6
	;; [unrolled: 1-line block ×3, first 2 shown]
	s_mov_b32 s13, 0x3f317217
	s_mov_b32 s14, 0x7f800000
	v_mov_b32_e32 v13, 0x41b17218
	s_mov_b32 s11, 0x41a00000
	s_mov_b32 s12, 0xf800000
	v_mov_b32_e32 v7, 0x260
	s_cmp_gt_i32 s33, 0
	s_mov_b32 s10, 0
	s_waitcnt vmcnt(6)
	v_mul_f32_e32 v15, 0x3fb8aa3b, v18
	v_mul_f32_e32 v17, 0x3fb8aa3b, v19
	v_exp_f32_e32 v16, v15
	v_exp_f32_e32 v17, v17
	s_waitcnt vmcnt(5)
	v_mul_f32_e32 v24, 0x3fb8aa3b, v20
	v_mul_f32_e32 v25, 0x3fb8aa3b, v21
	v_exp_f32_e32 v24, v24
	v_exp_f32_e32 v25, v25
	s_waitcnt vmcnt(3)
	scratch_store_dwordx4 off, v[0:3], off offset:32
	s_waitcnt vmcnt(3)
	v_mul_lo_u32 v4, v4, s33
	v_pk_add_f32 v[2:3], v[16:17], 1.0 op_sel_hi:[1,0]
	v_pk_add_f32 v[16:17], v[24:25], 1.0 op_sel_hi:[1,0]
	v_cmp_gt_f32_e32 vcc, s15, v3
	v_cmp_gt_f32_e64 s[2:3], s15, v2
	v_cmp_gt_f32_e64 s[6:7], s15, v16
	v_cndmask_b32_e32 v15, 1.0, v14, vcc
	v_cndmask_b32_e64 v24, 1.0, v14, s[2:3]
	v_mul_f32_e32 v3, v3, v15
	v_mul_f32_e32 v2, v2, v24
	v_log_f32_e32 v3, v3
	v_log_f32_e32 v2, v2
	v_cmp_gt_f32_e64 s[4:5], s15, v17
	v_cndmask_b32_e64 v26, 1.0, v14, s[6:7]
	v_mul_f32_e32 v16, v16, v26
	v_cndmask_b32_e64 v25, 1.0, v14, s[4:5]
	v_mul_f32_e32 v17, v17, v25
	v_log_f32_e32 v26, v16
	v_mul_f32_e32 v16, 0x3f317217, v3
	v_log_f32_e32 v25, v17
	v_mul_f32_e32 v17, 0x3f317217, v2
	v_fma_f32 v16, v3, s13, -v16
	v_fma_f32 v17, v2, s13, -v17
	v_fmac_f32_e32 v16, 0x3377d1cf, v3
	v_cndmask_b32_e32 v15, 0, v13, vcc
	v_fmac_f32_e32 v17, 0x3377d1cf, v2
	v_fmac_f32_e32 v16, 0x3f317217, v3
	v_cmp_lt_f32_e64 vcc, |v3|, s14
	v_fmac_f32_e32 v17, 0x3f317217, v2
	v_cndmask_b32_e64 v24, 0, v13, s[2:3]
	v_cndmask_b32_e32 v3, v3, v16, vcc
	v_cmp_lt_f32_e64 vcc, |v2|, s14
	v_sub_f32_e32 v3, v3, v15
	v_mul_f32_e32 v27, 0x3f317217, v25
	v_cndmask_b32_e32 v2, v2, v17, vcc
	v_sub_f32_e32 v2, v2, v24
	v_cmp_lt_f32_e32 vcc, s11, v18
	v_fma_f32 v27, v25, s13, -v27
	v_fmac_f32_e32 v27, 0x3377d1cf, v25
	v_cndmask_b32_e32 v2, v2, v18, vcc
	v_cmp_lt_f32_e32 vcc, s11, v19
	v_mul_f32_e32 v16, 0x4f800000, v2
	v_cmp_gt_f32_e64 s[2:3], s12, v2
	v_cndmask_b32_e32 v3, v3, v19, vcc
	v_mul_f32_e32 v15, 0x4f800000, v3
	v_cmp_gt_f32_e32 vcc, s12, v3
	v_cndmask_b32_e64 v2, v2, v16, s[2:3]
	v_sqrt_f32_e32 v16, v2
	v_cndmask_b32_e32 v3, v3, v15, vcc
	v_sqrt_f32_e32 v15, v3
	v_fmac_f32_e32 v27, 0x3f317217, v25
	v_add_u32_e32 v19, -1, v16
	v_fma_f32 v30, -v19, v16, v2
	v_add_u32_e32 v17, -1, v15
	v_fma_f32 v28, -v17, v15, v3
	v_add_u32_e32 v18, 1, v15
	v_cmp_ge_f32_e64 s[8:9], 0, v28
	v_add_u32_e32 v24, 1, v16
	v_fma_f32 v29, -v18, v15, v3
	v_cndmask_b32_e64 v15, v15, v17, s[8:9]
	v_cmp_ge_f32_e64 s[8:9], 0, v30
	v_fma_f32 v31, -v24, v16, v2
	s_nop 0
	v_cndmask_b32_e64 v16, v16, v19, s[8:9]
	v_cmp_lt_f32_e64 s[8:9], 0, v29
	s_nop 1
	v_cndmask_b32_e64 v15, v15, v18, s[8:9]
	v_cmp_lt_f32_e64 s[8:9], 0, v31
	v_mul_f32_e32 v17, 0x37800000, v15
	v_cndmask_b32_e32 v15, v15, v17, vcc
	v_cndmask_b32_e64 v16, v16, v24, s[8:9]
	v_mul_f32_e32 v18, 0x37800000, v16
	v_cmp_class_f32_e32 vcc, v3, v7
	v_cndmask_b32_e64 v16, v16, v18, s[2:3]
	v_cmp_lt_f32_e64 s[2:3], s11, v20
	v_cndmask_b32_e32 v17, v15, v3, vcc
	v_cmp_class_f32_e32 vcc, v2, v7
	v_cndmask_b32_e64 v3, 0, v13, s[4:5]
	v_cndmask_b32_e64 v15, 0, v13, s[6:7]
	v_cndmask_b32_e32 v16, v16, v2, vcc
	v_cmp_lt_f32_e64 vcc, |v25|, s14
	s_nop 1
	v_cndmask_b32_e32 v2, v25, v27, vcc
	v_sub_f32_e32 v2, v2, v3
	v_mul_f32_e32 v3, 0x3f317217, v26
	v_fma_f32 v3, v26, s13, -v3
	v_fmac_f32_e32 v3, 0x3377d1cf, v26
	v_fmac_f32_e32 v3, 0x3f317217, v26
	v_cmp_lt_f32_e64 vcc, |v26|, s14
	s_nop 1
	v_cndmask_b32_e32 v3, v26, v3, vcc
	v_cmp_lt_f32_e32 vcc, s11, v21
	v_sub_f32_e32 v3, v3, v15
	v_cndmask_b32_e64 v3, v3, v20, s[2:3]
	v_cndmask_b32_e32 v2, v2, v21, vcc
	v_mul_f32_e32 v18, 0x4f800000, v2
	v_cmp_gt_f32_e32 vcc, s12, v2
	s_nop 1
	v_cndmask_b32_e32 v2, v2, v18, vcc
	v_sqrt_f32_e32 v18, v2
	s_nop 0
	v_add_u32_e32 v15, -1, v18
	v_fma_f32 v19, -v15, v18, v2
	v_cmp_ge_f32_e64 s[2:3], 0, v19
	v_add_u32_e32 v19, 1, v18
	s_nop 0
	v_cndmask_b32_e64 v15, v18, v15, s[2:3]
	v_fma_f32 v18, -v19, v18, v2
	v_cmp_lt_f32_e64 s[2:3], 0, v18
	s_nop 1
	v_cndmask_b32_e64 v15, v15, v19, s[2:3]
	v_mul_f32_e32 v19, 0x4f800000, v3
	v_cmp_gt_f32_e64 s[2:3], s12, v3
	v_mul_f32_e32 v18, 0x37800000, v15
	v_cndmask_b32_e32 v15, v15, v18, vcc
	v_cndmask_b32_e64 v20, v3, v19, s[2:3]
	v_sqrt_f32_e32 v3, v20
	v_cmp_class_f32_e32 vcc, v2, v7
	v_add_u32_e32 v18, 1, v3
	s_nop 0
	v_cndmask_b32_e32 v19, v15, v2, vcc
	v_add_u32_e32 v2, -1, v3
	v_fma_f32 v15, -v2, v3, v20
	v_cmp_ge_f32_e32 vcc, 0, v15
	v_fma_f32 v21, -v18, v3, v20
	s_nop 0
	v_cndmask_b32_e32 v15, v3, v2, vcc
	s_waitcnt vmcnt(2)
	v_mul_f32_e32 v2, 0x3fb8aa3b, v22
	v_mul_f32_e32 v3, 0x3fb8aa3b, v23
	v_exp_f32_e32 v2, v2
	v_exp_f32_e32 v3, v3
	v_cmp_lt_f32_e32 vcc, 0, v21
	v_pk_add_f32 v[2:3], v[2:3], 1.0 op_sel_hi:[1,0]
	s_nop 0
	v_cndmask_b32_e32 v15, v15, v18, vcc
	v_mul_f32_e32 v18, 0x37800000, v15
	v_cmp_gt_f32_e32 vcc, s15, v3
	v_cndmask_b32_e64 v15, v15, v18, s[2:3]
	v_cmp_class_f32_e64 s[2:3], v20, v7
	v_cndmask_b32_e32 v18, 1.0, v14, vcc
	v_mul_f32_e32 v3, v3, v18
	v_log_f32_e32 v3, v3
	v_cndmask_b32_e64 v18, v15, v20, s[2:3]
	v_cmp_gt_f32_e64 s[2:3], s15, v2
	scratch_store_dwordx4 off, v[16:19], off
	v_mul_f32_e32 v15, 0x3f317217, v3
	v_fma_f32 v15, v3, s13, -v15
	v_cndmask_b32_e64 v16, 1.0, v14, s[2:3]
	v_mul_f32_e32 v2, v2, v16
	v_log_f32_e32 v2, v2
	v_fmac_f32_e32 v15, 0x3377d1cf, v3
	v_fmac_f32_e32 v15, 0x3f317217, v3
	v_cmp_lt_f32_e64 s[4:5], |v3|, s14
	s_nop 1
	v_cndmask_b32_e64 v3, v3, v15, s[4:5]
	v_cndmask_b32_e32 v15, 0, v13, vcc
	v_sub_f32_e32 v3, v3, v15
	v_mul_f32_e32 v15, 0x3f317217, v2
	v_fma_f32 v15, v2, s13, -v15
	v_fmac_f32_e32 v15, 0x3377d1cf, v2
	v_fmac_f32_e32 v15, 0x3f317217, v2
	v_cmp_lt_f32_e64 vcc, |v2|, s14
	s_nop 1
	v_cndmask_b32_e32 v2, v2, v15, vcc
	v_cmp_lt_f32_e32 vcc, s11, v23
	v_cndmask_b32_e64 v15, 0, v13, s[2:3]
	v_sub_f32_e32 v2, v2, v15
	v_cndmask_b32_e32 v3, v3, v23, vcc
	v_mul_f32_e32 v16, 0x4f800000, v3
	v_cmp_gt_f32_e32 vcc, s12, v3
	v_cmp_lt_f32_e64 s[2:3], s11, v22
	s_nop 0
	v_cndmask_b32_e32 v3, v3, v16, vcc
	v_sqrt_f32_e32 v16, v3
	v_cndmask_b32_e64 v2, v2, v22, s[2:3]
	v_add_u32_e32 v15, -1, v16
	v_fma_f32 v17, -v15, v16, v3
	v_cmp_ge_f32_e64 s[2:3], 0, v17
	v_add_u32_e32 v17, 1, v16
	s_nop 0
	v_cndmask_b32_e64 v15, v16, v15, s[2:3]
	v_fma_f32 v16, -v17, v16, v3
	v_cmp_lt_f32_e64 s[2:3], 0, v16
	s_nop 1
	v_cndmask_b32_e64 v15, v15, v17, s[2:3]
	v_mul_f32_e32 v17, 0x4f800000, v2
	v_cmp_gt_f32_e64 s[2:3], s12, v2
	v_mul_f32_e32 v16, 0x37800000, v15
	v_cndmask_b32_e32 v15, v15, v16, vcc
	v_cndmask_b32_e64 v18, v2, v17, s[2:3]
	v_sqrt_f32_e32 v2, v18
	v_cmp_class_f32_e32 vcc, v3, v7
	v_add_u32_e32 v16, 1, v2
	s_nop 0
	v_cndmask_b32_e32 v17, v15, v3, vcc
	v_add_u32_e32 v3, -1, v2
	v_fma_f32 v15, -v3, v2, v18
	v_cmp_ge_f32_e32 vcc, 0, v15
	v_fma_f32 v19, -v16, v2, v18
	s_nop 0
	v_cndmask_b32_e32 v15, v2, v3, vcc
	s_waitcnt vmcnt(2)
	v_mul_f32_e32 v2, 0x3fb8aa3b, v10
	v_mul_f32_e32 v3, 0x3fb8aa3b, v11
	v_exp_f32_e32 v2, v2
	v_exp_f32_e32 v3, v3
	v_cmp_lt_f32_e32 vcc, 0, v19
	v_pk_add_f32 v[2:3], v[2:3], 1.0 op_sel_hi:[1,0]
	s_nop 0
	v_cndmask_b32_e32 v15, v15, v16, vcc
	v_cmp_gt_f32_e32 vcc, s15, v3
	v_mul_f32_e32 v16, 0x37800000, v15
	v_cndmask_b32_e64 v15, v15, v16, s[2:3]
	v_cndmask_b32_e32 v19, 1.0, v14, vcc
	v_mul_f32_e32 v3, v3, v19
	v_log_f32_e32 v3, v3
	v_cmp_class_f32_e64 s[2:3], v18, v7
	v_cmp_lt_f32_e64 s[4:5], |v3|, s14
	s_nop 0
	v_cndmask_b32_e64 v16, v15, v18, s[2:3]
	v_cmp_gt_f32_e64 s[2:3], s15, v2
	v_mul_f32_e32 v15, 0x3f317217, v3
	v_fma_f32 v15, v3, s13, -v15
	v_cndmask_b32_e64 v18, 1.0, v14, s[2:3]
	v_mul_f32_e32 v2, v2, v18
	v_log_f32_e32 v2, v2
	v_fmac_f32_e32 v15, 0x3377d1cf, v3
	v_fmac_f32_e32 v15, 0x3f317217, v3
	v_cndmask_b32_e64 v3, v3, v15, s[4:5]
	v_cndmask_b32_e32 v15, 0, v13, vcc
	v_sub_f32_e32 v3, v3, v15
	v_mul_f32_e32 v15, 0x3f317217, v2
	v_fma_f32 v15, v2, s13, -v15
	v_fmac_f32_e32 v15, 0x3377d1cf, v2
	v_fmac_f32_e32 v15, 0x3f317217, v2
	v_cmp_lt_f32_e64 vcc, |v2|, s14
	s_nop 1
	v_cndmask_b32_e32 v2, v2, v15, vcc
	v_cmp_lt_f32_e32 vcc, s11, v11
	v_cndmask_b32_e64 v15, 0, v13, s[2:3]
	v_sub_f32_e32 v2, v2, v15
	v_cndmask_b32_e32 v3, v3, v11, vcc
	v_mul_f32_e32 v11, 0x4f800000, v3
	v_cmp_gt_f32_e32 vcc, s12, v3
	v_cmp_lt_f32_e64 s[2:3], s11, v10
	s_nop 0
	v_cndmask_b32_e32 v11, v3, v11, vcc
	v_sqrt_f32_e32 v3, v11
	v_cndmask_b32_e64 v10, v2, v10, s[2:3]
	v_mul_f32_e32 v19, 0x4f800000, v10
	v_add_u32_e32 v2, -1, v3
	v_fma_f32 v15, -v2, v3, v11
	v_cmp_ge_f32_e64 s[2:3], 0, v15
	v_add_u32_e32 v15, 1, v3
	s_nop 0
	v_cndmask_b32_e64 v2, v3, v2, s[2:3]
	v_fma_f32 v3, -v15, v3, v11
	v_cmp_lt_f32_e64 s[2:3], 0, v3
	s_nop 1
	v_cndmask_b32_e64 v15, v2, v15, s[2:3]
	scratch_load_dwordx2 v[2:3], off, off offset:40
	v_cmp_gt_f32_e64 s[2:3], s12, v10
	v_mul_f32_e32 v18, 0x37800000, v15
	v_cndmask_b32_e32 v15, v15, v18, vcc
	v_cndmask_b32_e64 v20, v10, v19, s[2:3]
	v_sqrt_f32_e32 v10, v20
	v_cmp_class_f32_e32 vcc, v11, v7
	v_add_u32_e32 v18, 1, v10
	s_nop 0
	v_cndmask_b32_e32 v19, v15, v11, vcc
	v_add_u32_e32 v11, -1, v10
	v_fma_f32 v15, -v11, v10, v20
	v_cmp_ge_f32_e32 vcc, 0, v15
	v_fma_f32 v21, -v18, v10, v20
	s_nop 0
	v_cndmask_b32_e32 v15, v10, v11, vcc
	v_mul_f32_e32 v10, 0x3fb8aa3b, v0
	v_mul_f32_e32 v11, 0x3fb8aa3b, v1
	v_exp_f32_e32 v10, v10
	v_exp_f32_e32 v11, v11
	v_cmp_lt_f32_e32 vcc, 0, v21
	v_pk_add_f32 v[10:11], v[10:11], 1.0 op_sel_hi:[1,0]
	s_nop 0
	v_cndmask_b32_e32 v15, v15, v18, vcc
	v_mul_f32_e32 v18, 0x37800000, v15
	v_cmp_gt_f32_e32 vcc, s15, v11
	v_cndmask_b32_e64 v15, v15, v18, s[2:3]
	v_cmp_class_f32_e64 s[2:3], v20, v7
	v_cndmask_b32_e32 v18, 1.0, v14, vcc
	v_mul_f32_e32 v11, v11, v18
	v_log_f32_e32 v11, v11
	v_cndmask_b32_e64 v18, v15, v20, s[2:3]
	v_cmp_gt_f32_e64 s[2:3], s15, v10
	scratch_store_dwordx4 off, v[16:19], off offset:16
	v_mul_f32_e32 v15, 0x3f317217, v11
	v_fma_f32 v15, v11, s13, -v15
	v_cndmask_b32_e64 v16, 1.0, v14, s[2:3]
	v_mul_f32_e32 v10, v10, v16
	v_log_f32_e32 v10, v10
	v_fmac_f32_e32 v15, 0x3377d1cf, v11
	v_fmac_f32_e32 v15, 0x3f317217, v11
	v_cmp_lt_f32_e64 s[4:5], |v11|, s14
	s_nop 1
	v_cndmask_b32_e64 v11, v11, v15, s[4:5]
	v_cndmask_b32_e32 v15, 0, v13, vcc
	v_sub_f32_e32 v11, v11, v15
	v_mul_f32_e32 v15, 0x3f317217, v10
	v_fma_f32 v15, v10, s13, -v15
	v_fmac_f32_e32 v15, 0x3377d1cf, v10
	v_fmac_f32_e32 v15, 0x3f317217, v10
	v_cmp_lt_f32_e64 vcc, |v10|, s14
	s_nop 1
	v_cndmask_b32_e32 v10, v10, v15, vcc
	v_cmp_lt_f32_e32 vcc, s11, v1
	v_cndmask_b32_e64 v15, 0, v13, s[2:3]
	v_sub_f32_e32 v10, v10, v15
	v_cndmask_b32_e32 v1, v11, v1, vcc
	v_mul_f32_e32 v11, 0x4f800000, v1
	v_cmp_gt_f32_e32 vcc, s12, v1
	v_cmp_lt_f32_e64 s[2:3], s11, v0
	s_nop 0
	v_cndmask_b32_e32 v1, v1, v11, vcc
	v_sqrt_f32_e32 v11, v1
	v_cndmask_b32_e64 v0, v10, v0, s[2:3]
	v_add_u32_e32 v10, -1, v11
	v_fma_f32 v15, -v10, v11, v1
	v_cmp_ge_f32_e64 s[2:3], 0, v15
	v_add_u32_e32 v15, 1, v11
	s_nop 0
	v_cndmask_b32_e64 v10, v11, v10, s[2:3]
	v_fma_f32 v11, -v15, v11, v1
	v_cmp_lt_f32_e64 s[2:3], 0, v11
	s_nop 1
	v_cndmask_b32_e64 v10, v10, v15, s[2:3]
	v_mul_f32_e32 v15, 0x4f800000, v0
	v_cmp_gt_f32_e64 s[2:3], s12, v0
	v_mul_f32_e32 v11, 0x37800000, v10
	v_cndmask_b32_e32 v10, v10, v11, vcc
	v_cndmask_b32_e64 v0, v0, v15, s[2:3]
	v_sqrt_f32_e32 v15, v0
	v_cmp_class_f32_e32 vcc, v1, v7
	v_add_u32_e32 v17, 1, v15
	s_nop 0
	v_cndmask_b32_e32 v1, v10, v1, vcc
	v_add_u32_e32 v10, -1, v15
	v_fma_f32 v11, -v10, v15, v0
	v_cmp_ge_f32_e32 vcc, 0, v11
	s_waitcnt vmcnt(1)
	v_mul_f32_e32 v11, 0x3fb8aa3b, v3
	v_exp_f32_e32 v11, v11
	v_cndmask_b32_e32 v16, v15, v10, vcc
	v_mul_f32_e32 v10, 0x3fb8aa3b, v2
	v_exp_f32_e32 v10, v10
	v_fma_f32 v15, -v17, v15, v0
	v_cmp_lt_f32_e32 vcc, 0, v15
	v_pk_add_f32 v[10:11], v[10:11], 1.0 op_sel_hi:[1,0]
	s_nop 0
	v_cndmask_b32_e32 v15, v16, v17, vcc
	v_cmp_gt_f32_e32 vcc, s15, v11
	v_mul_f32_e32 v16, 0x37800000, v15
	v_cndmask_b32_e64 v15, v15, v16, s[2:3]
	v_cndmask_b32_e32 v17, 1.0, v14, vcc
	v_mul_f32_e32 v11, v11, v17
	v_log_f32_e32 v11, v11
	v_cmp_class_f32_e64 s[2:3], v0, v7
	v_cmp_lt_f32_e64 s[4:5], |v11|, s14
	s_nop 0
	v_cndmask_b32_e64 v0, v15, v0, s[2:3]
	v_cmp_gt_f32_e64 s[2:3], s15, v10
	v_mul_f32_e32 v15, 0x3f317217, v11
	v_fma_f32 v15, v11, s13, -v15
	v_cndmask_b32_e64 v14, 1.0, v14, s[2:3]
	v_mul_f32_e32 v10, v10, v14
	v_log_f32_e32 v10, v10
	v_fmac_f32_e32 v15, 0x3377d1cf, v11
	v_fmac_f32_e32 v15, 0x3f317217, v11
	v_cndmask_b32_e64 v11, v11, v15, s[4:5]
	v_cndmask_b32_e32 v14, 0, v13, vcc
	v_sub_f32_e32 v11, v11, v14
	v_mul_f32_e32 v14, 0x3f317217, v10
	v_fma_f32 v14, v10, s13, -v14
	v_fmac_f32_e32 v14, 0x3377d1cf, v10
	v_fmac_f32_e32 v14, 0x3f317217, v10
	v_cmp_lt_f32_e64 vcc, |v10|, s14
	v_cndmask_b32_e64 v13, 0, v13, s[2:3]
	v_cmp_lt_f32_e64 s[2:3], s11, v2
	v_cndmask_b32_e32 v10, v10, v14, vcc
	v_cmp_lt_f32_e32 vcc, s11, v3
	v_sub_f32_e32 v10, v10, v13
	v_cndmask_b32_e64 v2, v10, v2, s[2:3]
	v_cndmask_b32_e32 v3, v11, v3, vcc
	v_mul_f32_e32 v11, 0x4f800000, v3
	v_cmp_gt_f32_e32 vcc, s12, v3
	s_cselect_b64 s[4:5], -1, 0
	s_cmp_lt_i32 s33, 1
	v_cndmask_b32_e32 v3, v3, v11, vcc
	v_sqrt_f32_e32 v11, v3
	s_nop 0
	v_add_u32_e32 v10, -1, v11
	v_fma_f32 v13, -v10, v11, v3
	v_cmp_ge_f32_e64 s[2:3], 0, v13
	v_add_u32_e32 v13, 1, v11
	s_nop 0
	v_cndmask_b32_e64 v10, v11, v10, s[2:3]
	v_fma_f32 v11, -v13, v11, v3
	v_cmp_lt_f32_e64 s[2:3], 0, v11
	s_nop 1
	v_cndmask_b32_e64 v10, v10, v13, s[2:3]
	v_mul_f32_e32 v13, 0x4f800000, v2
	v_cmp_gt_f32_e64 s[2:3], s12, v2
	v_mul_f32_e32 v11, 0x37800000, v10
	v_cndmask_b32_e32 v10, v10, v11, vcc
	v_cndmask_b32_e64 v2, v2, v13, s[2:3]
	v_sqrt_f32_e32 v13, v2
	v_cmp_class_f32_e32 vcc, v3, v7
	s_nop 1
	v_cndmask_b32_e32 v3, v10, v3, vcc
	v_add_u32_e32 v10, -1, v13
	v_fma_f32 v11, -v10, v13, v2
	v_cmp_ge_f32_e32 vcc, 0, v11
	v_add_u32_e32 v11, 1, v13
	s_nop 0
	v_cndmask_b32_e32 v10, v13, v10, vcc
	v_fma_f32 v13, -v11, v13, v2
	v_cmp_lt_f32_e32 vcc, 0, v13
	s_nop 1
	v_cndmask_b32_e32 v10, v10, v11, vcc
	v_mul_f32_e32 v11, 0x37800000, v10
	v_cndmask_b32_e64 v10, v10, v11, s[2:3]
	v_cmp_class_f32_e32 vcc, v2, v7
	s_nop 1
	v_cndmask_b32_e32 v2, v10, v2, vcc
	scratch_store_dwordx4 off, v[0:3], off offset:32
	s_nop 1
	v_lshl_add_u64 v[0:1], v[4:5], 2, v[8:9]
	v_mul_lo_u32 v2, v6, s33
	s_cbranch_scc1 .LBB110_29
; %bb.2:
	s_load_dwordx2 s[6:7], s[0:1], 0x20
	s_cmp_lt_u32 s33, 4
	v_mul_lo_u32 v6, v6, s33
	s_cbranch_scc1 .LBB110_21
; %bb.3:
	s_mov_b32 s9, 0
	s_and_b32 s10, s33, 0x7ffffffc
	v_ashrrev_i32_e32 v7, 31, v6
	v_mov_b32_e32 v5, 0
	s_mov_b32 s8, s9
	s_branch .LBB110_5
.LBB110_4:                              ;   in Loop: Header=BB110_5 Depth=1
	s_or_b64 exec, exec, s[12:13]
	s_add_i32 s8, s8, 4
	s_cmp_eq_u32 s8, s10
	s_cbranch_scc1 .LBB110_22
.LBB110_5:                              ; =>This Loop Header: Depth=1
                                        ;     Child Loop BB110_7 Depth 2
                                        ;     Child Loop BB110_11 Depth 2
                                        ;     Child Loop BB110_15 Depth 2
                                        ;     Child Loop BB110_19 Depth 2
	v_lshl_add_u64 v[8:9], s[8:9], 2, v[0:1]
	global_load_dword v3, v[8:9], off
	v_add_u32_e32 v10, s8, v6
	v_ashrrev_i32_e32 v11, 31, v10
	s_waitcnt lgkmcnt(0)
	v_lshl_add_u64 v[10:11], v[10:11], 2, s[6:7]
	v_mov_b32_e32 v4, 0
	s_mov_b64 s[12:13], 0
	s_mov_b32 s11, 0
	s_mov_b32 s16, 0
	s_branch .LBB110_7
.LBB110_6:                              ;   in Loop: Header=BB110_7 Depth=2
	s_or_b64 exec, exec, s[14:15]
	s_add_i32 s17, s16, 1
	s_cmp_gt_u32 s16, 10
	s_cselect_b64 s[2:3], -1, 0
	s_xor_b64 s[14:15], vcc, -1
	s_or_b64 s[2:3], s[14:15], s[2:3]
	s_add_i32 s11, s11, 32
	s_and_b64 s[2:3], exec, s[2:3]
	v_add_u32_e32 v4, 4, v4
	s_or_b64 s[12:13], s[2:3], s[12:13]
	s_mov_b32 s16, s17
	s_andn2_b64 exec, exec, s[12:13]
	s_cbranch_execz .LBB110_9
.LBB110_7:                              ;   Parent Loop BB110_5 Depth=1
                                        ; =>  This Inner Loop Header: Depth=2
	s_and_b32 s2, s16, 1
	s_and_b32 s3, s11, 0x1c0
	s_or_b32 s2, s2, s3
	v_or_b32_e32 v13, s2, v12
	s_waitcnt vmcnt(0)
	v_cmp_ne_u32_e32 vcc, v3, v13
	v_cmp_eq_u32_e64 s[2:3], v3, v13
	s_and_saveexec_b64 s[14:15], s[2:3]
	s_cbranch_execz .LBB110_6
; %bb.8:                                ;   in Loop: Header=BB110_7 Depth=2
	scratch_load_dword v13, v4, off
	s_waitcnt vmcnt(0)
	v_add_f32_e32 v5, v5, v13
	global_store_dword v[10:11], v3, off
	s_branch .LBB110_6
.LBB110_9:                              ;   in Loop: Header=BB110_5 Depth=1
	s_or_b64 exec, exec, s[12:13]
	global_load_dword v3, v[8:9], off offset:4
	s_ashr_i32 s3, s8, 31
	s_mov_b32 s2, s8
	v_lshl_add_u64 v[10:11], s[2:3], 0, v[6:7]
	v_lshl_add_u64 v[10:11], v[10:11], 2, s[6:7]
	v_mov_b32_e32 v4, 0
	s_mov_b32 s11, 0
	s_mov_b64 s[12:13], 0
	s_mov_b32 s16, 0
	s_branch .LBB110_11
.LBB110_10:                             ;   in Loop: Header=BB110_11 Depth=2
	s_or_b64 exec, exec, s[14:15]
	s_add_i32 s17, s16, 1
	s_cmp_gt_u32 s16, 10
	s_cselect_b64 s[2:3], -1, 0
	s_xor_b64 s[14:15], vcc, -1
	s_or_b64 s[2:3], s[14:15], s[2:3]
	s_add_i32 s11, s11, 32
	s_and_b64 s[2:3], exec, s[2:3]
	v_add_u32_e32 v4, 4, v4
	s_or_b64 s[12:13], s[2:3], s[12:13]
	s_mov_b32 s16, s17
	s_andn2_b64 exec, exec, s[12:13]
	s_cbranch_execz .LBB110_13
.LBB110_11:                             ;   Parent Loop BB110_5 Depth=1
                                        ; =>  This Inner Loop Header: Depth=2
	s_and_b32 s2, s16, 1
	s_and_b32 s3, s11, 0x1c0
	s_or_b32 s2, s2, s3
	v_or_b32_e32 v13, s2, v12
	s_waitcnt vmcnt(0)
	v_cmp_ne_u32_e32 vcc, v3, v13
	v_cmp_eq_u32_e64 s[2:3], v3, v13
	s_and_saveexec_b64 s[14:15], s[2:3]
	s_cbranch_execz .LBB110_10
; %bb.12:                               ;   in Loop: Header=BB110_11 Depth=2
	scratch_load_dword v13, v4, off
	s_waitcnt vmcnt(0)
	v_add_f32_e32 v5, v5, v13
	global_store_dword v[10:11], v3, off offset:4
	s_branch .LBB110_10
.LBB110_13:                             ;   in Loop: Header=BB110_5 Depth=1
	s_or_b64 exec, exec, s[12:13]
	global_load_dword v3, v[8:9], off offset:8
	v_mov_b32_e32 v4, 0
	s_mov_b32 s11, 0
	s_mov_b64 s[12:13], 0
	s_mov_b32 s16, 0
	s_branch .LBB110_15
.LBB110_14:                             ;   in Loop: Header=BB110_15 Depth=2
	s_or_b64 exec, exec, s[14:15]
	s_add_i32 s17, s16, 1
	s_cmp_gt_u32 s16, 10
	s_cselect_b64 s[2:3], -1, 0
	s_xor_b64 s[14:15], vcc, -1
	s_or_b64 s[2:3], s[14:15], s[2:3]
	s_add_i32 s11, s11, 32
	s_and_b64 s[2:3], exec, s[2:3]
	v_add_u32_e32 v4, 4, v4
	s_or_b64 s[12:13], s[2:3], s[12:13]
	s_mov_b32 s16, s17
	s_andn2_b64 exec, exec, s[12:13]
	s_cbranch_execz .LBB110_17
.LBB110_15:                             ;   Parent Loop BB110_5 Depth=1
                                        ; =>  This Inner Loop Header: Depth=2
	s_and_b32 s2, s16, 1
	s_and_b32 s3, s11, 0x1c0
	s_or_b32 s2, s2, s3
	v_or_b32_e32 v13, s2, v12
	s_waitcnt vmcnt(0)
	v_cmp_ne_u32_e32 vcc, v3, v13
	v_cmp_eq_u32_e64 s[2:3], v3, v13
	s_and_saveexec_b64 s[14:15], s[2:3]
	s_cbranch_execz .LBB110_14
; %bb.16:                               ;   in Loop: Header=BB110_15 Depth=2
	scratch_load_dword v13, v4, off
	s_waitcnt vmcnt(0)
	v_add_f32_e32 v5, v5, v13
	global_store_dword v[10:11], v3, off offset:8
	s_branch .LBB110_14
.LBB110_17:                             ;   in Loop: Header=BB110_5 Depth=1
	s_or_b64 exec, exec, s[12:13]
	global_load_dword v3, v[8:9], off offset:12
	v_mov_b32_e32 v4, 0
	s_mov_b32 s11, 0
	s_mov_b64 s[12:13], 0
	s_mov_b32 s16, 0
	s_branch .LBB110_19
.LBB110_18:                             ;   in Loop: Header=BB110_19 Depth=2
	s_or_b64 exec, exec, s[14:15]
	s_add_i32 s17, s16, 1
	s_cmp_gt_u32 s16, 10
	s_cselect_b64 s[2:3], -1, 0
	s_xor_b64 s[14:15], vcc, -1
	s_or_b64 s[2:3], s[14:15], s[2:3]
	s_add_i32 s11, s11, 32
	s_and_b64 s[2:3], exec, s[2:3]
	v_add_u32_e32 v4, 4, v4
	s_or_b64 s[12:13], s[2:3], s[12:13]
	s_mov_b32 s16, s17
	s_andn2_b64 exec, exec, s[12:13]
	s_cbranch_execz .LBB110_4
.LBB110_19:                             ;   Parent Loop BB110_5 Depth=1
                                        ; =>  This Inner Loop Header: Depth=2
	s_and_b32 s2, s16, 1
	s_and_b32 s3, s11, 0x1c0
	s_or_b32 s2, s2, s3
	v_or_b32_e32 v8, s2, v12
	s_waitcnt vmcnt(0)
	v_cmp_ne_u32_e32 vcc, v3, v8
	v_cmp_eq_u32_e64 s[2:3], v3, v8
	s_and_saveexec_b64 s[14:15], s[2:3]
	s_cbranch_execz .LBB110_18
; %bb.20:                               ;   in Loop: Header=BB110_19 Depth=2
	scratch_load_dword v8, v4, off
	s_waitcnt vmcnt(0)
	v_add_f32_e32 v5, v5, v8
	global_store_dword v[10:11], v3, off offset:12
	s_branch .LBB110_18
.LBB110_21:
	v_mov_b32_e32 v5, 0
.LBB110_22:
	s_and_b32 s14, s33, 3
	s_cmp_eq_u32 s14, 0
	s_mov_b32 s11, 0
	s_cbranch_scc1 .LBB110_29
; %bb.23:
	s_mov_b32 s15, s11
	s_branch .LBB110_25
.LBB110_24:                             ;   in Loop: Header=BB110_25 Depth=1
	s_or_b64 exec, exec, s[8:9]
	s_add_i32 s10, s10, 1
	s_add_i32 s15, s15, 1
	s_cmp_lg_u32 s15, s14
	s_cbranch_scc0 .LBB110_29
.LBB110_25:                             ; =>This Loop Header: Depth=1
                                        ;     Child Loop BB110_27 Depth 2
	v_lshl_add_u64 v[8:9], s[10:11], 2, v[0:1]
	global_load_dword v3, v[8:9], off
	v_add_u32_e32 v8, s10, v6
	v_ashrrev_i32_e32 v9, 31, v8
	s_waitcnt lgkmcnt(0)
	v_lshl_add_u64 v[8:9], v[8:9], 2, s[6:7]
	v_mov_b32_e32 v4, 0
	s_mov_b32 s16, 0
	s_mov_b64 s[8:9], 0
	s_mov_b32 s17, 0
	s_branch .LBB110_27
.LBB110_26:                             ;   in Loop: Header=BB110_27 Depth=2
	s_or_b64 exec, exec, s[12:13]
	s_add_i32 s18, s17, 1
	s_cmp_gt_u32 s17, 10
	s_cselect_b64 s[2:3], -1, 0
	s_xor_b64 s[12:13], vcc, -1
	s_or_b64 s[2:3], s[12:13], s[2:3]
	s_add_i32 s16, s16, 32
	s_and_b64 s[2:3], exec, s[2:3]
	v_add_u32_e32 v4, 4, v4
	s_or_b64 s[8:9], s[2:3], s[8:9]
	s_mov_b32 s17, s18
	s_andn2_b64 exec, exec, s[8:9]
	s_cbranch_execz .LBB110_24
.LBB110_27:                             ;   Parent Loop BB110_25 Depth=1
                                        ; =>  This Inner Loop Header: Depth=2
	s_and_b32 s2, s17, 1
	s_and_b32 s3, s16, 0x1c0
	s_or_b32 s2, s2, s3
	v_or_b32_e32 v7, s2, v12
	s_waitcnt vmcnt(0)
	v_cmp_ne_u32_e32 vcc, v3, v7
	v_cmp_eq_u32_e64 s[2:3], v3, v7
	s_and_saveexec_b64 s[12:13], s[2:3]
	s_cbranch_execz .LBB110_26
; %bb.28:                               ;   in Loop: Header=BB110_27 Depth=2
	scratch_load_dword v7, v4, off
	s_waitcnt vmcnt(0)
	v_add_f32_e32 v5, v5, v7
	global_store_dword v[8:9], v3, off
	s_branch .LBB110_26
.LBB110_29:
	s_waitcnt lgkmcnt(0)
	s_load_dword s6, s[0:1], 0x3c
	s_waitcnt lgkmcnt(0)
	s_bitcmp1_b32 s6, 0
	s_cselect_b64 s[2:3], -1, 0
	s_bitcmp0_b32 s6, 0
	s_cbranch_scc0 .LBB110_32
; %bb.30:
	s_load_dwordx2 s[6:7], s[0:1], 0x40
	s_andn2_b64 vcc, exec, s[2:3]
	s_waitcnt lgkmcnt(0)
	v_cvt_f32_f64_e32 v4, s[6:7]
	s_cbranch_vccz .LBB110_33
.LBB110_31:
	s_andn2_b64 vcc, exec, s[4:5]
	s_cbranch_vccz .LBB110_34
	s_branch .LBB110_60
.LBB110_32:
	v_mbcnt_lo_u32_b32 v3, -1, 0
	v_mbcnt_hi_u32_b32 v3, -1, v3
	v_and_b32_e32 v4, 0x60, v3
	v_add_u32_e32 v4, 32, v4
	v_xor_b32_e32 v6, 16, v3
	v_cmp_lt_i32_e32 vcc, v6, v4
	v_xor_b32_e32 v7, 8, v3
	s_nop 0
	v_cndmask_b32_e32 v6, v3, v6, vcc
	v_lshlrev_b32_e32 v6, 2, v6
	ds_bpermute_b32 v6, v6, v5
	v_cmp_lt_i32_e32 vcc, v7, v4
	s_waitcnt lgkmcnt(0)
	v_add_f32_e32 v5, v5, v6
	v_cndmask_b32_e32 v6, v3, v7, vcc
	v_lshlrev_b32_e32 v6, 2, v6
	ds_bpermute_b32 v6, v6, v5
	v_xor_b32_e32 v7, 4, v3
	v_cmp_lt_i32_e32 vcc, v7, v4
	s_waitcnt lgkmcnt(0)
	v_add_f32_e32 v5, v5, v6
	v_cndmask_b32_e32 v6, v3, v7, vcc
	v_lshlrev_b32_e32 v6, 2, v6
	ds_bpermute_b32 v6, v6, v5
	v_xor_b32_e32 v7, 2, v3
	;; [unrolled: 7-line block ×3, first 2 shown]
	v_cmp_lt_i32_e32 vcc, v7, v4
	s_waitcnt lgkmcnt(0)
	v_add_f32_e32 v5, v5, v6
	v_cndmask_b32_e32 v3, v3, v7, vcc
	v_lshlrev_b32_e32 v3, 2, v3
	ds_bpermute_b32 v3, v3, v5
	s_waitcnt lgkmcnt(0)
	v_add_f32_e32 v5, v5, v3
	s_load_dwordx2 s[6:7], s[0:1], 0x40
	s_andn2_b64 vcc, exec, s[2:3]
	s_waitcnt lgkmcnt(0)
	v_cvt_f32_f64_e32 v4, s[6:7]
	s_cbranch_vccnz .LBB110_31
.LBB110_33:
	v_cmp_lt_f32_e32 vcc, 0, v5
	s_nop 1
	v_cndmask_b32_e32 v3, 1.0, v5, vcc
	v_div_scale_f32 v5, s[2:3], v3, v3, v4
	v_rcp_f32_e32 v6, v5
	s_nop 0
	v_fma_f32 v7, -v5, v6, 1.0
	v_fmac_f32_e32 v6, v7, v6
	v_div_scale_f32 v7, vcc, v4, v3, v4
	v_mul_f32_e32 v8, v7, v6
	v_fma_f32 v9, -v5, v8, v7
	v_fmac_f32_e32 v8, v9, v6
	v_fma_f32 v5, -v5, v8, v7
	v_div_fmas_f32 v5, v5, v6, v8
	v_div_fixup_f32 v4, v5, v3, v4
	s_andn2_b64 vcc, exec, s[4:5]
	s_cbranch_vccnz .LBB110_60
.LBB110_34:
	s_load_dwordx2 s[20:21], s[0:1], 0x10
	v_mov_b32_e32 v3, 0
	v_or_b32_e32 v5, 4, v3
	v_or_b32_e32 v6, 8, v3
	;; [unrolled: 1-line block ×3, first 2 shown]
	v_add_u32_e32 v8, 16, v3
	v_add_u32_e32 v9, 20, v3
	v_add_u32_e32 v10, 24, v3
	v_add_u32_e32 v11, 28, v3
	v_add_u32_e32 v13, 32, v3
	v_add_u32_e32 v14, 36, v3
	v_add_u32_e32 v15, 40, v3
	v_add_u32_e32 v16, 44, v3
	v_or_b32_e32 v17, 1, v12
	v_or_b32_e32 v18, 64, v12
	;; [unrolled: 1-line block ×11, first 2 shown]
	s_branch .LBB110_36
.LBB110_35:                             ;   in Loop: Header=BB110_36 Depth=1
	s_or_b64 exec, exec, s[0:1]
	s_add_i32 s33, s33, -1
	v_add_u32_e32 v2, 1, v2
	s_cmp_eq_u32 s33, 0
	v_lshl_add_u64 v[0:1], v[0:1], 0, 4
	s_cbranch_scc1 .LBB110_60
.LBB110_36:                             ; =>This Inner Loop Header: Depth=1
	global_load_dword v28, v[0:1], off
	v_mov_b32_e32 v3, 0
	s_waitcnt vmcnt(0)
	v_cmp_eq_u32_e32 vcc, v28, v12
	v_cmp_ne_u32_e64 s[0:1], v28, v12
	s_and_saveexec_b64 s[22:23], s[0:1]
	s_cbranch_execz .LBB110_58
; %bb.37:                               ;   in Loop: Header=BB110_36 Depth=1
	v_cmp_eq_u32_e64 s[0:1], v28, v17
	v_cmp_ne_u32_e64 s[2:3], v28, v17
	v_mov_b32_e32 v3, v5
	s_and_saveexec_b64 s[24:25], s[2:3]
	s_cbranch_execz .LBB110_57
; %bb.38:                               ;   in Loop: Header=BB110_36 Depth=1
	v_cmp_eq_u32_e64 s[2:3], v28, v18
	v_cmp_ne_u32_e64 s[4:5], v28, v18
	v_mov_b32_e32 v3, v6
	;; [unrolled: 6-line block ×10, first 2 shown]
	s_and_saveexec_b64 s[46:47], s[18:19]
	s_xor_b64 s[46:47], exec, s[46:47]
; %bb.47:                               ;   in Loop: Header=BB110_36 Depth=1
	v_cmp_eq_u32_e64 s[18:19], v28, v27
	s_andn2_b64 s[44:45], s[44:45], exec
	s_and_b64 s[18:19], s[18:19], exec
	s_or_b64 s[44:45], s[44:45], s[18:19]
	v_mov_b32_e32 v3, v16
; %bb.48:                               ;   in Loop: Header=BB110_36 Depth=1
	s_or_b64 exec, exec, s[46:47]
	s_andn2_b64 s[16:17], s[16:17], exec
	s_and_b64 s[18:19], s[44:45], exec
	s_or_b64 s[16:17], s[16:17], s[18:19]
.LBB110_49:                             ;   in Loop: Header=BB110_36 Depth=1
	s_or_b64 exec, exec, s[42:43]
	s_andn2_b64 s[14:15], s[14:15], exec
	s_and_b64 s[16:17], s[16:17], exec
	s_or_b64 s[14:15], s[14:15], s[16:17]
.LBB110_50:                             ;   in Loop: Header=BB110_36 Depth=1
	s_or_b64 exec, exec, s[40:41]
	s_andn2_b64 s[12:13], s[12:13], exec
	s_and_b64 s[14:15], s[14:15], exec
	s_or_b64 s[12:13], s[12:13], s[14:15]
.LBB110_51:                             ;   in Loop: Header=BB110_36 Depth=1
	s_or_b64 exec, exec, s[38:39]
	s_andn2_b64 s[10:11], s[10:11], exec
	s_and_b64 s[12:13], s[12:13], exec
	s_or_b64 s[10:11], s[10:11], s[12:13]
.LBB110_52:                             ;   in Loop: Header=BB110_36 Depth=1
	s_or_b64 exec, exec, s[36:37]
	s_andn2_b64 s[8:9], s[8:9], exec
	s_and_b64 s[10:11], s[10:11], exec
	s_or_b64 s[8:9], s[8:9], s[10:11]
.LBB110_53:                             ;   in Loop: Header=BB110_36 Depth=1
	s_or_b64 exec, exec, s[34:35]
	s_andn2_b64 s[6:7], s[6:7], exec
	s_and_b64 s[8:9], s[8:9], exec
	s_or_b64 s[6:7], s[6:7], s[8:9]
.LBB110_54:                             ;   in Loop: Header=BB110_36 Depth=1
	s_or_b64 exec, exec, s[30:31]
	s_andn2_b64 s[4:5], s[4:5], exec
	s_and_b64 s[6:7], s[6:7], exec
	s_or_b64 s[4:5], s[4:5], s[6:7]
.LBB110_55:                             ;   in Loop: Header=BB110_36 Depth=1
	s_or_b64 exec, exec, s[28:29]
	s_andn2_b64 s[2:3], s[2:3], exec
	s_and_b64 s[4:5], s[4:5], exec
	s_or_b64 s[2:3], s[2:3], s[4:5]
.LBB110_56:                             ;   in Loop: Header=BB110_36 Depth=1
	s_or_b64 exec, exec, s[26:27]
	s_andn2_b64 s[0:1], s[0:1], exec
	s_and_b64 s[2:3], s[2:3], exec
	s_or_b64 s[0:1], s[0:1], s[2:3]
.LBB110_57:                             ;   in Loop: Header=BB110_36 Depth=1
	s_or_b64 exec, exec, s[24:25]
	s_andn2_b64 s[2:3], vcc, exec
	s_and_b64 s[0:1], s[0:1], exec
	s_or_b64 vcc, s[2:3], s[0:1]
.LBB110_58:                             ;   in Loop: Header=BB110_36 Depth=1
	s_or_b64 exec, exec, s[22:23]
	s_and_saveexec_b64 s[0:1], vcc
	s_cbranch_execz .LBB110_35
; %bb.59:                               ;   in Loop: Header=BB110_36 Depth=1
	scratch_load_dword v28, v3, off
	v_ashrrev_i32_e32 v3, 31, v2
	s_waitcnt vmcnt(0)
	v_mul_f32_e32 v30, v4, v28
	s_waitcnt lgkmcnt(0)
	v_lshl_add_u64 v[28:29], v[2:3], 2, s[20:21]
	global_store_dword v[28:29], v30, off
	s_branch .LBB110_35
.LBB110_60:
	s_endpgm
	.section	.rodata,"a",@progbits
	.p2align	6, 0x0
	.amdhsa_kernel _ZN4vllm3moe22topkGatingSoftplusSqrtILi12ELi384ELi4ELi8ELi32ELb1EjfEEvPKT6_PKbPfiPT5_PiiiibdPKfPKS8_SE_
		.amdhsa_group_segment_fixed_size 0
		.amdhsa_private_segment_fixed_size 64
		.amdhsa_kernarg_size 96
		.amdhsa_user_sgpr_count 2
		.amdhsa_user_sgpr_dispatch_ptr 0
		.amdhsa_user_sgpr_queue_ptr 0
		.amdhsa_user_sgpr_kernarg_segment_ptr 1
		.amdhsa_user_sgpr_dispatch_id 0
		.amdhsa_user_sgpr_kernarg_preload_length 0
		.amdhsa_user_sgpr_kernarg_preload_offset 0
		.amdhsa_user_sgpr_private_segment_size 0
		.amdhsa_uses_dynamic_stack 0
		.amdhsa_enable_private_segment 1
		.amdhsa_system_sgpr_workgroup_id_x 1
		.amdhsa_system_sgpr_workgroup_id_y 0
		.amdhsa_system_sgpr_workgroup_id_z 0
		.amdhsa_system_sgpr_workgroup_info 0
		.amdhsa_system_vgpr_workitem_id 1
		.amdhsa_next_free_vgpr 32
		.amdhsa_next_free_sgpr 48
		.amdhsa_accum_offset 32
		.amdhsa_reserve_vcc 1
		.amdhsa_float_round_mode_32 0
		.amdhsa_float_round_mode_16_64 0
		.amdhsa_float_denorm_mode_32 3
		.amdhsa_float_denorm_mode_16_64 3
		.amdhsa_dx10_clamp 1
		.amdhsa_ieee_mode 1
		.amdhsa_fp16_overflow 0
		.amdhsa_tg_split 0
		.amdhsa_exception_fp_ieee_invalid_op 0
		.amdhsa_exception_fp_denorm_src 0
		.amdhsa_exception_fp_ieee_div_zero 0
		.amdhsa_exception_fp_ieee_overflow 0
		.amdhsa_exception_fp_ieee_underflow 0
		.amdhsa_exception_fp_ieee_inexact 0
		.amdhsa_exception_int_div_zero 0
	.end_amdhsa_kernel
	.section	.text._ZN4vllm3moe22topkGatingSoftplusSqrtILi12ELi384ELi4ELi8ELi32ELb1EjfEEvPKT6_PKbPfiPT5_PiiiibdPKfPKS8_SE_,"axG",@progbits,_ZN4vllm3moe22topkGatingSoftplusSqrtILi12ELi384ELi4ELi8ELi32ELb1EjfEEvPKT6_PKbPfiPT5_PiiiibdPKfPKS8_SE_,comdat
.Lfunc_end110:
	.size	_ZN4vllm3moe22topkGatingSoftplusSqrtILi12ELi384ELi4ELi8ELi32ELb1EjfEEvPKT6_PKbPfiPT5_PiiiibdPKfPKS8_SE_, .Lfunc_end110-_ZN4vllm3moe22topkGatingSoftplusSqrtILi12ELi384ELi4ELi8ELi32ELb1EjfEEvPKT6_PKbPfiPT5_PiiiibdPKfPKS8_SE_
                                        ; -- End function
	.section	.AMDGPU.csdata,"",@progbits
; Kernel info:
; codeLenInByte = 5060
; NumSgprs: 54
; NumVgprs: 32
; NumAgprs: 0
; TotalNumVgprs: 32
; ScratchSize: 64
; MemoryBound: 0
; FloatMode: 240
; IeeeMode: 1
; LDSByteSize: 0 bytes/workgroup (compile time only)
; SGPRBlocks: 6
; VGPRBlocks: 3
; NumSGPRsForWavesPerEU: 54
; NumVGPRsForWavesPerEU: 32
; AccumOffset: 32
; Occupancy: 8
; WaveLimiterHint : 1
; COMPUTE_PGM_RSRC2:SCRATCH_EN: 1
; COMPUTE_PGM_RSRC2:USER_SGPR: 2
; COMPUTE_PGM_RSRC2:TRAP_HANDLER: 0
; COMPUTE_PGM_RSRC2:TGID_X_EN: 1
; COMPUTE_PGM_RSRC2:TGID_Y_EN: 0
; COMPUTE_PGM_RSRC2:TGID_Z_EN: 0
; COMPUTE_PGM_RSRC2:TIDIG_COMP_CNT: 1
; COMPUTE_PGM_RSRC3_GFX90A:ACCUM_OFFSET: 7
; COMPUTE_PGM_RSRC3_GFX90A:TG_SPLIT: 0
	.section	.text._ZN4vllm3moe22topkGatingSoftplusSqrtILi12ELi384ELi4ELi8ELi32ELb0EjfEEvPKT6_PKbPfiPT5_PiiiibdPKfPKS8_SE_,"axG",@progbits,_ZN4vllm3moe22topkGatingSoftplusSqrtILi12ELi384ELi4ELi8ELi32ELb0EjfEEvPKT6_PKbPfiPT5_PiiiibdPKfPKS8_SE_,comdat
	.protected	_ZN4vllm3moe22topkGatingSoftplusSqrtILi12ELi384ELi4ELi8ELi32ELb0EjfEEvPKT6_PKbPfiPT5_PiiiibdPKfPKS8_SE_ ; -- Begin function _ZN4vllm3moe22topkGatingSoftplusSqrtILi12ELi384ELi4ELi8ELi32ELb0EjfEEvPKT6_PKbPfiPT5_PiiiibdPKfPKS8_SE_
	.globl	_ZN4vllm3moe22topkGatingSoftplusSqrtILi12ELi384ELi4ELi8ELi32ELb0EjfEEvPKT6_PKbPfiPT5_PiiiibdPKfPKS8_SE_
	.p2align	8
	.type	_ZN4vllm3moe22topkGatingSoftplusSqrtILi12ELi384ELi4ELi8ELi32ELb0EjfEEvPKT6_PKbPfiPT5_PiiiibdPKfPKS8_SE_,@function
_ZN4vllm3moe22topkGatingSoftplusSqrtILi12ELi384ELi4ELi8ELi32ELb0EjfEEvPKT6_PKbPfiPT5_PiiiibdPKfPKS8_SE_: ; @_ZN4vllm3moe22topkGatingSoftplusSqrtILi12ELi384ELi4ELi8ELi32ELb0EjfEEvPKT6_PKbPfiPT5_PiiiibdPKfPKS8_SE_
; %bb.0:
	s_load_dword s33, s[0:1], 0x18
	v_and_b32_e32 v1, 0x3ff, v0
	s_lshl_b32 s2, s2, 2
	v_lshrrev_b32_e32 v2, 5, v1
	v_bfe_u32 v0, v0, 10, 10
	v_add3_u32 v12, s2, v0, v2
	s_waitcnt lgkmcnt(0)
	v_cmp_gt_i32_e32 vcc, s33, v12
	s_and_saveexec_b64 s[2:3], vcc
	s_cbranch_execz .LBB111_73
; %bb.1:
	s_load_dwordx4 s[4:7], s[0:1], 0x0
	s_load_dwordx2 s[34:35], s[0:1], 0x10
	s_waitcnt lgkmcnt(0)
	s_cmp_eq_u64 s[6:7], 0
	s_cbranch_scc1 .LBB111_3
; %bb.2:
	v_ashrrev_i32_e32 v13, 31, v12
	v_lshl_add_u64 v[2:3], s[6:7], 0, v[12:13]
	global_load_ubyte v0, v[2:3], off
	s_waitcnt vmcnt(0)
	v_and_b32_e32 v0, 1, v0
	v_cmp_eq_u32_e32 vcc, 1, v0
	s_xor_b64 s[2:3], vcc, -1
	s_orn2_b64 s[44:45], s[2:3], exec
	s_branch .LBB111_4
.LBB111_3:
	s_mov_b64 s[44:45], -1
.LBB111_4:
	s_movk_i32 s2, 0x180
	v_mul_lo_u32 v4, v12, s2
	v_mov_b32_e32 v2, s4
	v_mov_b32_e32 v3, s5
	v_ashrrev_i32_e32 v5, 31, v4
	v_and_b32_e32 v13, 31, v1
	v_lshl_add_u64 v[2:3], v[4:5], 2, v[2:3]
	v_mov_b32_e32 v1, 0
	v_lshlrev_b32_e32 v0, 3, v13
	v_lshl_add_u64 v[14:15], v[2:3], 0, v[0:1]
	global_load_dwordx2 v[0:1], v[14:15], off
	global_load_dwordx2 v[2:3], v[14:15], off offset:256
	global_load_dwordx2 v[4:5], v[14:15], off offset:512
	;; [unrolled: 1-line block ×5, first 2 shown]
	s_mov_b32 s12, 0x800000
	v_mov_b32_e32 v18, 0x4f800000
	s_mov_b32 s9, 0x3f317217
	s_mov_b32 s10, 0x7f800000
	v_mov_b32_e32 v17, 0x41b17218
	s_mov_b32 s8, 0x41a00000
	s_mov_b32 s11, 0xf800000
	s_load_dwordx4 s[28:31], s[0:1], 0x40
	v_mov_b32_e32 v15, 0x260
	s_waitcnt lgkmcnt(0)
	s_cmp_lg_u64 s[30:31], 0
	s_cselect_b64 s[6:7], -1, 0
	s_and_b64 s[2:3], exec, s[6:7]
	s_waitcnt vmcnt(5)
	v_mul_f32_e32 v14, 0x3fb8aa3b, v0
	v_exp_f32_e32 v14, v14
	s_nop 0
	v_add_f32_e32 v14, 1.0, v14
	v_cmp_gt_f32_e32 vcc, s12, v14
	s_nop 1
	v_cndmask_b32_e32 v16, 1.0, v18, vcc
	v_mul_f32_e32 v14, v14, v16
	v_log_f32_e32 v19, v14
	v_cndmask_b32_e32 v20, 0, v17, vcc
	v_lshlrev_b32_e32 v16, 1, v13
	v_lshlrev_b32_e32 v14, 2, v16
	v_mul_f32_e32 v21, 0x3f317217, v19
	v_fma_f32 v21, v19, s9, -v21
	v_fmac_f32_e32 v21, 0x3377d1cf, v19
	v_fmac_f32_e32 v21, 0x3f317217, v19
	v_cmp_lt_f32_e64 vcc, |v19|, s10
	s_nop 1
	v_cndmask_b32_e32 v19, v19, v21, vcc
	v_sub_f32_e32 v19, v19, v20
	v_cmp_lt_f32_e32 vcc, s8, v0
	s_nop 1
	v_cndmask_b32_e32 v0, v19, v0, vcc
	v_mul_f32_e32 v19, 0x4f800000, v0
	v_cmp_gt_f32_e32 vcc, s11, v0
	s_nop 1
	v_cndmask_b32_e32 v0, v0, v19, vcc
	v_sqrt_f32_e32 v19, v0
	s_nop 0
	v_add_u32_e32 v20, -1, v19
	v_add_u32_e32 v21, 1, v19
	v_fma_f32 v22, -v20, v19, v0
	v_fma_f32 v23, -v21, v19, v0
	v_cmp_ge_f32_e64 s[4:5], 0, v22
	s_nop 1
	v_cndmask_b32_e64 v19, v19, v20, s[4:5]
	v_cmp_lt_f32_e64 s[4:5], 0, v23
	s_nop 1
	v_cndmask_b32_e64 v19, v19, v21, s[4:5]
	v_mul_f32_e32 v20, 0x37800000, v19
	v_cndmask_b32_e32 v19, v19, v20, vcc
	v_cmp_class_f32_e32 vcc, v0, v15
	s_nop 1
	v_cndmask_b32_e32 v0, v19, v0, vcc
	s_mov_b64 vcc, s[2:3]
	s_cbranch_vccz .LBB111_6
; %bb.5:
	global_load_dword v19, v14, s[30:31]
	s_waitcnt vmcnt(0)
	v_add_f32_e32 v0, v0, v19
.LBB111_6:
	v_mul_f32_e32 v19, 0x3fb8aa3b, v1
	v_exp_f32_e32 v19, v19
	s_nop 0
	v_add_f32_e32 v19, 1.0, v19
	v_cmp_gt_f32_e32 vcc, s12, v19
	s_nop 1
	v_cndmask_b32_e32 v18, 1.0, v18, vcc
	v_mul_f32_e32 v18, v19, v18
	v_log_f32_e32 v18, v18
	v_cndmask_b32_e32 v17, 0, v17, vcc
	v_mul_f32_e32 v19, 0x3f317217, v18
	v_fma_f32 v19, v18, s9, -v19
	v_fmac_f32_e32 v19, 0x3377d1cf, v18
	v_fmac_f32_e32 v19, 0x3f317217, v18
	v_cmp_lt_f32_e64 vcc, |v18|, s10
	s_nop 1
	v_cndmask_b32_e32 v18, v18, v19, vcc
	v_sub_f32_e32 v17, v18, v17
	v_cmp_lt_f32_e32 vcc, s8, v1
	s_nop 1
	v_cndmask_b32_e32 v1, v17, v1, vcc
	v_mul_f32_e32 v17, 0x4f800000, v1
	v_cmp_gt_f32_e32 vcc, s11, v1
	s_nop 1
	v_cndmask_b32_e32 v1, v1, v17, vcc
	v_sqrt_f32_e32 v17, v1
	v_cmp_class_f32_e64 s[4:5], v1, v15
	v_add_u32_e32 v18, -1, v17
	v_add_u32_e32 v19, 1, v17
	v_fma_f32 v20, -v18, v17, v1
	v_fma_f32 v21, -v19, v17, v1
	v_cmp_ge_f32_e64 s[2:3], 0, v20
	s_nop 1
	v_cndmask_b32_e64 v17, v17, v18, s[2:3]
	v_cmp_lt_f32_e64 s[2:3], 0, v21
	s_nop 1
	v_cndmask_b32_e64 v17, v17, v19, s[2:3]
	v_mul_f32_e32 v18, 0x37800000, v17
	v_cndmask_b32_e32 v17, v17, v18, vcc
	v_cndmask_b32_e64 v18, 0, 1, s[6:7]
	v_cmp_ne_u32_e64 s[2:3], 1, v18
	s_andn2_b64 vcc, exec, s[6:7]
	v_cndmask_b32_e64 v1, v17, v1, s[4:5]
	s_cbranch_vccnz .LBB111_8
; %bb.7:
	global_load_dword v15, v14, s[30:31] offset:4
	s_waitcnt vmcnt(0)
	v_add_f32_e32 v1, v1, v15
.LBB111_8:
	s_waitcnt vmcnt(4)
	v_mul_f32_e32 v15, 0x3fb8aa3b, v2
	v_exp_f32_e32 v15, v15
	s_mov_b32 s10, 0x800000
	v_mov_b32_e32 v17, 0x4f800000
	s_mov_b32 s7, 0x3f317217
	v_add_f32_e32 v15, 1.0, v15
	v_cmp_gt_f32_e32 vcc, s10, v15
	s_mov_b32 s8, 0x7f800000
	s_mov_b32 s6, 0x41a00000
	v_cndmask_b32_e32 v18, 1.0, v17, vcc
	v_mul_f32_e32 v15, v15, v18
	v_log_f32_e32 v15, v15
	s_mov_b32 s9, 0xf800000
	v_mul_f32_e32 v18, 0x3f317217, v15
	v_fma_f32 v18, v15, s7, -v18
	v_fmac_f32_e32 v18, 0x3377d1cf, v15
	v_fmac_f32_e32 v18, 0x3f317217, v15
	v_cmp_lt_f32_e64 s[4:5], |v15|, s8
	s_nop 1
	v_cndmask_b32_e64 v15, v15, v18, s[4:5]
	v_mov_b32_e32 v18, 0x41b17218
	v_cndmask_b32_e32 v19, 0, v18, vcc
	v_sub_f32_e32 v15, v15, v19
	v_cmp_lt_f32_e32 vcc, s6, v2
	s_nop 1
	v_cndmask_b32_e32 v2, v15, v2, vcc
	v_mul_f32_e32 v15, 0x4f800000, v2
	v_cmp_gt_f32_e32 vcc, s9, v2
	s_nop 1
	v_cndmask_b32_e32 v2, v2, v15, vcc
	v_sqrt_f32_e32 v15, v2
	s_nop 0
	v_add_u32_e32 v19, -1, v15
	v_fma_f32 v20, -v19, v15, v2
	v_cmp_ge_f32_e64 s[4:5], 0, v20
	v_add_u32_e32 v20, 1, v15
	s_nop 0
	v_cndmask_b32_e64 v19, v15, v19, s[4:5]
	v_fma_f32 v15, -v20, v15, v2
	v_cmp_lt_f32_e64 s[4:5], 0, v15
	s_nop 1
	v_cndmask_b32_e64 v15, v19, v20, s[4:5]
	v_mul_f32_e32 v19, 0x37800000, v15
	v_cndmask_b32_e32 v19, v15, v19, vcc
	v_mov_b32_e32 v15, 0x260
	v_cmp_class_f32_e64 s[4:5], v2, v15
	s_and_b64 vcc, exec, s[2:3]
	s_nop 0
	v_cndmask_b32_e64 v2, v19, v2, s[4:5]
	s_cbranch_vccnz .LBB111_10
; %bb.9:
	global_load_dword v19, v14, s[30:31] offset:256
	s_waitcnt vmcnt(0)
	v_add_f32_e32 v2, v2, v19
.LBB111_10:
	v_mul_f32_e32 v19, 0x3fb8aa3b, v3
	v_exp_f32_e32 v19, v19
	s_nop 0
	v_add_f32_e32 v19, 1.0, v19
	v_cmp_gt_f32_e32 vcc, s10, v19
	s_nop 1
	v_cndmask_b32_e32 v17, 1.0, v17, vcc
	v_mul_f32_e32 v17, v19, v17
	v_log_f32_e32 v17, v17
	v_cndmask_b32_e32 v18, 0, v18, vcc
	v_mul_f32_e32 v19, 0x3f317217, v17
	v_fma_f32 v19, v17, s7, -v19
	v_fmac_f32_e32 v19, 0x3377d1cf, v17
	v_fmac_f32_e32 v19, 0x3f317217, v17
	v_cmp_lt_f32_e64 vcc, |v17|, s8
	s_nop 1
	v_cndmask_b32_e32 v17, v17, v19, vcc
	v_sub_f32_e32 v17, v17, v18
	v_cmp_lt_f32_e32 vcc, s6, v3
	s_nop 1
	v_cndmask_b32_e32 v3, v17, v3, vcc
	v_mul_f32_e32 v17, 0x4f800000, v3
	v_cmp_gt_f32_e32 vcc, s9, v3
	s_nop 1
	v_cndmask_b32_e32 v3, v3, v17, vcc
	v_sqrt_f32_e32 v17, v3
	s_nop 0
	v_add_u32_e32 v18, -1, v17
	v_add_u32_e32 v19, 1, v17
	v_fma_f32 v20, -v18, v17, v3
	v_fma_f32 v21, -v19, v17, v3
	v_cmp_ge_f32_e64 s[4:5], 0, v20
	s_nop 1
	v_cndmask_b32_e64 v17, v17, v18, s[4:5]
	v_cmp_lt_f32_e64 s[4:5], 0, v21
	s_nop 1
	v_cndmask_b32_e64 v17, v17, v19, s[4:5]
	v_mul_f32_e32 v18, 0x37800000, v17
	v_cndmask_b32_e32 v17, v17, v18, vcc
	v_cmp_class_f32_e64 s[4:5], v3, v15
	s_and_b64 vcc, exec, s[2:3]
	s_nop 0
	v_cndmask_b32_e64 v3, v17, v3, s[4:5]
	s_cbranch_vccnz .LBB111_12
; %bb.11:
	global_load_dword v15, v14, s[30:31] offset:260
	s_waitcnt vmcnt(0)
	v_add_f32_e32 v3, v3, v15
.LBB111_12:
	s_waitcnt vmcnt(3)
	v_mul_f32_e32 v15, 0x3fb8aa3b, v4
	v_exp_f32_e32 v15, v15
	v_mov_b32_e32 v17, 0x4f800000
	v_add_f32_e32 v15, 1.0, v15
	v_cmp_gt_f32_e32 vcc, s10, v15
	s_nop 1
	v_cndmask_b32_e32 v18, 1.0, v17, vcc
	v_mul_f32_e32 v15, v15, v18
	v_log_f32_e32 v15, v15
	s_nop 0
	v_mul_f32_e32 v18, 0x3f317217, v15
	v_fma_f32 v18, v15, s7, -v18
	v_fmac_f32_e32 v18, 0x3377d1cf, v15
	v_fmac_f32_e32 v18, 0x3f317217, v15
	v_cmp_lt_f32_e64 s[4:5], |v15|, s8
	s_nop 1
	v_cndmask_b32_e64 v15, v15, v18, s[4:5]
	v_mov_b32_e32 v18, 0x41b17218
	v_cndmask_b32_e32 v19, 0, v18, vcc
	v_sub_f32_e32 v15, v15, v19
	v_cmp_lt_f32_e32 vcc, s6, v4
	s_nop 1
	v_cndmask_b32_e32 v4, v15, v4, vcc
	v_mul_f32_e32 v15, 0x4f800000, v4
	v_cmp_gt_f32_e32 vcc, s9, v4
	s_nop 1
	v_cndmask_b32_e32 v4, v4, v15, vcc
	v_sqrt_f32_e32 v15, v4
	s_nop 0
	v_add_u32_e32 v19, -1, v15
	v_fma_f32 v20, -v19, v15, v4
	v_cmp_ge_f32_e64 s[4:5], 0, v20
	v_add_u32_e32 v20, 1, v15
	s_nop 0
	v_cndmask_b32_e64 v19, v15, v19, s[4:5]
	v_fma_f32 v15, -v20, v15, v4
	v_cmp_lt_f32_e64 s[4:5], 0, v15
	s_nop 1
	v_cndmask_b32_e64 v15, v19, v20, s[4:5]
	v_mul_f32_e32 v19, 0x37800000, v15
	v_cndmask_b32_e32 v19, v15, v19, vcc
	v_mov_b32_e32 v15, 0x260
	v_cmp_class_f32_e64 s[4:5], v4, v15
	s_and_b64 vcc, exec, s[2:3]
	s_nop 0
	v_cndmask_b32_e64 v4, v19, v4, s[4:5]
	s_cbranch_vccnz .LBB111_14
; %bb.13:
	global_load_dword v19, v14, s[30:31] offset:512
	s_waitcnt vmcnt(0)
	v_add_f32_e32 v4, v4, v19
.LBB111_14:
	v_mul_f32_e32 v19, 0x3fb8aa3b, v5
	v_exp_f32_e32 v19, v19
	s_nop 0
	v_add_f32_e32 v19, 1.0, v19
	v_cmp_gt_f32_e32 vcc, s10, v19
	s_nop 1
	v_cndmask_b32_e32 v17, 1.0, v17, vcc
	v_mul_f32_e32 v17, v19, v17
	v_log_f32_e32 v17, v17
	v_cndmask_b32_e32 v18, 0, v18, vcc
	v_mul_f32_e32 v19, 0x3f317217, v17
	v_fma_f32 v19, v17, s7, -v19
	v_fmac_f32_e32 v19, 0x3377d1cf, v17
	v_fmac_f32_e32 v19, 0x3f317217, v17
	v_cmp_lt_f32_e64 vcc, |v17|, s8
	s_nop 1
	v_cndmask_b32_e32 v17, v17, v19, vcc
	v_sub_f32_e32 v17, v17, v18
	v_cmp_lt_f32_e32 vcc, s6, v5
	s_nop 1
	v_cndmask_b32_e32 v5, v17, v5, vcc
	v_mul_f32_e32 v17, 0x4f800000, v5
	v_cmp_gt_f32_e32 vcc, s9, v5
	s_nop 1
	v_cndmask_b32_e32 v5, v5, v17, vcc
	v_sqrt_f32_e32 v17, v5
	s_nop 0
	v_add_u32_e32 v18, -1, v17
	v_add_u32_e32 v19, 1, v17
	v_fma_f32 v20, -v18, v17, v5
	v_fma_f32 v21, -v19, v17, v5
	v_cmp_ge_f32_e64 s[4:5], 0, v20
	s_nop 1
	v_cndmask_b32_e64 v17, v17, v18, s[4:5]
	v_cmp_lt_f32_e64 s[4:5], 0, v21
	s_nop 1
	v_cndmask_b32_e64 v17, v17, v19, s[4:5]
	v_mul_f32_e32 v18, 0x37800000, v17
	v_cndmask_b32_e32 v17, v17, v18, vcc
	v_cmp_class_f32_e64 s[4:5], v5, v15
	s_and_b64 vcc, exec, s[2:3]
	s_nop 0
	v_cndmask_b32_e64 v5, v17, v5, s[4:5]
	s_cbranch_vccnz .LBB111_16
; %bb.15:
	global_load_dword v15, v14, s[30:31] offset:516
	s_waitcnt vmcnt(0)
	v_add_f32_e32 v5, v5, v15
.LBB111_16:
	s_waitcnt vmcnt(2)
	v_mul_f32_e32 v15, 0x3fb8aa3b, v6
	v_exp_f32_e32 v15, v15
	v_mov_b32_e32 v17, 0x4f800000
	v_add_f32_e32 v15, 1.0, v15
	v_cmp_gt_f32_e32 vcc, s10, v15
	s_nop 1
	v_cndmask_b32_e32 v18, 1.0, v17, vcc
	v_mul_f32_e32 v15, v15, v18
	v_log_f32_e32 v15, v15
	s_nop 0
	v_mul_f32_e32 v18, 0x3f317217, v15
	v_fma_f32 v18, v15, s7, -v18
	v_fmac_f32_e32 v18, 0x3377d1cf, v15
	v_fmac_f32_e32 v18, 0x3f317217, v15
	v_cmp_lt_f32_e64 s[4:5], |v15|, s8
	s_nop 1
	v_cndmask_b32_e64 v15, v15, v18, s[4:5]
	v_mov_b32_e32 v18, 0x41b17218
	v_cndmask_b32_e32 v19, 0, v18, vcc
	v_sub_f32_e32 v15, v15, v19
	v_cmp_lt_f32_e32 vcc, s6, v6
	s_nop 1
	v_cndmask_b32_e32 v6, v15, v6, vcc
	v_mul_f32_e32 v15, 0x4f800000, v6
	v_cmp_gt_f32_e32 vcc, s9, v6
	s_nop 1
	v_cndmask_b32_e32 v6, v6, v15, vcc
	v_sqrt_f32_e32 v15, v6
	s_nop 0
	v_add_u32_e32 v19, -1, v15
	v_fma_f32 v20, -v19, v15, v6
	v_cmp_ge_f32_e64 s[4:5], 0, v20
	v_add_u32_e32 v20, 1, v15
	s_nop 0
	v_cndmask_b32_e64 v19, v15, v19, s[4:5]
	v_fma_f32 v15, -v20, v15, v6
	v_cmp_lt_f32_e64 s[4:5], 0, v15
	s_nop 1
	v_cndmask_b32_e64 v15, v19, v20, s[4:5]
	v_mul_f32_e32 v19, 0x37800000, v15
	v_cndmask_b32_e32 v19, v15, v19, vcc
	v_mov_b32_e32 v15, 0x260
	v_cmp_class_f32_e64 s[4:5], v6, v15
	s_and_b64 vcc, exec, s[2:3]
	s_nop 0
	v_cndmask_b32_e64 v6, v19, v6, s[4:5]
	s_cbranch_vccnz .LBB111_18
; %bb.17:
	global_load_dword v19, v14, s[30:31] offset:768
	s_waitcnt vmcnt(0)
	v_add_f32_e32 v6, v6, v19
.LBB111_18:
	v_mul_f32_e32 v19, 0x3fb8aa3b, v7
	v_exp_f32_e32 v19, v19
	s_nop 0
	v_add_f32_e32 v19, 1.0, v19
	v_cmp_gt_f32_e32 vcc, s10, v19
	s_nop 1
	v_cndmask_b32_e32 v17, 1.0, v17, vcc
	v_mul_f32_e32 v17, v19, v17
	v_log_f32_e32 v17, v17
	v_cndmask_b32_e32 v18, 0, v18, vcc
	v_mul_f32_e32 v19, 0x3f317217, v17
	v_fma_f32 v19, v17, s7, -v19
	v_fmac_f32_e32 v19, 0x3377d1cf, v17
	v_fmac_f32_e32 v19, 0x3f317217, v17
	v_cmp_lt_f32_e64 vcc, |v17|, s8
	s_nop 1
	v_cndmask_b32_e32 v17, v17, v19, vcc
	v_sub_f32_e32 v17, v17, v18
	v_cmp_lt_f32_e32 vcc, s6, v7
	s_nop 1
	v_cndmask_b32_e32 v7, v17, v7, vcc
	v_mul_f32_e32 v17, 0x4f800000, v7
	v_cmp_gt_f32_e32 vcc, s9, v7
	s_nop 1
	v_cndmask_b32_e32 v7, v7, v17, vcc
	v_sqrt_f32_e32 v17, v7
	s_nop 0
	v_add_u32_e32 v18, -1, v17
	v_add_u32_e32 v19, 1, v17
	v_fma_f32 v20, -v18, v17, v7
	v_fma_f32 v21, -v19, v17, v7
	v_cmp_ge_f32_e64 s[4:5], 0, v20
	s_nop 1
	v_cndmask_b32_e64 v17, v17, v18, s[4:5]
	v_cmp_lt_f32_e64 s[4:5], 0, v21
	s_nop 1
	v_cndmask_b32_e64 v17, v17, v19, s[4:5]
	v_mul_f32_e32 v18, 0x37800000, v17
	v_cndmask_b32_e32 v17, v17, v18, vcc
	v_cmp_class_f32_e64 s[4:5], v7, v15
	s_and_b64 vcc, exec, s[2:3]
	s_nop 0
	v_cndmask_b32_e64 v7, v17, v7, s[4:5]
	s_cbranch_vccnz .LBB111_20
; %bb.19:
	global_load_dword v15, v14, s[30:31] offset:772
	s_waitcnt vmcnt(0)
	v_add_f32_e32 v7, v7, v15
.LBB111_20:
	s_waitcnt vmcnt(1)
	v_mul_f32_e32 v15, 0x3fb8aa3b, v8
	v_exp_f32_e32 v15, v15
	v_mov_b32_e32 v17, 0x4f800000
	v_add_f32_e32 v15, 1.0, v15
	v_cmp_gt_f32_e32 vcc, s10, v15
	s_nop 1
	v_cndmask_b32_e32 v18, 1.0, v17, vcc
	v_mul_f32_e32 v15, v15, v18
	v_log_f32_e32 v15, v15
	s_nop 0
	v_mul_f32_e32 v18, 0x3f317217, v15
	v_fma_f32 v18, v15, s7, -v18
	v_fmac_f32_e32 v18, 0x3377d1cf, v15
	v_fmac_f32_e32 v18, 0x3f317217, v15
	v_cmp_lt_f32_e64 s[4:5], |v15|, s8
	s_nop 1
	v_cndmask_b32_e64 v15, v15, v18, s[4:5]
	v_mov_b32_e32 v18, 0x41b17218
	v_cndmask_b32_e32 v19, 0, v18, vcc
	v_sub_f32_e32 v15, v15, v19
	v_cmp_lt_f32_e32 vcc, s6, v8
	s_nop 1
	v_cndmask_b32_e32 v8, v15, v8, vcc
	v_mul_f32_e32 v15, 0x4f800000, v8
	v_cmp_gt_f32_e32 vcc, s9, v8
	s_nop 1
	v_cndmask_b32_e32 v8, v8, v15, vcc
	v_sqrt_f32_e32 v15, v8
	s_nop 0
	v_add_u32_e32 v19, -1, v15
	v_fma_f32 v20, -v19, v15, v8
	v_cmp_ge_f32_e64 s[4:5], 0, v20
	v_add_u32_e32 v20, 1, v15
	s_nop 0
	v_cndmask_b32_e64 v19, v15, v19, s[4:5]
	v_fma_f32 v15, -v20, v15, v8
	v_cmp_lt_f32_e64 s[4:5], 0, v15
	s_nop 1
	v_cndmask_b32_e64 v15, v19, v20, s[4:5]
	v_mul_f32_e32 v19, 0x37800000, v15
	v_cndmask_b32_e32 v19, v15, v19, vcc
	v_mov_b32_e32 v15, 0x260
	v_cmp_class_f32_e64 s[4:5], v8, v15
	s_and_b64 vcc, exec, s[2:3]
	s_nop 0
	v_cndmask_b32_e64 v8, v19, v8, s[4:5]
	s_cbranch_vccnz .LBB111_22
; %bb.21:
	global_load_dword v19, v14, s[30:31] offset:1024
	s_waitcnt vmcnt(0)
	v_add_f32_e32 v8, v8, v19
.LBB111_22:
	v_mul_f32_e32 v19, 0x3fb8aa3b, v9
	v_exp_f32_e32 v19, v19
	s_nop 0
	v_add_f32_e32 v19, 1.0, v19
	v_cmp_gt_f32_e32 vcc, s10, v19
	s_nop 1
	v_cndmask_b32_e32 v17, 1.0, v17, vcc
	v_mul_f32_e32 v17, v19, v17
	v_log_f32_e32 v17, v17
	v_cndmask_b32_e32 v18, 0, v18, vcc
	v_mul_f32_e32 v19, 0x3f317217, v17
	v_fma_f32 v19, v17, s7, -v19
	v_fmac_f32_e32 v19, 0x3377d1cf, v17
	v_fmac_f32_e32 v19, 0x3f317217, v17
	v_cmp_lt_f32_e64 vcc, |v17|, s8
	s_nop 1
	v_cndmask_b32_e32 v17, v17, v19, vcc
	v_sub_f32_e32 v17, v17, v18
	v_cmp_lt_f32_e32 vcc, s6, v9
	s_nop 1
	v_cndmask_b32_e32 v9, v17, v9, vcc
	v_mul_f32_e32 v17, 0x4f800000, v9
	v_cmp_gt_f32_e32 vcc, s9, v9
	s_nop 1
	v_cndmask_b32_e32 v9, v9, v17, vcc
	v_sqrt_f32_e32 v17, v9
	s_nop 0
	v_add_u32_e32 v18, -1, v17
	v_add_u32_e32 v19, 1, v17
	v_fma_f32 v20, -v18, v17, v9
	v_fma_f32 v21, -v19, v17, v9
	v_cmp_ge_f32_e64 s[4:5], 0, v20
	s_nop 1
	v_cndmask_b32_e64 v17, v17, v18, s[4:5]
	v_cmp_lt_f32_e64 s[4:5], 0, v21
	s_nop 1
	v_cndmask_b32_e64 v17, v17, v19, s[4:5]
	v_mul_f32_e32 v18, 0x37800000, v17
	v_cndmask_b32_e32 v17, v17, v18, vcc
	v_cmp_class_f32_e64 s[4:5], v9, v15
	s_and_b64 vcc, exec, s[2:3]
	s_nop 0
	v_cndmask_b32_e64 v9, v17, v9, s[4:5]
	s_cbranch_vccnz .LBB111_24
; %bb.23:
	global_load_dword v15, v14, s[30:31] offset:1028
	s_waitcnt vmcnt(0)
	v_add_f32_e32 v9, v9, v15
.LBB111_24:
	s_waitcnt vmcnt(0)
	v_mul_f32_e32 v15, 0x3fb8aa3b, v10
	v_exp_f32_e32 v15, v15
	v_mov_b32_e32 v17, 0x4f800000
	v_add_f32_e32 v15, 1.0, v15
	v_cmp_gt_f32_e32 vcc, s10, v15
	s_nop 1
	v_cndmask_b32_e32 v18, 1.0, v17, vcc
	v_mul_f32_e32 v15, v15, v18
	v_log_f32_e32 v15, v15
	s_nop 0
	v_mul_f32_e32 v18, 0x3f317217, v15
	v_fma_f32 v18, v15, s7, -v18
	v_fmac_f32_e32 v18, 0x3377d1cf, v15
	v_fmac_f32_e32 v18, 0x3f317217, v15
	v_cmp_lt_f32_e64 s[4:5], |v15|, s8
	s_nop 1
	v_cndmask_b32_e64 v15, v15, v18, s[4:5]
	v_mov_b32_e32 v18, 0x41b17218
	v_cndmask_b32_e32 v19, 0, v18, vcc
	v_sub_f32_e32 v15, v15, v19
	v_cmp_lt_f32_e32 vcc, s6, v10
	s_nop 1
	v_cndmask_b32_e32 v10, v15, v10, vcc
	v_mul_f32_e32 v15, 0x4f800000, v10
	v_cmp_gt_f32_e32 vcc, s9, v10
	s_nop 1
	v_cndmask_b32_e32 v10, v10, v15, vcc
	v_sqrt_f32_e32 v15, v10
	s_nop 0
	v_add_u32_e32 v19, -1, v15
	v_fma_f32 v20, -v19, v15, v10
	v_cmp_ge_f32_e64 s[4:5], 0, v20
	v_add_u32_e32 v20, 1, v15
	s_nop 0
	v_cndmask_b32_e64 v19, v15, v19, s[4:5]
	v_fma_f32 v15, -v20, v15, v10
	v_cmp_lt_f32_e64 s[4:5], 0, v15
	s_nop 1
	v_cndmask_b32_e64 v15, v19, v20, s[4:5]
	v_mul_f32_e32 v19, 0x37800000, v15
	v_cndmask_b32_e32 v19, v15, v19, vcc
	v_mov_b32_e32 v15, 0x260
	v_cmp_class_f32_e64 s[4:5], v10, v15
	s_and_b64 vcc, exec, s[2:3]
	s_nop 0
	v_cndmask_b32_e64 v10, v19, v10, s[4:5]
	s_cbranch_vccnz .LBB111_26
; %bb.25:
	global_load_dword v19, v14, s[30:31] offset:1280
	s_waitcnt vmcnt(0)
	v_add_f32_e32 v10, v10, v19
.LBB111_26:
	v_mul_f32_e32 v19, 0x3fb8aa3b, v11
	v_exp_f32_e32 v19, v19
	s_nop 0
	v_add_f32_e32 v19, 1.0, v19
	v_cmp_gt_f32_e32 vcc, s10, v19
	s_nop 1
	v_cndmask_b32_e32 v17, 1.0, v17, vcc
	v_mul_f32_e32 v17, v19, v17
	v_log_f32_e32 v17, v17
	v_cndmask_b32_e32 v18, 0, v18, vcc
	v_mul_f32_e32 v19, 0x3f317217, v17
	v_fma_f32 v19, v17, s7, -v19
	v_fmac_f32_e32 v19, 0x3377d1cf, v17
	v_fmac_f32_e32 v19, 0x3f317217, v17
	v_cmp_lt_f32_e64 vcc, |v17|, s8
	s_nop 1
	v_cndmask_b32_e32 v17, v17, v19, vcc
	v_sub_f32_e32 v17, v17, v18
	v_cmp_lt_f32_e32 vcc, s6, v11
	s_nop 1
	v_cndmask_b32_e32 v11, v17, v11, vcc
	v_mul_f32_e32 v17, 0x4f800000, v11
	v_cmp_gt_f32_e32 vcc, s9, v11
	s_nop 1
	v_cndmask_b32_e32 v11, v11, v17, vcc
	v_sqrt_f32_e32 v17, v11
	s_nop 0
	v_add_u32_e32 v18, -1, v17
	v_add_u32_e32 v19, 1, v17
	v_fma_f32 v20, -v18, v17, v11
	v_fma_f32 v21, -v19, v17, v11
	v_cmp_ge_f32_e64 s[4:5], 0, v20
	s_nop 1
	v_cndmask_b32_e64 v17, v17, v18, s[4:5]
	v_cmp_lt_f32_e64 s[4:5], 0, v21
	s_nop 1
	v_cndmask_b32_e64 v17, v17, v19, s[4:5]
	v_mul_f32_e32 v18, 0x37800000, v17
	v_cndmask_b32_e32 v17, v17, v18, vcc
	v_cmp_class_f32_e64 s[4:5], v11, v15
	s_and_b64 vcc, exec, s[2:3]
	s_nop 0
	v_cndmask_b32_e64 v11, v17, v11, s[4:5]
	s_cbranch_vccnz .LBB111_28
; %bb.27:
	global_load_dword v14, v14, s[30:31] offset:1284
	s_waitcnt vmcnt(0)
	v_add_f32_e32 v11, v11, v14
.LBB111_28:
	s_load_dwordx4 s[36:39], s[0:1], 0x30
	s_mov_b32 s50, 0
	v_cmp_eq_u32_e64 s[6:7], 0, v13
	s_waitcnt lgkmcnt(0)
	s_bitcmp1_b32 s39, 0
	s_cselect_b64 s[4:5], -1, 0
	s_cmp_gt_i32 s36, 0
	s_cselect_b64 s[46:47], -1, 0
	s_and_b64 vcc, exec, s[46:47]
	s_cbranch_vccz .LBB111_59
; %bb.29:
	v_mbcnt_lo_u32_b32 v14, -1, 0
	v_mbcnt_hi_u32_b32 v14, -1, v14
	v_and_b32_e32 v15, 0x60, v14
	v_add_u32_e32 v15, 32, v15
	v_xor_b32_e32 v17, 16, v14
	v_cmp_lt_i32_e32 vcc, v17, v15
	s_load_dwordx4 s[40:43], s[0:1], 0x20
	v_mul_lo_u32 v18, v12, s36
	v_cndmask_b32_e32 v17, v14, v17, vcc
	v_lshlrev_b32_e32 v19, 2, v17
	v_xor_b32_e32 v17, 8, v14
	v_cmp_lt_i32_e32 vcc, v17, v15
	v_mov_b32_e32 v24, 0x41
	v_mov_b32_e32 v25, 0x80
	v_cndmask_b32_e32 v17, v14, v17, vcc
	v_lshlrev_b32_e32 v20, 2, v17
	v_xor_b32_e32 v17, 4, v14
	v_cmp_lt_i32_e32 vcc, v17, v15
	v_mov_b32_e32 v26, 0x81
	v_mov_b32_e32 v27, 0xc0
	;; [unrolled: 6-line block ×4, first 2 shown]
	v_cndmask_b32_e32 v14, v14, v17, vcc
	v_lshlrev_b32_e32 v23, 2, v14
	v_mov_b32_e32 v17, 0
	v_mov_b32_e32 v32, 0x141
	;; [unrolled: 1-line block ×5, first 2 shown]
	s_branch .LBB111_32
.LBB111_30:                             ;   in Loop: Header=BB111_32 Depth=1
	s_or_b64 exec, exec, s[48:49]
.LBB111_31:                             ;   in Loop: Header=BB111_32 Depth=1
	s_cmp_eq_u32 s36, s50
	v_add_u32_e32 v35, s33, v35
	s_cbranch_scc1 .LBB111_60
.LBB111_32:                             ; =>This Inner Loop Header: Depth=1
	v_cmp_gt_f32_e32 vcc, v1, v0
	s_nop 1
	v_cndmask_b32_e32 v15, v0, v1, vcc
	v_cndmask_b32_e64 v14, 0, 1, vcc
	v_cmp_gt_f32_e32 vcc, v2, v15
	s_nop 1
	v_cndmask_b32_e32 v15, v15, v2, vcc
	v_cndmask_b32_e64 v14, v14, 64, vcc
	v_cmp_gt_f32_e32 vcc, v3, v15
	s_nop 1
	v_cndmask_b32_e32 v15, v15, v3, vcc
	v_cndmask_b32_e32 v14, v14, v24, vcc
	v_cmp_gt_f32_e32 vcc, v4, v15
	s_nop 1
	v_cndmask_b32_e32 v15, v15, v4, vcc
	v_cndmask_b32_e32 v14, v14, v25, vcc
	;; [unrolled: 4-line block ×9, first 2 shown]
	ds_bpermute_b32 v15, v19, v36
	v_or_b32_e32 v14, v16, v14
	s_waitcnt lgkmcnt(0)
	ds_bpermute_b32 v37, v19, v14
	s_waitcnt lgkmcnt(0)
	v_cmp_lt_f32_e64 s[8:9], v36, v15
	v_cmp_nlt_f32_e32 vcc, v36, v15
	s_and_saveexec_b64 s[10:11], vcc
; %bb.33:                               ;   in Loop: Header=BB111_32 Depth=1
	v_cmp_eq_f32_e32 vcc, v36, v15
	v_cmp_lt_i32_e64 s[0:1], v37, v14
	s_and_b64 s[0:1], vcc, s[0:1]
	s_andn2_b64 s[8:9], s[8:9], exec
	s_and_b64 s[0:1], s[0:1], exec
	s_or_b64 s[8:9], s[8:9], s[0:1]
; %bb.34:                               ;   in Loop: Header=BB111_32 Depth=1
	s_or_b64 exec, exec, s[10:11]
	s_and_saveexec_b64 s[0:1], s[8:9]
; %bb.35:                               ;   in Loop: Header=BB111_32 Depth=1
	v_mov_b32_e32 v36, v15
	v_mov_b32_e32 v14, v37
; %bb.36:                               ;   in Loop: Header=BB111_32 Depth=1
	s_or_b64 exec, exec, s[0:1]
	ds_bpermute_b32 v15, v20, v36
	ds_bpermute_b32 v37, v20, v14
	s_waitcnt lgkmcnt(1)
	v_cmp_lt_f32_e64 s[8:9], v36, v15
	v_cmp_nlt_f32_e32 vcc, v36, v15
	s_and_saveexec_b64 s[10:11], vcc
	s_cbranch_execz .LBB111_38
; %bb.37:                               ;   in Loop: Header=BB111_32 Depth=1
	v_cmp_eq_f32_e32 vcc, v36, v15
	s_waitcnt lgkmcnt(0)
	v_cmp_lt_i32_e64 s[0:1], v37, v14
	s_and_b64 s[0:1], vcc, s[0:1]
	s_andn2_b64 s[8:9], s[8:9], exec
	s_and_b64 s[0:1], s[0:1], exec
	s_or_b64 s[8:9], s[8:9], s[0:1]
.LBB111_38:                             ;   in Loop: Header=BB111_32 Depth=1
	s_or_b64 exec, exec, s[10:11]
	s_and_saveexec_b64 s[0:1], s[8:9]
	s_cbranch_execz .LBB111_40
; %bb.39:                               ;   in Loop: Header=BB111_32 Depth=1
	v_mov_b32_e32 v36, v15
	s_waitcnt lgkmcnt(0)
	v_mov_b32_e32 v14, v37
.LBB111_40:                             ;   in Loop: Header=BB111_32 Depth=1
	s_or_b64 exec, exec, s[0:1]
	ds_bpermute_b32 v15, v21, v36
	s_waitcnt lgkmcnt(1)
	ds_bpermute_b32 v37, v21, v14
	s_waitcnt lgkmcnt(1)
	v_cmp_lt_f32_e64 s[8:9], v36, v15
	v_cmp_nlt_f32_e32 vcc, v36, v15
	s_and_saveexec_b64 s[10:11], vcc
	s_cbranch_execz .LBB111_42
; %bb.41:                               ;   in Loop: Header=BB111_32 Depth=1
	v_cmp_eq_f32_e32 vcc, v36, v15
	s_waitcnt lgkmcnt(0)
	v_cmp_lt_i32_e64 s[0:1], v37, v14
	s_and_b64 s[0:1], vcc, s[0:1]
	s_andn2_b64 s[8:9], s[8:9], exec
	s_and_b64 s[0:1], s[0:1], exec
	s_or_b64 s[8:9], s[8:9], s[0:1]
.LBB111_42:                             ;   in Loop: Header=BB111_32 Depth=1
	s_or_b64 exec, exec, s[10:11]
	s_and_saveexec_b64 s[0:1], s[8:9]
	s_cbranch_execz .LBB111_44
; %bb.43:                               ;   in Loop: Header=BB111_32 Depth=1
	v_mov_b32_e32 v36, v15
	s_waitcnt lgkmcnt(0)
	v_mov_b32_e32 v14, v37
.LBB111_44:                             ;   in Loop: Header=BB111_32 Depth=1
	s_or_b64 exec, exec, s[0:1]
	ds_bpermute_b32 v15, v22, v36
	s_waitcnt lgkmcnt(1)
	;; [unrolled: 26-line block ×3, first 2 shown]
	ds_bpermute_b32 v37, v23, v14
	s_waitcnt lgkmcnt(1)
	v_cmp_lt_f32_e64 s[8:9], v36, v15
	v_cmp_nlt_f32_e32 vcc, v36, v15
	s_and_saveexec_b64 s[10:11], vcc
	s_cbranch_execnz .LBB111_52
; %bb.49:                               ;   in Loop: Header=BB111_32 Depth=1
	s_or_b64 exec, exec, s[10:11]
	s_and_saveexec_b64 s[0:1], s[8:9]
	s_cbranch_execnz .LBB111_53
.LBB111_50:                             ;   in Loop: Header=BB111_32 Depth=1
	s_or_b64 exec, exec, s[0:1]
	s_and_saveexec_b64 s[8:9], s[6:7]
	s_cbranch_execnz .LBB111_54
.LBB111_51:                             ;   in Loop: Header=BB111_32 Depth=1
	s_or_b64 exec, exec, s[8:9]
	s_add_i32 s50, s50, 1
	s_cmp_ge_i32 s50, s36
	s_cbranch_scc1 .LBB111_31
	s_branch .LBB111_57
.LBB111_52:                             ;   in Loop: Header=BB111_32 Depth=1
	v_cmp_eq_f32_e32 vcc, v36, v15
	s_waitcnt lgkmcnt(0)
	v_cmp_lt_i32_e64 s[0:1], v37, v14
	s_and_b64 s[0:1], vcc, s[0:1]
	s_andn2_b64 s[8:9], s[8:9], exec
	s_and_b64 s[0:1], s[0:1], exec
	s_or_b64 s[8:9], s[8:9], s[0:1]
	s_or_b64 exec, exec, s[10:11]
	s_and_saveexec_b64 s[0:1], s[8:9]
	s_cbranch_execz .LBB111_50
.LBB111_53:                             ;   in Loop: Header=BB111_32 Depth=1
	s_waitcnt lgkmcnt(0)
	v_mov_b32_e32 v14, v37
	v_mov_b32_e32 v36, v15
	s_or_b64 exec, exec, s[0:1]
	s_and_saveexec_b64 s[8:9], s[6:7]
	s_cbranch_execz .LBB111_51
.LBB111_54:                             ;   in Loop: Header=BB111_32 Depth=1
	s_and_b64 vcc, exec, s[2:3]
	s_cbranch_vccnz .LBB111_56
; %bb.55:                               ;   in Loop: Header=BB111_32 Depth=1
	v_ashrrev_i32_e32 v15, 31, v14
	v_lshl_add_u64 v[38:39], v[14:15], 2, s[30:31]
	global_load_dword v15, v[38:39], off
	s_waitcnt vmcnt(0)
	v_sub_f32_e32 v36, v36, v15
.LBB111_56:                             ;   in Loop: Header=BB111_32 Depth=1
	v_add_u32_e32 v38, s50, v18
	v_cmp_le_i32_e32 vcc, s37, v14
	v_cmp_gt_i32_e64 s[0:1], s38, v14
	v_ashrrev_i32_e32 v39, 31, v38
	s_and_b64 s[0:1], vcc, s[0:1]
	v_lshlrev_b64 v[38:39], 2, v[38:39]
	v_lshl_add_u64 v[40:41], s[34:35], 0, v[38:39]
	v_subrev_u32_e32 v15, s37, v14
	s_and_b64 vcc, s[44:45], s[0:1]
	global_store_dword v[40:41], v36, off
	v_cndmask_b32_e32 v15, v33, v15, vcc
	v_lshl_add_u64 v[40:41], s[40:41], 0, v[38:39]
	global_store_dword v[40:41], v15, off
	v_add_f32_e32 v15, v17, v36
	v_lshl_add_u64 v[38:39], s[42:43], 0, v[38:39]
	v_cndmask_b32_e64 v17, v17, v15, s[4:5]
	global_store_dword v[38:39], v35, off
	s_or_b64 exec, exec, s[8:9]
	s_add_i32 s50, s50, 1
	s_cmp_ge_i32 s50, s36
	s_cbranch_scc1 .LBB111_31
.LBB111_57:                             ;   in Loop: Header=BB111_32 Depth=1
	v_lshrrev_b32_e32 v15, 31, v14
	v_add_u32_e32 v36, v14, v15
	v_ashrrev_i32_e32 v15, 1, v36
	v_ashrrev_i32_e32 v36, 31, v36
	v_lshrrev_b32_e32 v36, 27, v36
	v_add_u32_e32 v36, v15, v36
	v_and_b32_e32 v36, 0xffffffe0, v36
	v_sub_u32_e32 v36, v15, v36
	v_cmp_eq_u32_e32 vcc, v13, v36
	s_and_saveexec_b64 s[48:49], vcc
	s_cbranch_execz .LBB111_30
; %bb.58:                               ;   in Loop: Header=BB111_32 Depth=1
	v_ashrrev_i32_e32 v36, 31, v14
	v_lshrrev_b32_e32 v36, 26, v36
	v_add_u32_e32 v36, v14, v36
	v_lshlrev_b32_e32 v15, 1, v15
	v_sub_u32_e32 v14, v14, v15
	v_ashrrev_i32_e32 v15, 6, v36
	v_lshl_add_u32 v14, v15, 1, v14
	v_cmp_ne_u32_e32 vcc, 10, v14
	v_cmp_ne_u32_e64 s[0:1], 9, v14
	v_cmp_ne_u32_e64 s[8:9], 8, v14
	;; [unrolled: 1-line block ×11, first 2 shown]
	v_cndmask_b32_e32 v10, v34, v10, vcc
	v_cndmask_b32_e64 v9, v34, v9, s[0:1]
	v_cndmask_b32_e64 v11, v34, v11, s[26:27]
	;; [unrolled: 1-line block ×11, first 2 shown]
	s_branch .LBB111_30
.LBB111_59:
	v_mov_b32_e32 v17, 0
.LBB111_60:
	v_cmp_eq_u32_e32 vcc, 0, v13
	s_and_b64 exec, exec, vcc
	s_cbranch_execz .LBB111_73
; %bb.61:
	s_andn2_b64 vcc, exec, s[4:5]
	v_cvt_f32_f64_e32 v0, s[28:29]
	s_cbranch_vccnz .LBB111_63
; %bb.62:
	v_cmp_lt_f32_e32 vcc, 0, v17
	s_nop 1
	v_cndmask_b32_e32 v1, 1.0, v17, vcc
	v_div_scale_f32 v2, s[0:1], v1, v1, v0
	v_rcp_f32_e32 v3, v2
	s_nop 0
	v_fma_f32 v4, -v2, v3, 1.0
	v_fmac_f32_e32 v3, v4, v3
	v_div_scale_f32 v4, vcc, v0, v1, v0
	v_mul_f32_e32 v5, v4, v3
	v_fma_f32 v6, -v2, v5, v4
	v_fmac_f32_e32 v5, v6, v3
	v_fma_f32 v2, -v2, v5, v4
	v_div_fmas_f32 v2, v2, v3, v5
	v_div_fixup_f32 v0, v2, v1, v0
.LBB111_63:
	s_andn2_b64 vcc, exec, s[46:47]
	s_cbranch_vccnz .LBB111_73
; %bb.64:
	v_mul_lo_u32 v2, v12, s36
	s_cmp_gt_u32 s36, 3
	v_ashrrev_i32_e32 v3, 31, v2
	s_cbranch_scc0 .LBB111_68
; %bb.65:
	s_and_b32 s0, s36, 0x7ffffffc
	v_lshl_add_u64 v[4:5], v[2:3], 2, s[34:35]
	v_mov_b32_e32 v1, v0
	v_lshl_add_u64 v[4:5], v[4:5], 0, 8
	s_mov_b32 s1, s0
.LBB111_66:                             ; =>This Inner Loop Header: Depth=1
	global_load_dwordx4 v[6:9], v[4:5], off offset:-8
	s_add_i32 s1, s1, -4
	s_cmp_lg_u32 s1, 0
	s_waitcnt vmcnt(0)
	v_pk_mul_f32 v[6:7], v[0:1], v[6:7]
	v_pk_mul_f32 v[8:9], v[0:1], v[8:9]
	global_store_dwordx4 v[4:5], v[6:9], off offset:-8
	v_lshl_add_u64 v[4:5], v[4:5], 0, 16
	s_cbranch_scc1 .LBB111_66
; %bb.67:
	s_cmp_lg_u32 s0, s36
	s_cselect_b64 s[2:3], -1, 0
	s_branch .LBB111_70
.LBB111_68:
	s_mov_b64 s[2:3], 0
                                        ; implicit-def: $sgpr0
	s_cbranch_execz .LBB111_70
; %bb.69:
	s_mov_b64 s[2:3], -1
	s_mov_b32 s0, 0
.LBB111_70:
	s_andn2_b64 vcc, exec, s[2:3]
	s_cbranch_vccnz .LBB111_73
; %bb.71:
	s_mov_b32 s1, 0
	v_lshl_add_u64 v[2:3], v[2:3], 0, s[0:1]
	s_sub_i32 s2, s36, s0
	v_lshl_add_u64 v[2:3], v[2:3], 2, s[34:35]
.LBB111_72:                             ; =>This Inner Loop Header: Depth=1
	global_load_dword v1, v[2:3], off
	s_add_i32 s2, s2, -1
	s_cmp_lg_u32 s2, 0
	s_waitcnt vmcnt(0)
	v_mul_f32_e32 v1, v0, v1
	global_store_dword v[2:3], v1, off
	v_lshl_add_u64 v[2:3], v[2:3], 0, 4
	s_cbranch_scc1 .LBB111_72
.LBB111_73:
	s_endpgm
	.section	.rodata,"a",@progbits
	.p2align	6, 0x0
	.amdhsa_kernel _ZN4vllm3moe22topkGatingSoftplusSqrtILi12ELi384ELi4ELi8ELi32ELb0EjfEEvPKT6_PKbPfiPT5_PiiiibdPKfPKS8_SE_
		.amdhsa_group_segment_fixed_size 0
		.amdhsa_private_segment_fixed_size 0
		.amdhsa_kernarg_size 96
		.amdhsa_user_sgpr_count 2
		.amdhsa_user_sgpr_dispatch_ptr 0
		.amdhsa_user_sgpr_queue_ptr 0
		.amdhsa_user_sgpr_kernarg_segment_ptr 1
		.amdhsa_user_sgpr_dispatch_id 0
		.amdhsa_user_sgpr_kernarg_preload_length 0
		.amdhsa_user_sgpr_kernarg_preload_offset 0
		.amdhsa_user_sgpr_private_segment_size 0
		.amdhsa_uses_dynamic_stack 0
		.amdhsa_enable_private_segment 0
		.amdhsa_system_sgpr_workgroup_id_x 1
		.amdhsa_system_sgpr_workgroup_id_y 0
		.amdhsa_system_sgpr_workgroup_id_z 0
		.amdhsa_system_sgpr_workgroup_info 0
		.amdhsa_system_vgpr_workitem_id 1
		.amdhsa_next_free_vgpr 42
		.amdhsa_next_free_sgpr 51
		.amdhsa_accum_offset 44
		.amdhsa_reserve_vcc 1
		.amdhsa_float_round_mode_32 0
		.amdhsa_float_round_mode_16_64 0
		.amdhsa_float_denorm_mode_32 3
		.amdhsa_float_denorm_mode_16_64 3
		.amdhsa_dx10_clamp 1
		.amdhsa_ieee_mode 1
		.amdhsa_fp16_overflow 0
		.amdhsa_tg_split 0
		.amdhsa_exception_fp_ieee_invalid_op 0
		.amdhsa_exception_fp_denorm_src 0
		.amdhsa_exception_fp_ieee_div_zero 0
		.amdhsa_exception_fp_ieee_overflow 0
		.amdhsa_exception_fp_ieee_underflow 0
		.amdhsa_exception_fp_ieee_inexact 0
		.amdhsa_exception_int_div_zero 0
	.end_amdhsa_kernel
	.section	.text._ZN4vllm3moe22topkGatingSoftplusSqrtILi12ELi384ELi4ELi8ELi32ELb0EjfEEvPKT6_PKbPfiPT5_PiiiibdPKfPKS8_SE_,"axG",@progbits,_ZN4vllm3moe22topkGatingSoftplusSqrtILi12ELi384ELi4ELi8ELi32ELb0EjfEEvPKT6_PKbPfiPT5_PiiiibdPKfPKS8_SE_,comdat
.Lfunc_end111:
	.size	_ZN4vllm3moe22topkGatingSoftplusSqrtILi12ELi384ELi4ELi8ELi32ELb0EjfEEvPKT6_PKbPfiPT5_PiiiibdPKfPKS8_SE_, .Lfunc_end111-_ZN4vllm3moe22topkGatingSoftplusSqrtILi12ELi384ELi4ELi8ELi32ELb0EjfEEvPKT6_PKbPfiPT5_PiiiibdPKfPKS8_SE_
                                        ; -- End function
	.section	.AMDGPU.csdata,"",@progbits
; Kernel info:
; codeLenInByte = 5388
; NumSgprs: 57
; NumVgprs: 42
; NumAgprs: 0
; TotalNumVgprs: 42
; ScratchSize: 0
; MemoryBound: 0
; FloatMode: 240
; IeeeMode: 1
; LDSByteSize: 0 bytes/workgroup (compile time only)
; SGPRBlocks: 7
; VGPRBlocks: 5
; NumSGPRsForWavesPerEU: 57
; NumVGPRsForWavesPerEU: 42
; AccumOffset: 44
; Occupancy: 8
; WaveLimiterHint : 1
; COMPUTE_PGM_RSRC2:SCRATCH_EN: 0
; COMPUTE_PGM_RSRC2:USER_SGPR: 2
; COMPUTE_PGM_RSRC2:TRAP_HANDLER: 0
; COMPUTE_PGM_RSRC2:TGID_X_EN: 1
; COMPUTE_PGM_RSRC2:TGID_Y_EN: 0
; COMPUTE_PGM_RSRC2:TGID_Z_EN: 0
; COMPUTE_PGM_RSRC2:TIDIG_COMP_CNT: 1
; COMPUTE_PGM_RSRC3_GFX90A:ACCUM_OFFSET: 10
; COMPUTE_PGM_RSRC3_GFX90A:TG_SPLIT: 0
	.section	.text._ZN4vllm3moe22topkGatingSoftplusSqrtILi7ELi448ELi4ELi4ELi64ELb1EjfEEvPKT6_PKbPfiPT5_PiiiibdPKfPKS8_SE_,"axG",@progbits,_ZN4vllm3moe22topkGatingSoftplusSqrtILi7ELi448ELi4ELi4ELi64ELb1EjfEEvPKT6_PKbPfiPT5_PiiiibdPKfPKS8_SE_,comdat
	.protected	_ZN4vllm3moe22topkGatingSoftplusSqrtILi7ELi448ELi4ELi4ELi64ELb1EjfEEvPKT6_PKbPfiPT5_PiiiibdPKfPKS8_SE_ ; -- Begin function _ZN4vllm3moe22topkGatingSoftplusSqrtILi7ELi448ELi4ELi4ELi64ELb1EjfEEvPKT6_PKbPfiPT5_PiiiibdPKfPKS8_SE_
	.globl	_ZN4vllm3moe22topkGatingSoftplusSqrtILi7ELi448ELi4ELi4ELi64ELb1EjfEEvPKT6_PKbPfiPT5_PiiiibdPKfPKS8_SE_
	.p2align	8
	.type	_ZN4vllm3moe22topkGatingSoftplusSqrtILi7ELi448ELi4ELi4ELi64ELb1EjfEEvPKT6_PKbPfiPT5_PiiiibdPKfPKS8_SE_,@function
_ZN4vllm3moe22topkGatingSoftplusSqrtILi7ELi448ELi4ELi4ELi64ELb1EjfEEvPKT6_PKbPfiPT5_PiiiibdPKfPKS8_SE_: ; @_ZN4vllm3moe22topkGatingSoftplusSqrtILi7ELi448ELi4ELi4ELi64ELb1EjfEEvPKT6_PKbPfiPT5_PiiiibdPKfPKS8_SE_
; %bb.0:
	s_load_dword s3, s[0:1], 0x18
	v_and_b32_e32 v1, 0x3ff, v0
	s_lshl_b32 s2, s2, 2
	v_lshrrev_b32_e32 v2, 6, v1
	v_bfe_u32 v0, v0, 10, 10
	v_add3_u32 v0, s2, v0, v2
	s_waitcnt lgkmcnt(0)
	v_cmp_gt_i32_e32 vcc, s3, v0
	s_and_saveexec_b64 s[2:3], vcc
	s_cbranch_execz .LBB112_32
; %bb.1:
	s_load_dwordx2 s[2:3], s[0:1], 0x0
	s_load_dword s28, s[0:1], 0x30
	s_load_dwordx4 s[8:11], s[0:1], 0x50
	s_movk_i32 s4, 0x1c0
	v_mul_lo_u32 v2, v0, s4
	v_ashrrev_i32_e32 v3, 31, v2
	v_and_b32_e32 v10, 63, v1
	s_waitcnt lgkmcnt(0)
	v_lshl_add_u64 v[2:3], v[2:3], 2, s[2:3]
	v_lshlrev_b32_e32 v4, 2, v10
	v_mov_b32_e32 v5, 0
	v_lshl_add_u64 v[2:3], v[2:3], 0, v[4:5]
	global_load_dword v8, v[2:3], off
	global_load_dword v9, v[2:3], off offset:256
	global_load_dword v13, v[2:3], off offset:512
	;; [unrolled: 1-line block ×3, first 2 shown]
	v_mov_b32_e32 v6, s8
	v_mov_b32_e32 v7, s9
	v_ashrrev_i32_e32 v1, 31, v0
	v_lshl_add_u64 v[6:7], v[0:1], 2, v[6:7]
	global_load_dword v1, v[6:7], off
	global_load_dword v15, v[2:3], off offset:1024
	global_load_dword v18, v[2:3], off offset:1280
	;; [unrolled: 1-line block ×3, first 2 shown]
	s_mov_b32 s13, 0x800000
	v_mov_b32_e32 v16, 0x4f800000
	s_mov_b32 s12, 0x3f317217
	s_mov_b32 s14, 0x7f800000
	v_mov_b32_e32 v17, 0x41b17218
	s_mov_b32 s9, 0x41a00000
	s_mov_b32 s15, 0xf800000
	v_mov_b32_e32 v20, 0x260
	s_cmp_gt_i32 s28, 0
	s_mov_b32 s8, 0
	v_mul_lo_u32 v0, v0, s28
	s_waitcnt vmcnt(7)
	v_mul_f32_e32 v2, 0x3fb8aa3b, v8
	s_waitcnt vmcnt(6)
	v_mul_f32_e32 v3, 0x3fb8aa3b, v9
	v_exp_f32_e32 v2, v2
	v_exp_f32_e32 v3, v3
	s_waitcnt vmcnt(5)
	v_mul_f32_e32 v4, 0x3fb8aa3b, v13
	s_waitcnt vmcnt(4)
	v_mul_f32_e32 v7, 0x3fb8aa3b, v14
	v_exp_f32_e32 v6, v4
	v_exp_f32_e32 v7, v7
	v_pk_add_f32 v[2:3], v[2:3], 1.0 op_sel_hi:[1,0]
	s_waitcnt vmcnt(3)
	v_mul_lo_u32 v4, v1, s28
	v_cmp_gt_f32_e32 vcc, s13, v3
	v_pk_add_f32 v[6:7], v[6:7], 1.0 op_sel_hi:[1,0]
	v_cmp_gt_f32_e64 s[2:3], s13, v2
	v_cndmask_b32_e32 v1, 1.0, v16, vcc
	v_cmp_gt_f32_e64 s[4:5], s13, v7
	v_cndmask_b32_e64 v11, 1.0, v16, s[2:3]
	v_mul_f32_e32 v1, v3, v1
	v_cndmask_b32_e64 v12, 1.0, v16, s[4:5]
	v_mul_f32_e32 v2, v2, v11
	v_log_f32_e32 v1, v1
	v_mul_f32_e32 v7, v7, v12
	v_log_f32_e32 v2, v2
	v_cmp_gt_f32_e64 s[6:7], s13, v6
	v_log_f32_e32 v7, v7
	v_cndmask_b32_e32 v3, 0, v17, vcc
	v_cndmask_b32_e64 v21, 1.0, v16, s[6:7]
	v_mul_f32_e32 v6, v6, v21
	v_mul_f32_e32 v21, 0x3f317217, v1
	;; [unrolled: 1-line block ×3, first 2 shown]
	v_fma_f32 v21, v1, s12, -v21
	v_mul_f32_e32 v23, 0x3f317217, v7
	v_fma_f32 v22, v2, s12, -v22
	v_fmac_f32_e32 v21, 0x3377d1cf, v1
	v_fma_f32 v23, v7, s12, -v23
	v_fmac_f32_e32 v22, 0x3377d1cf, v2
	v_fmac_f32_e32 v21, 0x3f317217, v1
	v_cmp_lt_f32_e64 vcc, |v1|, s14
	v_fmac_f32_e32 v23, 0x3377d1cf, v7
	v_fmac_f32_e32 v22, 0x3f317217, v2
	v_cndmask_b32_e32 v1, v1, v21, vcc
	v_cmp_lt_f32_e64 vcc, |v2|, s14
	v_cndmask_b32_e64 v11, 0, v17, s[2:3]
	v_fmac_f32_e32 v23, 0x3f317217, v7
	v_cndmask_b32_e32 v2, v2, v22, vcc
	v_cmp_lt_f32_e64 vcc, |v7|, s14
	v_sub_f32_e32 v2, v2, v11
	v_sub_f32_e32 v1, v1, v3
	v_cndmask_b32_e32 v7, v7, v23, vcc
	v_cmp_lt_f32_e32 vcc, s9, v8
	v_cndmask_b32_e64 v12, 0, v17, s[4:5]
	v_sub_f32_e32 v7, v7, v12
	v_cndmask_b32_e32 v2, v2, v8, vcc
	v_cmp_lt_f32_e32 vcc, s9, v9
	v_mul_f32_e32 v8, 0x4f800000, v2
	v_cmp_gt_f32_e64 s[2:3], s15, v2
	v_cndmask_b32_e32 v1, v1, v9, vcc
	v_mul_f32_e32 v3, 0x4f800000, v1
	v_cmp_gt_f32_e32 vcc, s15, v1
	v_cndmask_b32_e64 v2, v2, v8, s[2:3]
	v_sqrt_f32_e32 v8, v2
	v_cndmask_b32_e32 v1, v1, v3, vcc
	v_sqrt_f32_e32 v3, v1
	v_log_f32_e32 v6, v6
	v_add_u32_e32 v12, -1, v8
	v_fma_f32 v24, -v12, v8, v2
	v_add_u32_e32 v9, -1, v3
	v_fma_f32 v22, -v9, v3, v1
	v_add_u32_e32 v11, 1, v3
	v_cmp_ge_f32_e64 s[4:5], 0, v22
	v_add_u32_e32 v21, 1, v8
	v_fma_f32 v23, -v11, v3, v1
	v_cndmask_b32_e64 v3, v3, v9, s[4:5]
	v_cmp_ge_f32_e64 s[4:5], 0, v24
	v_fma_f32 v25, -v21, v8, v2
	s_nop 0
	v_cndmask_b32_e64 v8, v8, v12, s[4:5]
	v_cmp_lt_f32_e64 s[4:5], 0, v23
	s_nop 1
	v_cndmask_b32_e64 v3, v3, v11, s[4:5]
	v_cmp_lt_f32_e64 s[4:5], 0, v25
	v_mul_f32_e32 v9, 0x37800000, v3
	v_cndmask_b32_e32 v3, v3, v9, vcc
	v_cndmask_b32_e64 v8, v8, v21, s[4:5]
	v_mul_f32_e32 v11, 0x37800000, v8
	v_cmp_class_f32_e32 vcc, v1, v20
	v_cndmask_b32_e64 v8, v8, v11, s[2:3]
	v_cmp_lt_f32_e64 s[2:3], s9, v13
	v_cndmask_b32_e32 v11, v3, v1, vcc
	v_mul_f32_e32 v1, 0x3f317217, v6
	v_fma_f32 v1, v6, s12, -v1
	v_cmp_class_f32_e32 vcc, v2, v20
	v_fmac_f32_e32 v1, 0x3377d1cf, v6
	v_fmac_f32_e32 v1, 0x3f317217, v6
	v_cndmask_b32_e32 v12, v8, v2, vcc
	v_cmp_lt_f32_e64 vcc, |v6|, s14
	v_cndmask_b32_e64 v2, 0, v17, s[6:7]
	s_nop 0
	v_cndmask_b32_e32 v1, v6, v1, vcc
	v_cmp_lt_f32_e32 vcc, s9, v14
	v_sub_f32_e32 v1, v1, v2
	v_cndmask_b32_e64 v1, v1, v13, s[2:3]
	v_cndmask_b32_e32 v3, v7, v14, vcc
	v_mul_f32_e32 v6, 0x4f800000, v3
	v_cmp_gt_f32_e32 vcc, s15, v3
	s_nop 1
	v_cndmask_b32_e32 v3, v3, v6, vcc
	v_sqrt_f32_e32 v6, v3
	s_nop 0
	v_add_u32_e32 v2, -1, v6
	v_fma_f32 v7, -v2, v6, v3
	v_cmp_ge_f32_e64 s[2:3], 0, v7
	v_add_u32_e32 v7, 1, v6
	s_nop 0
	v_cndmask_b32_e64 v2, v6, v2, s[2:3]
	v_fma_f32 v6, -v7, v6, v3
	v_cmp_lt_f32_e64 s[2:3], 0, v6
	s_nop 1
	v_cndmask_b32_e64 v2, v2, v7, s[2:3]
	v_mul_f32_e32 v7, 0x4f800000, v1
	v_cmp_gt_f32_e64 s[2:3], s15, v1
	v_mul_f32_e32 v6, 0x37800000, v2
	v_cndmask_b32_e32 v2, v2, v6, vcc
	v_cndmask_b32_e64 v1, v1, v7, s[2:3]
	v_sqrt_f32_e32 v7, v1
	v_cmp_class_f32_e32 vcc, v3, v20
	v_add_u32_e32 v8, 1, v7
	s_nop 0
	v_cndmask_b32_e32 v13, v2, v3, vcc
	v_add_u32_e32 v2, -1, v7
	v_fma_f32 v3, -v2, v7, v1
	v_cmp_ge_f32_e32 vcc, 0, v3
	s_waitcnt vmcnt(1)
	v_mul_f32_e32 v3, 0x3fb8aa3b, v18
	v_exp_f32_e32 v3, v3
	v_cndmask_b32_e32 v6, v7, v2, vcc
	v_mul_f32_e32 v2, 0x3fb8aa3b, v15
	v_exp_f32_e32 v2, v2
	v_fma_f32 v7, -v8, v7, v1
	v_cmp_lt_f32_e32 vcc, 0, v7
	v_pk_add_f32 v[2:3], v[2:3], 1.0 op_sel_hi:[1,0]
	s_nop 0
	v_cndmask_b32_e32 v6, v6, v8, vcc
	v_cmp_gt_f32_e32 vcc, s13, v3
	v_mul_f32_e32 v7, 0x37800000, v6
	v_cndmask_b32_e64 v6, v6, v7, s[2:3]
	v_cndmask_b32_e32 v8, 1.0, v16, vcc
	v_mul_f32_e32 v3, v3, v8
	v_log_f32_e32 v3, v3
	v_cmp_class_f32_e64 s[2:3], v1, v20
	v_cmp_lt_f32_e64 s[4:5], |v3|, s14
	s_nop 0
	v_cndmask_b32_e64 v14, v6, v1, s[2:3]
	v_cmp_gt_f32_e64 s[2:3], s13, v2
	v_mul_f32_e32 v1, 0x3f317217, v3
	v_fma_f32 v1, v3, s12, -v1
	v_cndmask_b32_e64 v6, 1.0, v16, s[2:3]
	v_mul_f32_e32 v2, v2, v6
	v_log_f32_e32 v2, v2
	v_fmac_f32_e32 v1, 0x3377d1cf, v3
	v_fmac_f32_e32 v1, 0x3f317217, v3
	v_cndmask_b32_e64 v1, v3, v1, s[4:5]
	v_cndmask_b32_e32 v3, 0, v17, vcc
	v_sub_f32_e32 v1, v1, v3
	v_mul_f32_e32 v3, 0x3f317217, v2
	v_fma_f32 v3, v2, s12, -v3
	v_fmac_f32_e32 v3, 0x3377d1cf, v2
	v_fmac_f32_e32 v3, 0x3f317217, v2
	v_cmp_lt_f32_e64 vcc, |v2|, s14
	s_nop 1
	v_cndmask_b32_e32 v2, v2, v3, vcc
	v_cmp_lt_f32_e32 vcc, s9, v18
	v_cndmask_b32_e64 v3, 0, v17, s[2:3]
	v_sub_f32_e32 v2, v2, v3
	v_cndmask_b32_e32 v1, v1, v18, vcc
	v_mul_f32_e32 v6, 0x4f800000, v1
	v_cmp_gt_f32_e32 vcc, s15, v1
	v_cmp_lt_f32_e64 s[2:3], s9, v15
	s_nop 0
	v_cndmask_b32_e32 v1, v1, v6, vcc
	v_sqrt_f32_e32 v6, v1
	v_cndmask_b32_e64 v2, v2, v15, s[2:3]
	v_add_u32_e32 v3, -1, v6
	v_fma_f32 v7, -v3, v6, v1
	v_cmp_ge_f32_e64 s[2:3], 0, v7
	v_add_u32_e32 v7, 1, v6
	s_nop 0
	v_cndmask_b32_e64 v3, v6, v3, s[2:3]
	v_fma_f32 v6, -v7, v6, v1
	v_cmp_lt_f32_e64 s[2:3], 0, v6
	s_nop 1
	v_cndmask_b32_e64 v3, v3, v7, s[2:3]
	v_mul_f32_e32 v7, 0x4f800000, v2
	v_cmp_gt_f32_e64 s[2:3], s15, v2
	v_mul_f32_e32 v6, 0x37800000, v3
	v_cndmask_b32_e32 v3, v3, v6, vcc
	v_cndmask_b32_e64 v2, v2, v7, s[2:3]
	v_sqrt_f32_e32 v7, v2
	s_waitcnt vmcnt(0)
	v_mul_f32_e32 v6, 0x3fb8aa3b, v19
	v_exp_f32_e32 v6, v6
	v_cmp_class_f32_e32 vcc, v1, v20
	v_add_f32_e32 v6, 1.0, v6
	s_nop 0
	v_cndmask_b32_e32 v15, v3, v1, vcc
	v_add_u32_e32 v1, -1, v7
	v_fma_f32 v3, -v1, v7, v2
	v_cmp_ge_f32_e32 vcc, 0, v3
	v_add_u32_e32 v3, 1, v7
	s_nop 0
	v_cndmask_b32_e32 v1, v7, v1, vcc
	v_cmp_gt_f32_e32 vcc, s13, v6
	v_fma_f32 v7, -v3, v7, v2
	v_cmp_lt_f32_e64 s[4:5], 0, v7
	v_cndmask_b32_e32 v8, 1.0, v16, vcc
	v_mul_f32_e32 v6, v6, v8
	v_log_f32_e32 v6, v6
	v_cndmask_b32_e64 v1, v1, v3, s[4:5]
	v_mul_f32_e32 v3, 0x37800000, v1
	v_cndmask_b32_e64 v1, v1, v3, s[2:3]
	v_mul_f32_e32 v7, 0x3f317217, v6
	v_fma_f32 v7, v6, s12, -v7
	v_fmac_f32_e32 v7, 0x3377d1cf, v6
	v_fmac_f32_e32 v7, 0x3f317217, v6
	v_cmp_lt_f32_e64 s[4:5], |v6|, s14
	v_cmp_class_f32_e64 s[2:3], v2, v20
	s_nop 0
	v_cndmask_b32_e64 v6, v6, v7, s[4:5]
	v_cndmask_b32_e32 v7, 0, v17, vcc
	v_sub_f32_e32 v6, v6, v7
	v_cmp_lt_f32_e32 vcc, s9, v19
	v_cndmask_b32_e64 v16, v1, v2, s[2:3]
	s_cselect_b64 s[4:5], -1, 0
	v_cndmask_b32_e32 v6, v6, v19, vcc
	v_mul_f32_e32 v7, 0x4f800000, v6
	v_cmp_gt_f32_e32 vcc, s15, v6
	s_cmp_lt_i32 s28, 1
	s_nop 0
	v_cndmask_b32_e32 v6, v6, v7, vcc
	v_sqrt_f32_e32 v7, v6
	s_nop 0
	v_add_u32_e32 v1, -1, v7
	v_fma_f32 v2, -v1, v7, v6
	v_cmp_ge_f32_e64 s[2:3], 0, v2
	v_add_u32_e32 v2, 1, v7
	v_fma_f32 v3, -v2, v7, v6
	v_cndmask_b32_e64 v1, v7, v1, s[2:3]
	v_cmp_lt_f32_e64 s[2:3], 0, v3
	s_nop 1
	v_cndmask_b32_e64 v1, v1, v2, s[2:3]
	v_mul_f32_e32 v2, 0x37800000, v1
	v_cndmask_b32_e32 v1, v1, v2, vcc
	v_cmp_class_f32_e32 vcc, v6, v20
	v_lshl_add_u64 v[2:3], v[4:5], 2, s[10:11]
	s_nop 0
	v_cndmask_b32_e32 v17, v1, v6, vcc
	s_cbranch_scc1 .LBB112_29
; %bb.2:
	s_load_dwordx2 s[6:7], s[0:1], 0x20
	s_cmp_lt_u32 s28, 4
	s_cbranch_scc1 .LBB112_21
; %bb.3:
	s_mov_b32 s11, 0
	s_and_b32 s8, s28, 0x7ffffffc
	v_ashrrev_i32_e32 v1, 31, v0
	v_mov_b32_e32 v5, 0
	s_mov_b32 s10, s11
	s_branch .LBB112_5
.LBB112_4:                              ;   in Loop: Header=BB112_5 Depth=1
	s_or_b64 exec, exec, s[12:13]
	s_add_i32 s10, s10, 4
	s_cmp_eq_u32 s10, s8
	s_cbranch_scc1 .LBB112_22
.LBB112_5:                              ; =>This Loop Header: Depth=1
                                        ;     Child Loop BB112_7 Depth 2
                                        ;     Child Loop BB112_11 Depth 2
	;; [unrolled: 1-line block ×4, first 2 shown]
	v_lshl_add_u64 v[6:7], s[10:11], 2, v[2:3]
	global_load_dword v4, v[6:7], off
	v_add_u32_e32 v8, s10, v0
	v_ashrrev_i32_e32 v9, 31, v8
	s_waitcnt lgkmcnt(0)
	v_lshl_add_u64 v[8:9], v[8:9], 2, s[6:7]
	s_mov_b64 s[12:13], 0
	v_mov_b32_e32 v18, v10
	s_mov_b64 s[14:15], 0
	s_waitcnt vmcnt(0)
	s_branch .LBB112_7
.LBB112_6:                              ;   in Loop: Header=BB112_7 Depth=2
	s_or_b64 exec, exec, s[16:17]
	s_cmp_gt_u32 s14, 5
	s_cselect_b64 s[2:3], -1, 0
	s_xor_b64 s[16:17], vcc, -1
	s_or_b64 s[2:3], s[16:17], s[2:3]
	s_add_u32 s14, s14, 1
	s_addc_u32 s15, s15, 0
	s_and_b64 s[2:3], exec, s[2:3]
	s_or_b64 s[12:13], s[2:3], s[12:13]
	v_add_u32_e32 v18, 64, v18
	s_andn2_b64 exec, exec, s[12:13]
	s_cbranch_execz .LBB112_9
.LBB112_7:                              ;   Parent Loop BB112_5 Depth=1
                                        ; =>  This Inner Loop Header: Depth=2
	v_cmp_ne_u32_e32 vcc, v4, v18
	v_cmp_eq_u32_e64 s[2:3], v4, v18
	s_and_saveexec_b64 s[16:17], s[2:3]
	s_cbranch_execz .LBB112_6
; %bb.8:                                ;   in Loop: Header=BB112_7 Depth=2
	s_cmp_eq_u32 s14, 1
	s_cselect_b64 s[2:3], -1, 0
	s_cmp_eq_u32 s14, 2
	v_cndmask_b32_e64 v19, v12, v11, s[2:3]
	s_cselect_b64 s[2:3], -1, 0
	s_cmp_eq_u32 s14, 3
	v_cndmask_b32_e64 v19, v19, v14, s[2:3]
	;; [unrolled: 3-line block ×5, first 2 shown]
	s_cselect_b64 s[2:3], -1, 0
	v_cndmask_b32_e64 v19, v19, v17, s[2:3]
	v_add_f32_e32 v5, v5, v19
	global_store_dword v[8:9], v4, off
	s_branch .LBB112_6
.LBB112_9:                              ;   in Loop: Header=BB112_5 Depth=1
	s_or_b64 exec, exec, s[12:13]
	global_load_dword v4, v[6:7], off offset:4
	s_ashr_i32 s3, s10, 31
	s_mov_b32 s2, s10
	v_lshl_add_u64 v[8:9], s[2:3], 0, v[0:1]
	v_lshl_add_u64 v[8:9], v[8:9], 2, s[6:7]
	s_mov_b64 s[12:13], 0
	v_mov_b32_e32 v18, v10
	s_mov_b64 s[14:15], 0
	s_waitcnt vmcnt(0)
	s_branch .LBB112_11
.LBB112_10:                             ;   in Loop: Header=BB112_11 Depth=2
	s_or_b64 exec, exec, s[16:17]
	s_cmp_gt_u32 s14, 5
	s_cselect_b64 s[2:3], -1, 0
	s_xor_b64 s[16:17], vcc, -1
	s_or_b64 s[2:3], s[16:17], s[2:3]
	s_add_u32 s14, s14, 1
	s_addc_u32 s15, s15, 0
	s_and_b64 s[2:3], exec, s[2:3]
	s_or_b64 s[12:13], s[2:3], s[12:13]
	v_add_u32_e32 v18, 64, v18
	s_andn2_b64 exec, exec, s[12:13]
	s_cbranch_execz .LBB112_13
.LBB112_11:                             ;   Parent Loop BB112_5 Depth=1
                                        ; =>  This Inner Loop Header: Depth=2
	v_cmp_ne_u32_e32 vcc, v4, v18
	v_cmp_eq_u32_e64 s[2:3], v4, v18
	s_and_saveexec_b64 s[16:17], s[2:3]
	s_cbranch_execz .LBB112_10
; %bb.12:                               ;   in Loop: Header=BB112_11 Depth=2
	s_cmp_eq_u32 s14, 1
	s_cselect_b64 s[2:3], -1, 0
	s_cmp_eq_u32 s14, 2
	v_cndmask_b32_e64 v19, v12, v11, s[2:3]
	s_cselect_b64 s[2:3], -1, 0
	s_cmp_eq_u32 s14, 3
	v_cndmask_b32_e64 v19, v19, v14, s[2:3]
	;; [unrolled: 3-line block ×5, first 2 shown]
	s_cselect_b64 s[2:3], -1, 0
	v_cndmask_b32_e64 v19, v19, v17, s[2:3]
	v_add_f32_e32 v5, v5, v19
	global_store_dword v[8:9], v4, off offset:4
	s_branch .LBB112_10
.LBB112_13:                             ;   in Loop: Header=BB112_5 Depth=1
	s_or_b64 exec, exec, s[12:13]
	global_load_dword v4, v[6:7], off offset:8
	s_mov_b64 s[12:13], 0
	v_mov_b32_e32 v18, v10
	s_mov_b64 s[14:15], 0
	s_waitcnt vmcnt(0)
	s_branch .LBB112_15
.LBB112_14:                             ;   in Loop: Header=BB112_15 Depth=2
	s_or_b64 exec, exec, s[16:17]
	s_cmp_gt_u32 s14, 5
	s_cselect_b64 s[2:3], -1, 0
	s_xor_b64 s[16:17], vcc, -1
	s_or_b64 s[2:3], s[16:17], s[2:3]
	s_add_u32 s14, s14, 1
	s_addc_u32 s15, s15, 0
	s_and_b64 s[2:3], exec, s[2:3]
	s_or_b64 s[12:13], s[2:3], s[12:13]
	v_add_u32_e32 v18, 64, v18
	s_andn2_b64 exec, exec, s[12:13]
	s_cbranch_execz .LBB112_17
.LBB112_15:                             ;   Parent Loop BB112_5 Depth=1
                                        ; =>  This Inner Loop Header: Depth=2
	v_cmp_ne_u32_e32 vcc, v4, v18
	v_cmp_eq_u32_e64 s[2:3], v4, v18
	s_and_saveexec_b64 s[16:17], s[2:3]
	s_cbranch_execz .LBB112_14
; %bb.16:                               ;   in Loop: Header=BB112_15 Depth=2
	s_cmp_eq_u32 s14, 1
	s_cselect_b64 s[2:3], -1, 0
	s_cmp_eq_u32 s14, 2
	v_cndmask_b32_e64 v19, v12, v11, s[2:3]
	s_cselect_b64 s[2:3], -1, 0
	s_cmp_eq_u32 s14, 3
	v_cndmask_b32_e64 v19, v19, v14, s[2:3]
	s_cselect_b64 s[2:3], -1, 0
	s_cmp_eq_u32 s14, 4
	v_cndmask_b32_e64 v19, v19, v13, s[2:3]
	s_cselect_b64 s[2:3], -1, 0
	s_cmp_eq_u32 s14, 5
	v_cndmask_b32_e64 v19, v19, v16, s[2:3]
	s_cselect_b64 s[2:3], -1, 0
	s_cmp_eq_u32 s14, 6
	v_cndmask_b32_e64 v19, v19, v15, s[2:3]
	s_cselect_b64 s[2:3], -1, 0
	v_cndmask_b32_e64 v19, v19, v17, s[2:3]
	v_add_f32_e32 v5, v5, v19
	global_store_dword v[8:9], v4, off offset:8
	s_branch .LBB112_14
.LBB112_17:                             ;   in Loop: Header=BB112_5 Depth=1
	s_or_b64 exec, exec, s[12:13]
	global_load_dword v4, v[6:7], off offset:12
	s_mov_b64 s[12:13], 0
	v_mov_b32_e32 v6, v10
	s_mov_b64 s[14:15], 0
	s_waitcnt vmcnt(0)
	s_branch .LBB112_19
.LBB112_18:                             ;   in Loop: Header=BB112_19 Depth=2
	s_or_b64 exec, exec, s[16:17]
	s_cmp_gt_u32 s14, 5
	s_cselect_b64 s[2:3], -1, 0
	s_xor_b64 s[16:17], vcc, -1
	s_or_b64 s[2:3], s[16:17], s[2:3]
	s_add_u32 s14, s14, 1
	s_addc_u32 s15, s15, 0
	s_and_b64 s[2:3], exec, s[2:3]
	s_or_b64 s[12:13], s[2:3], s[12:13]
	v_add_u32_e32 v6, 64, v6
	s_andn2_b64 exec, exec, s[12:13]
	s_cbranch_execz .LBB112_4
.LBB112_19:                             ;   Parent Loop BB112_5 Depth=1
                                        ; =>  This Inner Loop Header: Depth=2
	v_cmp_ne_u32_e32 vcc, v4, v6
	v_cmp_eq_u32_e64 s[2:3], v4, v6
	s_and_saveexec_b64 s[16:17], s[2:3]
	s_cbranch_execz .LBB112_18
; %bb.20:                               ;   in Loop: Header=BB112_19 Depth=2
	s_cmp_eq_u32 s14, 1
	s_cselect_b64 s[2:3], -1, 0
	s_cmp_eq_u32 s14, 2
	v_cndmask_b32_e64 v7, v12, v11, s[2:3]
	s_cselect_b64 s[2:3], -1, 0
	s_cmp_eq_u32 s14, 3
	v_cndmask_b32_e64 v7, v7, v14, s[2:3]
	;; [unrolled: 3-line block ×5, first 2 shown]
	s_cselect_b64 s[2:3], -1, 0
	v_cndmask_b32_e64 v7, v7, v17, s[2:3]
	v_add_f32_e32 v5, v5, v7
	global_store_dword v[8:9], v4, off offset:12
	s_branch .LBB112_18
.LBB112_21:
	v_mov_b32_e32 v5, 0
.LBB112_22:
	s_and_b32 s16, s28, 3
	s_cmp_eq_u32 s16, 0
	s_mov_b32 s9, 0
	s_cbranch_scc1 .LBB112_29
; %bb.23:
	s_mov_b32 s17, s9
	s_branch .LBB112_25
.LBB112_24:                             ;   in Loop: Header=BB112_25 Depth=1
	s_or_b64 exec, exec, s[10:11]
	s_add_i32 s8, s8, 1
	s_add_i32 s17, s17, 1
	s_cmp_lg_u32 s17, s16
	s_cbranch_scc0 .LBB112_29
.LBB112_25:                             ; =>This Loop Header: Depth=1
                                        ;     Child Loop BB112_27 Depth 2
	v_lshl_add_u64 v[6:7], s[8:9], 2, v[2:3]
	global_load_dword v1, v[6:7], off
	v_add_u32_e32 v6, s8, v0
	v_ashrrev_i32_e32 v7, 31, v6
	s_waitcnt lgkmcnt(0)
	v_lshl_add_u64 v[6:7], v[6:7], 2, s[6:7]
	s_mov_b64 s[10:11], 0
	v_mov_b32_e32 v4, v10
	s_mov_b64 s[12:13], 0
	s_waitcnt vmcnt(0)
	s_branch .LBB112_27
.LBB112_26:                             ;   in Loop: Header=BB112_27 Depth=2
	s_or_b64 exec, exec, s[14:15]
	s_cmp_gt_u32 s12, 5
	s_cselect_b64 s[2:3], -1, 0
	s_xor_b64 s[14:15], vcc, -1
	s_or_b64 s[2:3], s[14:15], s[2:3]
	s_add_u32 s12, s12, 1
	s_addc_u32 s13, s13, 0
	s_and_b64 s[2:3], exec, s[2:3]
	s_or_b64 s[10:11], s[2:3], s[10:11]
	v_add_u32_e32 v4, 64, v4
	s_andn2_b64 exec, exec, s[10:11]
	s_cbranch_execz .LBB112_24
.LBB112_27:                             ;   Parent Loop BB112_25 Depth=1
                                        ; =>  This Inner Loop Header: Depth=2
	v_cmp_ne_u32_e32 vcc, v1, v4
	v_cmp_eq_u32_e64 s[2:3], v1, v4
	s_and_saveexec_b64 s[14:15], s[2:3]
	s_cbranch_execz .LBB112_26
; %bb.28:                               ;   in Loop: Header=BB112_27 Depth=2
	s_cmp_eq_u32 s12, 1
	s_cselect_b64 s[2:3], -1, 0
	s_cmp_eq_u32 s12, 2
	v_cndmask_b32_e64 v8, v12, v11, s[2:3]
	s_cselect_b64 s[2:3], -1, 0
	s_cmp_eq_u32 s12, 3
	v_cndmask_b32_e64 v8, v8, v14, s[2:3]
	;; [unrolled: 3-line block ×5, first 2 shown]
	s_cselect_b64 s[2:3], -1, 0
	v_cndmask_b32_e64 v8, v8, v17, s[2:3]
	v_add_f32_e32 v5, v5, v8
	global_store_dword v[6:7], v1, off
	s_branch .LBB112_26
.LBB112_29:
	s_waitcnt lgkmcnt(0)
	s_load_dword s6, s[0:1], 0x3c
	s_waitcnt lgkmcnt(0)
	s_bitcmp1_b32 s6, 0
	s_cselect_b64 s[2:3], -1, 0
	s_bitcmp0_b32 s6, 0
	s_cbranch_scc0 .LBB112_33
; %bb.30:
	s_load_dwordx2 s[6:7], s[0:1], 0x40
	s_andn2_b64 vcc, exec, s[2:3]
	s_waitcnt lgkmcnt(0)
	v_cvt_f32_f64_e32 v18, s[6:7]
	s_cbranch_vccz .LBB112_34
.LBB112_31:
	s_andn2_b64 vcc, exec, s[4:5]
	s_cbranch_vccz .LBB112_35
.LBB112_32:
	s_endpgm
.LBB112_33:
	v_mbcnt_lo_u32_b32 v1, -1, 0
	v_mbcnt_hi_u32_b32 v1, -1, v1
	v_and_b32_e32 v4, 64, v1
	v_add_u32_e32 v4, 64, v4
	v_xor_b32_e32 v6, 32, v1
	v_cmp_lt_i32_e32 vcc, v6, v4
	v_xor_b32_e32 v7, 16, v1
	s_nop 0
	v_cndmask_b32_e32 v6, v1, v6, vcc
	v_lshlrev_b32_e32 v6, 2, v6
	ds_bpermute_b32 v6, v6, v5
	v_cmp_lt_i32_e32 vcc, v7, v4
	s_waitcnt lgkmcnt(0)
	v_add_f32_e32 v5, v5, v6
	v_cndmask_b32_e32 v6, v1, v7, vcc
	v_lshlrev_b32_e32 v6, 2, v6
	ds_bpermute_b32 v6, v6, v5
	v_xor_b32_e32 v7, 8, v1
	v_cmp_lt_i32_e32 vcc, v7, v4
	s_waitcnt lgkmcnt(0)
	v_add_f32_e32 v5, v5, v6
	v_cndmask_b32_e32 v6, v1, v7, vcc
	v_lshlrev_b32_e32 v6, 2, v6
	ds_bpermute_b32 v6, v6, v5
	v_xor_b32_e32 v7, 4, v1
	;; [unrolled: 7-line block ×4, first 2 shown]
	v_cmp_lt_i32_e32 vcc, v7, v4
	s_waitcnt lgkmcnt(0)
	v_add_f32_e32 v5, v5, v6
	v_cndmask_b32_e32 v1, v1, v7, vcc
	v_lshlrev_b32_e32 v1, 2, v1
	ds_bpermute_b32 v1, v1, v5
	s_waitcnt lgkmcnt(0)
	v_add_f32_e32 v5, v5, v1
	s_load_dwordx2 s[6:7], s[0:1], 0x40
	s_andn2_b64 vcc, exec, s[2:3]
	s_waitcnt lgkmcnt(0)
	v_cvt_f32_f64_e32 v18, s[6:7]
	s_cbranch_vccnz .LBB112_31
.LBB112_34:
	v_cmp_lt_f32_e32 vcc, 0, v5
	s_nop 1
	v_cndmask_b32_e32 v1, 1.0, v5, vcc
	v_div_scale_f32 v4, s[2:3], v1, v1, v18
	v_rcp_f32_e32 v5, v4
	s_nop 0
	v_fma_f32 v6, -v4, v5, 1.0
	v_fmac_f32_e32 v5, v6, v5
	v_div_scale_f32 v6, vcc, v18, v1, v18
	v_mul_f32_e32 v7, v6, v5
	v_fma_f32 v8, -v4, v7, v6
	v_fmac_f32_e32 v7, v8, v5
	v_fma_f32 v4, -v4, v7, v6
	v_div_fmas_f32 v4, v4, v5, v7
	v_div_fixup_f32 v18, v4, v1, v18
	s_andn2_b64 vcc, exec, s[4:5]
	s_cbranch_vccnz .LBB112_32
.LBB112_35:
	s_load_dwordx2 s[10:11], s[0:1], 0x10
	v_or_b32_e32 v24, 64, v10
	v_or_b32_e32 v23, 0x80, v10
	;; [unrolled: 1-line block ×6, first 2 shown]
	s_cmp_eq_u32 s28, 1
	s_mov_b32 s12, 0
	s_cbranch_scc1 .LBB112_66
; %bb.36:
	v_ashrrev_i32_e32 v1, 31, v0
	s_waitcnt lgkmcnt(0)
	v_lshl_add_u64 v[4:5], v[0:1], 2, s[10:11]
	s_and_b32 s12, s28, 0x7ffffffe
	v_lshl_add_u64 v[4:5], v[4:5], 0, 4
	v_lshl_add_u64 v[6:7], v[2:3], 0, 4
	s_mov_b32 s13, 0
	s_branch .LBB112_38
.LBB112_37:                             ;   in Loop: Header=BB112_38 Depth=1
	s_or_b64 exec, exec, s[0:1]
	s_add_i32 s13, s13, 2
	v_lshl_add_u64 v[4:5], v[4:5], 0, 8
	s_cmp_lg_u32 s12, s13
	v_lshl_add_u64 v[6:7], v[6:7], 0, 8
	s_cbranch_scc0 .LBB112_66
.LBB112_38:                             ; =>This Inner Loop Header: Depth=1
	global_load_dword v1, v[6:7], off offset:-4
	v_mov_b64_e32 v[8:9], 0
	s_waitcnt vmcnt(0)
	v_cmp_eq_u32_e32 vcc, v1, v10
	v_cmp_ne_u32_e64 s[0:1], v1, v10
	s_and_saveexec_b64 s[14:15], s[0:1]
	s_cbranch_execz .LBB112_50
; %bb.39:                               ;   in Loop: Header=BB112_38 Depth=1
	v_cmp_eq_u32_e64 s[0:1], v1, v24
	v_cmp_ne_u32_e64 s[2:3], v1, v24
	v_mov_b64_e32 v[8:9], 1
	s_and_saveexec_b64 s[16:17], s[2:3]
	s_cbranch_execz .LBB112_49
; %bb.40:                               ;   in Loop: Header=BB112_38 Depth=1
	v_cmp_eq_u32_e64 s[2:3], v1, v23
	v_cmp_ne_u32_e64 s[4:5], v1, v23
	v_mov_b64_e32 v[8:9], 2
	s_and_saveexec_b64 s[18:19], s[4:5]
	s_cbranch_execz .LBB112_48
; %bb.41:                               ;   in Loop: Header=BB112_38 Depth=1
	v_cmp_eq_u32_e64 s[4:5], v1, v22
	v_cmp_ne_u32_e64 s[6:7], v1, v22
	v_mov_b64_e32 v[8:9], 3
	s_and_saveexec_b64 s[20:21], s[6:7]
	s_cbranch_execz .LBB112_47
; %bb.42:                               ;   in Loop: Header=BB112_38 Depth=1
	v_cmp_eq_u32_e64 s[6:7], v1, v21
	v_cmp_ne_u32_e64 s[8:9], v1, v21
	v_mov_b64_e32 v[8:9], 4
	s_and_saveexec_b64 s[22:23], s[8:9]
	s_cbranch_execz .LBB112_46
; %bb.43:                               ;   in Loop: Header=BB112_38 Depth=1
	v_cmp_eq_u32_e64 s[24:25], v1, v20
	v_cmp_ne_u32_e64 s[8:9], v1, v20
	v_mov_b64_e32 v[8:9], 5
	s_and_saveexec_b64 s[26:27], s[8:9]
	s_xor_b64 s[26:27], exec, s[26:27]
; %bb.44:                               ;   in Loop: Header=BB112_38 Depth=1
	v_cmp_eq_u32_e64 s[8:9], v1, v19
	s_andn2_b64 s[24:25], s[24:25], exec
	s_and_b64 s[8:9], s[8:9], exec
	v_mov_b64_e32 v[8:9], 6
	s_or_b64 s[24:25], s[24:25], s[8:9]
; %bb.45:                               ;   in Loop: Header=BB112_38 Depth=1
	s_or_b64 exec, exec, s[26:27]
	s_andn2_b64 s[6:7], s[6:7], exec
	s_and_b64 s[8:9], s[24:25], exec
	s_or_b64 s[6:7], s[6:7], s[8:9]
.LBB112_46:                             ;   in Loop: Header=BB112_38 Depth=1
	s_or_b64 exec, exec, s[22:23]
	s_andn2_b64 s[4:5], s[4:5], exec
	s_and_b64 s[6:7], s[6:7], exec
	s_or_b64 s[4:5], s[4:5], s[6:7]
.LBB112_47:                             ;   in Loop: Header=BB112_38 Depth=1
	s_or_b64 exec, exec, s[20:21]
	s_andn2_b64 s[2:3], s[2:3], exec
	s_and_b64 s[4:5], s[4:5], exec
	s_or_b64 s[2:3], s[2:3], s[4:5]
.LBB112_48:                             ;   in Loop: Header=BB112_38 Depth=1
	s_or_b64 exec, exec, s[18:19]
	s_andn2_b64 s[0:1], s[0:1], exec
	s_and_b64 s[2:3], s[2:3], exec
	s_or_b64 s[0:1], s[0:1], s[2:3]
.LBB112_49:                             ;   in Loop: Header=BB112_38 Depth=1
	s_or_b64 exec, exec, s[16:17]
	s_andn2_b64 s[2:3], vcc, exec
	s_and_b64 s[0:1], s[0:1], exec
	s_or_b64 vcc, s[2:3], s[0:1]
.LBB112_50:                             ;   in Loop: Header=BB112_38 Depth=1
	s_or_b64 exec, exec, s[14:15]
	s_and_saveexec_b64 s[0:1], vcc
	s_cbranch_execz .LBB112_52
; %bb.51:                               ;   in Loop: Header=BB112_38 Depth=1
	v_cmp_eq_u32_e32 vcc, 1, v8
	v_add_u32_e32 v26, s13, v0
	v_ashrrev_i32_e32 v27, 31, v26
	v_cndmask_b32_e32 v1, v12, v11, vcc
	v_cmp_eq_u32_e32 vcc, 2, v8
	s_nop 1
	v_cndmask_b32_e32 v1, v1, v14, vcc
	v_cmp_eq_u32_e32 vcc, 3, v8
	s_nop 1
	;; [unrolled: 3-line block ×4, first 2 shown]
	v_cndmask_b32_e32 v1, v1, v15, vcc
	v_cmp_eq_u32_e32 vcc, 6, v8
	v_lshl_add_u64 v[8:9], v[26:27], 2, s[10:11]
	s_nop 0
	v_cndmask_b32_e32 v1, v1, v17, vcc
	v_mul_f32_e32 v1, v18, v1
	global_store_dword v[8:9], v1, off
.LBB112_52:                             ;   in Loop: Header=BB112_38 Depth=1
	s_or_b64 exec, exec, s[0:1]
	global_load_dword v1, v[6:7], off
	v_mov_b64_e32 v[8:9], 0
	s_waitcnt vmcnt(0)
	v_cmp_eq_u32_e64 s[6:7], v1, v10
	v_cmp_ne_u32_e32 vcc, v1, v10
	s_and_saveexec_b64 s[8:9], vcc
	s_cbranch_execz .LBB112_64
; %bb.53:                               ;   in Loop: Header=BB112_38 Depth=1
	v_cmp_eq_u32_e32 vcc, v1, v24
	v_cmp_ne_u32_e64 s[0:1], v1, v24
	v_mov_b64_e32 v[8:9], 1
	s_and_saveexec_b64 s[14:15], s[0:1]
	s_cbranch_execz .LBB112_63
; %bb.54:                               ;   in Loop: Header=BB112_38 Depth=1
	v_cmp_eq_u32_e64 s[0:1], v1, v23
	v_cmp_ne_u32_e64 s[2:3], v1, v23
	v_mov_b64_e32 v[8:9], 2
	s_and_saveexec_b64 s[16:17], s[2:3]
	s_cbranch_execz .LBB112_62
; %bb.55:                               ;   in Loop: Header=BB112_38 Depth=1
	v_cmp_eq_u32_e64 s[2:3], v1, v22
	;; [unrolled: 6-line block ×4, first 2 shown]
	v_cmp_ne_u32_e64 s[4:5], v1, v20
	v_mov_b64_e32 v[8:9], 5
	s_and_saveexec_b64 s[26:27], s[4:5]
; %bb.58:                               ;   in Loop: Header=BB112_38 Depth=1
	v_cmp_eq_u32_e64 s[4:5], v1, v19
	s_andn2_b64 s[24:25], s[24:25], exec
	s_and_b64 s[4:5], s[4:5], exec
	v_mov_b64_e32 v[8:9], 6
	s_or_b64 s[24:25], s[24:25], s[4:5]
; %bb.59:                               ;   in Loop: Header=BB112_38 Depth=1
	s_or_b64 exec, exec, s[26:27]
	s_andn2_b64 s[4:5], s[20:21], exec
	s_and_b64 s[20:21], s[24:25], exec
	s_or_b64 s[20:21], s[4:5], s[20:21]
.LBB112_60:                             ;   in Loop: Header=BB112_38 Depth=1
	s_or_b64 exec, exec, s[22:23]
	s_andn2_b64 s[2:3], s[2:3], exec
	s_and_b64 s[4:5], s[20:21], exec
	s_or_b64 s[2:3], s[2:3], s[4:5]
.LBB112_61:                             ;   in Loop: Header=BB112_38 Depth=1
	s_or_b64 exec, exec, s[18:19]
	s_andn2_b64 s[0:1], s[0:1], exec
	s_and_b64 s[2:3], s[2:3], exec
	s_or_b64 s[0:1], s[0:1], s[2:3]
.LBB112_62:                             ;   in Loop: Header=BB112_38 Depth=1
	s_or_b64 exec, exec, s[16:17]
	s_andn2_b64 s[2:3], vcc, exec
	s_and_b64 s[0:1], s[0:1], exec
	s_or_b64 vcc, s[2:3], s[0:1]
.LBB112_63:                             ;   in Loop: Header=BB112_38 Depth=1
	s_or_b64 exec, exec, s[14:15]
	s_andn2_b64 s[0:1], s[6:7], exec
	s_and_b64 s[2:3], vcc, exec
	s_or_b64 s[6:7], s[0:1], s[2:3]
.LBB112_64:                             ;   in Loop: Header=BB112_38 Depth=1
	s_or_b64 exec, exec, s[8:9]
	s_and_saveexec_b64 s[0:1], s[6:7]
	s_cbranch_execz .LBB112_37
; %bb.65:                               ;   in Loop: Header=BB112_38 Depth=1
	v_cmp_eq_u32_e32 vcc, 1, v8
	s_nop 1
	v_cndmask_b32_e32 v1, v12, v11, vcc
	v_cmp_eq_u32_e32 vcc, 2, v8
	s_nop 1
	v_cndmask_b32_e32 v1, v1, v14, vcc
	;; [unrolled: 3-line block ×6, first 2 shown]
	v_mul_f32_e32 v1, v18, v1
	global_store_dword v[4:5], v1, off
	s_branch .LBB112_37
.LBB112_66:
	s_bitcmp0_b32 s28, 0
	s_mov_b32 s13, 0
	s_cbranch_scc1 .LBB112_32
; %bb.67:
	v_lshl_add_u64 v[2:3], s[12:13], 2, v[2:3]
	global_load_dword v1, v[2:3], off
	v_mov_b64_e32 v[2:3], 0
	s_waitcnt vmcnt(0)
	v_cmp_eq_u32_e64 s[6:7], v1, v10
	v_cmp_ne_u32_e32 vcc, v1, v10
	s_and_saveexec_b64 s[8:9], vcc
	s_cbranch_execz .LBB112_79
; %bb.68:
	v_cmp_eq_u32_e32 vcc, v1, v24
	v_cmp_ne_u32_e64 s[0:1], v1, v24
	v_mov_b64_e32 v[2:3], 1
	s_and_saveexec_b64 s[14:15], s[0:1]
	s_cbranch_execz .LBB112_78
; %bb.69:
	v_cmp_eq_u32_e64 s[0:1], v1, v23
	v_cmp_ne_u32_e64 s[2:3], v1, v23
	v_mov_b64_e32 v[2:3], 2
	s_and_saveexec_b64 s[16:17], s[2:3]
	s_cbranch_execz .LBB112_77
; %bb.70:
	v_cmp_eq_u32_e64 s[2:3], v1, v22
	v_cmp_ne_u32_e64 s[4:5], v1, v22
	v_mov_b64_e32 v[2:3], 3
	s_and_saveexec_b64 s[18:19], s[4:5]
	s_cbranch_execz .LBB112_76
; %bb.71:
	v_cmp_eq_u32_e64 s[20:21], v1, v21
	v_cmp_ne_u32_e64 s[4:5], v1, v21
	v_mov_b64_e32 v[2:3], 4
	s_and_saveexec_b64 s[22:23], s[4:5]
	s_cbranch_execz .LBB112_75
; %bb.72:
	v_cmp_eq_u32_e64 s[24:25], v1, v20
	v_cmp_ne_u32_e64 s[4:5], v1, v20
	v_mov_b64_e32 v[2:3], 5
	s_and_saveexec_b64 s[26:27], s[4:5]
; %bb.73:
	v_cmp_eq_u32_e64 s[4:5], v1, v19
	s_andn2_b64 s[24:25], s[24:25], exec
	s_and_b64 s[4:5], s[4:5], exec
	v_mov_b64_e32 v[2:3], 6
	s_or_b64 s[24:25], s[24:25], s[4:5]
; %bb.74:
	s_or_b64 exec, exec, s[26:27]
	s_andn2_b64 s[4:5], s[20:21], exec
	s_and_b64 s[20:21], s[24:25], exec
	s_or_b64 s[20:21], s[4:5], s[20:21]
.LBB112_75:
	s_or_b64 exec, exec, s[22:23]
	s_andn2_b64 s[2:3], s[2:3], exec
	s_and_b64 s[4:5], s[20:21], exec
	s_or_b64 s[2:3], s[2:3], s[4:5]
.LBB112_76:
	s_or_b64 exec, exec, s[18:19]
	s_andn2_b64 s[0:1], s[0:1], exec
	s_and_b64 s[2:3], s[2:3], exec
	s_or_b64 s[0:1], s[0:1], s[2:3]
.LBB112_77:
	s_or_b64 exec, exec, s[16:17]
	s_andn2_b64 s[2:3], vcc, exec
	s_and_b64 s[0:1], s[0:1], exec
	s_or_b64 vcc, s[2:3], s[0:1]
.LBB112_78:
	s_or_b64 exec, exec, s[14:15]
	s_andn2_b64 s[0:1], s[6:7], exec
	s_and_b64 s[2:3], vcc, exec
	s_or_b64 s[6:7], s[0:1], s[2:3]
.LBB112_79:
	s_or_b64 exec, exec, s[8:9]
	s_and_b64 exec, exec, s[6:7]
	s_cbranch_execz .LBB112_32
; %bb.80:
	v_cmp_eq_u32_e32 vcc, 1, v2
	v_add_u32_e32 v0, s12, v0
	s_nop 0
	v_cndmask_b32_e32 v1, v12, v11, vcc
	v_cmp_eq_u32_e32 vcc, 2, v2
	s_nop 1
	v_cndmask_b32_e32 v1, v1, v14, vcc
	v_cmp_eq_u32_e32 vcc, 3, v2
	;; [unrolled: 3-line block ×5, first 2 shown]
	s_nop 1
	v_cndmask_b32_e32 v1, v1, v17, vcc
	v_mul_f32_e32 v2, v18, v1
	v_ashrrev_i32_e32 v1, 31, v0
	s_waitcnt lgkmcnt(0)
	v_lshl_add_u64 v[0:1], v[0:1], 2, s[10:11]
	global_store_dword v[0:1], v2, off
	s_endpgm
	.section	.rodata,"a",@progbits
	.p2align	6, 0x0
	.amdhsa_kernel _ZN4vllm3moe22topkGatingSoftplusSqrtILi7ELi448ELi4ELi4ELi64ELb1EjfEEvPKT6_PKbPfiPT5_PiiiibdPKfPKS8_SE_
		.amdhsa_group_segment_fixed_size 0
		.amdhsa_private_segment_fixed_size 0
		.amdhsa_kernarg_size 96
		.amdhsa_user_sgpr_count 2
		.amdhsa_user_sgpr_dispatch_ptr 0
		.amdhsa_user_sgpr_queue_ptr 0
		.amdhsa_user_sgpr_kernarg_segment_ptr 1
		.amdhsa_user_sgpr_dispatch_id 0
		.amdhsa_user_sgpr_kernarg_preload_length 0
		.amdhsa_user_sgpr_kernarg_preload_offset 0
		.amdhsa_user_sgpr_private_segment_size 0
		.amdhsa_uses_dynamic_stack 0
		.amdhsa_enable_private_segment 0
		.amdhsa_system_sgpr_workgroup_id_x 1
		.amdhsa_system_sgpr_workgroup_id_y 0
		.amdhsa_system_sgpr_workgroup_id_z 0
		.amdhsa_system_sgpr_workgroup_info 0
		.amdhsa_system_vgpr_workitem_id 1
		.amdhsa_next_free_vgpr 28
		.amdhsa_next_free_sgpr 29
		.amdhsa_accum_offset 28
		.amdhsa_reserve_vcc 1
		.amdhsa_float_round_mode_32 0
		.amdhsa_float_round_mode_16_64 0
		.amdhsa_float_denorm_mode_32 3
		.amdhsa_float_denorm_mode_16_64 3
		.amdhsa_dx10_clamp 1
		.amdhsa_ieee_mode 1
		.amdhsa_fp16_overflow 0
		.amdhsa_tg_split 0
		.amdhsa_exception_fp_ieee_invalid_op 0
		.amdhsa_exception_fp_denorm_src 0
		.amdhsa_exception_fp_ieee_div_zero 0
		.amdhsa_exception_fp_ieee_overflow 0
		.amdhsa_exception_fp_ieee_underflow 0
		.amdhsa_exception_fp_ieee_inexact 0
		.amdhsa_exception_int_div_zero 0
	.end_amdhsa_kernel
	.section	.text._ZN4vllm3moe22topkGatingSoftplusSqrtILi7ELi448ELi4ELi4ELi64ELb1EjfEEvPKT6_PKbPfiPT5_PiiiibdPKfPKS8_SE_,"axG",@progbits,_ZN4vllm3moe22topkGatingSoftplusSqrtILi7ELi448ELi4ELi4ELi64ELb1EjfEEvPKT6_PKbPfiPT5_PiiiibdPKfPKS8_SE_,comdat
.Lfunc_end112:
	.size	_ZN4vllm3moe22topkGatingSoftplusSqrtILi7ELi448ELi4ELi4ELi64ELb1EjfEEvPKT6_PKbPfiPT5_PiiiibdPKfPKS8_SE_, .Lfunc_end112-_ZN4vllm3moe22topkGatingSoftplusSqrtILi7ELi448ELi4ELi4ELi64ELb1EjfEEvPKT6_PKbPfiPT5_PiiiibdPKfPKS8_SE_
                                        ; -- End function
	.section	.AMDGPU.csdata,"",@progbits
; Kernel info:
; codeLenInByte = 4816
; NumSgprs: 35
; NumVgprs: 28
; NumAgprs: 0
; TotalNumVgprs: 28
; ScratchSize: 0
; MemoryBound: 0
; FloatMode: 240
; IeeeMode: 1
; LDSByteSize: 0 bytes/workgroup (compile time only)
; SGPRBlocks: 4
; VGPRBlocks: 3
; NumSGPRsForWavesPerEU: 35
; NumVGPRsForWavesPerEU: 28
; AccumOffset: 28
; Occupancy: 8
; WaveLimiterHint : 1
; COMPUTE_PGM_RSRC2:SCRATCH_EN: 0
; COMPUTE_PGM_RSRC2:USER_SGPR: 2
; COMPUTE_PGM_RSRC2:TRAP_HANDLER: 0
; COMPUTE_PGM_RSRC2:TGID_X_EN: 1
; COMPUTE_PGM_RSRC2:TGID_Y_EN: 0
; COMPUTE_PGM_RSRC2:TGID_Z_EN: 0
; COMPUTE_PGM_RSRC2:TIDIG_COMP_CNT: 1
; COMPUTE_PGM_RSRC3_GFX90A:ACCUM_OFFSET: 6
; COMPUTE_PGM_RSRC3_GFX90A:TG_SPLIT: 0
	.section	.text._ZN4vllm3moe22topkGatingSoftplusSqrtILi7ELi448ELi4ELi4ELi64ELb0EjfEEvPKT6_PKbPfiPT5_PiiiibdPKfPKS8_SE_,"axG",@progbits,_ZN4vllm3moe22topkGatingSoftplusSqrtILi7ELi448ELi4ELi4ELi64ELb0EjfEEvPKT6_PKbPfiPT5_PiiiibdPKfPKS8_SE_,comdat
	.protected	_ZN4vllm3moe22topkGatingSoftplusSqrtILi7ELi448ELi4ELi4ELi64ELb0EjfEEvPKT6_PKbPfiPT5_PiiiibdPKfPKS8_SE_ ; -- Begin function _ZN4vllm3moe22topkGatingSoftplusSqrtILi7ELi448ELi4ELi4ELi64ELb0EjfEEvPKT6_PKbPfiPT5_PiiiibdPKfPKS8_SE_
	.globl	_ZN4vllm3moe22topkGatingSoftplusSqrtILi7ELi448ELi4ELi4ELi64ELb0EjfEEvPKT6_PKbPfiPT5_PiiiibdPKfPKS8_SE_
	.p2align	8
	.type	_ZN4vllm3moe22topkGatingSoftplusSqrtILi7ELi448ELi4ELi4ELi64ELb0EjfEEvPKT6_PKbPfiPT5_PiiiibdPKfPKS8_SE_,@function
_ZN4vllm3moe22topkGatingSoftplusSqrtILi7ELi448ELi4ELi4ELi64ELb0EjfEEvPKT6_PKbPfiPT5_PiiiibdPKfPKS8_SE_: ; @_ZN4vllm3moe22topkGatingSoftplusSqrtILi7ELi448ELi4ELi4ELi64ELb0EjfEEvPKT6_PKbPfiPT5_PiiiibdPKfPKS8_SE_
; %bb.0:
	s_load_dword s30, s[0:1], 0x18
	v_and_b32_e32 v1, 0x3ff, v0
	s_lshl_b32 s2, s2, 2
	v_lshrrev_b32_e32 v2, 6, v1
	v_bfe_u32 v0, v0, 10, 10
	v_add3_u32 v8, s2, v0, v2
	s_waitcnt lgkmcnt(0)
	v_cmp_gt_i32_e32 vcc, s30, v8
	s_and_saveexec_b64 s[2:3], vcc
	s_cbranch_execz .LBB113_63
; %bb.1:
	s_load_dwordx4 s[4:7], s[0:1], 0x0
	s_load_dwordx2 s[20:21], s[0:1], 0x10
	s_waitcnt lgkmcnt(0)
	s_cmp_eq_u64 s[6:7], 0
	s_cbranch_scc1 .LBB113_3
; %bb.2:
	v_ashrrev_i32_e32 v9, 31, v8
	v_lshl_add_u64 v[2:3], s[6:7], 0, v[8:9]
	global_load_ubyte v0, v[2:3], off
	s_waitcnt vmcnt(0)
	v_and_b32_e32 v0, 1, v0
	v_cmp_eq_u32_e32 vcc, 1, v0
	s_xor_b64 s[2:3], vcc, -1
	s_orn2_b64 s[22:23], s[2:3], exec
	s_branch .LBB113_4
.LBB113_3:
	s_mov_b64 s[22:23], -1
.LBB113_4:
	s_movk_i32 s2, 0x1c0
	v_mul_lo_u32 v4, v8, s2
	v_mov_b32_e32 v2, s4
	v_mov_b32_e32 v3, s5
	v_ashrrev_i32_e32 v5, 31, v4
	v_and_b32_e32 v10, 63, v1
	v_lshl_add_u64 v[2:3], v[4:5], 2, v[2:3]
	v_mov_b32_e32 v13, 0
	v_lshlrev_b32_e32 v12, 2, v10
	v_lshl_add_u64 v[14:15], v[2:3], 0, v[12:13]
	global_load_dword v0, v[14:15], off
	global_load_dword v1, v[14:15], off offset:256
	global_load_dword v2, v[14:15], off offset:512
	;; [unrolled: 1-line block ×6, first 2 shown]
	s_mov_b32 s16, 0x800000
	v_mov_b32_e32 v11, 0x4f800000
	s_mov_b32 s13, 0x3f317217
	s_mov_b32 s14, 0x7f800000
	v_mov_b32_e32 v9, 0x41b17218
	s_mov_b32 s12, 0x41a00000
	s_mov_b32 s15, 0xf800000
	s_load_dwordx4 s[8:11], s[0:1], 0x40
	s_waitcnt lgkmcnt(0)
	s_cmp_lg_u64 s[10:11], 0
	s_cselect_b64 s[6:7], -1, 0
	s_and_b64 s[2:3], exec, s[6:7]
	s_waitcnt vmcnt(6)
	v_mul_f32_e32 v7, 0x3fb8aa3b, v0
	v_exp_f32_e32 v7, v7
	s_nop 0
	v_add_f32_e32 v7, 1.0, v7
	v_cmp_gt_f32_e32 vcc, s16, v7
	s_nop 1
	v_cndmask_b32_e32 v13, 1.0, v11, vcc
	v_mul_f32_e32 v7, v7, v13
	v_log_f32_e32 v13, v7
	v_cndmask_b32_e32 v14, 0, v9, vcc
	v_mov_b32_e32 v7, 0x260
	v_mul_f32_e32 v15, 0x3f317217, v13
	v_fma_f32 v15, v13, s13, -v15
	v_fmac_f32_e32 v15, 0x3377d1cf, v13
	v_fmac_f32_e32 v15, 0x3f317217, v13
	v_cmp_lt_f32_e64 vcc, |v13|, s14
	s_nop 1
	v_cndmask_b32_e32 v13, v13, v15, vcc
	v_sub_f32_e32 v13, v13, v14
	v_cmp_lt_f32_e32 vcc, s12, v0
	s_nop 1
	v_cndmask_b32_e32 v0, v13, v0, vcc
	v_mul_f32_e32 v13, 0x4f800000, v0
	v_cmp_gt_f32_e32 vcc, s15, v0
	s_nop 1
	v_cndmask_b32_e32 v0, v0, v13, vcc
	v_sqrt_f32_e32 v13, v0
	s_nop 0
	v_add_u32_e32 v14, -1, v13
	v_add_u32_e32 v15, 1, v13
	v_fma_f32 v16, -v14, v13, v0
	v_fma_f32 v17, -v15, v13, v0
	v_cmp_ge_f32_e64 s[4:5], 0, v16
	s_nop 1
	v_cndmask_b32_e64 v13, v13, v14, s[4:5]
	v_cmp_lt_f32_e64 s[4:5], 0, v17
	s_nop 1
	v_cndmask_b32_e64 v13, v13, v15, s[4:5]
	v_mul_f32_e32 v14, 0x37800000, v13
	v_cndmask_b32_e32 v13, v13, v14, vcc
	v_cmp_class_f32_e32 vcc, v0, v7
	s_nop 1
	v_cndmask_b32_e32 v0, v13, v0, vcc
	s_mov_b64 vcc, s[2:3]
	s_cbranch_vccz .LBB113_6
; %bb.5:
	global_load_dword v13, v12, s[10:11]
	s_waitcnt vmcnt(0)
	v_add_f32_e32 v0, v0, v13
.LBB113_6:
	s_waitcnt vmcnt(5)
	v_mul_f32_e32 v13, 0x3fb8aa3b, v1
	v_exp_f32_e32 v13, v13
	s_nop 0
	v_add_f32_e32 v13, 1.0, v13
	v_cmp_gt_f32_e32 vcc, s16, v13
	s_nop 1
	v_cndmask_b32_e32 v11, 1.0, v11, vcc
	v_mul_f32_e32 v11, v13, v11
	v_log_f32_e32 v11, v11
	v_cndmask_b32_e32 v9, 0, v9, vcc
	v_mul_f32_e32 v13, 0x3f317217, v11
	v_fma_f32 v13, v11, s13, -v13
	v_fmac_f32_e32 v13, 0x3377d1cf, v11
	v_fmac_f32_e32 v13, 0x3f317217, v11
	v_cmp_lt_f32_e64 vcc, |v11|, s14
	s_nop 1
	v_cndmask_b32_e32 v11, v11, v13, vcc
	v_sub_f32_e32 v9, v11, v9
	v_cmp_lt_f32_e32 vcc, s12, v1
	s_nop 1
	v_cndmask_b32_e32 v1, v9, v1, vcc
	v_mul_f32_e32 v9, 0x4f800000, v1
	v_cmp_gt_f32_e32 vcc, s15, v1
	s_nop 1
	v_cndmask_b32_e32 v1, v1, v9, vcc
	v_sqrt_f32_e32 v9, v1
	v_cmp_class_f32_e64 s[4:5], v1, v7
	v_add_u32_e32 v11, -1, v9
	v_add_u32_e32 v13, 1, v9
	v_fma_f32 v14, -v11, v9, v1
	v_fma_f32 v15, -v13, v9, v1
	v_cmp_ge_f32_e64 s[2:3], 0, v14
	s_nop 1
	v_cndmask_b32_e64 v9, v9, v11, s[2:3]
	v_cmp_lt_f32_e64 s[2:3], 0, v15
	s_nop 1
	v_cndmask_b32_e64 v9, v9, v13, s[2:3]
	v_mul_f32_e32 v11, 0x37800000, v9
	v_cndmask_b32_e32 v9, v9, v11, vcc
	v_cndmask_b32_e64 v11, 0, 1, s[6:7]
	v_cmp_ne_u32_e64 s[2:3], 1, v11
	s_andn2_b64 vcc, exec, s[6:7]
	v_cndmask_b32_e64 v1, v9, v1, s[4:5]
	s_cbranch_vccnz .LBB113_8
; %bb.7:
	global_load_dword v7, v12, s[10:11] offset:256
	s_waitcnt vmcnt(0)
	v_add_f32_e32 v1, v1, v7
.LBB113_8:
	s_waitcnt vmcnt(4)
	v_mul_f32_e32 v7, 0x3fb8aa3b, v2
	v_exp_f32_e32 v7, v7
	s_mov_b32 s14, 0x800000
	v_mov_b32_e32 v9, 0x4f800000
	s_mov_b32 s7, 0x3f317217
	v_add_f32_e32 v7, 1.0, v7
	v_cmp_gt_f32_e32 vcc, s14, v7
	s_mov_b32 s12, 0x7f800000
	s_mov_b32 s6, 0x41a00000
	v_cndmask_b32_e32 v11, 1.0, v9, vcc
	v_mul_f32_e32 v7, v7, v11
	v_log_f32_e32 v7, v7
	s_mov_b32 s13, 0xf800000
	v_mul_f32_e32 v11, 0x3f317217, v7
	v_fma_f32 v11, v7, s7, -v11
	v_fmac_f32_e32 v11, 0x3377d1cf, v7
	v_fmac_f32_e32 v11, 0x3f317217, v7
	v_cmp_lt_f32_e64 s[4:5], |v7|, s12
	s_nop 1
	v_cndmask_b32_e64 v7, v7, v11, s[4:5]
	v_mov_b32_e32 v11, 0x41b17218
	v_cndmask_b32_e32 v13, 0, v11, vcc
	v_sub_f32_e32 v7, v7, v13
	v_cmp_lt_f32_e32 vcc, s6, v2
	s_nop 1
	v_cndmask_b32_e32 v2, v7, v2, vcc
	v_mul_f32_e32 v7, 0x4f800000, v2
	v_cmp_gt_f32_e32 vcc, s13, v2
	s_nop 1
	v_cndmask_b32_e32 v2, v2, v7, vcc
	v_sqrt_f32_e32 v7, v2
	s_nop 0
	v_add_u32_e32 v13, -1, v7
	v_fma_f32 v14, -v13, v7, v2
	v_cmp_ge_f32_e64 s[4:5], 0, v14
	v_add_u32_e32 v14, 1, v7
	s_nop 0
	v_cndmask_b32_e64 v13, v7, v13, s[4:5]
	v_fma_f32 v7, -v14, v7, v2
	v_cmp_lt_f32_e64 s[4:5], 0, v7
	s_nop 1
	v_cndmask_b32_e64 v7, v13, v14, s[4:5]
	v_mul_f32_e32 v13, 0x37800000, v7
	v_cndmask_b32_e32 v13, v7, v13, vcc
	v_mov_b32_e32 v7, 0x260
	v_cmp_class_f32_e64 s[4:5], v2, v7
	s_and_b64 vcc, exec, s[2:3]
	s_nop 0
	v_cndmask_b32_e64 v2, v13, v2, s[4:5]
	s_cbranch_vccnz .LBB113_10
; %bb.9:
	global_load_dword v13, v12, s[10:11] offset:512
	s_waitcnt vmcnt(0)
	v_add_f32_e32 v2, v2, v13
.LBB113_10:
	s_waitcnt vmcnt(3)
	v_mul_f32_e32 v13, 0x3fb8aa3b, v3
	v_exp_f32_e32 v13, v13
	s_nop 0
	v_add_f32_e32 v13, 1.0, v13
	v_cmp_gt_f32_e32 vcc, s14, v13
	s_nop 1
	v_cndmask_b32_e32 v9, 1.0, v9, vcc
	v_mul_f32_e32 v9, v13, v9
	v_log_f32_e32 v9, v9
	v_cndmask_b32_e32 v11, 0, v11, vcc
	v_mul_f32_e32 v13, 0x3f317217, v9
	v_fma_f32 v13, v9, s7, -v13
	v_fmac_f32_e32 v13, 0x3377d1cf, v9
	v_fmac_f32_e32 v13, 0x3f317217, v9
	v_cmp_lt_f32_e64 vcc, |v9|, s12
	s_nop 1
	v_cndmask_b32_e32 v9, v9, v13, vcc
	v_sub_f32_e32 v9, v9, v11
	v_cmp_lt_f32_e32 vcc, s6, v3
	s_nop 1
	v_cndmask_b32_e32 v3, v9, v3, vcc
	v_mul_f32_e32 v9, 0x4f800000, v3
	v_cmp_gt_f32_e32 vcc, s13, v3
	s_nop 1
	v_cndmask_b32_e32 v3, v3, v9, vcc
	v_sqrt_f32_e32 v9, v3
	s_nop 0
	v_add_u32_e32 v11, -1, v9
	v_add_u32_e32 v13, 1, v9
	v_fma_f32 v14, -v11, v9, v3
	v_fma_f32 v15, -v13, v9, v3
	v_cmp_ge_f32_e64 s[4:5], 0, v14
	s_nop 1
	v_cndmask_b32_e64 v9, v9, v11, s[4:5]
	v_cmp_lt_f32_e64 s[4:5], 0, v15
	s_nop 1
	v_cndmask_b32_e64 v9, v9, v13, s[4:5]
	v_mul_f32_e32 v11, 0x37800000, v9
	v_cndmask_b32_e32 v9, v9, v11, vcc
	v_cmp_class_f32_e64 s[4:5], v3, v7
	s_and_b64 vcc, exec, s[2:3]
	s_nop 0
	v_cndmask_b32_e64 v3, v9, v3, s[4:5]
	s_cbranch_vccnz .LBB113_12
; %bb.11:
	global_load_dword v7, v12, s[10:11] offset:768
	s_waitcnt vmcnt(0)
	v_add_f32_e32 v3, v3, v7
.LBB113_12:
	s_waitcnt vmcnt(2)
	v_mul_f32_e32 v7, 0x3fb8aa3b, v4
	v_exp_f32_e32 v7, v7
	v_mov_b32_e32 v9, 0x4f800000
	v_add_f32_e32 v7, 1.0, v7
	v_cmp_gt_f32_e32 vcc, s14, v7
	s_nop 1
	v_cndmask_b32_e32 v11, 1.0, v9, vcc
	v_mul_f32_e32 v7, v7, v11
	v_log_f32_e32 v7, v7
	s_nop 0
	v_mul_f32_e32 v11, 0x3f317217, v7
	v_fma_f32 v11, v7, s7, -v11
	v_fmac_f32_e32 v11, 0x3377d1cf, v7
	v_fmac_f32_e32 v11, 0x3f317217, v7
	v_cmp_lt_f32_e64 s[4:5], |v7|, s12
	s_nop 1
	v_cndmask_b32_e64 v7, v7, v11, s[4:5]
	v_mov_b32_e32 v11, 0x41b17218
	v_cndmask_b32_e32 v13, 0, v11, vcc
	v_sub_f32_e32 v7, v7, v13
	v_cmp_lt_f32_e32 vcc, s6, v4
	s_nop 1
	v_cndmask_b32_e32 v4, v7, v4, vcc
	v_mul_f32_e32 v7, 0x4f800000, v4
	v_cmp_gt_f32_e32 vcc, s13, v4
	s_nop 1
	v_cndmask_b32_e32 v4, v4, v7, vcc
	v_sqrt_f32_e32 v7, v4
	s_nop 0
	v_add_u32_e32 v13, -1, v7
	v_fma_f32 v14, -v13, v7, v4
	v_cmp_ge_f32_e64 s[4:5], 0, v14
	v_add_u32_e32 v14, 1, v7
	s_nop 0
	v_cndmask_b32_e64 v13, v7, v13, s[4:5]
	v_fma_f32 v7, -v14, v7, v4
	v_cmp_lt_f32_e64 s[4:5], 0, v7
	s_nop 1
	v_cndmask_b32_e64 v7, v13, v14, s[4:5]
	v_mul_f32_e32 v13, 0x37800000, v7
	v_cndmask_b32_e32 v13, v7, v13, vcc
	v_mov_b32_e32 v7, 0x260
	v_cmp_class_f32_e64 s[4:5], v4, v7
	s_and_b64 vcc, exec, s[2:3]
	s_nop 0
	v_cndmask_b32_e64 v4, v13, v4, s[4:5]
	s_cbranch_vccnz .LBB113_14
; %bb.13:
	global_load_dword v13, v12, s[10:11] offset:1024
	s_waitcnt vmcnt(0)
	v_add_f32_e32 v4, v4, v13
.LBB113_14:
	s_waitcnt vmcnt(1)
	v_mul_f32_e32 v13, 0x3fb8aa3b, v5
	v_exp_f32_e32 v13, v13
	s_nop 0
	v_add_f32_e32 v13, 1.0, v13
	v_cmp_gt_f32_e32 vcc, s14, v13
	s_nop 1
	v_cndmask_b32_e32 v9, 1.0, v9, vcc
	v_mul_f32_e32 v9, v13, v9
	v_log_f32_e32 v9, v9
	v_cndmask_b32_e32 v11, 0, v11, vcc
	v_mul_f32_e32 v13, 0x3f317217, v9
	v_fma_f32 v13, v9, s7, -v13
	v_fmac_f32_e32 v13, 0x3377d1cf, v9
	v_fmac_f32_e32 v13, 0x3f317217, v9
	v_cmp_lt_f32_e64 vcc, |v9|, s12
	s_nop 1
	v_cndmask_b32_e32 v9, v9, v13, vcc
	v_sub_f32_e32 v9, v9, v11
	v_cmp_lt_f32_e32 vcc, s6, v5
	s_nop 1
	v_cndmask_b32_e32 v5, v9, v5, vcc
	v_mul_f32_e32 v9, 0x4f800000, v5
	v_cmp_gt_f32_e32 vcc, s13, v5
	s_nop 1
	v_cndmask_b32_e32 v5, v5, v9, vcc
	v_sqrt_f32_e32 v9, v5
	s_nop 0
	v_add_u32_e32 v11, -1, v9
	v_add_u32_e32 v13, 1, v9
	v_fma_f32 v14, -v11, v9, v5
	v_fma_f32 v15, -v13, v9, v5
	v_cmp_ge_f32_e64 s[4:5], 0, v14
	s_nop 1
	v_cndmask_b32_e64 v9, v9, v11, s[4:5]
	v_cmp_lt_f32_e64 s[4:5], 0, v15
	s_nop 1
	v_cndmask_b32_e64 v9, v9, v13, s[4:5]
	v_mul_f32_e32 v11, 0x37800000, v9
	v_cndmask_b32_e32 v9, v9, v11, vcc
	v_cmp_class_f32_e64 s[4:5], v5, v7
	s_and_b64 vcc, exec, s[2:3]
	s_nop 0
	v_cndmask_b32_e64 v5, v9, v5, s[4:5]
	s_cbranch_vccnz .LBB113_16
; %bb.15:
	global_load_dword v7, v12, s[10:11] offset:1280
	s_waitcnt vmcnt(0)
	v_add_f32_e32 v5, v5, v7
.LBB113_16:
	s_waitcnt vmcnt(0)
	v_mul_f32_e32 v7, 0x3fb8aa3b, v6
	v_exp_f32_e32 v7, v7
	s_mov_b32 s4, 0x800000
	v_mov_b32_e32 v9, 0x4f800000
	s_mov_b32 s5, 0x7f800000
	v_add_f32_e32 v7, 1.0, v7
	v_cmp_gt_f32_e32 vcc, s4, v7
	s_mov_b32 s4, 0x3f317217
	s_nop 0
	v_cndmask_b32_e32 v9, 1.0, v9, vcc
	v_mul_f32_e32 v7, v7, v9
	v_log_f32_e32 v7, v7
	s_nop 0
	v_mul_f32_e32 v9, 0x3f317217, v7
	v_fma_f32 v9, v7, s4, -v9
	v_fmamk_f32 v9, v7, 0x3377d1cf, v9
	v_fmac_f32_e32 v9, 0x3f317217, v7
	v_cmp_lt_f32_e64 s[4:5], |v7|, s5
	s_nop 1
	v_cndmask_b32_e64 v7, v7, v9, s[4:5]
	v_mov_b32_e32 v9, 0x41b17218
	v_cndmask_b32_e32 v9, 0, v9, vcc
	v_sub_f32_e32 v7, v7, v9
	v_cmp_lt_f32_e32 vcc, s6, v6
	s_mov_b32 s4, 0xf800000
	s_nop 0
	v_cndmask_b32_e32 v6, v7, v6, vcc
	v_mul_f32_e32 v7, 0x4f800000, v6
	v_cmp_gt_f32_e32 vcc, s4, v6
	s_nop 1
	v_cndmask_b32_e32 v6, v6, v7, vcc
	v_sqrt_f32_e32 v7, v6
	s_nop 0
	v_add_u32_e32 v9, -1, v7
	v_fma_f32 v11, -v9, v7, v6
	v_cmp_ge_f32_e64 s[4:5], 0, v11
	v_add_u32_e32 v11, 1, v7
	s_nop 0
	v_cndmask_b32_e64 v9, v7, v9, s[4:5]
	v_fma_f32 v7, -v11, v7, v6
	v_cmp_lt_f32_e64 s[4:5], 0, v7
	s_nop 1
	v_cndmask_b32_e64 v7, v9, v11, s[4:5]
	v_mul_f32_e32 v9, 0x37800000, v7
	v_cndmask_b32_e32 v7, v7, v9, vcc
	v_mov_b32_e32 v9, 0x260
	v_cmp_class_f32_e64 s[4:5], v6, v9
	s_and_b64 vcc, exec, s[2:3]
	s_nop 0
	v_cndmask_b32_e64 v6, v7, v6, s[4:5]
	s_cbranch_vccnz .LBB113_18
; %bb.17:
	global_load_dword v7, v12, s[10:11] offset:1536
	s_waitcnt vmcnt(0)
	v_add_f32_e32 v6, v6, v7
.LBB113_18:
	s_load_dwordx4 s[12:15], s[0:1], 0x30
	v_cmp_eq_u32_e64 s[6:7], 0, v10
	s_waitcnt lgkmcnt(0)
	s_bitcmp1_b32 s15, 0
	s_cselect_b64 s[4:5], -1, 0
	s_cmp_gt_i32 s12, 0
	s_cselect_b64 s[24:25], -1, 0
	s_and_b64 vcc, exec, s[24:25]
	s_cbranch_vccz .LBB113_49
; %bb.19:
	v_mbcnt_lo_u32_b32 v7, -1, 0
	v_mbcnt_hi_u32_b32 v12, -1, v7
	v_and_b32_e32 v7, 64, v12
	v_add_u32_e32 v13, 64, v7
	v_xor_b32_e32 v14, 32, v12
	v_cmp_lt_i32_e32 vcc, v14, v13
	s_load_dwordx4 s[16:19], s[0:1], 0x20
	s_mov_b32 s15, 0
	v_cndmask_b32_e32 v14, v12, v14, vcc
	v_lshlrev_b32_e32 v19, 2, v14
	v_xor_b32_e32 v14, 16, v12
	v_cmp_lt_i32_e32 vcc, v14, v13
	v_mul_lo_u32 v7, v8, s12
	v_or_b32_e32 v9, 64, v10
	v_cndmask_b32_e32 v14, v12, v14, vcc
	v_lshlrev_b32_e32 v20, 2, v14
	v_xor_b32_e32 v14, 8, v12
	v_cmp_lt_i32_e32 vcc, v14, v13
	v_or_b32_e32 v11, 0x80, v10
	v_or_b32_e32 v15, 0xc0, v10
	v_cndmask_b32_e32 v14, v12, v14, vcc
	v_lshlrev_b32_e32 v21, 2, v14
	v_xor_b32_e32 v14, 4, v12
	v_cmp_lt_i32_e32 vcc, v14, v13
	v_or_b32_e32 v16, 0x100, v10
	;; [unrolled: 6-line block ×3, first 2 shown]
	v_mov_b32_e32 v25, 0x1c0
	v_cndmask_b32_e32 v14, v12, v14, vcc
	v_lshlrev_b32_e32 v23, 2, v14
	v_xor_b32_e32 v14, 1, v12
	v_cmp_lt_i32_e32 vcc, v14, v13
	v_mov_b32_e32 v26, 0xc61c4000
	v_mov_b32_e32 v27, v8
	v_cndmask_b32_e32 v12, v12, v14, vcc
	v_lshlrev_b32_e32 v24, 2, v12
	v_mov_b32_e32 v14, 0
	s_branch .LBB113_22
.LBB113_20:                             ;   in Loop: Header=BB113_22 Depth=1
	v_add_u32_e32 v30, s15, v7
	v_cmp_le_i32_e32 vcc, s13, v12
	v_cmp_gt_i32_e64 s[0:1], s14, v12
	v_ashrrev_i32_e32 v31, 31, v30
	s_and_b64 s[0:1], vcc, s[0:1]
	v_lshlrev_b64 v[30:31], 2, v[30:31]
	v_lshl_add_u64 v[32:33], s[20:21], 0, v[30:31]
	v_subrev_u32_e32 v13, s13, v12
	s_and_b64 vcc, s[22:23], s[0:1]
	global_store_dword v[32:33], v28, off
	v_cndmask_b32_e32 v13, v25, v13, vcc
	v_lshl_add_u64 v[32:33], s[16:17], 0, v[30:31]
	global_store_dword v[32:33], v13, off
	v_add_f32_e32 v13, v14, v28
	v_lshl_add_u64 v[30:31], s[18:19], 0, v[30:31]
	v_cndmask_b32_e64 v14, v14, v13, s[4:5]
	global_store_dword v[30:31], v27, off
.LBB113_21:                             ;   in Loop: Header=BB113_22 Depth=1
	s_or_b64 exec, exec, s[26:27]
	v_ashrrev_i32_e32 v13, 31, v12
	v_lshrrev_b32_e32 v13, 26, v13
	v_add_u32_e32 v13, v12, v13
	v_ashrrev_i32_e32 v28, 6, v13
	v_and_b32_e32 v13, 0xffffffc0, v13
	v_sub_u32_e32 v12, v12, v13
	v_cmp_ne_u32_e64 s[0:1], 0, v28
	v_cmp_eq_u32_e32 vcc, v10, v12
	s_add_i32 s15, s15, 1
	v_cndmask_b32_e64 v12, v26, v0, s[0:1]
	v_cmp_ne_u32_e64 s[0:1], 1, v28
	s_cmp_lt_i32 s15, s12
	s_cselect_b64 s[26:27], -1, 0
	v_cndmask_b32_e64 v13, v26, v1, s[0:1]
	v_cmp_ne_u32_e64 s[0:1], 2, v28
	s_and_b64 vcc, s[26:27], vcc
	v_cndmask_b32_e32 v1, v1, v13, vcc
	s_waitcnt lgkmcnt(0)
	v_cndmask_b32_e64 v29, v26, v2, s[0:1]
	v_cmp_ne_u32_e64 s[0:1], 3, v28
	v_cndmask_b32_e32 v2, v2, v29, vcc
	v_cndmask_b32_e32 v0, v0, v12, vcc
	v_cndmask_b32_e64 v30, v26, v3, s[0:1]
	v_cmp_ne_u32_e64 s[0:1], 4, v28
	v_cndmask_b32_e32 v3, v3, v30, vcc
	s_cmp_eq_u32 s12, s15
	v_cndmask_b32_e64 v31, v26, v4, s[0:1]
	v_cmp_ne_u32_e64 s[0:1], 5, v28
	v_cndmask_b32_e32 v4, v4, v31, vcc
	v_add_u32_e32 v27, s30, v27
	v_cndmask_b32_e64 v32, v26, v5, s[0:1]
	v_cmp_ne_u32_e64 s[0:1], 6, v28
	v_cndmask_b32_e32 v5, v5, v32, vcc
	s_nop 0
	v_cndmask_b32_e64 v28, v26, v6, s[0:1]
	v_cndmask_b32_e32 v6, v6, v28, vcc
	s_cbranch_scc1 .LBB113_50
.LBB113_22:                             ; =>This Inner Loop Header: Depth=1
	v_cmp_gt_f32_e32 vcc, v1, v0
	s_nop 1
	v_cndmask_b32_e32 v13, v0, v1, vcc
	v_cndmask_b32_e32 v12, v10, v9, vcc
	v_cmp_gt_f32_e32 vcc, v2, v13
	s_nop 1
	v_cndmask_b32_e32 v13, v13, v2, vcc
	v_cndmask_b32_e32 v12, v12, v11, vcc
	;; [unrolled: 4-line block ×6, first 2 shown]
	ds_bpermute_b32 v13, v19, v28
	ds_bpermute_b32 v29, v19, v12
	s_waitcnt lgkmcnt(0)
	v_cmp_lt_f32_e64 s[26:27], v28, v13
	v_cmp_nlt_f32_e32 vcc, v28, v13
	s_and_saveexec_b64 s[28:29], vcc
; %bb.23:                               ;   in Loop: Header=BB113_22 Depth=1
	v_cmp_eq_f32_e32 vcc, v28, v13
	v_cmp_lt_i32_e64 s[0:1], v29, v12
	s_and_b64 s[0:1], vcc, s[0:1]
	s_andn2_b64 s[26:27], s[26:27], exec
	s_and_b64 s[0:1], s[0:1], exec
	s_or_b64 s[26:27], s[26:27], s[0:1]
; %bb.24:                               ;   in Loop: Header=BB113_22 Depth=1
	s_or_b64 exec, exec, s[28:29]
	s_and_saveexec_b64 s[0:1], s[26:27]
; %bb.25:                               ;   in Loop: Header=BB113_22 Depth=1
	v_mov_b32_e32 v28, v13
	v_mov_b32_e32 v12, v29
; %bb.26:                               ;   in Loop: Header=BB113_22 Depth=1
	s_or_b64 exec, exec, s[0:1]
	ds_bpermute_b32 v13, v20, v28
	ds_bpermute_b32 v29, v20, v12
	s_waitcnt lgkmcnt(1)
	v_cmp_lt_f32_e64 s[26:27], v28, v13
	v_cmp_nlt_f32_e32 vcc, v28, v13
	s_and_saveexec_b64 s[28:29], vcc
	s_cbranch_execz .LBB113_28
; %bb.27:                               ;   in Loop: Header=BB113_22 Depth=1
	v_cmp_eq_f32_e32 vcc, v28, v13
	s_waitcnt lgkmcnt(0)
	v_cmp_lt_i32_e64 s[0:1], v29, v12
	s_and_b64 s[0:1], vcc, s[0:1]
	s_andn2_b64 s[26:27], s[26:27], exec
	s_and_b64 s[0:1], s[0:1], exec
	s_or_b64 s[26:27], s[26:27], s[0:1]
.LBB113_28:                             ;   in Loop: Header=BB113_22 Depth=1
	s_or_b64 exec, exec, s[28:29]
	s_and_saveexec_b64 s[0:1], s[26:27]
	s_cbranch_execz .LBB113_30
; %bb.29:                               ;   in Loop: Header=BB113_22 Depth=1
	v_mov_b32_e32 v28, v13
	s_waitcnt lgkmcnt(0)
	v_mov_b32_e32 v12, v29
.LBB113_30:                             ;   in Loop: Header=BB113_22 Depth=1
	s_or_b64 exec, exec, s[0:1]
	ds_bpermute_b32 v13, v21, v28
	s_waitcnt lgkmcnt(1)
	ds_bpermute_b32 v29, v21, v12
	s_waitcnt lgkmcnt(1)
	v_cmp_lt_f32_e64 s[26:27], v28, v13
	v_cmp_nlt_f32_e32 vcc, v28, v13
	s_and_saveexec_b64 s[28:29], vcc
	s_cbranch_execz .LBB113_32
; %bb.31:                               ;   in Loop: Header=BB113_22 Depth=1
	v_cmp_eq_f32_e32 vcc, v28, v13
	s_waitcnt lgkmcnt(0)
	v_cmp_lt_i32_e64 s[0:1], v29, v12
	s_and_b64 s[0:1], vcc, s[0:1]
	s_andn2_b64 s[26:27], s[26:27], exec
	s_and_b64 s[0:1], s[0:1], exec
	s_or_b64 s[26:27], s[26:27], s[0:1]
.LBB113_32:                             ;   in Loop: Header=BB113_22 Depth=1
	s_or_b64 exec, exec, s[28:29]
	s_and_saveexec_b64 s[0:1], s[26:27]
	s_cbranch_execz .LBB113_34
; %bb.33:                               ;   in Loop: Header=BB113_22 Depth=1
	v_mov_b32_e32 v28, v13
	s_waitcnt lgkmcnt(0)
	v_mov_b32_e32 v12, v29
.LBB113_34:                             ;   in Loop: Header=BB113_22 Depth=1
	s_or_b64 exec, exec, s[0:1]
	ds_bpermute_b32 v13, v22, v28
	s_waitcnt lgkmcnt(1)
	;; [unrolled: 26-line block ×4, first 2 shown]
	ds_bpermute_b32 v29, v24, v12
	s_waitcnt lgkmcnt(1)
	v_cmp_lt_f32_e64 s[26:27], v28, v13
	v_cmp_nlt_f32_e32 vcc, v28, v13
	s_and_saveexec_b64 s[28:29], vcc
	s_cbranch_execnz .LBB113_45
; %bb.43:                               ;   in Loop: Header=BB113_22 Depth=1
	s_or_b64 exec, exec, s[28:29]
	s_and_saveexec_b64 s[0:1], s[26:27]
	s_cbranch_execnz .LBB113_46
.LBB113_44:                             ;   in Loop: Header=BB113_22 Depth=1
	s_or_b64 exec, exec, s[0:1]
	s_and_saveexec_b64 s[26:27], s[6:7]
	s_cbranch_execz .LBB113_21
	s_branch .LBB113_47
.LBB113_45:                             ;   in Loop: Header=BB113_22 Depth=1
	v_cmp_eq_f32_e32 vcc, v28, v13
	s_waitcnt lgkmcnt(0)
	v_cmp_lt_i32_e64 s[0:1], v29, v12
	s_and_b64 s[0:1], vcc, s[0:1]
	s_andn2_b64 s[26:27], s[26:27], exec
	s_and_b64 s[0:1], s[0:1], exec
	s_or_b64 s[26:27], s[26:27], s[0:1]
	s_or_b64 exec, exec, s[28:29]
	s_and_saveexec_b64 s[0:1], s[26:27]
	s_cbranch_execz .LBB113_44
.LBB113_46:                             ;   in Loop: Header=BB113_22 Depth=1
	s_waitcnt lgkmcnt(0)
	v_mov_b32_e32 v12, v29
	v_mov_b32_e32 v28, v13
	s_or_b64 exec, exec, s[0:1]
	s_and_saveexec_b64 s[26:27], s[6:7]
	s_cbranch_execz .LBB113_21
.LBB113_47:                             ;   in Loop: Header=BB113_22 Depth=1
	s_and_b64 vcc, exec, s[2:3]
	s_cbranch_vccnz .LBB113_20
; %bb.48:                               ;   in Loop: Header=BB113_22 Depth=1
	v_ashrrev_i32_e32 v13, 31, v12
	v_lshl_add_u64 v[30:31], v[12:13], 2, s[10:11]
	global_load_dword v13, v[30:31], off
	s_waitcnt vmcnt(0)
	v_sub_f32_e32 v28, v28, v13
	s_branch .LBB113_20
.LBB113_49:
	v_mov_b32_e32 v14, 0
.LBB113_50:
	v_cmp_eq_u32_e32 vcc, 0, v10
	s_and_b64 exec, exec, vcc
	s_cbranch_execz .LBB113_63
; %bb.51:
	s_andn2_b64 vcc, exec, s[4:5]
	v_cvt_f32_f64_e32 v0, s[8:9]
	s_cbranch_vccnz .LBB113_53
; %bb.52:
	v_cmp_lt_f32_e32 vcc, 0, v14
	s_nop 1
	v_cndmask_b32_e32 v1, 1.0, v14, vcc
	v_div_scale_f32 v2, s[0:1], v1, v1, v0
	v_rcp_f32_e32 v3, v2
	s_nop 0
	v_fma_f32 v4, -v2, v3, 1.0
	v_fmac_f32_e32 v3, v4, v3
	v_div_scale_f32 v4, vcc, v0, v1, v0
	v_mul_f32_e32 v5, v4, v3
	v_fma_f32 v6, -v2, v5, v4
	v_fmac_f32_e32 v5, v6, v3
	v_fma_f32 v2, -v2, v5, v4
	v_div_fmas_f32 v2, v2, v3, v5
	v_div_fixup_f32 v0, v2, v1, v0
.LBB113_53:
	s_andn2_b64 vcc, exec, s[24:25]
	s_cbranch_vccnz .LBB113_63
; %bb.54:
	v_mul_lo_u32 v2, v8, s12
	s_cmp_gt_u32 s12, 3
	v_ashrrev_i32_e32 v3, 31, v2
	s_cbranch_scc0 .LBB113_58
; %bb.55:
	s_and_b32 s0, s12, 0x7ffffffc
	v_lshl_add_u64 v[4:5], v[2:3], 2, s[20:21]
	v_mov_b32_e32 v1, v0
	v_lshl_add_u64 v[4:5], v[4:5], 0, 8
	s_mov_b32 s1, s0
.LBB113_56:                             ; =>This Inner Loop Header: Depth=1
	global_load_dwordx4 v[6:9], v[4:5], off offset:-8
	s_add_i32 s1, s1, -4
	s_cmp_lg_u32 s1, 0
	s_waitcnt vmcnt(0)
	v_pk_mul_f32 v[6:7], v[0:1], v[6:7]
	v_pk_mul_f32 v[8:9], v[0:1], v[8:9]
	global_store_dwordx4 v[4:5], v[6:9], off offset:-8
	v_lshl_add_u64 v[4:5], v[4:5], 0, 16
	s_cbranch_scc1 .LBB113_56
; %bb.57:
	s_cmp_lg_u32 s0, s12
	s_cselect_b64 s[2:3], -1, 0
	s_branch .LBB113_60
.LBB113_58:
	s_mov_b64 s[2:3], 0
                                        ; implicit-def: $sgpr0
	s_cbranch_execz .LBB113_60
; %bb.59:
	s_mov_b64 s[2:3], -1
	s_mov_b32 s0, 0
.LBB113_60:
	s_andn2_b64 vcc, exec, s[2:3]
	s_cbranch_vccnz .LBB113_63
; %bb.61:
	s_mov_b32 s1, 0
	v_lshl_add_u64 v[2:3], v[2:3], 0, s[0:1]
	s_sub_i32 s2, s12, s0
	v_lshl_add_u64 v[2:3], v[2:3], 2, s[20:21]
.LBB113_62:                             ; =>This Inner Loop Header: Depth=1
	global_load_dword v1, v[2:3], off
	s_add_i32 s2, s2, -1
	s_cmp_lg_u32 s2, 0
	s_waitcnt vmcnt(0)
	v_mul_f32_e32 v1, v0, v1
	global_store_dword v[2:3], v1, off
	v_lshl_add_u64 v[2:3], v[2:3], 0, 4
	s_cbranch_scc1 .LBB113_62
.LBB113_63:
	s_endpgm
	.section	.rodata,"a",@progbits
	.p2align	6, 0x0
	.amdhsa_kernel _ZN4vllm3moe22topkGatingSoftplusSqrtILi7ELi448ELi4ELi4ELi64ELb0EjfEEvPKT6_PKbPfiPT5_PiiiibdPKfPKS8_SE_
		.amdhsa_group_segment_fixed_size 0
		.amdhsa_private_segment_fixed_size 0
		.amdhsa_kernarg_size 96
		.amdhsa_user_sgpr_count 2
		.amdhsa_user_sgpr_dispatch_ptr 0
		.amdhsa_user_sgpr_queue_ptr 0
		.amdhsa_user_sgpr_kernarg_segment_ptr 1
		.amdhsa_user_sgpr_dispatch_id 0
		.amdhsa_user_sgpr_kernarg_preload_length 0
		.amdhsa_user_sgpr_kernarg_preload_offset 0
		.amdhsa_user_sgpr_private_segment_size 0
		.amdhsa_uses_dynamic_stack 0
		.amdhsa_enable_private_segment 0
		.amdhsa_system_sgpr_workgroup_id_x 1
		.amdhsa_system_sgpr_workgroup_id_y 0
		.amdhsa_system_sgpr_workgroup_id_z 0
		.amdhsa_system_sgpr_workgroup_info 0
		.amdhsa_system_vgpr_workitem_id 1
		.amdhsa_next_free_vgpr 34
		.amdhsa_next_free_sgpr 31
		.amdhsa_accum_offset 36
		.amdhsa_reserve_vcc 1
		.amdhsa_float_round_mode_32 0
		.amdhsa_float_round_mode_16_64 0
		.amdhsa_float_denorm_mode_32 3
		.amdhsa_float_denorm_mode_16_64 3
		.amdhsa_dx10_clamp 1
		.amdhsa_ieee_mode 1
		.amdhsa_fp16_overflow 0
		.amdhsa_tg_split 0
		.amdhsa_exception_fp_ieee_invalid_op 0
		.amdhsa_exception_fp_denorm_src 0
		.amdhsa_exception_fp_ieee_div_zero 0
		.amdhsa_exception_fp_ieee_overflow 0
		.amdhsa_exception_fp_ieee_underflow 0
		.amdhsa_exception_fp_ieee_inexact 0
		.amdhsa_exception_int_div_zero 0
	.end_amdhsa_kernel
	.section	.text._ZN4vllm3moe22topkGatingSoftplusSqrtILi7ELi448ELi4ELi4ELi64ELb0EjfEEvPKT6_PKbPfiPT5_PiiiibdPKfPKS8_SE_,"axG",@progbits,_ZN4vllm3moe22topkGatingSoftplusSqrtILi7ELi448ELi4ELi4ELi64ELb0EjfEEvPKT6_PKbPfiPT5_PiiiibdPKfPKS8_SE_,comdat
.Lfunc_end113:
	.size	_ZN4vllm3moe22topkGatingSoftplusSqrtILi7ELi448ELi4ELi4ELi64ELb0EjfEEvPKT6_PKbPfiPT5_PiiiibdPKfPKS8_SE_, .Lfunc_end113-_ZN4vllm3moe22topkGatingSoftplusSqrtILi7ELi448ELi4ELi4ELi64ELb0EjfEEvPKT6_PKbPfiPT5_PiiiibdPKfPKS8_SE_
                                        ; -- End function
	.section	.AMDGPU.csdata,"",@progbits
; Kernel info:
; codeLenInByte = 3980
; NumSgprs: 37
; NumVgprs: 34
; NumAgprs: 0
; TotalNumVgprs: 34
; ScratchSize: 0
; MemoryBound: 0
; FloatMode: 240
; IeeeMode: 1
; LDSByteSize: 0 bytes/workgroup (compile time only)
; SGPRBlocks: 4
; VGPRBlocks: 4
; NumSGPRsForWavesPerEU: 37
; NumVGPRsForWavesPerEU: 34
; AccumOffset: 36
; Occupancy: 8
; WaveLimiterHint : 1
; COMPUTE_PGM_RSRC2:SCRATCH_EN: 0
; COMPUTE_PGM_RSRC2:USER_SGPR: 2
; COMPUTE_PGM_RSRC2:TRAP_HANDLER: 0
; COMPUTE_PGM_RSRC2:TGID_X_EN: 1
; COMPUTE_PGM_RSRC2:TGID_Y_EN: 0
; COMPUTE_PGM_RSRC2:TGID_Z_EN: 0
; COMPUTE_PGM_RSRC2:TIDIG_COMP_CNT: 1
; COMPUTE_PGM_RSRC3_GFX90A:ACCUM_OFFSET: 8
; COMPUTE_PGM_RSRC3_GFX90A:TG_SPLIT: 0
	.section	.text._ZN4vllm3moe22topkGatingSoftplusSqrtILi14ELi448ELi4ELi4ELi32ELb1EjfEEvPKT6_PKbPfiPT5_PiiiibdPKfPKS8_SE_,"axG",@progbits,_ZN4vllm3moe22topkGatingSoftplusSqrtILi14ELi448ELi4ELi4ELi32ELb1EjfEEvPKT6_PKbPfiPT5_PiiiibdPKfPKS8_SE_,comdat
	.protected	_ZN4vllm3moe22topkGatingSoftplusSqrtILi14ELi448ELi4ELi4ELi32ELb1EjfEEvPKT6_PKbPfiPT5_PiiiibdPKfPKS8_SE_ ; -- Begin function _ZN4vllm3moe22topkGatingSoftplusSqrtILi14ELi448ELi4ELi4ELi32ELb1EjfEEvPKT6_PKbPfiPT5_PiiiibdPKfPKS8_SE_
	.globl	_ZN4vllm3moe22topkGatingSoftplusSqrtILi14ELi448ELi4ELi4ELi32ELb1EjfEEvPKT6_PKbPfiPT5_PiiiibdPKfPKS8_SE_
	.p2align	8
	.type	_ZN4vllm3moe22topkGatingSoftplusSqrtILi14ELi448ELi4ELi4ELi32ELb1EjfEEvPKT6_PKbPfiPT5_PiiiibdPKfPKS8_SE_,@function
_ZN4vllm3moe22topkGatingSoftplusSqrtILi14ELi448ELi4ELi4ELi32ELb1EjfEEvPKT6_PKbPfiPT5_PiiiibdPKfPKS8_SE_: ; @_ZN4vllm3moe22topkGatingSoftplusSqrtILi14ELi448ELi4ELi4ELi32ELb1EjfEEvPKT6_PKbPfiPT5_PiiiibdPKfPKS8_SE_
; %bb.0:
	s_load_dword s3, s[0:1], 0x18
	v_and_b32_e32 v1, 0x3ff, v0
	s_lshl_b32 s2, s2, 2
	v_lshrrev_b32_e32 v2, 5, v1
	v_bfe_u32 v0, v0, 10, 10
	v_add3_u32 v18, s2, v0, v2
	s_waitcnt lgkmcnt(0)
	v_cmp_gt_i32_e32 vcc, s3, v18
	s_and_saveexec_b64 s[2:3], vcc
	s_cbranch_execz .LBB114_64
; %bb.1:
	s_load_dwordx2 s[2:3], s[0:1], 0x0
	s_load_dword s33, s[0:1], 0x30
	s_movk_i32 s4, 0x1c0
	v_mul_lo_u32 v2, v18, s4
	v_ashrrev_i32_e32 v3, 31, v2
	v_and_b32_e32 v24, 31, v1
	s_waitcnt lgkmcnt(0)
	v_lshl_add_u64 v[2:3], v[2:3], 2, s[2:3]
	v_lshlrev_b32_e32 v14, 2, v24
	v_mov_b32_e32 v15, 0
	v_lshl_add_u64 v[0:1], v[2:3], 0, v[14:15]
	global_load_dword v6, v[0:1], off
	global_load_dword v7, v[0:1], off offset:128
	global_load_dword v8, v[0:1], off offset:256
	;; [unrolled: 1-line block ×3, first 2 shown]
	s_load_dwordx4 s[4:7], s[0:1], 0x50
	v_ashrrev_i32_e32 v19, 31, v18
	s_mov_b32 s13, 0x800000
	s_mov_b32 s11, 0x3f317217
	;; [unrolled: 1-line block ×3, first 2 shown]
	s_waitcnt lgkmcnt(0)
	v_mov_b32_e32 v2, s4
	v_mov_b32_e32 v3, s5
	v_lshl_add_u64 v[2:3], v[18:19], 2, v[2:3]
	global_load_dword v10, v[2:3], off
	global_load_dword v11, v[0:1], off offset:512
	global_load_dword v22, v[0:1], off offset:640
	;; [unrolled: 1-line block ×10, first 2 shown]
	v_mov_b32_e32 v19, 0x4f800000
	v_mov_b32_e32 v13, 0x41b17218
	s_mov_b32 s9, 0x41a00000
	s_mov_b32 s10, 0xf800000
	v_mov_b32_e32 v16, s6
	v_mov_b32_e32 v17, s7
	;; [unrolled: 1-line block ×3, first 2 shown]
	s_cmp_gt_i32 s33, 0
	s_mov_b32 s8, 0
	s_waitcnt vmcnt(14)
	v_mul_f32_e32 v2, 0x3fb8aa3b, v6
	s_waitcnt vmcnt(13)
	v_mul_f32_e32 v3, 0x3fb8aa3b, v7
	v_exp_f32_e32 v2, v2
	v_exp_f32_e32 v3, v3
	s_waitcnt vmcnt(12)
	v_mul_f32_e32 v4, 0x3fb8aa3b, v8
	s_waitcnt vmcnt(11)
	v_mul_f32_e32 v5, 0x3fb8aa3b, v9
	v_exp_f32_e32 v4, v4
	v_exp_f32_e32 v5, v5
	v_pk_add_f32 v[0:1], v[2:3], 1.0 op_sel_hi:[1,0]
	v_pk_add_f32 v[2:3], v[4:5], 1.0 op_sel_hi:[1,0]
	v_cmp_gt_f32_e32 vcc, s13, v1
	v_cmp_gt_f32_e64 s[2:3], s13, v0
	v_cmp_gt_f32_e64 s[4:5], s13, v3
	v_cndmask_b32_e32 v4, 1.0, v19, vcc
	v_cndmask_b32_e64 v5, 1.0, v19, s[2:3]
	v_mul_f32_e32 v1, v1, v4
	v_mul_f32_e32 v0, v0, v5
	v_log_f32_e32 v1, v1
	v_log_f32_e32 v0, v0
	s_waitcnt vmcnt(10)
	v_mul_lo_u32 v14, v10, s33
	v_cndmask_b32_e64 v10, 1.0, v19, s[4:5]
	v_mul_f32_e32 v3, v3, v10
	v_mul_f32_e32 v10, 0x3f317217, v1
	;; [unrolled: 1-line block ×3, first 2 shown]
	v_fma_f32 v10, v1, s11, -v10
	v_fma_f32 v30, v0, s11, -v30
	v_fmac_f32_e32 v10, 0x3377d1cf, v1
	v_cndmask_b32_e32 v4, 0, v13, vcc
	v_fmac_f32_e32 v30, 0x3377d1cf, v0
	v_fmac_f32_e32 v10, 0x3f317217, v1
	v_cmp_lt_f32_e64 vcc, |v1|, s12
	v_fmac_f32_e32 v30, 0x3f317217, v0
	v_cndmask_b32_e64 v5, 0, v13, s[2:3]
	v_cndmask_b32_e32 v1, v1, v10, vcc
	v_cmp_lt_f32_e64 vcc, |v0|, s12
	v_sub_f32_e32 v1, v1, v4
	v_log_f32_e32 v3, v3
	v_cndmask_b32_e32 v0, v0, v30, vcc
	v_sub_f32_e32 v0, v0, v5
	v_cmp_lt_f32_e32 vcc, s9, v6
	v_mul_f32_e32 v31, 0x3f317217, v3
	v_fma_f32 v31, v3, s11, -v31
	v_cndmask_b32_e32 v0, v0, v6, vcc
	v_cmp_lt_f32_e32 vcc, s9, v7
	v_mul_f32_e32 v5, 0x4f800000, v0
	v_cmp_gt_f32_e64 s[2:3], s10, v0
	v_cndmask_b32_e32 v1, v1, v7, vcc
	v_mul_f32_e32 v4, 0x4f800000, v1
	v_cmp_gt_f32_e32 vcc, s10, v1
	v_cndmask_b32_e64 v0, v0, v5, s[2:3]
	v_sqrt_f32_e32 v5, v0
	v_cndmask_b32_e32 v1, v1, v4, vcc
	v_sqrt_f32_e32 v4, v1
	v_fmac_f32_e32 v31, 0x3377d1cf, v3
	v_add_u32_e32 v10, -1, v5
	v_fma_f32 v34, -v10, v5, v0
	v_add_u32_e32 v6, -1, v4
	v_fma_f32 v32, -v6, v4, v1
	v_add_u32_e32 v7, 1, v4
	v_cmp_ge_f32_e64 s[6:7], 0, v32
	v_add_u32_e32 v30, 1, v5
	v_fma_f32 v33, -v7, v4, v1
	v_cndmask_b32_e64 v4, v4, v6, s[6:7]
	v_cmp_ge_f32_e64 s[6:7], 0, v34
	v_fma_f32 v35, -v30, v5, v0
	v_fmac_f32_e32 v31, 0x3f317217, v3
	v_cndmask_b32_e64 v5, v5, v10, s[6:7]
	v_cmp_lt_f32_e64 s[6:7], 0, v33
	v_lshl_add_u64 v[16:17], v[14:15], 2, v[16:17]
	v_mul_lo_u32 v14, v18, s33
	v_cndmask_b32_e64 v4, v4, v7, s[6:7]
	v_cmp_lt_f32_e64 s[6:7], 0, v35
	v_mul_f32_e32 v6, 0x37800000, v4
	v_cndmask_b32_e32 v4, v4, v6, vcc
	v_cndmask_b32_e64 v5, v5, v30, s[6:7]
	v_mul_f32_e32 v7, 0x37800000, v5
	v_cmp_class_f32_e32 vcc, v1, v12
	v_cndmask_b32_e64 v5, v5, v7, s[2:3]
	v_cmp_lt_f32_e64 s[2:3], |v3|, s12
	v_cndmask_b32_e32 v1, v4, v1, vcc
	v_cmp_class_f32_e32 vcc, v0, v12
	v_cndmask_b32_e64 v3, v3, v31, s[2:3]
	s_nop 0
	v_cndmask_b32_e32 v0, v5, v0, vcc
	v_cmp_gt_f32_e32 vcc, s13, v2
	s_nop 1
	v_cndmask_b32_e32 v4, 1.0, v19, vcc
	v_mul_f32_e32 v2, v2, v4
	v_log_f32_e32 v2, v2
	v_cndmask_b32_e64 v4, 0, v13, s[4:5]
	v_sub_f32_e32 v3, v3, v4
	v_mul_f32_e32 v4, 0x3f317217, v2
	v_fma_f32 v4, v2, s11, -v4
	v_fmac_f32_e32 v4, 0x3377d1cf, v2
	v_fmac_f32_e32 v4, 0x3f317217, v2
	v_cmp_lt_f32_e64 s[2:3], |v2|, s12
	s_nop 1
	v_cndmask_b32_e64 v2, v2, v4, s[2:3]
	v_cndmask_b32_e32 v4, 0, v13, vcc
	v_cmp_lt_f32_e32 vcc, s9, v9
	v_sub_f32_e32 v2, v2, v4
	v_cmp_lt_f32_e64 s[2:3], s9, v8
	v_cndmask_b32_e32 v3, v3, v9, vcc
	v_mul_f32_e32 v5, 0x4f800000, v3
	v_cmp_gt_f32_e32 vcc, s10, v3
	v_cndmask_b32_e64 v2, v2, v8, s[2:3]
	s_nop 0
	v_cndmask_b32_e32 v3, v3, v5, vcc
	v_sqrt_f32_e32 v5, v3
	s_nop 0
	v_add_u32_e32 v4, -1, v5
	v_fma_f32 v6, -v4, v5, v3
	v_cmp_ge_f32_e64 s[2:3], 0, v6
	v_add_u32_e32 v6, 1, v5
	s_nop 0
	v_cndmask_b32_e64 v4, v5, v4, s[2:3]
	v_fma_f32 v5, -v6, v5, v3
	v_cmp_lt_f32_e64 s[2:3], 0, v5
	s_nop 1
	v_cndmask_b32_e64 v4, v4, v6, s[2:3]
	v_mul_f32_e32 v6, 0x4f800000, v2
	v_cmp_gt_f32_e64 s[2:3], s10, v2
	v_mul_f32_e32 v5, 0x37800000, v4
	v_cndmask_b32_e32 v4, v4, v5, vcc
	v_cndmask_b32_e64 v2, v2, v6, s[2:3]
	v_sqrt_f32_e32 v6, v2
	v_cmp_class_f32_e32 vcc, v3, v12
	v_add_u32_e32 v8, 1, v6
	s_nop 0
	v_cndmask_b32_e32 v3, v4, v3, vcc
	v_add_u32_e32 v4, -1, v6
	v_fma_f32 v5, -v4, v6, v2
	v_cmp_ge_f32_e32 vcc, 0, v5
	s_waitcnt vmcnt(8)
	v_mul_f32_e32 v5, 0x3fb8aa3b, v22
	v_exp_f32_e32 v5, v5
	v_cndmask_b32_e32 v7, v6, v4, vcc
	v_mul_f32_e32 v4, 0x3fb8aa3b, v11
	v_exp_f32_e32 v4, v4
	v_fma_f32 v6, -v8, v6, v2
	v_cmp_lt_f32_e32 vcc, 0, v6
	v_pk_add_f32 v[4:5], v[4:5], 1.0 op_sel_hi:[1,0]
	s_nop 0
	v_cndmask_b32_e32 v6, v7, v8, vcc
	v_cmp_gt_f32_e32 vcc, s13, v5
	v_mul_f32_e32 v7, 0x37800000, v6
	v_cndmask_b32_e64 v6, v6, v7, s[2:3]
	v_cndmask_b32_e32 v8, 1.0, v19, vcc
	v_mul_f32_e32 v5, v5, v8
	v_log_f32_e32 v5, v5
	v_cmp_class_f32_e64 s[2:3], v2, v12
	v_cmp_lt_f32_e64 s[4:5], |v5|, s12
	s_nop 0
	v_cndmask_b32_e64 v2, v6, v2, s[2:3]
	v_cmp_gt_f32_e64 s[2:3], s13, v4
	v_mul_f32_e32 v6, 0x3f317217, v5
	v_fma_f32 v6, v5, s11, -v6
	v_cndmask_b32_e64 v7, 1.0, v19, s[2:3]
	v_mul_f32_e32 v4, v4, v7
	v_log_f32_e32 v4, v4
	v_fmac_f32_e32 v6, 0x3377d1cf, v5
	v_fmac_f32_e32 v6, 0x3f317217, v5
	v_cndmask_b32_e64 v5, v5, v6, s[4:5]
	v_cndmask_b32_e32 v6, 0, v13, vcc
	v_sub_f32_e32 v5, v5, v6
	v_mul_f32_e32 v6, 0x3f317217, v4
	v_fma_f32 v6, v4, s11, -v6
	v_fmac_f32_e32 v6, 0x3377d1cf, v4
	v_fmac_f32_e32 v6, 0x3f317217, v4
	v_cmp_lt_f32_e64 vcc, |v4|, s12
	s_nop 1
	v_cndmask_b32_e32 v4, v4, v6, vcc
	v_cmp_lt_f32_e32 vcc, s9, v22
	v_cndmask_b32_e64 v6, 0, v13, s[2:3]
	v_sub_f32_e32 v4, v4, v6
	v_cndmask_b32_e32 v5, v5, v22, vcc
	v_mul_f32_e32 v7, 0x4f800000, v5
	v_cmp_gt_f32_e32 vcc, s10, v5
	v_cmp_lt_f32_e64 s[2:3], s9, v11
	s_nop 0
	v_cndmask_b32_e32 v5, v5, v7, vcc
	v_sqrt_f32_e32 v7, v5
	v_cndmask_b32_e64 v4, v4, v11, s[2:3]
	v_add_u32_e32 v6, -1, v7
	v_fma_f32 v8, -v6, v7, v5
	v_cmp_ge_f32_e64 s[2:3], 0, v8
	v_add_u32_e32 v8, 1, v7
	s_nop 0
	v_cndmask_b32_e64 v6, v7, v6, s[2:3]
	v_fma_f32 v7, -v8, v7, v5
	v_cmp_lt_f32_e64 s[2:3], 0, v7
	s_nop 1
	v_cndmask_b32_e64 v6, v6, v8, s[2:3]
	v_mul_f32_e32 v8, 0x4f800000, v4
	v_cmp_gt_f32_e64 s[2:3], s10, v4
	v_mul_f32_e32 v7, 0x37800000, v6
	v_cndmask_b32_e32 v6, v6, v7, vcc
	v_cndmask_b32_e64 v4, v4, v8, s[2:3]
	v_sqrt_f32_e32 v8, v4
	v_cmp_class_f32_e32 vcc, v5, v12
	v_add_u32_e32 v10, 1, v8
	s_nop 0
	v_cndmask_b32_e32 v5, v6, v5, vcc
	v_add_u32_e32 v6, -1, v8
	v_fma_f32 v7, -v6, v8, v4
	v_cmp_ge_f32_e32 vcc, 0, v7
	s_waitcnt vmcnt(6)
	v_mul_f32_e32 v7, 0x3fb8aa3b, v25
	v_exp_f32_e32 v7, v7
	v_cndmask_b32_e32 v9, v8, v6, vcc
	v_mul_f32_e32 v6, 0x3fb8aa3b, v23
	v_exp_f32_e32 v6, v6
	v_fma_f32 v8, -v10, v8, v4
	v_cmp_lt_f32_e32 vcc, 0, v8
	v_pk_add_f32 v[6:7], v[6:7], 1.0 op_sel_hi:[1,0]
	s_nop 0
	v_cndmask_b32_e32 v8, v9, v10, vcc
	v_cmp_gt_f32_e32 vcc, s13, v7
	v_mul_f32_e32 v9, 0x37800000, v8
	v_cndmask_b32_e64 v8, v8, v9, s[2:3]
	v_cndmask_b32_e32 v10, 1.0, v19, vcc
	v_mul_f32_e32 v7, v7, v10
	v_log_f32_e32 v7, v7
	v_cmp_class_f32_e64 s[2:3], v4, v12
	v_cmp_lt_f32_e64 s[4:5], |v7|, s12
	s_nop 0
	v_cndmask_b32_e64 v4, v8, v4, s[2:3]
	v_cmp_gt_f32_e64 s[2:3], s13, v6
	v_mul_f32_e32 v8, 0x3f317217, v7
	v_fma_f32 v8, v7, s11, -v8
	v_cndmask_b32_e64 v9, 1.0, v19, s[2:3]
	v_mul_f32_e32 v6, v6, v9
	v_log_f32_e32 v6, v6
	v_fmac_f32_e32 v8, 0x3377d1cf, v7
	v_fmac_f32_e32 v8, 0x3f317217, v7
	v_cndmask_b32_e64 v7, v7, v8, s[4:5]
	v_cndmask_b32_e32 v8, 0, v13, vcc
	v_sub_f32_e32 v7, v7, v8
	v_mul_f32_e32 v8, 0x3f317217, v6
	v_fma_f32 v8, v6, s11, -v8
	v_fmac_f32_e32 v8, 0x3377d1cf, v6
	v_fmac_f32_e32 v8, 0x3f317217, v6
	v_cmp_lt_f32_e64 vcc, |v6|, s12
	s_nop 1
	v_cndmask_b32_e32 v6, v6, v8, vcc
	v_cmp_lt_f32_e32 vcc, s9, v25
	v_cndmask_b32_e64 v8, 0, v13, s[2:3]
	v_sub_f32_e32 v6, v6, v8
	v_cndmask_b32_e32 v7, v7, v25, vcc
	v_mul_f32_e32 v9, 0x4f800000, v7
	v_cmp_gt_f32_e32 vcc, s10, v7
	v_cmp_lt_f32_e64 s[2:3], s9, v23
	s_nop 0
	v_cndmask_b32_e32 v7, v7, v9, vcc
	v_sqrt_f32_e32 v9, v7
	v_cndmask_b32_e64 v6, v6, v23, s[2:3]
	v_add_u32_e32 v8, -1, v9
	v_fma_f32 v10, -v8, v9, v7
	v_cmp_ge_f32_e64 s[2:3], 0, v10
	v_add_u32_e32 v10, 1, v9
	s_nop 0
	v_cndmask_b32_e64 v8, v9, v8, s[2:3]
	v_fma_f32 v9, -v10, v9, v7
	v_cmp_lt_f32_e64 s[2:3], 0, v9
	s_nop 1
	v_cndmask_b32_e64 v8, v8, v10, s[2:3]
	v_mul_f32_e32 v10, 0x4f800000, v6
	v_cmp_gt_f32_e64 s[2:3], s10, v6
	v_mul_f32_e32 v9, 0x37800000, v8
	v_cndmask_b32_e32 v8, v8, v9, vcc
	v_cndmask_b32_e64 v6, v6, v10, s[2:3]
	v_sqrt_f32_e32 v10, v6
	v_cmp_class_f32_e32 vcc, v7, v12
	v_add_u32_e32 v22, 1, v10
	s_nop 0
	v_cndmask_b32_e32 v7, v8, v7, vcc
	v_add_u32_e32 v8, -1, v10
	v_fma_f32 v9, -v8, v10, v6
	v_cmp_ge_f32_e32 vcc, 0, v9
	s_waitcnt vmcnt(4)
	v_mul_f32_e32 v9, 0x3fb8aa3b, v27
	v_exp_f32_e32 v9, v9
	v_cndmask_b32_e32 v11, v10, v8, vcc
	v_mul_f32_e32 v8, 0x3fb8aa3b, v26
	v_exp_f32_e32 v8, v8
	v_fma_f32 v10, -v22, v10, v6
	v_cmp_lt_f32_e32 vcc, 0, v10
	v_pk_add_f32 v[8:9], v[8:9], 1.0 op_sel_hi:[1,0]
	s_nop 0
	v_cndmask_b32_e32 v10, v11, v22, vcc
	v_cmp_gt_f32_e32 vcc, s13, v9
	v_mul_f32_e32 v11, 0x37800000, v10
	v_cndmask_b32_e64 v10, v10, v11, s[2:3]
	v_cndmask_b32_e32 v22, 1.0, v19, vcc
	v_mul_f32_e32 v9, v9, v22
	v_log_f32_e32 v9, v9
	v_cmp_class_f32_e64 s[2:3], v6, v12
	v_cmp_lt_f32_e64 s[4:5], |v9|, s12
	s_nop 0
	v_cndmask_b32_e64 v6, v10, v6, s[2:3]
	v_cmp_gt_f32_e64 s[2:3], s13, v8
	v_mul_f32_e32 v10, 0x3f317217, v9
	v_fma_f32 v10, v9, s11, -v10
	v_cndmask_b32_e64 v11, 1.0, v19, s[2:3]
	v_mul_f32_e32 v8, v8, v11
	v_log_f32_e32 v8, v8
	v_fmac_f32_e32 v10, 0x3377d1cf, v9
	v_fmac_f32_e32 v10, 0x3f317217, v9
	v_cndmask_b32_e64 v9, v9, v10, s[4:5]
	v_cndmask_b32_e32 v10, 0, v13, vcc
	v_sub_f32_e32 v9, v9, v10
	v_mul_f32_e32 v10, 0x3f317217, v8
	v_fma_f32 v10, v8, s11, -v10
	v_fmac_f32_e32 v10, 0x3377d1cf, v8
	v_fmac_f32_e32 v10, 0x3f317217, v8
	v_cmp_lt_f32_e64 vcc, |v8|, s12
	s_nop 1
	v_cndmask_b32_e32 v8, v8, v10, vcc
	v_cmp_lt_f32_e32 vcc, s9, v27
	v_cndmask_b32_e64 v10, 0, v13, s[2:3]
	v_sub_f32_e32 v8, v8, v10
	v_cndmask_b32_e32 v9, v9, v27, vcc
	v_mul_f32_e32 v11, 0x4f800000, v9
	v_cmp_gt_f32_e32 vcc, s10, v9
	v_cmp_lt_f32_e64 s[2:3], s9, v26
	s_nop 0
	v_cndmask_b32_e32 v9, v9, v11, vcc
	v_sqrt_f32_e32 v11, v9
	v_cndmask_b32_e64 v8, v8, v26, s[2:3]
	v_add_u32_e32 v10, -1, v11
	v_fma_f32 v22, -v10, v11, v9
	v_cmp_ge_f32_e64 s[2:3], 0, v22
	v_add_u32_e32 v22, 1, v11
	s_nop 0
	v_cndmask_b32_e64 v10, v11, v10, s[2:3]
	v_fma_f32 v11, -v22, v11, v9
	v_cmp_lt_f32_e64 s[2:3], 0, v11
	s_nop 1
	v_cndmask_b32_e64 v10, v10, v22, s[2:3]
	v_mul_f32_e32 v22, 0x4f800000, v8
	v_cmp_gt_f32_e64 s[2:3], s10, v8
	v_mul_f32_e32 v11, 0x37800000, v10
	v_cndmask_b32_e32 v10, v10, v11, vcc
	v_cndmask_b32_e64 v8, v8, v22, s[2:3]
	v_sqrt_f32_e32 v22, v8
	v_cmp_class_f32_e32 vcc, v9, v12
	v_add_u32_e32 v25, 1, v22
	s_nop 0
	v_cndmask_b32_e32 v9, v10, v9, vcc
	v_add_u32_e32 v10, -1, v22
	v_fma_f32 v11, -v10, v22, v8
	v_cmp_ge_f32_e32 vcc, 0, v11
	s_waitcnt vmcnt(2)
	v_mul_f32_e32 v11, 0x3fb8aa3b, v29
	v_exp_f32_e32 v11, v11
	v_cndmask_b32_e32 v23, v22, v10, vcc
	v_mul_f32_e32 v10, 0x3fb8aa3b, v28
	v_exp_f32_e32 v10, v10
	v_fma_f32 v22, -v25, v22, v8
	v_cmp_lt_f32_e32 vcc, 0, v22
	v_pk_add_f32 v[10:11], v[10:11], 1.0 op_sel_hi:[1,0]
	s_nop 0
	v_cndmask_b32_e32 v22, v23, v25, vcc
	v_cmp_gt_f32_e32 vcc, s13, v11
	v_mul_f32_e32 v23, 0x37800000, v22
	v_cndmask_b32_e64 v22, v22, v23, s[2:3]
	v_cndmask_b32_e32 v25, 1.0, v19, vcc
	v_mul_f32_e32 v11, v11, v25
	v_log_f32_e32 v11, v11
	v_cmp_class_f32_e64 s[2:3], v8, v12
	v_cmp_lt_f32_e64 s[4:5], |v11|, s12
	s_nop 0
	v_cndmask_b32_e64 v8, v22, v8, s[2:3]
	v_cmp_gt_f32_e64 s[2:3], s13, v10
	v_mul_f32_e32 v22, 0x3f317217, v11
	v_fma_f32 v22, v11, s11, -v22
	v_cndmask_b32_e64 v23, 1.0, v19, s[2:3]
	v_mul_f32_e32 v10, v10, v23
	v_log_f32_e32 v10, v10
	v_fmac_f32_e32 v22, 0x3377d1cf, v11
	v_fmac_f32_e32 v22, 0x3f317217, v11
	v_cndmask_b32_e64 v11, v11, v22, s[4:5]
	v_cndmask_b32_e32 v22, 0, v13, vcc
	v_sub_f32_e32 v11, v11, v22
	v_mul_f32_e32 v22, 0x3f317217, v10
	v_fma_f32 v22, v10, s11, -v22
	v_fmac_f32_e32 v22, 0x3377d1cf, v10
	v_fmac_f32_e32 v22, 0x3f317217, v10
	v_cmp_lt_f32_e64 vcc, |v10|, s12
	s_nop 1
	v_cndmask_b32_e32 v10, v10, v22, vcc
	v_cmp_lt_f32_e32 vcc, s9, v29
	v_cndmask_b32_e64 v22, 0, v13, s[2:3]
	v_sub_f32_e32 v10, v10, v22
	v_cndmask_b32_e32 v11, v11, v29, vcc
	v_mul_f32_e32 v23, 0x4f800000, v11
	v_cmp_gt_f32_e32 vcc, s10, v11
	v_cmp_lt_f32_e64 s[2:3], s9, v28
	s_nop 0
	v_cndmask_b32_e32 v11, v11, v23, vcc
	v_sqrt_f32_e32 v23, v11
	v_cndmask_b32_e64 v10, v10, v28, s[2:3]
	v_add_u32_e32 v22, -1, v23
	v_fma_f32 v25, -v22, v23, v11
	v_cmp_ge_f32_e64 s[2:3], 0, v25
	v_add_u32_e32 v25, 1, v23
	s_nop 0
	v_cndmask_b32_e64 v22, v23, v22, s[2:3]
	v_fma_f32 v23, -v25, v23, v11
	v_cmp_lt_f32_e64 s[2:3], 0, v23
	s_nop 1
	v_cndmask_b32_e64 v22, v22, v25, s[2:3]
	v_mul_f32_e32 v25, 0x4f800000, v10
	v_cmp_gt_f32_e64 s[2:3], s10, v10
	v_mul_f32_e32 v23, 0x37800000, v22
	v_cndmask_b32_e32 v22, v22, v23, vcc
	v_cndmask_b32_e64 v10, v10, v25, s[2:3]
	v_sqrt_f32_e32 v25, v10
	v_cmp_class_f32_e32 vcc, v11, v12
	v_add_u32_e32 v27, 1, v25
	s_nop 0
	v_cndmask_b32_e32 v11, v22, v11, vcc
	v_add_u32_e32 v22, -1, v25
	v_fma_f32 v23, -v22, v25, v10
	v_cmp_ge_f32_e32 vcc, 0, v23
	s_waitcnt vmcnt(0)
	v_mul_f32_e32 v23, 0x3fb8aa3b, v21
	v_exp_f32_e32 v23, v23
	v_cndmask_b32_e32 v26, v25, v22, vcc
	v_mul_f32_e32 v22, 0x3fb8aa3b, v20
	v_exp_f32_e32 v22, v22
	v_fma_f32 v25, -v27, v25, v10
	v_cmp_lt_f32_e32 vcc, 0, v25
	v_pk_add_f32 v[22:23], v[22:23], 1.0 op_sel_hi:[1,0]
	s_nop 0
	v_cndmask_b32_e32 v25, v26, v27, vcc
	v_cmp_gt_f32_e32 vcc, s13, v23
	v_mul_f32_e32 v26, 0x37800000, v25
	v_cndmask_b32_e64 v25, v25, v26, s[2:3]
	v_cndmask_b32_e32 v27, 1.0, v19, vcc
	v_mul_f32_e32 v23, v23, v27
	v_log_f32_e32 v23, v23
	v_cmp_class_f32_e64 s[2:3], v10, v12
	v_cmp_lt_f32_e64 s[4:5], |v23|, s12
	s_nop 0
	v_cndmask_b32_e64 v10, v25, v10, s[2:3]
	v_cmp_gt_f32_e64 s[2:3], s13, v22
	v_mul_f32_e32 v25, 0x3f317217, v23
	v_fma_f32 v25, v23, s11, -v25
	v_cndmask_b32_e64 v19, 1.0, v19, s[2:3]
	v_mul_f32_e32 v19, v22, v19
	v_log_f32_e32 v19, v19
	v_fmac_f32_e32 v25, 0x3377d1cf, v23
	v_fmac_f32_e32 v25, 0x3f317217, v23
	v_cndmask_b32_e64 v22, v23, v25, s[4:5]
	v_cndmask_b32_e32 v23, 0, v13, vcc
	v_sub_f32_e32 v22, v22, v23
	v_mul_f32_e32 v23, 0x3f317217, v19
	v_fma_f32 v23, v19, s11, -v23
	v_fmac_f32_e32 v23, 0x3377d1cf, v19
	v_fmac_f32_e32 v23, 0x3f317217, v19
	v_cmp_lt_f32_e64 vcc, |v19|, s12
	v_cndmask_b32_e64 v13, 0, v13, s[2:3]
	v_cmp_lt_f32_e64 s[2:3], s9, v20
	v_cndmask_b32_e32 v19, v19, v23, vcc
	v_cmp_lt_f32_e32 vcc, s9, v21
	v_sub_f32_e32 v13, v19, v13
	v_cndmask_b32_e64 v13, v13, v20, s[2:3]
	v_cndmask_b32_e32 v21, v22, v21, vcc
	v_mul_f32_e32 v22, 0x4f800000, v21
	v_cmp_gt_f32_e32 vcc, s10, v21
	s_cselect_b64 s[4:5], -1, 0
	s_cmp_lt_i32 s33, 1
	v_cndmask_b32_e32 v21, v21, v22, vcc
	v_sqrt_f32_e32 v22, v21
	s_nop 0
	v_add_u32_e32 v19, -1, v22
	v_fma_f32 v20, -v19, v22, v21
	v_cmp_ge_f32_e64 s[2:3], 0, v20
	v_add_u32_e32 v20, 1, v22
	s_nop 0
	v_cndmask_b32_e64 v19, v22, v19, s[2:3]
	v_fma_f32 v22, -v20, v22, v21
	v_cmp_lt_f32_e64 s[2:3], 0, v22
	v_mul_f32_e32 v22, 0x4f800000, v13
	s_nop 0
	v_cndmask_b32_e64 v19, v19, v20, s[2:3]
	v_cmp_gt_f32_e64 s[2:3], s10, v13
	v_mul_f32_e32 v20, 0x37800000, v19
	s_nop 0
	v_cndmask_b32_e64 v22, v13, v22, s[2:3]
	v_sqrt_f32_e32 v23, v22
	v_cndmask_b32_e32 v13, v19, v20, vcc
	v_cmp_class_f32_e32 vcc, v21, v12
	v_add_u32_e32 v19, -1, v23
	v_fma_f32 v20, -v19, v23, v22
	v_cndmask_b32_e32 v13, v13, v21, vcc
	v_cmp_ge_f32_e32 vcc, 0, v20
	v_add_u32_e32 v20, 1, v23
	v_fma_f32 v21, -v20, v23, v22
	v_cndmask_b32_e32 v19, v23, v19, vcc
	v_cmp_lt_f32_e32 vcc, 0, v21
	s_nop 1
	v_cndmask_b32_e32 v19, v19, v20, vcc
	v_mul_f32_e32 v20, 0x37800000, v19
	v_cndmask_b32_e64 v19, v19, v20, s[2:3]
	v_cmp_class_f32_e32 vcc, v22, v12
	s_nop 1
	v_cndmask_b32_e32 v12, v19, v22, vcc
	s_cbranch_scc1 .LBB114_29
; %bb.2:
	s_load_dwordx2 s[6:7], s[0:1], 0x20
	s_cmp_lt_u32 s33, 4
	v_mul_lo_u32 v18, v18, s33
	s_cbranch_scc1 .LBB114_21
; %bb.3:
	s_mov_b32 s11, 0
	s_and_b32 s8, s33, 0x7ffffffc
	v_ashrrev_i32_e32 v19, 31, v18
	v_mov_b32_e32 v15, 0
	s_mov_b32 s10, s11
	s_branch .LBB114_5
.LBB114_4:                              ;   in Loop: Header=BB114_5 Depth=1
	s_or_b64 exec, exec, s[12:13]
	s_add_i32 s10, s10, 4
	s_cmp_eq_u32 s10, s8
	s_cbranch_scc1 .LBB114_22
.LBB114_5:                              ; =>This Loop Header: Depth=1
                                        ;     Child Loop BB114_7 Depth 2
                                        ;     Child Loop BB114_11 Depth 2
	;; [unrolled: 1-line block ×4, first 2 shown]
	v_lshl_add_u64 v[20:21], s[10:11], 2, v[16:17]
	global_load_dword v25, v[20:21], off
	v_add_u32_e32 v22, s10, v18
	v_ashrrev_i32_e32 v23, 31, v22
	s_waitcnt lgkmcnt(0)
	v_lshl_add_u64 v[22:23], v[22:23], 2, s[6:7]
	s_mov_b64 s[12:13], 0
	v_mov_b32_e32 v26, v24
	s_mov_b64 s[14:15], 0
	s_waitcnt vmcnt(0)
	s_branch .LBB114_7
.LBB114_6:                              ;   in Loop: Header=BB114_7 Depth=2
	s_or_b64 exec, exec, s[16:17]
	s_cmp_gt_u32 s14, 12
	s_cselect_b64 s[2:3], -1, 0
	s_xor_b64 s[16:17], vcc, -1
	s_or_b64 s[2:3], s[16:17], s[2:3]
	s_add_u32 s14, s14, 1
	s_addc_u32 s15, s15, 0
	s_and_b64 s[2:3], exec, s[2:3]
	s_or_b64 s[12:13], s[2:3], s[12:13]
	v_add_u32_e32 v26, 32, v26
	s_andn2_b64 exec, exec, s[12:13]
	s_cbranch_execz .LBB114_9
.LBB114_7:                              ;   Parent Loop BB114_5 Depth=1
                                        ; =>  This Inner Loop Header: Depth=2
	v_cmp_ne_u32_e32 vcc, v25, v26
	v_cmp_eq_u32_e64 s[2:3], v25, v26
	s_and_saveexec_b64 s[16:17], s[2:3]
	s_cbranch_execz .LBB114_6
; %bb.8:                                ;   in Loop: Header=BB114_7 Depth=2
	s_set_gpr_idx_on s14, gpr_idx(SRC0)
	v_mov_b32_e32 v27, v0
	s_set_gpr_idx_off
	v_add_f32_e32 v15, v15, v27
	global_store_dword v[22:23], v25, off
	s_branch .LBB114_6
.LBB114_9:                              ;   in Loop: Header=BB114_5 Depth=1
	s_or_b64 exec, exec, s[12:13]
	global_load_dword v25, v[20:21], off offset:4
	s_ashr_i32 s3, s10, 31
	s_mov_b32 s2, s10
	v_lshl_add_u64 v[22:23], s[2:3], 0, v[18:19]
	v_lshl_add_u64 v[22:23], v[22:23], 2, s[6:7]
	s_mov_b64 s[12:13], 0
	v_mov_b32_e32 v26, v24
	s_mov_b64 s[14:15], 0
	s_waitcnt vmcnt(0)
	s_branch .LBB114_11
.LBB114_10:                             ;   in Loop: Header=BB114_11 Depth=2
	s_or_b64 exec, exec, s[16:17]
	s_cmp_gt_u32 s14, 12
	s_cselect_b64 s[2:3], -1, 0
	s_xor_b64 s[16:17], vcc, -1
	s_or_b64 s[2:3], s[16:17], s[2:3]
	s_add_u32 s14, s14, 1
	s_addc_u32 s15, s15, 0
	s_and_b64 s[2:3], exec, s[2:3]
	s_or_b64 s[12:13], s[2:3], s[12:13]
	v_add_u32_e32 v26, 32, v26
	s_andn2_b64 exec, exec, s[12:13]
	s_cbranch_execz .LBB114_13
.LBB114_11:                             ;   Parent Loop BB114_5 Depth=1
                                        ; =>  This Inner Loop Header: Depth=2
	v_cmp_ne_u32_e32 vcc, v25, v26
	v_cmp_eq_u32_e64 s[2:3], v25, v26
	s_and_saveexec_b64 s[16:17], s[2:3]
	s_cbranch_execz .LBB114_10
; %bb.12:                               ;   in Loop: Header=BB114_11 Depth=2
	s_set_gpr_idx_on s14, gpr_idx(SRC0)
	v_mov_b32_e32 v27, v0
	s_set_gpr_idx_off
	v_add_f32_e32 v15, v15, v27
	global_store_dword v[22:23], v25, off offset:4
	s_branch .LBB114_10
.LBB114_13:                             ;   in Loop: Header=BB114_5 Depth=1
	s_or_b64 exec, exec, s[12:13]
	global_load_dword v25, v[20:21], off offset:8
	s_mov_b64 s[12:13], 0
	v_mov_b32_e32 v26, v24
	s_mov_b64 s[14:15], 0
	s_waitcnt vmcnt(0)
	s_branch .LBB114_15
.LBB114_14:                             ;   in Loop: Header=BB114_15 Depth=2
	s_or_b64 exec, exec, s[16:17]
	s_cmp_gt_u32 s14, 12
	s_cselect_b64 s[2:3], -1, 0
	s_xor_b64 s[16:17], vcc, -1
	s_or_b64 s[2:3], s[16:17], s[2:3]
	s_add_u32 s14, s14, 1
	s_addc_u32 s15, s15, 0
	s_and_b64 s[2:3], exec, s[2:3]
	s_or_b64 s[12:13], s[2:3], s[12:13]
	v_add_u32_e32 v26, 32, v26
	s_andn2_b64 exec, exec, s[12:13]
	s_cbranch_execz .LBB114_17
.LBB114_15:                             ;   Parent Loop BB114_5 Depth=1
                                        ; =>  This Inner Loop Header: Depth=2
	v_cmp_ne_u32_e32 vcc, v25, v26
	v_cmp_eq_u32_e64 s[2:3], v25, v26
	s_and_saveexec_b64 s[16:17], s[2:3]
	s_cbranch_execz .LBB114_14
; %bb.16:                               ;   in Loop: Header=BB114_15 Depth=2
	s_set_gpr_idx_on s14, gpr_idx(SRC0)
	v_mov_b32_e32 v27, v0
	s_set_gpr_idx_off
	v_add_f32_e32 v15, v15, v27
	global_store_dword v[22:23], v25, off offset:8
	s_branch .LBB114_14
.LBB114_17:                             ;   in Loop: Header=BB114_5 Depth=1
	s_or_b64 exec, exec, s[12:13]
	global_load_dword v20, v[20:21], off offset:12
	s_mov_b64 s[12:13], 0
	v_mov_b32_e32 v21, v24
	s_mov_b64 s[14:15], 0
	s_waitcnt vmcnt(0)
	s_branch .LBB114_19
.LBB114_18:                             ;   in Loop: Header=BB114_19 Depth=2
	s_or_b64 exec, exec, s[16:17]
	s_cmp_gt_u32 s14, 12
	s_cselect_b64 s[2:3], -1, 0
	s_xor_b64 s[16:17], vcc, -1
	s_or_b64 s[2:3], s[16:17], s[2:3]
	s_add_u32 s14, s14, 1
	s_addc_u32 s15, s15, 0
	s_and_b64 s[2:3], exec, s[2:3]
	s_or_b64 s[12:13], s[2:3], s[12:13]
	v_add_u32_e32 v21, 32, v21
	s_andn2_b64 exec, exec, s[12:13]
	s_cbranch_execz .LBB114_4
.LBB114_19:                             ;   Parent Loop BB114_5 Depth=1
                                        ; =>  This Inner Loop Header: Depth=2
	v_cmp_ne_u32_e32 vcc, v20, v21
	v_cmp_eq_u32_e64 s[2:3], v20, v21
	s_and_saveexec_b64 s[16:17], s[2:3]
	s_cbranch_execz .LBB114_18
; %bb.20:                               ;   in Loop: Header=BB114_19 Depth=2
	s_set_gpr_idx_on s14, gpr_idx(SRC0)
	v_mov_b32_e32 v25, v0
	s_set_gpr_idx_off
	v_add_f32_e32 v15, v15, v25
	global_store_dword v[22:23], v20, off offset:12
	s_branch .LBB114_18
.LBB114_21:
	v_mov_b32_e32 v15, 0
.LBB114_22:
	s_and_b32 s16, s33, 3
	s_cmp_eq_u32 s16, 0
	s_mov_b32 s9, 0
	s_cbranch_scc1 .LBB114_29
; %bb.23:
	s_mov_b32 s17, s9
	s_branch .LBB114_25
.LBB114_24:                             ;   in Loop: Header=BB114_25 Depth=1
	s_or_b64 exec, exec, s[10:11]
	s_add_i32 s8, s8, 1
	s_add_i32 s17, s17, 1
	s_cmp_lg_u32 s17, s16
	s_cbranch_scc0 .LBB114_29
.LBB114_25:                             ; =>This Loop Header: Depth=1
                                        ;     Child Loop BB114_27 Depth 2
	v_lshl_add_u64 v[20:21], s[8:9], 2, v[16:17]
	global_load_dword v19, v[20:21], off
	v_add_u32_e32 v20, s8, v18
	v_ashrrev_i32_e32 v21, 31, v20
	s_waitcnt lgkmcnt(0)
	v_lshl_add_u64 v[20:21], v[20:21], 2, s[6:7]
	s_mov_b64 s[10:11], 0
	v_mov_b32_e32 v22, v24
	s_mov_b64 s[12:13], 0
	s_waitcnt vmcnt(0)
	s_branch .LBB114_27
.LBB114_26:                             ;   in Loop: Header=BB114_27 Depth=2
	s_or_b64 exec, exec, s[14:15]
	s_cmp_gt_u32 s12, 12
	s_cselect_b64 s[2:3], -1, 0
	s_xor_b64 s[14:15], vcc, -1
	s_or_b64 s[2:3], s[14:15], s[2:3]
	s_add_u32 s12, s12, 1
	s_addc_u32 s13, s13, 0
	s_and_b64 s[2:3], exec, s[2:3]
	s_or_b64 s[10:11], s[2:3], s[10:11]
	v_add_u32_e32 v22, 32, v22
	s_andn2_b64 exec, exec, s[10:11]
	s_cbranch_execz .LBB114_24
.LBB114_27:                             ;   Parent Loop BB114_25 Depth=1
                                        ; =>  This Inner Loop Header: Depth=2
	v_cmp_ne_u32_e32 vcc, v19, v22
	v_cmp_eq_u32_e64 s[2:3], v19, v22
	s_and_saveexec_b64 s[14:15], s[2:3]
	s_cbranch_execz .LBB114_26
; %bb.28:                               ;   in Loop: Header=BB114_27 Depth=2
	s_set_gpr_idx_on s12, gpr_idx(SRC0)
	v_mov_b32_e32 v23, v0
	s_set_gpr_idx_off
	v_add_f32_e32 v15, v15, v23
	global_store_dword v[20:21], v19, off
	s_branch .LBB114_26
.LBB114_29:
	s_waitcnt lgkmcnt(0)
	s_load_dword s6, s[0:1], 0x3c
	s_waitcnt lgkmcnt(0)
	s_bitcmp1_b32 s6, 0
	s_cselect_b64 s[2:3], -1, 0
	s_bitcmp0_b32 s6, 0
	s_cbranch_scc0 .LBB114_32
; %bb.30:
	s_load_dwordx2 s[6:7], s[0:1], 0x40
	s_andn2_b64 vcc, exec, s[2:3]
	s_waitcnt lgkmcnt(0)
	v_cvt_f32_f64_e32 v20, s[6:7]
	s_cbranch_vccz .LBB114_33
.LBB114_31:
	s_andn2_b64 vcc, exec, s[4:5]
	s_cbranch_vccz .LBB114_34
	s_branch .LBB114_64
.LBB114_32:
	v_mbcnt_lo_u32_b32 v18, -1, 0
	v_mbcnt_hi_u32_b32 v18, -1, v18
	v_and_b32_e32 v19, 0x60, v18
	v_add_u32_e32 v19, 32, v19
	v_xor_b32_e32 v20, 16, v18
	v_cmp_lt_i32_e32 vcc, v20, v19
	v_xor_b32_e32 v21, 8, v18
	s_nop 0
	v_cndmask_b32_e32 v20, v18, v20, vcc
	v_lshlrev_b32_e32 v20, 2, v20
	ds_bpermute_b32 v20, v20, v15
	v_cmp_lt_i32_e32 vcc, v21, v19
	s_waitcnt lgkmcnt(0)
	v_add_f32_e32 v15, v15, v20
	v_cndmask_b32_e32 v20, v18, v21, vcc
	v_lshlrev_b32_e32 v20, 2, v20
	ds_bpermute_b32 v20, v20, v15
	v_xor_b32_e32 v21, 4, v18
	v_cmp_lt_i32_e32 vcc, v21, v19
	s_waitcnt lgkmcnt(0)
	v_add_f32_e32 v15, v15, v20
	v_cndmask_b32_e32 v20, v18, v21, vcc
	v_lshlrev_b32_e32 v20, 2, v20
	ds_bpermute_b32 v20, v20, v15
	v_xor_b32_e32 v21, 2, v18
	;; [unrolled: 7-line block ×3, first 2 shown]
	v_cmp_lt_i32_e32 vcc, v21, v19
	s_waitcnt lgkmcnt(0)
	v_add_f32_e32 v15, v15, v20
	v_cndmask_b32_e32 v18, v18, v21, vcc
	v_lshlrev_b32_e32 v18, 2, v18
	ds_bpermute_b32 v18, v18, v15
	s_waitcnt lgkmcnt(0)
	v_add_f32_e32 v15, v15, v18
	s_load_dwordx2 s[6:7], s[0:1], 0x40
	s_andn2_b64 vcc, exec, s[2:3]
	s_waitcnt lgkmcnt(0)
	v_cvt_f32_f64_e32 v20, s[6:7]
	s_cbranch_vccnz .LBB114_31
.LBB114_33:
	v_cmp_lt_f32_e32 vcc, 0, v15
	s_nop 1
	v_cndmask_b32_e32 v15, 1.0, v15, vcc
	v_div_scale_f32 v18, s[2:3], v15, v15, v20
	v_rcp_f32_e32 v19, v18
	s_nop 0
	v_fma_f32 v21, -v18, v19, 1.0
	v_fmac_f32_e32 v19, v21, v19
	v_div_scale_f32 v21, vcc, v20, v15, v20
	v_mul_f32_e32 v22, v21, v19
	v_fma_f32 v23, -v18, v22, v21
	v_fmac_f32_e32 v22, v23, v19
	v_fma_f32 v18, -v18, v22, v21
	v_div_fmas_f32 v18, v18, v19, v22
	v_div_fixup_f32 v20, v18, v15, v20
	s_andn2_b64 vcc, exec, s[4:5]
	s_cbranch_vccnz .LBB114_64
.LBB114_34:
	s_load_dwordx2 s[24:25], s[0:1], 0x10
	v_or_b32_e32 v21, 32, v24
	v_or_b32_e32 v22, 64, v24
	;; [unrolled: 1-line block ×13, first 2 shown]
	s_branch .LBB114_36
.LBB114_35:                             ;   in Loop: Header=BB114_36 Depth=1
	s_or_b64 exec, exec, s[0:1]
	s_add_i32 s33, s33, -1
	v_add_u32_e32 v14, 1, v14
	s_cmp_lg_u32 s33, 0
	v_lshl_add_u64 v[16:17], v[16:17], 0, 4
	s_cbranch_scc0 .LBB114_64
.LBB114_36:                             ; =>This Inner Loop Header: Depth=1
	global_load_dword v15, v[16:17], off
	v_mov_b64_e32 v[18:19], 0
	s_waitcnt vmcnt(0)
	v_cmp_eq_u32_e32 vcc, v15, v24
	v_cmp_ne_u32_e64 s[0:1], v15, v24
	s_and_saveexec_b64 s[26:27], s[0:1]
	s_cbranch_execz .LBB114_62
; %bb.37:                               ;   in Loop: Header=BB114_36 Depth=1
	v_cmp_eq_u32_e64 s[0:1], v15, v21
	v_cmp_ne_u32_e64 s[2:3], v15, v21
	v_mov_b64_e32 v[18:19], 1
	s_and_saveexec_b64 s[28:29], s[2:3]
	s_cbranch_execz .LBB114_61
; %bb.38:                               ;   in Loop: Header=BB114_36 Depth=1
	v_cmp_eq_u32_e64 s[2:3], v15, v22
	v_cmp_ne_u32_e64 s[4:5], v15, v22
	v_mov_b64_e32 v[18:19], 2
	;; [unrolled: 6-line block ×12, first 2 shown]
	s_and_saveexec_b64 s[54:55], s[22:23]
	s_xor_b64 s[54:55], exec, s[54:55]
; %bb.49:                               ;   in Loop: Header=BB114_36 Depth=1
	v_cmp_eq_u32_e64 s[22:23], v15, v34
	s_andn2_b64 s[52:53], s[52:53], exec
	s_and_b64 s[22:23], s[22:23], exec
	v_mov_b64_e32 v[18:19], 13
	s_or_b64 s[52:53], s[52:53], s[22:23]
; %bb.50:                               ;   in Loop: Header=BB114_36 Depth=1
	s_or_b64 exec, exec, s[54:55]
	s_andn2_b64 s[20:21], s[20:21], exec
	s_and_b64 s[22:23], s[52:53], exec
	s_or_b64 s[20:21], s[20:21], s[22:23]
.LBB114_51:                             ;   in Loop: Header=BB114_36 Depth=1
	s_or_b64 exec, exec, s[50:51]
	s_andn2_b64 s[18:19], s[18:19], exec
	s_and_b64 s[20:21], s[20:21], exec
	s_or_b64 s[18:19], s[18:19], s[20:21]
.LBB114_52:                             ;   in Loop: Header=BB114_36 Depth=1
	s_or_b64 exec, exec, s[48:49]
	s_andn2_b64 s[16:17], s[16:17], exec
	s_and_b64 s[18:19], s[18:19], exec
	s_or_b64 s[16:17], s[16:17], s[18:19]
.LBB114_53:                             ;   in Loop: Header=BB114_36 Depth=1
	s_or_b64 exec, exec, s[46:47]
	s_andn2_b64 s[14:15], s[14:15], exec
	s_and_b64 s[16:17], s[16:17], exec
	s_or_b64 s[14:15], s[14:15], s[16:17]
.LBB114_54:                             ;   in Loop: Header=BB114_36 Depth=1
	s_or_b64 exec, exec, s[44:45]
	s_andn2_b64 s[12:13], s[12:13], exec
	s_and_b64 s[14:15], s[14:15], exec
	s_or_b64 s[12:13], s[12:13], s[14:15]
.LBB114_55:                             ;   in Loop: Header=BB114_36 Depth=1
	s_or_b64 exec, exec, s[42:43]
	s_andn2_b64 s[10:11], s[10:11], exec
	s_and_b64 s[12:13], s[12:13], exec
	s_or_b64 s[10:11], s[10:11], s[12:13]
.LBB114_56:                             ;   in Loop: Header=BB114_36 Depth=1
	s_or_b64 exec, exec, s[40:41]
	s_andn2_b64 s[8:9], s[8:9], exec
	s_and_b64 s[10:11], s[10:11], exec
	s_or_b64 s[8:9], s[8:9], s[10:11]
.LBB114_57:                             ;   in Loop: Header=BB114_36 Depth=1
	s_or_b64 exec, exec, s[38:39]
	s_andn2_b64 s[6:7], s[6:7], exec
	s_and_b64 s[8:9], s[8:9], exec
	s_or_b64 s[6:7], s[6:7], s[8:9]
.LBB114_58:                             ;   in Loop: Header=BB114_36 Depth=1
	s_or_b64 exec, exec, s[36:37]
	s_andn2_b64 s[4:5], s[4:5], exec
	s_and_b64 s[6:7], s[6:7], exec
	s_or_b64 s[4:5], s[4:5], s[6:7]
.LBB114_59:                             ;   in Loop: Header=BB114_36 Depth=1
	s_or_b64 exec, exec, s[34:35]
	s_andn2_b64 s[2:3], s[2:3], exec
	s_and_b64 s[4:5], s[4:5], exec
	s_or_b64 s[2:3], s[2:3], s[4:5]
.LBB114_60:                             ;   in Loop: Header=BB114_36 Depth=1
	s_or_b64 exec, exec, s[30:31]
	s_andn2_b64 s[0:1], s[0:1], exec
	s_and_b64 s[2:3], s[2:3], exec
	s_or_b64 s[0:1], s[0:1], s[2:3]
.LBB114_61:                             ;   in Loop: Header=BB114_36 Depth=1
	s_or_b64 exec, exec, s[28:29]
	s_andn2_b64 s[2:3], vcc, exec
	s_and_b64 s[0:1], s[0:1], exec
	s_or_b64 vcc, s[2:3], s[0:1]
.LBB114_62:                             ;   in Loop: Header=BB114_36 Depth=1
	s_or_b64 exec, exec, s[26:27]
	s_and_saveexec_b64 s[0:1], vcc
	s_cbranch_execz .LBB114_35
; %bb.63:                               ;   in Loop: Header=BB114_36 Depth=1
	v_cmp_eq_u32_e32 vcc, 1, v18
	s_nop 1
	v_cndmask_b32_e32 v15, v0, v1, vcc
	v_cmp_eq_u32_e32 vcc, 2, v18
	s_nop 1
	v_cndmask_b32_e32 v15, v15, v2, vcc
	;; [unrolled: 3-line block ×13, first 2 shown]
	v_mul_f32_e32 v35, v20, v15
	v_ashrrev_i32_e32 v15, 31, v14
	s_waitcnt lgkmcnt(0)
	v_lshl_add_u64 v[18:19], v[14:15], 2, s[24:25]
	global_store_dword v[18:19], v35, off
	s_branch .LBB114_35
.LBB114_64:
	s_endpgm
	.section	.rodata,"a",@progbits
	.p2align	6, 0x0
	.amdhsa_kernel _ZN4vllm3moe22topkGatingSoftplusSqrtILi14ELi448ELi4ELi4ELi32ELb1EjfEEvPKT6_PKbPfiPT5_PiiiibdPKfPKS8_SE_
		.amdhsa_group_segment_fixed_size 0
		.amdhsa_private_segment_fixed_size 0
		.amdhsa_kernarg_size 96
		.amdhsa_user_sgpr_count 2
		.amdhsa_user_sgpr_dispatch_ptr 0
		.amdhsa_user_sgpr_queue_ptr 0
		.amdhsa_user_sgpr_kernarg_segment_ptr 1
		.amdhsa_user_sgpr_dispatch_id 0
		.amdhsa_user_sgpr_kernarg_preload_length 0
		.amdhsa_user_sgpr_kernarg_preload_offset 0
		.amdhsa_user_sgpr_private_segment_size 0
		.amdhsa_uses_dynamic_stack 0
		.amdhsa_enable_private_segment 0
		.amdhsa_system_sgpr_workgroup_id_x 1
		.amdhsa_system_sgpr_workgroup_id_y 0
		.amdhsa_system_sgpr_workgroup_id_z 0
		.amdhsa_system_sgpr_workgroup_info 0
		.amdhsa_system_vgpr_workitem_id 1
		.amdhsa_next_free_vgpr 36
		.amdhsa_next_free_sgpr 56
		.amdhsa_accum_offset 36
		.amdhsa_reserve_vcc 1
		.amdhsa_float_round_mode_32 0
		.amdhsa_float_round_mode_16_64 0
		.amdhsa_float_denorm_mode_32 3
		.amdhsa_float_denorm_mode_16_64 3
		.amdhsa_dx10_clamp 1
		.amdhsa_ieee_mode 1
		.amdhsa_fp16_overflow 0
		.amdhsa_tg_split 0
		.amdhsa_exception_fp_ieee_invalid_op 0
		.amdhsa_exception_fp_denorm_src 0
		.amdhsa_exception_fp_ieee_div_zero 0
		.amdhsa_exception_fp_ieee_overflow 0
		.amdhsa_exception_fp_ieee_underflow 0
		.amdhsa_exception_fp_ieee_inexact 0
		.amdhsa_exception_int_div_zero 0
	.end_amdhsa_kernel
	.section	.text._ZN4vllm3moe22topkGatingSoftplusSqrtILi14ELi448ELi4ELi4ELi32ELb1EjfEEvPKT6_PKbPfiPT5_PiiiibdPKfPKS8_SE_,"axG",@progbits,_ZN4vllm3moe22topkGatingSoftplusSqrtILi14ELi448ELi4ELi4ELi32ELb1EjfEEvPKT6_PKbPfiPT5_PiiiibdPKfPKS8_SE_,comdat
.Lfunc_end114:
	.size	_ZN4vllm3moe22topkGatingSoftplusSqrtILi14ELi448ELi4ELi4ELi32ELb1EjfEEvPKT6_PKbPfiPT5_PiiiibdPKfPKS8_SE_, .Lfunc_end114-_ZN4vllm3moe22topkGatingSoftplusSqrtILi14ELi448ELi4ELi4ELi32ELb1EjfEEvPKT6_PKbPfiPT5_PiiiibdPKfPKS8_SE_
                                        ; -- End function
	.section	.AMDGPU.csdata,"",@progbits
; Kernel info:
; codeLenInByte = 5560
; NumSgprs: 62
; NumVgprs: 36
; NumAgprs: 0
; TotalNumVgprs: 36
; ScratchSize: 0
; MemoryBound: 0
; FloatMode: 240
; IeeeMode: 1
; LDSByteSize: 0 bytes/workgroup (compile time only)
; SGPRBlocks: 7
; VGPRBlocks: 4
; NumSGPRsForWavesPerEU: 62
; NumVGPRsForWavesPerEU: 36
; AccumOffset: 36
; Occupancy: 8
; WaveLimiterHint : 1
; COMPUTE_PGM_RSRC2:SCRATCH_EN: 0
; COMPUTE_PGM_RSRC2:USER_SGPR: 2
; COMPUTE_PGM_RSRC2:TRAP_HANDLER: 0
; COMPUTE_PGM_RSRC2:TGID_X_EN: 1
; COMPUTE_PGM_RSRC2:TGID_Y_EN: 0
; COMPUTE_PGM_RSRC2:TGID_Z_EN: 0
; COMPUTE_PGM_RSRC2:TIDIG_COMP_CNT: 1
; COMPUTE_PGM_RSRC3_GFX90A:ACCUM_OFFSET: 8
; COMPUTE_PGM_RSRC3_GFX90A:TG_SPLIT: 0
	.section	.text._ZN4vllm3moe22topkGatingSoftplusSqrtILi14ELi448ELi4ELi4ELi32ELb0EjfEEvPKT6_PKbPfiPT5_PiiiibdPKfPKS8_SE_,"axG",@progbits,_ZN4vllm3moe22topkGatingSoftplusSqrtILi14ELi448ELi4ELi4ELi32ELb0EjfEEvPKT6_PKbPfiPT5_PiiiibdPKfPKS8_SE_,comdat
	.protected	_ZN4vllm3moe22topkGatingSoftplusSqrtILi14ELi448ELi4ELi4ELi32ELb0EjfEEvPKT6_PKbPfiPT5_PiiiibdPKfPKS8_SE_ ; -- Begin function _ZN4vllm3moe22topkGatingSoftplusSqrtILi14ELi448ELi4ELi4ELi32ELb0EjfEEvPKT6_PKbPfiPT5_PiiiibdPKfPKS8_SE_
	.globl	_ZN4vllm3moe22topkGatingSoftplusSqrtILi14ELi448ELi4ELi4ELi32ELb0EjfEEvPKT6_PKbPfiPT5_PiiiibdPKfPKS8_SE_
	.p2align	8
	.type	_ZN4vllm3moe22topkGatingSoftplusSqrtILi14ELi448ELi4ELi4ELi32ELb0EjfEEvPKT6_PKbPfiPT5_PiiiibdPKfPKS8_SE_,@function
_ZN4vllm3moe22topkGatingSoftplusSqrtILi14ELi448ELi4ELi4ELi32ELb0EjfEEvPKT6_PKbPfiPT5_PiiiibdPKfPKS8_SE_: ; @_ZN4vllm3moe22topkGatingSoftplusSqrtILi14ELi448ELi4ELi4ELi32ELb0EjfEEvPKT6_PKbPfiPT5_PiiiibdPKfPKS8_SE_
; %bb.0:
	s_load_dword s30, s[0:1], 0x18
	v_and_b32_e32 v1, 0x3ff, v0
	s_lshl_b32 s2, s2, 2
	v_lshrrev_b32_e32 v2, 5, v1
	v_bfe_u32 v0, v0, 10, 10
	v_add3_u32 v14, s2, v0, v2
	s_waitcnt lgkmcnt(0)
	v_cmp_gt_i32_e32 vcc, s30, v14
	s_and_saveexec_b64 s[2:3], vcc
	s_cbranch_execz .LBB115_73
; %bb.1:
	s_load_dwordx4 s[4:7], s[0:1], 0x0
	s_load_dwordx2 s[20:21], s[0:1], 0x10
	s_waitcnt lgkmcnt(0)
	s_cmp_eq_u64 s[6:7], 0
	s_cbranch_scc1 .LBB115_3
; %bb.2:
	v_ashrrev_i32_e32 v15, 31, v14
	v_lshl_add_u64 v[2:3], s[6:7], 0, v[14:15]
	global_load_ubyte v0, v[2:3], off
	s_waitcnt vmcnt(0)
	v_and_b32_e32 v0, 1, v0
	v_cmp_eq_u32_e32 vcc, 1, v0
	s_xor_b64 s[2:3], vcc, -1
	s_orn2_b64 s[22:23], s[2:3], exec
	s_branch .LBB115_4
.LBB115_3:
	s_mov_b64 s[22:23], -1
.LBB115_4:
	s_movk_i32 s2, 0x1c0
	v_mul_lo_u32 v4, v14, s2
	v_mov_b32_e32 v2, s4
	v_mov_b32_e32 v3, s5
	v_ashrrev_i32_e32 v5, 31, v4
	v_and_b32_e32 v16, 31, v1
	v_lshl_add_u64 v[2:3], v[4:5], 2, v[2:3]
	v_mov_b32_e32 v19, 0
	v_lshlrev_b32_e32 v18, 2, v16
	v_lshl_add_u64 v[20:21], v[2:3], 0, v[18:19]
	global_load_dword v0, v[20:21], off
	global_load_dword v1, v[20:21], off offset:128
	global_load_dword v2, v[20:21], off offset:256
	;; [unrolled: 1-line block ×13, first 2 shown]
	s_mov_b32 s16, 0x800000
	v_mov_b32_e32 v19, 0x4f800000
	s_mov_b32 s13, 0x3f317217
	s_mov_b32 s14, 0x7f800000
	v_mov_b32_e32 v17, 0x41b17218
	s_mov_b32 s12, 0x41a00000
	s_mov_b32 s15, 0xf800000
	s_load_dwordx4 s[8:11], s[0:1], 0x40
	s_waitcnt lgkmcnt(0)
	s_cmp_lg_u64 s[10:11], 0
	s_cselect_b64 s[6:7], -1, 0
	s_and_b64 s[2:3], exec, s[6:7]
	s_waitcnt vmcnt(13)
	v_mul_f32_e32 v15, 0x3fb8aa3b, v0
	v_exp_f32_e32 v15, v15
	s_nop 0
	v_add_f32_e32 v15, 1.0, v15
	v_cmp_gt_f32_e32 vcc, s16, v15
	s_nop 1
	v_cndmask_b32_e32 v20, 1.0, v19, vcc
	v_mul_f32_e32 v15, v15, v20
	v_log_f32_e32 v20, v15
	v_cndmask_b32_e32 v21, 0, v17, vcc
	v_mov_b32_e32 v15, 0x260
	v_mul_f32_e32 v22, 0x3f317217, v20
	v_fma_f32 v22, v20, s13, -v22
	v_fmac_f32_e32 v22, 0x3377d1cf, v20
	v_fmac_f32_e32 v22, 0x3f317217, v20
	v_cmp_lt_f32_e64 vcc, |v20|, s14
	s_nop 1
	v_cndmask_b32_e32 v20, v20, v22, vcc
	v_sub_f32_e32 v20, v20, v21
	v_cmp_lt_f32_e32 vcc, s12, v0
	s_nop 1
	v_cndmask_b32_e32 v0, v20, v0, vcc
	v_mul_f32_e32 v20, 0x4f800000, v0
	v_cmp_gt_f32_e32 vcc, s15, v0
	s_nop 1
	v_cndmask_b32_e32 v0, v0, v20, vcc
	v_sqrt_f32_e32 v20, v0
	s_nop 0
	v_add_u32_e32 v21, -1, v20
	v_add_u32_e32 v22, 1, v20
	v_fma_f32 v23, -v21, v20, v0
	v_fma_f32 v24, -v22, v20, v0
	v_cmp_ge_f32_e64 s[4:5], 0, v23
	s_nop 1
	v_cndmask_b32_e64 v20, v20, v21, s[4:5]
	v_cmp_lt_f32_e64 s[4:5], 0, v24
	s_nop 1
	v_cndmask_b32_e64 v20, v20, v22, s[4:5]
	v_mul_f32_e32 v21, 0x37800000, v20
	v_cndmask_b32_e32 v20, v20, v21, vcc
	v_cmp_class_f32_e32 vcc, v0, v15
	s_nop 1
	v_cndmask_b32_e32 v0, v20, v0, vcc
	s_mov_b64 vcc, s[2:3]
	s_cbranch_vccz .LBB115_6
; %bb.5:
	global_load_dword v20, v18, s[10:11]
	s_waitcnt vmcnt(0)
	v_add_f32_e32 v0, v0, v20
.LBB115_6:
	s_waitcnt vmcnt(12)
	v_mul_f32_e32 v20, 0x3fb8aa3b, v1
	v_exp_f32_e32 v20, v20
	s_nop 0
	v_add_f32_e32 v20, 1.0, v20
	v_cmp_gt_f32_e32 vcc, s16, v20
	s_nop 1
	v_cndmask_b32_e32 v19, 1.0, v19, vcc
	v_mul_f32_e32 v19, v20, v19
	v_log_f32_e32 v19, v19
	v_cndmask_b32_e32 v17, 0, v17, vcc
	v_mul_f32_e32 v20, 0x3f317217, v19
	v_fma_f32 v20, v19, s13, -v20
	v_fmac_f32_e32 v20, 0x3377d1cf, v19
	v_fmac_f32_e32 v20, 0x3f317217, v19
	v_cmp_lt_f32_e64 vcc, |v19|, s14
	s_nop 1
	v_cndmask_b32_e32 v19, v19, v20, vcc
	v_sub_f32_e32 v17, v19, v17
	v_cmp_lt_f32_e32 vcc, s12, v1
	s_nop 1
	v_cndmask_b32_e32 v1, v17, v1, vcc
	v_mul_f32_e32 v17, 0x4f800000, v1
	v_cmp_gt_f32_e32 vcc, s15, v1
	s_nop 1
	v_cndmask_b32_e32 v1, v1, v17, vcc
	v_sqrt_f32_e32 v17, v1
	v_cmp_class_f32_e64 s[4:5], v1, v15
	v_add_u32_e32 v19, -1, v17
	v_add_u32_e32 v20, 1, v17
	v_fma_f32 v21, -v19, v17, v1
	v_fma_f32 v22, -v20, v17, v1
	v_cmp_ge_f32_e64 s[2:3], 0, v21
	s_nop 1
	v_cndmask_b32_e64 v17, v17, v19, s[2:3]
	v_cmp_lt_f32_e64 s[2:3], 0, v22
	s_nop 1
	v_cndmask_b32_e64 v17, v17, v20, s[2:3]
	v_mul_f32_e32 v19, 0x37800000, v17
	v_cndmask_b32_e32 v17, v17, v19, vcc
	v_cndmask_b32_e64 v19, 0, 1, s[6:7]
	v_cmp_ne_u32_e64 s[2:3], 1, v19
	s_andn2_b64 vcc, exec, s[6:7]
	v_cndmask_b32_e64 v1, v17, v1, s[4:5]
	s_cbranch_vccnz .LBB115_8
; %bb.7:
	global_load_dword v15, v18, s[10:11] offset:128
	s_waitcnt vmcnt(0)
	v_add_f32_e32 v1, v1, v15
.LBB115_8:
	s_waitcnt vmcnt(11)
	v_mul_f32_e32 v15, 0x3fb8aa3b, v2
	v_exp_f32_e32 v15, v15
	s_mov_b32 s14, 0x800000
	v_mov_b32_e32 v17, 0x4f800000
	s_mov_b32 s7, 0x3f317217
	v_add_f32_e32 v15, 1.0, v15
	v_cmp_gt_f32_e32 vcc, s14, v15
	s_mov_b32 s12, 0x7f800000
	s_mov_b32 s6, 0x41a00000
	v_cndmask_b32_e32 v19, 1.0, v17, vcc
	v_mul_f32_e32 v15, v15, v19
	v_log_f32_e32 v15, v15
	s_mov_b32 s13, 0xf800000
	v_mul_f32_e32 v19, 0x3f317217, v15
	v_fma_f32 v19, v15, s7, -v19
	v_fmac_f32_e32 v19, 0x3377d1cf, v15
	v_fmac_f32_e32 v19, 0x3f317217, v15
	v_cmp_lt_f32_e64 s[4:5], |v15|, s12
	s_nop 1
	v_cndmask_b32_e64 v15, v15, v19, s[4:5]
	v_mov_b32_e32 v19, 0x41b17218
	v_cndmask_b32_e32 v20, 0, v19, vcc
	v_sub_f32_e32 v15, v15, v20
	v_cmp_lt_f32_e32 vcc, s6, v2
	s_nop 1
	v_cndmask_b32_e32 v2, v15, v2, vcc
	v_mul_f32_e32 v15, 0x4f800000, v2
	v_cmp_gt_f32_e32 vcc, s13, v2
	s_nop 1
	v_cndmask_b32_e32 v2, v2, v15, vcc
	v_sqrt_f32_e32 v15, v2
	s_nop 0
	v_add_u32_e32 v20, -1, v15
	v_fma_f32 v21, -v20, v15, v2
	v_cmp_ge_f32_e64 s[4:5], 0, v21
	v_add_u32_e32 v21, 1, v15
	s_nop 0
	v_cndmask_b32_e64 v20, v15, v20, s[4:5]
	v_fma_f32 v15, -v21, v15, v2
	v_cmp_lt_f32_e64 s[4:5], 0, v15
	s_nop 1
	v_cndmask_b32_e64 v15, v20, v21, s[4:5]
	v_mul_f32_e32 v20, 0x37800000, v15
	v_cndmask_b32_e32 v20, v15, v20, vcc
	v_mov_b32_e32 v15, 0x260
	v_cmp_class_f32_e64 s[4:5], v2, v15
	s_and_b64 vcc, exec, s[2:3]
	s_nop 0
	v_cndmask_b32_e64 v2, v20, v2, s[4:5]
	s_cbranch_vccnz .LBB115_10
; %bb.9:
	global_load_dword v20, v18, s[10:11] offset:256
	s_waitcnt vmcnt(0)
	v_add_f32_e32 v2, v2, v20
.LBB115_10:
	s_waitcnt vmcnt(10)
	v_mul_f32_e32 v20, 0x3fb8aa3b, v3
	v_exp_f32_e32 v20, v20
	s_nop 0
	v_add_f32_e32 v20, 1.0, v20
	v_cmp_gt_f32_e32 vcc, s14, v20
	s_nop 1
	v_cndmask_b32_e32 v17, 1.0, v17, vcc
	v_mul_f32_e32 v17, v20, v17
	v_log_f32_e32 v17, v17
	v_cndmask_b32_e32 v19, 0, v19, vcc
	v_mul_f32_e32 v20, 0x3f317217, v17
	v_fma_f32 v20, v17, s7, -v20
	v_fmac_f32_e32 v20, 0x3377d1cf, v17
	v_fmac_f32_e32 v20, 0x3f317217, v17
	v_cmp_lt_f32_e64 vcc, |v17|, s12
	s_nop 1
	v_cndmask_b32_e32 v17, v17, v20, vcc
	v_sub_f32_e32 v17, v17, v19
	v_cmp_lt_f32_e32 vcc, s6, v3
	s_nop 1
	v_cndmask_b32_e32 v3, v17, v3, vcc
	v_mul_f32_e32 v17, 0x4f800000, v3
	v_cmp_gt_f32_e32 vcc, s13, v3
	s_nop 1
	v_cndmask_b32_e32 v3, v3, v17, vcc
	v_sqrt_f32_e32 v17, v3
	s_nop 0
	v_add_u32_e32 v19, -1, v17
	v_add_u32_e32 v20, 1, v17
	v_fma_f32 v21, -v19, v17, v3
	v_fma_f32 v22, -v20, v17, v3
	v_cmp_ge_f32_e64 s[4:5], 0, v21
	s_nop 1
	v_cndmask_b32_e64 v17, v17, v19, s[4:5]
	v_cmp_lt_f32_e64 s[4:5], 0, v22
	s_nop 1
	v_cndmask_b32_e64 v17, v17, v20, s[4:5]
	v_mul_f32_e32 v19, 0x37800000, v17
	v_cndmask_b32_e32 v17, v17, v19, vcc
	v_cmp_class_f32_e64 s[4:5], v3, v15
	s_and_b64 vcc, exec, s[2:3]
	s_nop 0
	v_cndmask_b32_e64 v3, v17, v3, s[4:5]
	s_cbranch_vccnz .LBB115_12
; %bb.11:
	global_load_dword v15, v18, s[10:11] offset:384
	s_waitcnt vmcnt(0)
	v_add_f32_e32 v3, v3, v15
.LBB115_12:
	s_waitcnt vmcnt(9)
	v_mul_f32_e32 v15, 0x3fb8aa3b, v4
	v_exp_f32_e32 v15, v15
	v_mov_b32_e32 v17, 0x4f800000
	v_add_f32_e32 v15, 1.0, v15
	v_cmp_gt_f32_e32 vcc, s14, v15
	s_nop 1
	v_cndmask_b32_e32 v19, 1.0, v17, vcc
	v_mul_f32_e32 v15, v15, v19
	v_log_f32_e32 v15, v15
	s_nop 0
	v_mul_f32_e32 v19, 0x3f317217, v15
	v_fma_f32 v19, v15, s7, -v19
	v_fmac_f32_e32 v19, 0x3377d1cf, v15
	v_fmac_f32_e32 v19, 0x3f317217, v15
	v_cmp_lt_f32_e64 s[4:5], |v15|, s12
	s_nop 1
	v_cndmask_b32_e64 v15, v15, v19, s[4:5]
	v_mov_b32_e32 v19, 0x41b17218
	v_cndmask_b32_e32 v20, 0, v19, vcc
	v_sub_f32_e32 v15, v15, v20
	v_cmp_lt_f32_e32 vcc, s6, v4
	s_nop 1
	v_cndmask_b32_e32 v4, v15, v4, vcc
	v_mul_f32_e32 v15, 0x4f800000, v4
	v_cmp_gt_f32_e32 vcc, s13, v4
	s_nop 1
	v_cndmask_b32_e32 v4, v4, v15, vcc
	v_sqrt_f32_e32 v15, v4
	s_nop 0
	v_add_u32_e32 v20, -1, v15
	v_fma_f32 v21, -v20, v15, v4
	v_cmp_ge_f32_e64 s[4:5], 0, v21
	v_add_u32_e32 v21, 1, v15
	s_nop 0
	v_cndmask_b32_e64 v20, v15, v20, s[4:5]
	v_fma_f32 v15, -v21, v15, v4
	v_cmp_lt_f32_e64 s[4:5], 0, v15
	s_nop 1
	v_cndmask_b32_e64 v15, v20, v21, s[4:5]
	v_mul_f32_e32 v20, 0x37800000, v15
	v_cndmask_b32_e32 v20, v15, v20, vcc
	v_mov_b32_e32 v15, 0x260
	v_cmp_class_f32_e64 s[4:5], v4, v15
	s_and_b64 vcc, exec, s[2:3]
	s_nop 0
	v_cndmask_b32_e64 v4, v20, v4, s[4:5]
	s_cbranch_vccnz .LBB115_14
; %bb.13:
	global_load_dword v20, v18, s[10:11] offset:512
	s_waitcnt vmcnt(0)
	v_add_f32_e32 v4, v4, v20
.LBB115_14:
	s_waitcnt vmcnt(8)
	v_mul_f32_e32 v20, 0x3fb8aa3b, v5
	v_exp_f32_e32 v20, v20
	s_nop 0
	v_add_f32_e32 v20, 1.0, v20
	v_cmp_gt_f32_e32 vcc, s14, v20
	s_nop 1
	v_cndmask_b32_e32 v17, 1.0, v17, vcc
	v_mul_f32_e32 v17, v20, v17
	v_log_f32_e32 v17, v17
	v_cndmask_b32_e32 v19, 0, v19, vcc
	v_mul_f32_e32 v20, 0x3f317217, v17
	v_fma_f32 v20, v17, s7, -v20
	v_fmac_f32_e32 v20, 0x3377d1cf, v17
	v_fmac_f32_e32 v20, 0x3f317217, v17
	v_cmp_lt_f32_e64 vcc, |v17|, s12
	s_nop 1
	v_cndmask_b32_e32 v17, v17, v20, vcc
	v_sub_f32_e32 v17, v17, v19
	v_cmp_lt_f32_e32 vcc, s6, v5
	s_nop 1
	v_cndmask_b32_e32 v5, v17, v5, vcc
	v_mul_f32_e32 v17, 0x4f800000, v5
	v_cmp_gt_f32_e32 vcc, s13, v5
	s_nop 1
	v_cndmask_b32_e32 v5, v5, v17, vcc
	v_sqrt_f32_e32 v17, v5
	s_nop 0
	v_add_u32_e32 v19, -1, v17
	v_add_u32_e32 v20, 1, v17
	v_fma_f32 v21, -v19, v17, v5
	v_fma_f32 v22, -v20, v17, v5
	v_cmp_ge_f32_e64 s[4:5], 0, v21
	s_nop 1
	v_cndmask_b32_e64 v17, v17, v19, s[4:5]
	v_cmp_lt_f32_e64 s[4:5], 0, v22
	s_nop 1
	v_cndmask_b32_e64 v17, v17, v20, s[4:5]
	v_mul_f32_e32 v19, 0x37800000, v17
	v_cndmask_b32_e32 v17, v17, v19, vcc
	v_cmp_class_f32_e64 s[4:5], v5, v15
	s_and_b64 vcc, exec, s[2:3]
	s_nop 0
	v_cndmask_b32_e64 v5, v17, v5, s[4:5]
	s_cbranch_vccnz .LBB115_16
; %bb.15:
	global_load_dword v15, v18, s[10:11] offset:640
	s_waitcnt vmcnt(0)
	v_add_f32_e32 v5, v5, v15
.LBB115_16:
	s_waitcnt vmcnt(7)
	v_mul_f32_e32 v15, 0x3fb8aa3b, v6
	v_exp_f32_e32 v15, v15
	v_mov_b32_e32 v17, 0x4f800000
	v_add_f32_e32 v15, 1.0, v15
	v_cmp_gt_f32_e32 vcc, s14, v15
	s_nop 1
	v_cndmask_b32_e32 v19, 1.0, v17, vcc
	v_mul_f32_e32 v15, v15, v19
	v_log_f32_e32 v15, v15
	s_nop 0
	v_mul_f32_e32 v19, 0x3f317217, v15
	v_fma_f32 v19, v15, s7, -v19
	v_fmac_f32_e32 v19, 0x3377d1cf, v15
	v_fmac_f32_e32 v19, 0x3f317217, v15
	v_cmp_lt_f32_e64 s[4:5], |v15|, s12
	s_nop 1
	v_cndmask_b32_e64 v15, v15, v19, s[4:5]
	v_mov_b32_e32 v19, 0x41b17218
	v_cndmask_b32_e32 v20, 0, v19, vcc
	v_sub_f32_e32 v15, v15, v20
	v_cmp_lt_f32_e32 vcc, s6, v6
	s_nop 1
	v_cndmask_b32_e32 v6, v15, v6, vcc
	v_mul_f32_e32 v15, 0x4f800000, v6
	v_cmp_gt_f32_e32 vcc, s13, v6
	s_nop 1
	v_cndmask_b32_e32 v6, v6, v15, vcc
	v_sqrt_f32_e32 v15, v6
	s_nop 0
	v_add_u32_e32 v20, -1, v15
	v_fma_f32 v21, -v20, v15, v6
	v_cmp_ge_f32_e64 s[4:5], 0, v21
	v_add_u32_e32 v21, 1, v15
	s_nop 0
	v_cndmask_b32_e64 v20, v15, v20, s[4:5]
	v_fma_f32 v15, -v21, v15, v6
	v_cmp_lt_f32_e64 s[4:5], 0, v15
	s_nop 1
	v_cndmask_b32_e64 v15, v20, v21, s[4:5]
	v_mul_f32_e32 v20, 0x37800000, v15
	v_cndmask_b32_e32 v20, v15, v20, vcc
	v_mov_b32_e32 v15, 0x260
	v_cmp_class_f32_e64 s[4:5], v6, v15
	s_and_b64 vcc, exec, s[2:3]
	s_nop 0
	v_cndmask_b32_e64 v6, v20, v6, s[4:5]
	s_cbranch_vccnz .LBB115_18
; %bb.17:
	global_load_dword v20, v18, s[10:11] offset:768
	s_waitcnt vmcnt(0)
	v_add_f32_e32 v6, v6, v20
.LBB115_18:
	s_waitcnt vmcnt(6)
	v_mul_f32_e32 v20, 0x3fb8aa3b, v7
	v_exp_f32_e32 v20, v20
	s_nop 0
	v_add_f32_e32 v20, 1.0, v20
	v_cmp_gt_f32_e32 vcc, s14, v20
	s_nop 1
	v_cndmask_b32_e32 v17, 1.0, v17, vcc
	v_mul_f32_e32 v17, v20, v17
	v_log_f32_e32 v17, v17
	v_cndmask_b32_e32 v19, 0, v19, vcc
	v_mul_f32_e32 v20, 0x3f317217, v17
	v_fma_f32 v20, v17, s7, -v20
	v_fmac_f32_e32 v20, 0x3377d1cf, v17
	v_fmac_f32_e32 v20, 0x3f317217, v17
	v_cmp_lt_f32_e64 vcc, |v17|, s12
	s_nop 1
	v_cndmask_b32_e32 v17, v17, v20, vcc
	v_sub_f32_e32 v17, v17, v19
	v_cmp_lt_f32_e32 vcc, s6, v7
	s_nop 1
	v_cndmask_b32_e32 v7, v17, v7, vcc
	v_mul_f32_e32 v17, 0x4f800000, v7
	v_cmp_gt_f32_e32 vcc, s13, v7
	s_nop 1
	v_cndmask_b32_e32 v7, v7, v17, vcc
	v_sqrt_f32_e32 v17, v7
	s_nop 0
	v_add_u32_e32 v19, -1, v17
	v_add_u32_e32 v20, 1, v17
	v_fma_f32 v21, -v19, v17, v7
	v_fma_f32 v22, -v20, v17, v7
	v_cmp_ge_f32_e64 s[4:5], 0, v21
	s_nop 1
	v_cndmask_b32_e64 v17, v17, v19, s[4:5]
	v_cmp_lt_f32_e64 s[4:5], 0, v22
	s_nop 1
	v_cndmask_b32_e64 v17, v17, v20, s[4:5]
	v_mul_f32_e32 v19, 0x37800000, v17
	v_cndmask_b32_e32 v17, v17, v19, vcc
	v_cmp_class_f32_e64 s[4:5], v7, v15
	s_and_b64 vcc, exec, s[2:3]
	s_nop 0
	v_cndmask_b32_e64 v7, v17, v7, s[4:5]
	s_cbranch_vccnz .LBB115_20
; %bb.19:
	global_load_dword v15, v18, s[10:11] offset:896
	s_waitcnt vmcnt(0)
	v_add_f32_e32 v7, v7, v15
.LBB115_20:
	s_waitcnt vmcnt(5)
	v_mul_f32_e32 v15, 0x3fb8aa3b, v8
	v_exp_f32_e32 v15, v15
	v_mov_b32_e32 v17, 0x4f800000
	v_add_f32_e32 v15, 1.0, v15
	v_cmp_gt_f32_e32 vcc, s14, v15
	s_nop 1
	v_cndmask_b32_e32 v19, 1.0, v17, vcc
	v_mul_f32_e32 v15, v15, v19
	v_log_f32_e32 v15, v15
	s_nop 0
	v_mul_f32_e32 v19, 0x3f317217, v15
	v_fma_f32 v19, v15, s7, -v19
	v_fmac_f32_e32 v19, 0x3377d1cf, v15
	v_fmac_f32_e32 v19, 0x3f317217, v15
	v_cmp_lt_f32_e64 s[4:5], |v15|, s12
	s_nop 1
	v_cndmask_b32_e64 v15, v15, v19, s[4:5]
	v_mov_b32_e32 v19, 0x41b17218
	v_cndmask_b32_e32 v20, 0, v19, vcc
	v_sub_f32_e32 v15, v15, v20
	v_cmp_lt_f32_e32 vcc, s6, v8
	s_nop 1
	v_cndmask_b32_e32 v8, v15, v8, vcc
	v_mul_f32_e32 v15, 0x4f800000, v8
	v_cmp_gt_f32_e32 vcc, s13, v8
	s_nop 1
	v_cndmask_b32_e32 v8, v8, v15, vcc
	v_sqrt_f32_e32 v15, v8
	s_nop 0
	v_add_u32_e32 v20, -1, v15
	v_fma_f32 v21, -v20, v15, v8
	v_cmp_ge_f32_e64 s[4:5], 0, v21
	v_add_u32_e32 v21, 1, v15
	s_nop 0
	v_cndmask_b32_e64 v20, v15, v20, s[4:5]
	v_fma_f32 v15, -v21, v15, v8
	v_cmp_lt_f32_e64 s[4:5], 0, v15
	s_nop 1
	v_cndmask_b32_e64 v15, v20, v21, s[4:5]
	v_mul_f32_e32 v20, 0x37800000, v15
	v_cndmask_b32_e32 v20, v15, v20, vcc
	v_mov_b32_e32 v15, 0x260
	v_cmp_class_f32_e64 s[4:5], v8, v15
	s_and_b64 vcc, exec, s[2:3]
	s_nop 0
	v_cndmask_b32_e64 v8, v20, v8, s[4:5]
	s_cbranch_vccnz .LBB115_22
; %bb.21:
	global_load_dword v20, v18, s[10:11] offset:1024
	s_waitcnt vmcnt(0)
	v_add_f32_e32 v8, v8, v20
.LBB115_22:
	s_waitcnt vmcnt(4)
	v_mul_f32_e32 v20, 0x3fb8aa3b, v9
	v_exp_f32_e32 v20, v20
	s_nop 0
	v_add_f32_e32 v20, 1.0, v20
	v_cmp_gt_f32_e32 vcc, s14, v20
	s_nop 1
	v_cndmask_b32_e32 v17, 1.0, v17, vcc
	v_mul_f32_e32 v17, v20, v17
	v_log_f32_e32 v17, v17
	v_cndmask_b32_e32 v19, 0, v19, vcc
	v_mul_f32_e32 v20, 0x3f317217, v17
	v_fma_f32 v20, v17, s7, -v20
	v_fmac_f32_e32 v20, 0x3377d1cf, v17
	v_fmac_f32_e32 v20, 0x3f317217, v17
	v_cmp_lt_f32_e64 vcc, |v17|, s12
	s_nop 1
	v_cndmask_b32_e32 v17, v17, v20, vcc
	v_sub_f32_e32 v17, v17, v19
	v_cmp_lt_f32_e32 vcc, s6, v9
	s_nop 1
	v_cndmask_b32_e32 v9, v17, v9, vcc
	v_mul_f32_e32 v17, 0x4f800000, v9
	v_cmp_gt_f32_e32 vcc, s13, v9
	s_nop 1
	v_cndmask_b32_e32 v9, v9, v17, vcc
	v_sqrt_f32_e32 v17, v9
	s_nop 0
	v_add_u32_e32 v19, -1, v17
	v_add_u32_e32 v20, 1, v17
	v_fma_f32 v21, -v19, v17, v9
	v_fma_f32 v22, -v20, v17, v9
	v_cmp_ge_f32_e64 s[4:5], 0, v21
	s_nop 1
	v_cndmask_b32_e64 v17, v17, v19, s[4:5]
	v_cmp_lt_f32_e64 s[4:5], 0, v22
	s_nop 1
	v_cndmask_b32_e64 v17, v17, v20, s[4:5]
	v_mul_f32_e32 v19, 0x37800000, v17
	v_cndmask_b32_e32 v17, v17, v19, vcc
	v_cmp_class_f32_e64 s[4:5], v9, v15
	s_and_b64 vcc, exec, s[2:3]
	s_nop 0
	v_cndmask_b32_e64 v9, v17, v9, s[4:5]
	s_cbranch_vccnz .LBB115_24
; %bb.23:
	global_load_dword v15, v18, s[10:11] offset:1152
	s_waitcnt vmcnt(0)
	v_add_f32_e32 v9, v9, v15
.LBB115_24:
	s_waitcnt vmcnt(3)
	v_mul_f32_e32 v15, 0x3fb8aa3b, v10
	v_exp_f32_e32 v15, v15
	v_mov_b32_e32 v17, 0x4f800000
	v_add_f32_e32 v15, 1.0, v15
	v_cmp_gt_f32_e32 vcc, s14, v15
	s_nop 1
	v_cndmask_b32_e32 v19, 1.0, v17, vcc
	v_mul_f32_e32 v15, v15, v19
	v_log_f32_e32 v15, v15
	s_nop 0
	v_mul_f32_e32 v19, 0x3f317217, v15
	v_fma_f32 v19, v15, s7, -v19
	v_fmac_f32_e32 v19, 0x3377d1cf, v15
	v_fmac_f32_e32 v19, 0x3f317217, v15
	v_cmp_lt_f32_e64 s[4:5], |v15|, s12
	s_nop 1
	v_cndmask_b32_e64 v15, v15, v19, s[4:5]
	v_mov_b32_e32 v19, 0x41b17218
	v_cndmask_b32_e32 v20, 0, v19, vcc
	v_sub_f32_e32 v15, v15, v20
	v_cmp_lt_f32_e32 vcc, s6, v10
	s_nop 1
	v_cndmask_b32_e32 v10, v15, v10, vcc
	v_mul_f32_e32 v15, 0x4f800000, v10
	v_cmp_gt_f32_e32 vcc, s13, v10
	s_nop 1
	v_cndmask_b32_e32 v10, v10, v15, vcc
	v_sqrt_f32_e32 v15, v10
	s_nop 0
	v_add_u32_e32 v20, -1, v15
	v_fma_f32 v21, -v20, v15, v10
	v_cmp_ge_f32_e64 s[4:5], 0, v21
	v_add_u32_e32 v21, 1, v15
	s_nop 0
	v_cndmask_b32_e64 v20, v15, v20, s[4:5]
	v_fma_f32 v15, -v21, v15, v10
	v_cmp_lt_f32_e64 s[4:5], 0, v15
	s_nop 1
	v_cndmask_b32_e64 v15, v20, v21, s[4:5]
	v_mul_f32_e32 v20, 0x37800000, v15
	v_cndmask_b32_e32 v20, v15, v20, vcc
	v_mov_b32_e32 v15, 0x260
	v_cmp_class_f32_e64 s[4:5], v10, v15
	s_and_b64 vcc, exec, s[2:3]
	s_nop 0
	v_cndmask_b32_e64 v10, v20, v10, s[4:5]
	s_cbranch_vccnz .LBB115_26
; %bb.25:
	global_load_dword v20, v18, s[10:11] offset:1280
	s_waitcnt vmcnt(0)
	v_add_f32_e32 v10, v10, v20
.LBB115_26:
	s_waitcnt vmcnt(2)
	v_mul_f32_e32 v20, 0x3fb8aa3b, v11
	v_exp_f32_e32 v20, v20
	s_nop 0
	v_add_f32_e32 v20, 1.0, v20
	v_cmp_gt_f32_e32 vcc, s14, v20
	s_nop 1
	v_cndmask_b32_e32 v17, 1.0, v17, vcc
	v_mul_f32_e32 v17, v20, v17
	v_log_f32_e32 v17, v17
	v_cndmask_b32_e32 v19, 0, v19, vcc
	v_mul_f32_e32 v20, 0x3f317217, v17
	v_fma_f32 v20, v17, s7, -v20
	v_fmac_f32_e32 v20, 0x3377d1cf, v17
	v_fmac_f32_e32 v20, 0x3f317217, v17
	v_cmp_lt_f32_e64 vcc, |v17|, s12
	s_nop 1
	v_cndmask_b32_e32 v17, v17, v20, vcc
	v_sub_f32_e32 v17, v17, v19
	v_cmp_lt_f32_e32 vcc, s6, v11
	s_nop 1
	v_cndmask_b32_e32 v11, v17, v11, vcc
	v_mul_f32_e32 v17, 0x4f800000, v11
	v_cmp_gt_f32_e32 vcc, s13, v11
	s_nop 1
	v_cndmask_b32_e32 v11, v11, v17, vcc
	v_sqrt_f32_e32 v17, v11
	s_nop 0
	v_add_u32_e32 v19, -1, v17
	v_add_u32_e32 v20, 1, v17
	v_fma_f32 v21, -v19, v17, v11
	v_fma_f32 v22, -v20, v17, v11
	v_cmp_ge_f32_e64 s[4:5], 0, v21
	s_nop 1
	v_cndmask_b32_e64 v17, v17, v19, s[4:5]
	v_cmp_lt_f32_e64 s[4:5], 0, v22
	s_nop 1
	v_cndmask_b32_e64 v17, v17, v20, s[4:5]
	v_mul_f32_e32 v19, 0x37800000, v17
	v_cndmask_b32_e32 v17, v17, v19, vcc
	v_cmp_class_f32_e64 s[4:5], v11, v15
	s_and_b64 vcc, exec, s[2:3]
	s_nop 0
	v_cndmask_b32_e64 v11, v17, v11, s[4:5]
	s_cbranch_vccnz .LBB115_28
; %bb.27:
	global_load_dword v15, v18, s[10:11] offset:1408
	s_waitcnt vmcnt(0)
	v_add_f32_e32 v11, v11, v15
.LBB115_28:
	s_waitcnt vmcnt(1)
	v_mul_f32_e32 v15, 0x3fb8aa3b, v12
	v_exp_f32_e32 v15, v15
	v_mov_b32_e32 v17, 0x4f800000
	v_add_f32_e32 v15, 1.0, v15
	v_cmp_gt_f32_e32 vcc, s14, v15
	s_nop 1
	v_cndmask_b32_e32 v19, 1.0, v17, vcc
	v_mul_f32_e32 v15, v15, v19
	v_log_f32_e32 v15, v15
	s_nop 0
	v_mul_f32_e32 v19, 0x3f317217, v15
	v_fma_f32 v19, v15, s7, -v19
	v_fmac_f32_e32 v19, 0x3377d1cf, v15
	v_fmac_f32_e32 v19, 0x3f317217, v15
	v_cmp_lt_f32_e64 s[4:5], |v15|, s12
	s_nop 1
	v_cndmask_b32_e64 v15, v15, v19, s[4:5]
	v_mov_b32_e32 v19, 0x41b17218
	v_cndmask_b32_e32 v20, 0, v19, vcc
	v_sub_f32_e32 v15, v15, v20
	v_cmp_lt_f32_e32 vcc, s6, v12
	s_nop 1
	v_cndmask_b32_e32 v12, v15, v12, vcc
	v_mul_f32_e32 v15, 0x4f800000, v12
	v_cmp_gt_f32_e32 vcc, s13, v12
	s_nop 1
	v_cndmask_b32_e32 v12, v12, v15, vcc
	v_sqrt_f32_e32 v15, v12
	s_nop 0
	v_add_u32_e32 v20, -1, v15
	v_fma_f32 v21, -v20, v15, v12
	v_cmp_ge_f32_e64 s[4:5], 0, v21
	v_add_u32_e32 v21, 1, v15
	s_nop 0
	v_cndmask_b32_e64 v20, v15, v20, s[4:5]
	v_fma_f32 v15, -v21, v15, v12
	v_cmp_lt_f32_e64 s[4:5], 0, v15
	s_nop 1
	v_cndmask_b32_e64 v15, v20, v21, s[4:5]
	v_mul_f32_e32 v20, 0x37800000, v15
	v_cndmask_b32_e32 v20, v15, v20, vcc
	v_mov_b32_e32 v15, 0x260
	v_cmp_class_f32_e64 s[4:5], v12, v15
	s_and_b64 vcc, exec, s[2:3]
	s_nop 0
	v_cndmask_b32_e64 v12, v20, v12, s[4:5]
	s_cbranch_vccnz .LBB115_30
; %bb.29:
	global_load_dword v20, v18, s[10:11] offset:1536
	s_waitcnt vmcnt(0)
	v_add_f32_e32 v12, v12, v20
.LBB115_30:
	s_waitcnt vmcnt(0)
	v_mul_f32_e32 v20, 0x3fb8aa3b, v13
	v_exp_f32_e32 v20, v20
	s_nop 0
	v_add_f32_e32 v20, 1.0, v20
	v_cmp_gt_f32_e32 vcc, s14, v20
	s_nop 1
	v_cndmask_b32_e32 v17, 1.0, v17, vcc
	v_mul_f32_e32 v17, v20, v17
	v_log_f32_e32 v17, v17
	v_cndmask_b32_e32 v19, 0, v19, vcc
	v_mul_f32_e32 v20, 0x3f317217, v17
	v_fma_f32 v20, v17, s7, -v20
	v_fmac_f32_e32 v20, 0x3377d1cf, v17
	v_fmac_f32_e32 v20, 0x3f317217, v17
	v_cmp_lt_f32_e64 vcc, |v17|, s12
	s_nop 1
	v_cndmask_b32_e32 v17, v17, v20, vcc
	v_sub_f32_e32 v17, v17, v19
	v_cmp_lt_f32_e32 vcc, s6, v13
	s_nop 1
	v_cndmask_b32_e32 v13, v17, v13, vcc
	v_mul_f32_e32 v17, 0x4f800000, v13
	v_cmp_gt_f32_e32 vcc, s13, v13
	s_nop 1
	v_cndmask_b32_e32 v13, v13, v17, vcc
	v_sqrt_f32_e32 v17, v13
	s_nop 0
	v_add_u32_e32 v19, -1, v17
	v_add_u32_e32 v20, 1, v17
	v_fma_f32 v21, -v19, v17, v13
	v_fma_f32 v22, -v20, v17, v13
	v_cmp_ge_f32_e64 s[4:5], 0, v21
	s_nop 1
	v_cndmask_b32_e64 v17, v17, v19, s[4:5]
	v_cmp_lt_f32_e64 s[4:5], 0, v22
	s_nop 1
	v_cndmask_b32_e64 v17, v17, v20, s[4:5]
	v_mul_f32_e32 v19, 0x37800000, v17
	v_cndmask_b32_e32 v17, v17, v19, vcc
	v_cmp_class_f32_e64 s[4:5], v13, v15
	s_and_b64 vcc, exec, s[2:3]
	s_nop 0
	v_cndmask_b32_e64 v13, v17, v13, s[4:5]
	s_cbranch_vccnz .LBB115_32
; %bb.31:
	global_load_dword v15, v18, s[10:11] offset:1664
	s_waitcnt vmcnt(0)
	v_add_f32_e32 v13, v13, v15
.LBB115_32:
	s_load_dwordx4 s[12:15], s[0:1], 0x30
	s_mov_b32 s31, 0
	v_cmp_eq_u32_e64 s[6:7], 0, v16
	s_waitcnt lgkmcnt(0)
	s_bitcmp1_b32 s15, 0
	s_cselect_b64 s[4:5], -1, 0
	s_cmp_gt_i32 s12, 0
	s_cselect_b64 s[24:25], -1, 0
	s_and_b64 vcc, exec, s[24:25]
	s_cbranch_vccz .LBB115_59
; %bb.33:
	v_mbcnt_lo_u32_b32 v15, -1, 0
	v_mbcnt_hi_u32_b32 v18, -1, v15
	v_and_b32_e32 v15, 0x60, v18
	v_add_u32_e32 v19, 32, v15
	v_xor_b32_e32 v24, 16, v18
	v_cmp_lt_i32_e32 vcc, v24, v19
	s_load_dwordx4 s[16:19], s[0:1], 0x20
	v_mul_lo_u32 v15, v14, s12
	v_cndmask_b32_e32 v24, v18, v24, vcc
	v_lshlrev_b32_e32 v33, 2, v24
	v_xor_b32_e32 v24, 8, v18
	v_cmp_lt_i32_e32 vcc, v24, v19
	v_or_b32_e32 v17, 32, v16
	v_or_b32_e32 v20, 64, v16
	v_cndmask_b32_e32 v24, v18, v24, vcc
	v_lshlrev_b32_e32 v34, 2, v24
	v_xor_b32_e32 v24, 4, v18
	v_cmp_lt_i32_e32 vcc, v24, v19
	v_or_b32_e32 v21, 0x60, v16
	v_or_b32_e32 v22, 0x80, v16
	;; [unrolled: 6-line block ×4, first 2 shown]
	v_cndmask_b32_e32 v18, v18, v24, vcc
	v_or_b32_e32 v28, 0x120, v16
	v_or_b32_e32 v29, 0x140, v16
	;; [unrolled: 1-line block ×5, first 2 shown]
	v_lshlrev_b32_e32 v37, 2, v18
	v_mov_b32_e32 v24, 0
	v_mov_b32_e32 v38, 0x1c0
	;; [unrolled: 1-line block ×4, first 2 shown]
	s_branch .LBB115_36
.LBB115_34:                             ;   in Loop: Header=BB115_36 Depth=1
	s_waitcnt lgkmcnt(0)
	v_add_u32_e32 v42, s31, v15
	v_cmp_le_i32_e32 vcc, s13, v18
	v_cmp_gt_i32_e64 s[0:1], s14, v18
	v_ashrrev_i32_e32 v43, 31, v42
	s_and_b64 s[0:1], vcc, s[0:1]
	v_lshlrev_b64 v[42:43], 2, v[42:43]
	v_lshl_add_u64 v[44:45], s[20:21], 0, v[42:43]
	v_subrev_u32_e32 v19, s13, v18
	s_and_b64 vcc, s[22:23], s[0:1]
	global_store_dword v[44:45], v41, off
	v_cndmask_b32_e32 v19, v38, v19, vcc
	v_lshl_add_u64 v[44:45], s[16:17], 0, v[42:43]
	global_store_dword v[44:45], v19, off
	v_add_f32_e32 v19, v24, v41
	v_lshl_add_u64 v[42:43], s[18:19], 0, v[42:43]
	v_cndmask_b32_e64 v24, v24, v19, s[4:5]
	global_store_dword v[42:43], v40, off
.LBB115_35:                             ;   in Loop: Header=BB115_36 Depth=1
	s_or_b64 exec, exec, s[26:27]
	v_ashrrev_i32_e32 v19, 31, v18
	v_lshrrev_b32_e32 v19, 27, v19
	v_add_u32_e32 v19, v18, v19
	v_and_b32_e32 v41, 0xffffffe0, v19
	v_sub_u32_e32 v18, v18, v41
	s_add_i32 s31, s31, 1
	v_cmp_eq_u32_e32 vcc, v16, v18
	s_cmp_lt_i32 s31, s12
	v_ashrrev_i32_e32 v18, 5, v19
	s_cselect_b64 s[26:27], -1, 0
	v_cmp_ne_u32_e64 s[0:1], 13, v18
	s_and_b64 vcc, s[26:27], vcc
	s_cmp_eq_u32 s12, s31
	v_cndmask_b32_e64 v19, v39, v13, s[0:1]
	v_cmp_ne_u32_e64 s[0:1], 12, v18
	v_cndmask_b32_e32 v13, v13, v19, vcc
	v_add_u32_e32 v40, s30, v40
	v_cndmask_b32_e64 v19, v39, v12, s[0:1]
	v_cmp_ne_u32_e64 s[0:1], 11, v18
	v_cndmask_b32_e32 v12, v12, v19, vcc
	s_nop 0
	v_cndmask_b32_e64 v19, v39, v11, s[0:1]
	v_cmp_ne_u32_e64 s[0:1], 10, v18
	v_cndmask_b32_e32 v11, v11, v19, vcc
	s_nop 0
	;; [unrolled: 4-line block ×12, first 2 shown]
	v_cndmask_b32_e64 v18, v39, v0, s[0:1]
	v_cndmask_b32_e32 v0, v0, v18, vcc
	s_cbranch_scc1 .LBB115_60
.LBB115_36:                             ; =>This Inner Loop Header: Depth=1
	v_cmp_gt_f32_e32 vcc, v1, v0
	s_nop 1
	v_cndmask_b32_e32 v19, v0, v1, vcc
	v_cndmask_b32_e32 v18, v16, v17, vcc
	v_cmp_gt_f32_e32 vcc, v2, v19
	s_nop 1
	v_cndmask_b32_e32 v19, v19, v2, vcc
	v_cndmask_b32_e32 v18, v18, v20, vcc
	;; [unrolled: 4-line block ×13, first 2 shown]
	ds_bpermute_b32 v19, v33, v41
	s_waitcnt lgkmcnt(0)
	ds_bpermute_b32 v42, v33, v18
	s_waitcnt lgkmcnt(0)
	v_cmp_lt_f32_e64 s[26:27], v41, v19
	v_cmp_nlt_f32_e32 vcc, v41, v19
	s_and_saveexec_b64 s[28:29], vcc
; %bb.37:                               ;   in Loop: Header=BB115_36 Depth=1
	v_cmp_eq_f32_e32 vcc, v41, v19
	v_cmp_lt_i32_e64 s[0:1], v42, v18
	s_and_b64 s[0:1], vcc, s[0:1]
	s_andn2_b64 s[26:27], s[26:27], exec
	s_and_b64 s[0:1], s[0:1], exec
	s_or_b64 s[26:27], s[26:27], s[0:1]
; %bb.38:                               ;   in Loop: Header=BB115_36 Depth=1
	s_or_b64 exec, exec, s[28:29]
	s_and_saveexec_b64 s[0:1], s[26:27]
; %bb.39:                               ;   in Loop: Header=BB115_36 Depth=1
	v_mov_b32_e32 v41, v19
	v_mov_b32_e32 v18, v42
; %bb.40:                               ;   in Loop: Header=BB115_36 Depth=1
	s_or_b64 exec, exec, s[0:1]
	ds_bpermute_b32 v19, v34, v41
	ds_bpermute_b32 v42, v34, v18
	s_waitcnt lgkmcnt(1)
	v_cmp_lt_f32_e64 s[26:27], v41, v19
	v_cmp_nlt_f32_e32 vcc, v41, v19
	s_and_saveexec_b64 s[28:29], vcc
	s_cbranch_execz .LBB115_42
; %bb.41:                               ;   in Loop: Header=BB115_36 Depth=1
	v_cmp_eq_f32_e32 vcc, v41, v19
	s_waitcnt lgkmcnt(0)
	v_cmp_lt_i32_e64 s[0:1], v42, v18
	s_and_b64 s[0:1], vcc, s[0:1]
	s_andn2_b64 s[26:27], s[26:27], exec
	s_and_b64 s[0:1], s[0:1], exec
	s_or_b64 s[26:27], s[26:27], s[0:1]
.LBB115_42:                             ;   in Loop: Header=BB115_36 Depth=1
	s_or_b64 exec, exec, s[28:29]
	s_and_saveexec_b64 s[0:1], s[26:27]
	s_cbranch_execz .LBB115_44
; %bb.43:                               ;   in Loop: Header=BB115_36 Depth=1
	v_mov_b32_e32 v41, v19
	s_waitcnt lgkmcnt(0)
	v_mov_b32_e32 v18, v42
.LBB115_44:                             ;   in Loop: Header=BB115_36 Depth=1
	s_or_b64 exec, exec, s[0:1]
	ds_bpermute_b32 v19, v35, v41
	s_waitcnt lgkmcnt(1)
	ds_bpermute_b32 v42, v35, v18
	s_waitcnt lgkmcnt(1)
	v_cmp_lt_f32_e64 s[26:27], v41, v19
	v_cmp_nlt_f32_e32 vcc, v41, v19
	s_and_saveexec_b64 s[28:29], vcc
	s_cbranch_execz .LBB115_46
; %bb.45:                               ;   in Loop: Header=BB115_36 Depth=1
	v_cmp_eq_f32_e32 vcc, v41, v19
	s_waitcnt lgkmcnt(0)
	v_cmp_lt_i32_e64 s[0:1], v42, v18
	s_and_b64 s[0:1], vcc, s[0:1]
	s_andn2_b64 s[26:27], s[26:27], exec
	s_and_b64 s[0:1], s[0:1], exec
	s_or_b64 s[26:27], s[26:27], s[0:1]
.LBB115_46:                             ;   in Loop: Header=BB115_36 Depth=1
	s_or_b64 exec, exec, s[28:29]
	s_and_saveexec_b64 s[0:1], s[26:27]
	s_cbranch_execz .LBB115_48
; %bb.47:                               ;   in Loop: Header=BB115_36 Depth=1
	v_mov_b32_e32 v41, v19
	s_waitcnt lgkmcnt(0)
	v_mov_b32_e32 v18, v42
.LBB115_48:                             ;   in Loop: Header=BB115_36 Depth=1
	s_or_b64 exec, exec, s[0:1]
	ds_bpermute_b32 v19, v36, v41
	s_waitcnt lgkmcnt(1)
	;; [unrolled: 26-line block ×3, first 2 shown]
	ds_bpermute_b32 v42, v37, v18
	s_waitcnt lgkmcnt(1)
	v_cmp_lt_f32_e64 s[26:27], v41, v19
	v_cmp_nlt_f32_e32 vcc, v41, v19
	s_and_saveexec_b64 s[28:29], vcc
	s_cbranch_execnz .LBB115_55
; %bb.53:                               ;   in Loop: Header=BB115_36 Depth=1
	s_or_b64 exec, exec, s[28:29]
	s_and_saveexec_b64 s[0:1], s[26:27]
	s_cbranch_execnz .LBB115_56
.LBB115_54:                             ;   in Loop: Header=BB115_36 Depth=1
	s_or_b64 exec, exec, s[0:1]
	s_and_saveexec_b64 s[26:27], s[6:7]
	s_cbranch_execz .LBB115_35
	s_branch .LBB115_57
.LBB115_55:                             ;   in Loop: Header=BB115_36 Depth=1
	v_cmp_eq_f32_e32 vcc, v41, v19
	s_waitcnt lgkmcnt(0)
	v_cmp_lt_i32_e64 s[0:1], v42, v18
	s_and_b64 s[0:1], vcc, s[0:1]
	s_andn2_b64 s[26:27], s[26:27], exec
	s_and_b64 s[0:1], s[0:1], exec
	s_or_b64 s[26:27], s[26:27], s[0:1]
	s_or_b64 exec, exec, s[28:29]
	s_and_saveexec_b64 s[0:1], s[26:27]
	s_cbranch_execz .LBB115_54
.LBB115_56:                             ;   in Loop: Header=BB115_36 Depth=1
	s_waitcnt lgkmcnt(0)
	v_mov_b32_e32 v18, v42
	v_mov_b32_e32 v41, v19
	s_or_b64 exec, exec, s[0:1]
	s_and_saveexec_b64 s[26:27], s[6:7]
	s_cbranch_execz .LBB115_35
.LBB115_57:                             ;   in Loop: Header=BB115_36 Depth=1
	s_and_b64 vcc, exec, s[2:3]
	s_cbranch_vccnz .LBB115_34
; %bb.58:                               ;   in Loop: Header=BB115_36 Depth=1
	v_ashrrev_i32_e32 v19, 31, v18
	s_waitcnt lgkmcnt(0)
	v_lshl_add_u64 v[42:43], v[18:19], 2, s[10:11]
	global_load_dword v19, v[42:43], off
	s_waitcnt vmcnt(0)
	v_sub_f32_e32 v41, v41, v19
	s_branch .LBB115_34
.LBB115_59:
	v_mov_b32_e32 v24, 0
.LBB115_60:
	v_cmp_eq_u32_e32 vcc, 0, v16
	s_and_b64 exec, exec, vcc
	s_cbranch_execz .LBB115_73
; %bb.61:
	s_andn2_b64 vcc, exec, s[4:5]
	v_cvt_f32_f64_e32 v0, s[8:9]
	s_cbranch_vccnz .LBB115_63
; %bb.62:
	v_cmp_lt_f32_e32 vcc, 0, v24
	s_nop 1
	v_cndmask_b32_e32 v1, 1.0, v24, vcc
	v_div_scale_f32 v2, s[0:1], v1, v1, v0
	v_rcp_f32_e32 v3, v2
	s_nop 0
	v_fma_f32 v4, -v2, v3, 1.0
	v_fmac_f32_e32 v3, v4, v3
	v_div_scale_f32 v4, vcc, v0, v1, v0
	v_mul_f32_e32 v5, v4, v3
	v_fma_f32 v6, -v2, v5, v4
	v_fmac_f32_e32 v5, v6, v3
	v_fma_f32 v2, -v2, v5, v4
	v_div_fmas_f32 v2, v2, v3, v5
	v_div_fixup_f32 v0, v2, v1, v0
.LBB115_63:
	s_andn2_b64 vcc, exec, s[24:25]
	s_cbranch_vccnz .LBB115_73
; %bb.64:
	v_mul_lo_u32 v2, v14, s12
	s_cmp_gt_u32 s12, 3
	v_ashrrev_i32_e32 v3, 31, v2
	s_cbranch_scc0 .LBB115_68
; %bb.65:
	s_and_b32 s0, s12, 0x7ffffffc
	v_lshl_add_u64 v[4:5], v[2:3], 2, s[20:21]
	v_mov_b32_e32 v1, v0
	v_lshl_add_u64 v[4:5], v[4:5], 0, 8
	s_mov_b32 s1, s0
.LBB115_66:                             ; =>This Inner Loop Header: Depth=1
	global_load_dwordx4 v[6:9], v[4:5], off offset:-8
	s_add_i32 s1, s1, -4
	s_cmp_lg_u32 s1, 0
	s_waitcnt vmcnt(0)
	v_pk_mul_f32 v[6:7], v[0:1], v[6:7]
	v_pk_mul_f32 v[8:9], v[0:1], v[8:9]
	global_store_dwordx4 v[4:5], v[6:9], off offset:-8
	v_lshl_add_u64 v[4:5], v[4:5], 0, 16
	s_cbranch_scc1 .LBB115_66
; %bb.67:
	s_cmp_lg_u32 s0, s12
	s_cselect_b64 s[2:3], -1, 0
	s_branch .LBB115_70
.LBB115_68:
	s_mov_b64 s[2:3], 0
                                        ; implicit-def: $sgpr0
	s_cbranch_execz .LBB115_70
; %bb.69:
	s_mov_b64 s[2:3], -1
	s_mov_b32 s0, 0
.LBB115_70:
	s_andn2_b64 vcc, exec, s[2:3]
	s_cbranch_vccnz .LBB115_73
; %bb.71:
	s_mov_b32 s1, 0
	v_lshl_add_u64 v[2:3], v[2:3], 0, s[0:1]
	s_sub_i32 s2, s12, s0
	v_lshl_add_u64 v[2:3], v[2:3], 2, s[20:21]
.LBB115_72:                             ; =>This Inner Loop Header: Depth=1
	global_load_dword v1, v[2:3], off
	s_add_i32 s2, s2, -1
	s_cmp_lg_u32 s2, 0
	s_waitcnt vmcnt(0)
	v_mul_f32_e32 v1, v0, v1
	global_store_dword v[2:3], v1, off
	v_lshl_add_u64 v[2:3], v[2:3], 0, 4
	s_cbranch_scc1 .LBB115_72
.LBB115_73:
	s_endpgm
	.section	.rodata,"a",@progbits
	.p2align	6, 0x0
	.amdhsa_kernel _ZN4vllm3moe22topkGatingSoftplusSqrtILi14ELi448ELi4ELi4ELi32ELb0EjfEEvPKT6_PKbPfiPT5_PiiiibdPKfPKS8_SE_
		.amdhsa_group_segment_fixed_size 0
		.amdhsa_private_segment_fixed_size 0
		.amdhsa_kernarg_size 96
		.amdhsa_user_sgpr_count 2
		.amdhsa_user_sgpr_dispatch_ptr 0
		.amdhsa_user_sgpr_queue_ptr 0
		.amdhsa_user_sgpr_kernarg_segment_ptr 1
		.amdhsa_user_sgpr_dispatch_id 0
		.amdhsa_user_sgpr_kernarg_preload_length 0
		.amdhsa_user_sgpr_kernarg_preload_offset 0
		.amdhsa_user_sgpr_private_segment_size 0
		.amdhsa_uses_dynamic_stack 0
		.amdhsa_enable_private_segment 0
		.amdhsa_system_sgpr_workgroup_id_x 1
		.amdhsa_system_sgpr_workgroup_id_y 0
		.amdhsa_system_sgpr_workgroup_id_z 0
		.amdhsa_system_sgpr_workgroup_info 0
		.amdhsa_system_vgpr_workitem_id 1
		.amdhsa_next_free_vgpr 46
		.amdhsa_next_free_sgpr 32
		.amdhsa_accum_offset 48
		.amdhsa_reserve_vcc 1
		.amdhsa_float_round_mode_32 0
		.amdhsa_float_round_mode_16_64 0
		.amdhsa_float_denorm_mode_32 3
		.amdhsa_float_denorm_mode_16_64 3
		.amdhsa_dx10_clamp 1
		.amdhsa_ieee_mode 1
		.amdhsa_fp16_overflow 0
		.amdhsa_tg_split 0
		.amdhsa_exception_fp_ieee_invalid_op 0
		.amdhsa_exception_fp_denorm_src 0
		.amdhsa_exception_fp_ieee_div_zero 0
		.amdhsa_exception_fp_ieee_overflow 0
		.amdhsa_exception_fp_ieee_underflow 0
		.amdhsa_exception_fp_ieee_inexact 0
		.amdhsa_exception_int_div_zero 0
	.end_amdhsa_kernel
	.section	.text._ZN4vllm3moe22topkGatingSoftplusSqrtILi14ELi448ELi4ELi4ELi32ELb0EjfEEvPKT6_PKbPfiPT5_PiiiibdPKfPKS8_SE_,"axG",@progbits,_ZN4vllm3moe22topkGatingSoftplusSqrtILi14ELi448ELi4ELi4ELi32ELb0EjfEEvPKT6_PKbPfiPT5_PiiiibdPKfPKS8_SE_,comdat
.Lfunc_end115:
	.size	_ZN4vllm3moe22topkGatingSoftplusSqrtILi14ELi448ELi4ELi4ELi32ELb0EjfEEvPKT6_PKbPfiPT5_PiiiibdPKfPKS8_SE_, .Lfunc_end115-_ZN4vllm3moe22topkGatingSoftplusSqrtILi14ELi448ELi4ELi4ELi32ELb0EjfEEvPKT6_PKbPfiPT5_PiiiibdPKfPKS8_SE_
                                        ; -- End function
	.section	.AMDGPU.csdata,"",@progbits
; Kernel info:
; codeLenInByte = 6148
; NumSgprs: 38
; NumVgprs: 46
; NumAgprs: 0
; TotalNumVgprs: 46
; ScratchSize: 0
; MemoryBound: 0
; FloatMode: 240
; IeeeMode: 1
; LDSByteSize: 0 bytes/workgroup (compile time only)
; SGPRBlocks: 4
; VGPRBlocks: 5
; NumSGPRsForWavesPerEU: 38
; NumVGPRsForWavesPerEU: 46
; AccumOffset: 48
; Occupancy: 8
; WaveLimiterHint : 1
; COMPUTE_PGM_RSRC2:SCRATCH_EN: 0
; COMPUTE_PGM_RSRC2:USER_SGPR: 2
; COMPUTE_PGM_RSRC2:TRAP_HANDLER: 0
; COMPUTE_PGM_RSRC2:TGID_X_EN: 1
; COMPUTE_PGM_RSRC2:TGID_Y_EN: 0
; COMPUTE_PGM_RSRC2:TGID_Z_EN: 0
; COMPUTE_PGM_RSRC2:TIDIG_COMP_CNT: 1
; COMPUTE_PGM_RSRC3_GFX90A:ACCUM_OFFSET: 11
; COMPUTE_PGM_RSRC3_GFX90A:TG_SPLIT: 0
	.section	.text._ZN4vllm3moe22topkGatingSoftplusSqrtILi9ELi576ELi4ELi4ELi64ELb1EjfEEvPKT6_PKbPfiPT5_PiiiibdPKfPKS8_SE_,"axG",@progbits,_ZN4vllm3moe22topkGatingSoftplusSqrtILi9ELi576ELi4ELi4ELi64ELb1EjfEEvPKT6_PKbPfiPT5_PiiiibdPKfPKS8_SE_,comdat
	.protected	_ZN4vllm3moe22topkGatingSoftplusSqrtILi9ELi576ELi4ELi4ELi64ELb1EjfEEvPKT6_PKbPfiPT5_PiiiibdPKfPKS8_SE_ ; -- Begin function _ZN4vllm3moe22topkGatingSoftplusSqrtILi9ELi576ELi4ELi4ELi64ELb1EjfEEvPKT6_PKbPfiPT5_PiiiibdPKfPKS8_SE_
	.globl	_ZN4vllm3moe22topkGatingSoftplusSqrtILi9ELi576ELi4ELi4ELi64ELb1EjfEEvPKT6_PKbPfiPT5_PiiiibdPKfPKS8_SE_
	.p2align	8
	.type	_ZN4vllm3moe22topkGatingSoftplusSqrtILi9ELi576ELi4ELi4ELi64ELb1EjfEEvPKT6_PKbPfiPT5_PiiiibdPKfPKS8_SE_,@function
_ZN4vllm3moe22topkGatingSoftplusSqrtILi9ELi576ELi4ELi4ELi64ELb1EjfEEvPKT6_PKbPfiPT5_PiiiibdPKfPKS8_SE_: ; @_ZN4vllm3moe22topkGatingSoftplusSqrtILi9ELi576ELi4ELi4ELi64ELb1EjfEEvPKT6_PKbPfiPT5_PiiiibdPKfPKS8_SE_
; %bb.0:
	s_load_dword s3, s[0:1], 0x18
	v_and_b32_e32 v1, 0x3ff, v0
	s_lshl_b32 s2, s2, 2
	v_lshrrev_b32_e32 v2, 6, v1
	v_bfe_u32 v0, v0, 10, 10
	v_add3_u32 v10, s2, v0, v2
	s_waitcnt lgkmcnt(0)
	v_cmp_gt_i32_e32 vcc, s3, v10
	s_and_saveexec_b64 s[2:3], vcc
	s_cbranch_execz .LBB116_32
; %bb.1:
	s_load_dwordx2 s[2:3], s[0:1], 0x0
	s_load_dword s33, s[0:1], 0x30
	s_load_dwordx4 s[8:11], s[0:1], 0x50
	s_movk_i32 s4, 0x240
	v_mul_lo_u32 v2, v10, s4
	v_ashrrev_i32_e32 v3, 31, v2
	v_and_b32_e32 v9, 63, v1
	s_waitcnt lgkmcnt(0)
	v_lshl_add_u64 v[2:3], v[2:3], 2, s[2:3]
	v_lshlrev_b32_e32 v14, 2, v9
	v_mov_b32_e32 v15, 0
	v_lshl_add_u64 v[0:1], v[2:3], 0, v[14:15]
	global_load_dword v6, v[0:1], off
	global_load_dword v7, v[0:1], off offset:256
	global_load_dword v8, v[0:1], off offset:512
	;; [unrolled: 1-line block ×3, first 2 shown]
	v_mov_b32_e32 v2, s8
	v_mov_b32_e32 v3, s9
	v_ashrrev_i32_e32 v11, 31, v10
	v_lshl_add_u64 v[2:3], v[10:11], 2, v[2:3]
	global_load_dword v11, v[2:3], off
	global_load_dword v18, v[0:1], off offset:1024
	global_load_dword v19, v[0:1], off offset:1280
	global_load_dword v20, v[0:1], off offset:1536
	global_load_dword v21, v[0:1], off offset:1792
	s_mov_b32 s15, 0x800000
	global_load_dword v22, v[0:1], off offset:2048
	v_mov_b32_e32 v13, 0x4f800000
	s_mov_b32 s14, 0x3f317217
	s_mov_b32 s16, 0x7f800000
	v_mov_b32_e32 v16, 0x41b17218
	s_mov_b32 s13, 0x41a00000
	s_mov_b32 s17, 0xf800000
	v_mov_b32_e32 v17, 0x260
	s_cmp_gt_i32 s33, 0
	s_mov_b32 s12, 0
	v_mul_lo_u32 v10, v10, s33
	s_waitcnt vmcnt(9)
	v_mul_f32_e32 v2, 0x3fb8aa3b, v6
	s_waitcnt vmcnt(8)
	v_mul_f32_e32 v3, 0x3fb8aa3b, v7
	v_exp_f32_e32 v2, v2
	v_exp_f32_e32 v3, v3
	s_waitcnt vmcnt(7)
	v_mul_f32_e32 v4, 0x3fb8aa3b, v8
	s_waitcnt vmcnt(6)
	v_mul_f32_e32 v5, 0x3fb8aa3b, v12
	v_exp_f32_e32 v4, v4
	v_exp_f32_e32 v5, v5
	v_pk_add_f32 v[0:1], v[2:3], 1.0 op_sel_hi:[1,0]
	s_waitcnt vmcnt(5)
	v_mul_lo_u32 v14, v11, s33
	v_cmp_gt_f32_e32 vcc, s15, v1
	v_pk_add_f32 v[2:3], v[4:5], 1.0 op_sel_hi:[1,0]
	v_cmp_gt_f32_e64 s[2:3], s15, v0
	v_cndmask_b32_e32 v4, 1.0, v13, vcc
	v_mul_f32_e32 v1, v1, v4
	v_cndmask_b32_e64 v5, 1.0, v13, s[2:3]
	v_mul_f32_e32 v0, v0, v5
	v_log_f32_e32 v1, v1
	v_log_f32_e32 v0, v0
	v_cmp_gt_f32_e64 s[4:5], s15, v3
	v_cmp_gt_f32_e64 s[6:7], s15, v2
	v_cndmask_b32_e32 v4, 0, v16, vcc
	v_cndmask_b32_e64 v11, 1.0, v13, s[4:5]
	v_cndmask_b32_e64 v23, 1.0, v13, s[6:7]
	v_mul_f32_e32 v3, v3, v11
	v_mul_f32_e32 v11, 0x3f317217, v1
	;; [unrolled: 1-line block ×4, first 2 shown]
	v_fma_f32 v11, v1, s14, -v11
	v_fma_f32 v23, v0, s14, -v23
	v_fmac_f32_e32 v11, 0x3377d1cf, v1
	v_fmac_f32_e32 v23, 0x3377d1cf, v0
	;; [unrolled: 1-line block ×3, first 2 shown]
	v_cmp_lt_f32_e64 vcc, |v1|, s16
	v_fmac_f32_e32 v23, 0x3f317217, v0
	v_cndmask_b32_e64 v5, 0, v16, s[2:3]
	v_cndmask_b32_e32 v1, v1, v11, vcc
	v_cmp_lt_f32_e64 vcc, |v0|, s16
	v_sub_f32_e32 v1, v1, v4
	v_log_f32_e32 v3, v3
	v_cndmask_b32_e32 v0, v0, v23, vcc
	v_sub_f32_e32 v0, v0, v5
	v_cmp_lt_f32_e32 vcc, s13, v6
	v_mul_f32_e32 v24, 0x3f317217, v3
	v_fma_f32 v24, v3, s14, -v24
	v_cndmask_b32_e32 v0, v0, v6, vcc
	v_cmp_lt_f32_e32 vcc, s13, v7
	v_mul_f32_e32 v5, 0x4f800000, v0
	v_cmp_gt_f32_e64 s[2:3], s17, v0
	v_cndmask_b32_e32 v1, v1, v7, vcc
	v_mul_f32_e32 v4, 0x4f800000, v1
	v_cmp_gt_f32_e32 vcc, s17, v1
	v_cndmask_b32_e64 v0, v0, v5, s[2:3]
	v_sqrt_f32_e32 v5, v0
	v_cndmask_b32_e32 v1, v1, v4, vcc
	v_sqrt_f32_e32 v4, v1
	v_fmac_f32_e32 v24, 0x3377d1cf, v3
	v_fmac_f32_e32 v24, 0x3f317217, v3
	v_cmp_lt_f32_e64 s[8:9], |v3|, s16
	v_add_u32_e32 v6, -1, v4
	v_add_u32_e32 v11, -1, v5
	v_cndmask_b32_e64 v3, v3, v24, s[8:9]
	v_fma_f32 v24, -v6, v4, v1
	v_add_u32_e32 v7, 1, v4
	v_fma_f32 v26, -v11, v5, v0
	v_cmp_ge_f32_e64 s[8:9], 0, v24
	v_add_u32_e32 v23, 1, v5
	v_fma_f32 v25, -v7, v4, v1
	v_cndmask_b32_e64 v4, v4, v6, s[8:9]
	v_cmp_ge_f32_e64 s[8:9], 0, v26
	v_fma_f32 v27, -v23, v5, v0
	v_log_f32_e32 v2, v2
	v_cndmask_b32_e64 v5, v5, v11, s[8:9]
	v_cmp_lt_f32_e64 s[8:9], 0, v25
	s_nop 1
	v_cndmask_b32_e64 v4, v4, v7, s[8:9]
	v_mul_f32_e32 v6, 0x37800000, v4
	v_cndmask_b32_e32 v4, v4, v6, vcc
	v_cmp_class_f32_e32 vcc, v1, v17
	v_cmp_lt_f32_e64 s[8:9], 0, v27
	s_nop 0
	v_cndmask_b32_e32 v1, v4, v1, vcc
	v_cndmask_b32_e64 v4, 0, v16, s[4:5]
	v_cndmask_b32_e64 v5, v5, v23, s[8:9]
	v_sub_f32_e32 v3, v3, v4
	v_mul_f32_e32 v4, 0x3f317217, v2
	v_mul_f32_e32 v7, 0x37800000, v5
	v_fma_f32 v4, v2, s14, -v4
	v_cndmask_b32_e64 v5, v5, v7, s[2:3]
	v_cmp_class_f32_e32 vcc, v0, v17
	v_fmac_f32_e32 v4, 0x3377d1cf, v2
	v_fmac_f32_e32 v4, 0x3f317217, v2
	v_cndmask_b32_e32 v0, v5, v0, vcc
	v_cmp_lt_f32_e64 vcc, |v2|, s16
	v_cmp_lt_f32_e64 s[2:3], s13, v8
	s_nop 0
	v_cndmask_b32_e32 v2, v2, v4, vcc
	v_cmp_lt_f32_e32 vcc, s13, v12
	v_cndmask_b32_e64 v4, 0, v16, s[6:7]
	v_sub_f32_e32 v2, v2, v4
	v_cndmask_b32_e32 v3, v3, v12, vcc
	v_mul_f32_e32 v5, 0x4f800000, v3
	v_cmp_gt_f32_e32 vcc, s17, v3
	v_cndmask_b32_e64 v2, v2, v8, s[2:3]
	s_nop 0
	v_cndmask_b32_e32 v3, v3, v5, vcc
	v_sqrt_f32_e32 v5, v3
	s_nop 0
	v_add_u32_e32 v4, -1, v5
	v_fma_f32 v6, -v4, v5, v3
	v_cmp_ge_f32_e64 s[2:3], 0, v6
	v_add_u32_e32 v6, 1, v5
	s_nop 0
	v_cndmask_b32_e64 v4, v5, v4, s[2:3]
	v_fma_f32 v5, -v6, v5, v3
	v_cmp_lt_f32_e64 s[2:3], 0, v5
	s_nop 1
	v_cndmask_b32_e64 v4, v4, v6, s[2:3]
	v_mul_f32_e32 v6, 0x4f800000, v2
	v_cmp_gt_f32_e64 s[2:3], s17, v2
	v_mul_f32_e32 v5, 0x37800000, v4
	v_cndmask_b32_e32 v4, v4, v5, vcc
	v_cndmask_b32_e64 v2, v2, v6, s[2:3]
	v_sqrt_f32_e32 v6, v2
	v_cmp_class_f32_e32 vcc, v3, v17
	v_add_u32_e32 v8, 1, v6
	s_nop 0
	v_cndmask_b32_e32 v3, v4, v3, vcc
	v_add_u32_e32 v4, -1, v6
	v_fma_f32 v5, -v4, v6, v2
	v_cmp_ge_f32_e32 vcc, 0, v5
	s_waitcnt vmcnt(3)
	v_mul_f32_e32 v5, 0x3fb8aa3b, v19
	v_exp_f32_e32 v5, v5
	v_cndmask_b32_e32 v7, v6, v4, vcc
	v_mul_f32_e32 v4, 0x3fb8aa3b, v18
	v_exp_f32_e32 v4, v4
	v_fma_f32 v6, -v8, v6, v2
	v_cmp_lt_f32_e32 vcc, 0, v6
	v_pk_add_f32 v[4:5], v[4:5], 1.0 op_sel_hi:[1,0]
	s_nop 0
	v_cndmask_b32_e32 v6, v7, v8, vcc
	v_cmp_gt_f32_e32 vcc, s15, v5
	v_mul_f32_e32 v7, 0x37800000, v6
	v_cndmask_b32_e64 v6, v6, v7, s[2:3]
	v_cndmask_b32_e32 v8, 1.0, v13, vcc
	v_mul_f32_e32 v5, v5, v8
	v_log_f32_e32 v5, v5
	v_cmp_class_f32_e64 s[2:3], v2, v17
	v_cmp_lt_f32_e64 s[4:5], |v5|, s16
	s_nop 0
	v_cndmask_b32_e64 v2, v6, v2, s[2:3]
	v_cmp_gt_f32_e64 s[2:3], s15, v4
	v_mul_f32_e32 v6, 0x3f317217, v5
	v_fma_f32 v6, v5, s14, -v6
	v_cndmask_b32_e64 v7, 1.0, v13, s[2:3]
	v_mul_f32_e32 v4, v4, v7
	v_log_f32_e32 v4, v4
	v_fmac_f32_e32 v6, 0x3377d1cf, v5
	v_fmac_f32_e32 v6, 0x3f317217, v5
	v_cndmask_b32_e64 v5, v5, v6, s[4:5]
	v_cndmask_b32_e32 v6, 0, v16, vcc
	v_sub_f32_e32 v5, v5, v6
	v_mul_f32_e32 v6, 0x3f317217, v4
	v_fma_f32 v6, v4, s14, -v6
	v_fmac_f32_e32 v6, 0x3377d1cf, v4
	v_fmac_f32_e32 v6, 0x3f317217, v4
	v_cmp_lt_f32_e64 vcc, |v4|, s16
	s_nop 1
	v_cndmask_b32_e32 v4, v4, v6, vcc
	v_cmp_lt_f32_e32 vcc, s13, v19
	v_cndmask_b32_e64 v6, 0, v16, s[2:3]
	v_sub_f32_e32 v4, v4, v6
	v_cndmask_b32_e32 v5, v5, v19, vcc
	v_mul_f32_e32 v7, 0x4f800000, v5
	v_cmp_gt_f32_e32 vcc, s17, v5
	v_cmp_lt_f32_e64 s[2:3], s13, v18
	s_nop 0
	v_cndmask_b32_e32 v5, v5, v7, vcc
	v_sqrt_f32_e32 v7, v5
	v_cndmask_b32_e64 v4, v4, v18, s[2:3]
	s_waitcnt vmcnt(0)
	v_mul_f32_e32 v18, 0x3fb8aa3b, v22
	v_exp_f32_e32 v18, v18
	v_add_u32_e32 v6, -1, v7
	v_fma_f32 v8, -v6, v7, v5
	v_cmp_ge_f32_e64 s[2:3], 0, v8
	v_add_u32_e32 v8, 1, v7
	v_add_f32_e32 v18, 1.0, v18
	v_cndmask_b32_e64 v6, v7, v6, s[2:3]
	v_fma_f32 v7, -v8, v7, v5
	v_cmp_lt_f32_e64 s[2:3], 0, v7
	s_nop 1
	v_cndmask_b32_e64 v6, v6, v8, s[2:3]
	v_mul_f32_e32 v8, 0x4f800000, v4
	v_cmp_gt_f32_e64 s[2:3], s17, v4
	v_mul_f32_e32 v7, 0x37800000, v6
	v_cndmask_b32_e32 v6, v6, v7, vcc
	v_cndmask_b32_e64 v4, v4, v8, s[2:3]
	v_sqrt_f32_e32 v8, v4
	v_cmp_class_f32_e32 vcc, v5, v17
	v_add_u32_e32 v12, 1, v8
	s_nop 0
	v_cndmask_b32_e32 v5, v6, v5, vcc
	v_add_u32_e32 v6, -1, v8
	v_fma_f32 v7, -v6, v8, v4
	v_cmp_ge_f32_e32 vcc, 0, v7
	v_mul_f32_e32 v7, 0x3fb8aa3b, v21
	v_exp_f32_e32 v7, v7
	v_cndmask_b32_e32 v11, v8, v6, vcc
	v_mul_f32_e32 v6, 0x3fb8aa3b, v20
	v_exp_f32_e32 v6, v6
	v_fma_f32 v8, -v12, v8, v4
	v_cmp_lt_f32_e32 vcc, 0, v8
	v_pk_add_f32 v[6:7], v[6:7], 1.0 op_sel_hi:[1,0]
	s_nop 0
	v_cndmask_b32_e32 v8, v11, v12, vcc
	v_cmp_gt_f32_e32 vcc, s15, v7
	v_mul_f32_e32 v11, 0x37800000, v8
	v_cndmask_b32_e64 v8, v8, v11, s[2:3]
	v_cndmask_b32_e32 v12, 1.0, v13, vcc
	v_mul_f32_e32 v7, v7, v12
	v_log_f32_e32 v7, v7
	v_cmp_class_f32_e64 s[2:3], v4, v17
	v_cmp_lt_f32_e64 s[4:5], |v7|, s16
	s_nop 0
	v_cndmask_b32_e64 v4, v8, v4, s[2:3]
	v_cmp_gt_f32_e64 s[2:3], s15, v6
	v_mul_f32_e32 v8, 0x3f317217, v7
	v_fma_f32 v8, v7, s14, -v8
	v_cndmask_b32_e64 v11, 1.0, v13, s[2:3]
	v_mul_f32_e32 v6, v6, v11
	v_log_f32_e32 v6, v6
	v_fmac_f32_e32 v8, 0x3377d1cf, v7
	v_fmac_f32_e32 v8, 0x3f317217, v7
	v_cndmask_b32_e64 v7, v7, v8, s[4:5]
	v_cndmask_b32_e32 v8, 0, v16, vcc
	v_sub_f32_e32 v7, v7, v8
	v_mul_f32_e32 v8, 0x3f317217, v6
	v_fma_f32 v8, v6, s14, -v8
	v_fmac_f32_e32 v8, 0x3377d1cf, v6
	v_fmac_f32_e32 v8, 0x3f317217, v6
	v_cmp_lt_f32_e64 vcc, |v6|, s16
	s_nop 1
	v_cndmask_b32_e32 v6, v6, v8, vcc
	v_cmp_lt_f32_e32 vcc, s13, v21
	v_cndmask_b32_e64 v8, 0, v16, s[2:3]
	v_sub_f32_e32 v6, v6, v8
	v_cndmask_b32_e32 v7, v7, v21, vcc
	v_mul_f32_e32 v11, 0x4f800000, v7
	v_cmp_gt_f32_e32 vcc, s17, v7
	v_cmp_lt_f32_e64 s[2:3], s13, v20
	s_nop 0
	v_cndmask_b32_e32 v7, v7, v11, vcc
	v_sqrt_f32_e32 v11, v7
	v_cndmask_b32_e64 v6, v6, v20, s[2:3]
	v_add_u32_e32 v8, -1, v11
	v_fma_f32 v12, -v8, v11, v7
	v_cmp_ge_f32_e64 s[2:3], 0, v12
	v_add_u32_e32 v12, 1, v11
	s_nop 0
	v_cndmask_b32_e64 v8, v11, v8, s[2:3]
	v_fma_f32 v11, -v12, v11, v7
	v_cmp_lt_f32_e64 s[2:3], 0, v11
	s_nop 1
	v_cndmask_b32_e64 v8, v8, v12, s[2:3]
	v_mul_f32_e32 v12, 0x4f800000, v6
	v_cmp_gt_f32_e64 s[2:3], s17, v6
	v_mul_f32_e32 v11, 0x37800000, v8
	v_cndmask_b32_e32 v8, v8, v11, vcc
	v_cndmask_b32_e64 v6, v6, v12, s[2:3]
	v_sqrt_f32_e32 v12, v6
	v_cmp_class_f32_e32 vcc, v7, v17
	s_nop 1
	v_cndmask_b32_e32 v7, v8, v7, vcc
	v_add_u32_e32 v8, -1, v12
	v_fma_f32 v11, -v8, v12, v6
	v_cmp_ge_f32_e32 vcc, 0, v11
	v_add_u32_e32 v11, 1, v12
	s_nop 0
	v_cndmask_b32_e32 v8, v12, v8, vcc
	v_cmp_gt_f32_e32 vcc, s15, v18
	v_fma_f32 v12, -v11, v12, v6
	v_cmp_lt_f32_e64 s[4:5], 0, v12
	v_cndmask_b32_e32 v13, 1.0, v13, vcc
	v_mul_f32_e32 v13, v18, v13
	v_log_f32_e32 v13, v13
	v_cndmask_b32_e64 v8, v8, v11, s[4:5]
	v_mul_f32_e32 v11, 0x37800000, v8
	v_cndmask_b32_e64 v8, v8, v11, s[2:3]
	v_mul_f32_e32 v12, 0x3f317217, v13
	v_fma_f32 v12, v13, s14, -v12
	v_fmac_f32_e32 v12, 0x3377d1cf, v13
	v_fmac_f32_e32 v12, 0x3f317217, v13
	v_cmp_lt_f32_e64 s[4:5], |v13|, s16
	v_cmp_class_f32_e64 s[2:3], v6, v17
	s_nop 0
	v_cndmask_b32_e64 v12, v13, v12, s[4:5]
	v_cndmask_b32_e32 v13, 0, v16, vcc
	v_sub_f32_e32 v12, v12, v13
	v_cmp_lt_f32_e32 vcc, s13, v22
	v_cndmask_b32_e64 v6, v8, v6, s[2:3]
	s_cselect_b64 s[4:5], -1, 0
	v_cndmask_b32_e32 v12, v12, v22, vcc
	v_mul_f32_e32 v13, 0x4f800000, v12
	v_cmp_gt_f32_e32 vcc, s17, v12
	s_cmp_lt_i32 s33, 1
	s_nop 0
	v_cndmask_b32_e32 v12, v12, v13, vcc
	v_sqrt_f32_e32 v13, v12
	s_nop 0
	v_add_u32_e32 v8, -1, v13
	v_fma_f32 v11, -v8, v13, v12
	v_cmp_ge_f32_e64 s[2:3], 0, v11
	v_add_u32_e32 v11, 1, v13
	s_nop 0
	v_cndmask_b32_e64 v8, v13, v8, s[2:3]
	v_fma_f32 v13, -v11, v13, v12
	v_cmp_lt_f32_e64 s[2:3], 0, v13
	s_nop 1
	v_cndmask_b32_e64 v8, v8, v11, s[2:3]
	v_mul_f32_e32 v11, 0x37800000, v8
	v_cndmask_b32_e32 v8, v8, v11, vcc
	v_cmp_class_f32_e32 vcc, v12, v17
	s_nop 1
	v_cndmask_b32_e32 v8, v8, v12, vcc
	v_lshl_add_u64 v[12:13], v[14:15], 2, s[10:11]
	s_cbranch_scc1 .LBB116_29
; %bb.2:
	s_load_dwordx2 s[6:7], s[0:1], 0x20
	s_cmp_lt_u32 s33, 4
	s_cbranch_scc1 .LBB116_21
; %bb.3:
	s_mov_b32 s9, 0
	s_and_b32 s12, s33, 0x7ffffffc
	v_ashrrev_i32_e32 v11, 31, v10
	v_mov_b32_e32 v15, 0
	s_mov_b32 s8, s9
	s_branch .LBB116_5
.LBB116_4:                              ;   in Loop: Header=BB116_5 Depth=1
	s_or_b64 exec, exec, s[10:11]
	s_add_i32 s8, s8, 4
	s_cmp_eq_u32 s8, s12
	s_cbranch_scc1 .LBB116_22
.LBB116_5:                              ; =>This Loop Header: Depth=1
                                        ;     Child Loop BB116_7 Depth 2
                                        ;     Child Loop BB116_11 Depth 2
	;; [unrolled: 1-line block ×4, first 2 shown]
	v_lshl_add_u64 v[16:17], s[8:9], 2, v[12:13]
	global_load_dword v14, v[16:17], off
	v_add_u32_e32 v18, s8, v10
	v_ashrrev_i32_e32 v19, 31, v18
	s_waitcnt lgkmcnt(0)
	v_lshl_add_u64 v[18:19], v[18:19], 2, s[6:7]
	s_mov_b64 s[10:11], 0
	v_mov_b32_e32 v20, v9
	s_mov_b64 s[14:15], 0
	s_waitcnt vmcnt(0)
	s_branch .LBB116_7
.LBB116_6:                              ;   in Loop: Header=BB116_7 Depth=2
	s_or_b64 exec, exec, s[16:17]
	s_cmp_gt_u32 s14, 7
	s_cselect_b64 s[2:3], -1, 0
	s_xor_b64 s[16:17], vcc, -1
	s_or_b64 s[2:3], s[16:17], s[2:3]
	s_add_u32 s14, s14, 1
	s_addc_u32 s15, s15, 0
	s_and_b64 s[2:3], exec, s[2:3]
	s_or_b64 s[10:11], s[2:3], s[10:11]
	v_add_u32_e32 v20, 64, v20
	s_andn2_b64 exec, exec, s[10:11]
	s_cbranch_execz .LBB116_9
.LBB116_7:                              ;   Parent Loop BB116_5 Depth=1
                                        ; =>  This Inner Loop Header: Depth=2
	v_cmp_ne_u32_e32 vcc, v14, v20
	v_cmp_eq_u32_e64 s[2:3], v14, v20
	s_and_saveexec_b64 s[16:17], s[2:3]
	s_cbranch_execz .LBB116_6
; %bb.8:                                ;   in Loop: Header=BB116_7 Depth=2
	s_set_gpr_idx_on s14, gpr_idx(SRC0)
	v_mov_b32_e32 v21, v0
	s_set_gpr_idx_off
	v_add_f32_e32 v15, v15, v21
	global_store_dword v[18:19], v14, off
	s_branch .LBB116_6
.LBB116_9:                              ;   in Loop: Header=BB116_5 Depth=1
	s_or_b64 exec, exec, s[10:11]
	global_load_dword v14, v[16:17], off offset:4
	s_ashr_i32 s3, s8, 31
	s_mov_b32 s2, s8
	v_lshl_add_u64 v[18:19], s[2:3], 0, v[10:11]
	v_lshl_add_u64 v[18:19], v[18:19], 2, s[6:7]
	s_mov_b64 s[10:11], 0
	v_mov_b32_e32 v20, v9
	s_mov_b64 s[14:15], 0
	s_waitcnt vmcnt(0)
	s_branch .LBB116_11
.LBB116_10:                             ;   in Loop: Header=BB116_11 Depth=2
	s_or_b64 exec, exec, s[16:17]
	s_cmp_gt_u32 s14, 7
	s_cselect_b64 s[2:3], -1, 0
	s_xor_b64 s[16:17], vcc, -1
	s_or_b64 s[2:3], s[16:17], s[2:3]
	s_add_u32 s14, s14, 1
	s_addc_u32 s15, s15, 0
	s_and_b64 s[2:3], exec, s[2:3]
	s_or_b64 s[10:11], s[2:3], s[10:11]
	v_add_u32_e32 v20, 64, v20
	s_andn2_b64 exec, exec, s[10:11]
	s_cbranch_execz .LBB116_13
.LBB116_11:                             ;   Parent Loop BB116_5 Depth=1
                                        ; =>  This Inner Loop Header: Depth=2
	v_cmp_ne_u32_e32 vcc, v14, v20
	v_cmp_eq_u32_e64 s[2:3], v14, v20
	s_and_saveexec_b64 s[16:17], s[2:3]
	s_cbranch_execz .LBB116_10
; %bb.12:                               ;   in Loop: Header=BB116_11 Depth=2
	s_set_gpr_idx_on s14, gpr_idx(SRC0)
	v_mov_b32_e32 v21, v0
	s_set_gpr_idx_off
	v_add_f32_e32 v15, v15, v21
	global_store_dword v[18:19], v14, off offset:4
	s_branch .LBB116_10
.LBB116_13:                             ;   in Loop: Header=BB116_5 Depth=1
	s_or_b64 exec, exec, s[10:11]
	global_load_dword v14, v[16:17], off offset:8
	s_mov_b64 s[10:11], 0
	v_mov_b32_e32 v20, v9
	s_mov_b64 s[14:15], 0
	s_waitcnt vmcnt(0)
	s_branch .LBB116_15
.LBB116_14:                             ;   in Loop: Header=BB116_15 Depth=2
	s_or_b64 exec, exec, s[16:17]
	s_cmp_gt_u32 s14, 7
	s_cselect_b64 s[2:3], -1, 0
	s_xor_b64 s[16:17], vcc, -1
	s_or_b64 s[2:3], s[16:17], s[2:3]
	s_add_u32 s14, s14, 1
	s_addc_u32 s15, s15, 0
	s_and_b64 s[2:3], exec, s[2:3]
	s_or_b64 s[10:11], s[2:3], s[10:11]
	v_add_u32_e32 v20, 64, v20
	s_andn2_b64 exec, exec, s[10:11]
	s_cbranch_execz .LBB116_17
.LBB116_15:                             ;   Parent Loop BB116_5 Depth=1
                                        ; =>  This Inner Loop Header: Depth=2
	v_cmp_ne_u32_e32 vcc, v14, v20
	v_cmp_eq_u32_e64 s[2:3], v14, v20
	s_and_saveexec_b64 s[16:17], s[2:3]
	s_cbranch_execz .LBB116_14
; %bb.16:                               ;   in Loop: Header=BB116_15 Depth=2
	s_set_gpr_idx_on s14, gpr_idx(SRC0)
	v_mov_b32_e32 v21, v0
	s_set_gpr_idx_off
	v_add_f32_e32 v15, v15, v21
	global_store_dword v[18:19], v14, off offset:8
	s_branch .LBB116_14
.LBB116_17:                             ;   in Loop: Header=BB116_5 Depth=1
	s_or_b64 exec, exec, s[10:11]
	global_load_dword v14, v[16:17], off offset:12
	s_mov_b64 s[10:11], 0
	v_mov_b32_e32 v16, v9
	s_mov_b64 s[14:15], 0
	s_waitcnt vmcnt(0)
	s_branch .LBB116_19
.LBB116_18:                             ;   in Loop: Header=BB116_19 Depth=2
	s_or_b64 exec, exec, s[16:17]
	s_cmp_gt_u32 s14, 7
	s_cselect_b64 s[2:3], -1, 0
	s_xor_b64 s[16:17], vcc, -1
	s_or_b64 s[2:3], s[16:17], s[2:3]
	s_add_u32 s14, s14, 1
	s_addc_u32 s15, s15, 0
	s_and_b64 s[2:3], exec, s[2:3]
	s_or_b64 s[10:11], s[2:3], s[10:11]
	v_add_u32_e32 v16, 64, v16
	s_andn2_b64 exec, exec, s[10:11]
	s_cbranch_execz .LBB116_4
.LBB116_19:                             ;   Parent Loop BB116_5 Depth=1
                                        ; =>  This Inner Loop Header: Depth=2
	v_cmp_ne_u32_e32 vcc, v14, v16
	v_cmp_eq_u32_e64 s[2:3], v14, v16
	s_and_saveexec_b64 s[16:17], s[2:3]
	s_cbranch_execz .LBB116_18
; %bb.20:                               ;   in Loop: Header=BB116_19 Depth=2
	s_set_gpr_idx_on s14, gpr_idx(SRC0)
	v_mov_b32_e32 v17, v0
	s_set_gpr_idx_off
	v_add_f32_e32 v15, v15, v17
	global_store_dword v[18:19], v14, off offset:12
	s_branch .LBB116_18
.LBB116_21:
	v_mov_b32_e32 v15, 0
.LBB116_22:
	s_and_b32 s16, s33, 3
	s_cmp_eq_u32 s16, 0
	s_mov_b32 s13, 0
	s_cbranch_scc1 .LBB116_29
; %bb.23:
	s_mov_b32 s17, s13
	s_branch .LBB116_25
.LBB116_24:                             ;   in Loop: Header=BB116_25 Depth=1
	s_or_b64 exec, exec, s[8:9]
	s_add_i32 s12, s12, 1
	s_add_i32 s17, s17, 1
	s_cmp_lg_u32 s17, s16
	s_cbranch_scc0 .LBB116_29
.LBB116_25:                             ; =>This Loop Header: Depth=1
                                        ;     Child Loop BB116_27 Depth 2
	v_lshl_add_u64 v[16:17], s[12:13], 2, v[12:13]
	global_load_dword v11, v[16:17], off
	v_add_u32_e32 v16, s12, v10
	v_ashrrev_i32_e32 v17, 31, v16
	s_waitcnt lgkmcnt(0)
	v_lshl_add_u64 v[16:17], v[16:17], 2, s[6:7]
	s_mov_b64 s[8:9], 0
	v_mov_b32_e32 v14, v9
	s_mov_b64 s[10:11], 0
	s_waitcnt vmcnt(0)
	s_branch .LBB116_27
.LBB116_26:                             ;   in Loop: Header=BB116_27 Depth=2
	s_or_b64 exec, exec, s[14:15]
	s_cmp_gt_u32 s10, 7
	s_cselect_b64 s[2:3], -1, 0
	s_xor_b64 s[14:15], vcc, -1
	s_or_b64 s[2:3], s[14:15], s[2:3]
	s_add_u32 s10, s10, 1
	s_addc_u32 s11, s11, 0
	s_and_b64 s[2:3], exec, s[2:3]
	s_or_b64 s[8:9], s[2:3], s[8:9]
	v_add_u32_e32 v14, 64, v14
	s_andn2_b64 exec, exec, s[8:9]
	s_cbranch_execz .LBB116_24
.LBB116_27:                             ;   Parent Loop BB116_25 Depth=1
                                        ; =>  This Inner Loop Header: Depth=2
	v_cmp_ne_u32_e32 vcc, v11, v14
	v_cmp_eq_u32_e64 s[2:3], v11, v14
	s_and_saveexec_b64 s[14:15], s[2:3]
	s_cbranch_execz .LBB116_26
; %bb.28:                               ;   in Loop: Header=BB116_27 Depth=2
	s_set_gpr_idx_on s10, gpr_idx(SRC0)
	v_mov_b32_e32 v18, v0
	s_set_gpr_idx_off
	v_add_f32_e32 v15, v15, v18
	global_store_dword v[16:17], v11, off
	s_branch .LBB116_26
.LBB116_29:
	s_waitcnt lgkmcnt(0)
	s_load_dword s6, s[0:1], 0x3c
	s_waitcnt lgkmcnt(0)
	s_bitcmp1_b32 s6, 0
	s_cselect_b64 s[2:3], -1, 0
	s_bitcmp0_b32 s6, 0
	s_cbranch_scc0 .LBB116_33
; %bb.30:
	s_load_dwordx2 s[6:7], s[0:1], 0x40
	s_andn2_b64 vcc, exec, s[2:3]
	s_waitcnt lgkmcnt(0)
	v_cvt_f32_f64_e32 v20, s[6:7]
	s_cbranch_vccz .LBB116_34
.LBB116_31:
	s_andn2_b64 vcc, exec, s[4:5]
	s_cbranch_vccz .LBB116_35
.LBB116_32:
	s_endpgm
.LBB116_33:
	v_mbcnt_lo_u32_b32 v11, -1, 0
	v_mbcnt_hi_u32_b32 v11, -1, v11
	v_and_b32_e32 v14, 64, v11
	v_add_u32_e32 v14, 64, v14
	v_xor_b32_e32 v16, 32, v11
	v_cmp_lt_i32_e32 vcc, v16, v14
	v_xor_b32_e32 v17, 16, v11
	s_nop 0
	v_cndmask_b32_e32 v16, v11, v16, vcc
	v_lshlrev_b32_e32 v16, 2, v16
	ds_bpermute_b32 v16, v16, v15
	v_cmp_lt_i32_e32 vcc, v17, v14
	s_waitcnt lgkmcnt(0)
	v_add_f32_e32 v15, v15, v16
	v_cndmask_b32_e32 v16, v11, v17, vcc
	v_lshlrev_b32_e32 v16, 2, v16
	ds_bpermute_b32 v16, v16, v15
	v_xor_b32_e32 v17, 8, v11
	v_cmp_lt_i32_e32 vcc, v17, v14
	s_waitcnt lgkmcnt(0)
	v_add_f32_e32 v15, v15, v16
	v_cndmask_b32_e32 v16, v11, v17, vcc
	v_lshlrev_b32_e32 v16, 2, v16
	ds_bpermute_b32 v16, v16, v15
	v_xor_b32_e32 v17, 4, v11
	;; [unrolled: 7-line block ×4, first 2 shown]
	v_cmp_lt_i32_e32 vcc, v17, v14
	s_waitcnt lgkmcnt(0)
	v_add_f32_e32 v15, v15, v16
	v_cndmask_b32_e32 v11, v11, v17, vcc
	v_lshlrev_b32_e32 v11, 2, v11
	ds_bpermute_b32 v11, v11, v15
	s_waitcnt lgkmcnt(0)
	v_add_f32_e32 v15, v15, v11
	s_load_dwordx2 s[6:7], s[0:1], 0x40
	s_andn2_b64 vcc, exec, s[2:3]
	s_waitcnt lgkmcnt(0)
	v_cvt_f32_f64_e32 v20, s[6:7]
	s_cbranch_vccnz .LBB116_31
.LBB116_34:
	v_cmp_lt_f32_e32 vcc, 0, v15
	s_nop 1
	v_cndmask_b32_e32 v11, 1.0, v15, vcc
	v_div_scale_f32 v14, s[2:3], v11, v11, v20
	v_rcp_f32_e32 v15, v14
	s_nop 0
	v_fma_f32 v16, -v14, v15, 1.0
	v_fmac_f32_e32 v15, v16, v15
	v_div_scale_f32 v16, vcc, v20, v11, v20
	v_mul_f32_e32 v17, v16, v15
	v_fma_f32 v18, -v14, v17, v16
	v_fmac_f32_e32 v17, v18, v15
	v_fma_f32 v14, -v14, v17, v16
	v_div_fmas_f32 v14, v14, v15, v17
	v_div_fixup_f32 v20, v14, v11, v20
	s_andn2_b64 vcc, exec, s[4:5]
	s_cbranch_vccnz .LBB116_32
.LBB116_35:
	s_load_dwordx2 s[14:15], s[0:1], 0x10
	v_or_b32_e32 v28, 64, v9
	v_or_b32_e32 v27, 0x80, v9
	;; [unrolled: 1-line block ×8, first 2 shown]
	s_cmp_eq_u32 s33, 1
	s_mov_b32 s16, 0
	s_cbranch_scc1 .LBB116_74
; %bb.36:
	v_ashrrev_i32_e32 v11, 31, v10
	s_waitcnt lgkmcnt(0)
	v_lshl_add_u64 v[14:15], v[10:11], 2, s[14:15]
	s_and_b32 s16, s33, 0x7ffffffe
	v_lshl_add_u64 v[14:15], v[14:15], 0, 4
	v_lshl_add_u64 v[16:17], v[12:13], 0, 4
	s_mov_b32 s17, 0
	s_branch .LBB116_38
.LBB116_37:                             ;   in Loop: Header=BB116_38 Depth=1
	s_or_b64 exec, exec, s[0:1]
	s_add_i32 s17, s17, 2
	v_lshl_add_u64 v[14:15], v[14:15], 0, 8
	s_cmp_lg_u32 s16, s17
	v_lshl_add_u64 v[16:17], v[16:17], 0, 8
	s_cbranch_scc0 .LBB116_74
.LBB116_38:                             ; =>This Inner Loop Header: Depth=1
	global_load_dword v11, v[16:17], off offset:-4
	v_mov_b64_e32 v[18:19], 0
	s_waitcnt vmcnt(0)
	v_cmp_eq_u32_e32 vcc, v11, v9
	v_cmp_ne_u32_e64 s[0:1], v11, v9
	s_and_saveexec_b64 s[18:19], s[0:1]
	s_cbranch_execz .LBB116_54
; %bb.39:                               ;   in Loop: Header=BB116_38 Depth=1
	v_cmp_eq_u32_e64 s[0:1], v11, v28
	v_cmp_ne_u32_e64 s[2:3], v11, v28
	v_mov_b64_e32 v[18:19], 1
	s_and_saveexec_b64 s[20:21], s[2:3]
	s_cbranch_execz .LBB116_53
; %bb.40:                               ;   in Loop: Header=BB116_38 Depth=1
	v_cmp_eq_u32_e64 s[2:3], v11, v27
	v_cmp_ne_u32_e64 s[4:5], v11, v27
	v_mov_b64_e32 v[18:19], 2
	;; [unrolled: 6-line block ×7, first 2 shown]
	s_and_saveexec_b64 s[36:37], s[12:13]
	s_xor_b64 s[36:37], exec, s[36:37]
; %bb.46:                               ;   in Loop: Header=BB116_38 Depth=1
	v_cmp_eq_u32_e64 s[12:13], v11, v21
	s_andn2_b64 s[34:35], s[34:35], exec
	s_and_b64 s[12:13], s[12:13], exec
	v_mov_b64_e32 v[18:19], 8
	s_or_b64 s[34:35], s[34:35], s[12:13]
; %bb.47:                               ;   in Loop: Header=BB116_38 Depth=1
	s_or_b64 exec, exec, s[36:37]
	s_andn2_b64 s[10:11], s[10:11], exec
	s_and_b64 s[12:13], s[34:35], exec
	s_or_b64 s[10:11], s[10:11], s[12:13]
.LBB116_48:                             ;   in Loop: Header=BB116_38 Depth=1
	s_or_b64 exec, exec, s[30:31]
	s_andn2_b64 s[8:9], s[8:9], exec
	s_and_b64 s[10:11], s[10:11], exec
	s_or_b64 s[8:9], s[8:9], s[10:11]
.LBB116_49:                             ;   in Loop: Header=BB116_38 Depth=1
	s_or_b64 exec, exec, s[28:29]
	s_andn2_b64 s[6:7], s[6:7], exec
	s_and_b64 s[8:9], s[8:9], exec
	s_or_b64 s[6:7], s[6:7], s[8:9]
.LBB116_50:                             ;   in Loop: Header=BB116_38 Depth=1
	s_or_b64 exec, exec, s[26:27]
	s_andn2_b64 s[4:5], s[4:5], exec
	s_and_b64 s[6:7], s[6:7], exec
	s_or_b64 s[4:5], s[4:5], s[6:7]
.LBB116_51:                             ;   in Loop: Header=BB116_38 Depth=1
	s_or_b64 exec, exec, s[24:25]
	s_andn2_b64 s[2:3], s[2:3], exec
	s_and_b64 s[4:5], s[4:5], exec
	s_or_b64 s[2:3], s[2:3], s[4:5]
.LBB116_52:                             ;   in Loop: Header=BB116_38 Depth=1
	s_or_b64 exec, exec, s[22:23]
	s_andn2_b64 s[0:1], s[0:1], exec
	s_and_b64 s[2:3], s[2:3], exec
	s_or_b64 s[0:1], s[0:1], s[2:3]
.LBB116_53:                             ;   in Loop: Header=BB116_38 Depth=1
	s_or_b64 exec, exec, s[20:21]
	s_andn2_b64 s[2:3], vcc, exec
	s_and_b64 s[0:1], s[0:1], exec
	s_or_b64 vcc, s[2:3], s[0:1]
.LBB116_54:                             ;   in Loop: Header=BB116_38 Depth=1
	s_or_b64 exec, exec, s[18:19]
	s_and_saveexec_b64 s[0:1], vcc
	s_cbranch_execz .LBB116_56
; %bb.55:                               ;   in Loop: Header=BB116_38 Depth=1
	v_cmp_eq_u32_e32 vcc, 1, v18
	v_add_u32_e32 v30, s17, v10
	v_ashrrev_i32_e32 v31, 31, v30
	v_cndmask_b32_e32 v11, v0, v1, vcc
	v_cmp_eq_u32_e32 vcc, 2, v18
	s_nop 1
	v_cndmask_b32_e32 v11, v11, v2, vcc
	v_cmp_eq_u32_e32 vcc, 3, v18
	s_nop 1
	;; [unrolled: 3-line block ×6, first 2 shown]
	v_cndmask_b32_e32 v11, v11, v7, vcc
	v_cmp_eq_u32_e32 vcc, 8, v18
	v_lshl_add_u64 v[18:19], v[30:31], 2, s[14:15]
	s_nop 0
	v_cndmask_b32_e32 v11, v11, v8, vcc
	v_mul_f32_e32 v11, v20, v11
	global_store_dword v[18:19], v11, off
.LBB116_56:                             ;   in Loop: Header=BB116_38 Depth=1
	s_or_b64 exec, exec, s[0:1]
	global_load_dword v11, v[16:17], off
	v_mov_b64_e32 v[18:19], 0
	s_waitcnt vmcnt(0)
	v_cmp_eq_u32_e64 s[10:11], v11, v9
	v_cmp_ne_u32_e32 vcc, v11, v9
	s_and_saveexec_b64 s[12:13], vcc
	s_cbranch_execz .LBB116_72
; %bb.57:                               ;   in Loop: Header=BB116_38 Depth=1
	v_cmp_eq_u32_e32 vcc, v11, v28
	v_cmp_ne_u32_e64 s[0:1], v11, v28
	v_mov_b64_e32 v[18:19], 1
	s_and_saveexec_b64 s[18:19], s[0:1]
	s_cbranch_execz .LBB116_71
; %bb.58:                               ;   in Loop: Header=BB116_38 Depth=1
	v_cmp_eq_u32_e64 s[0:1], v11, v27
	v_cmp_ne_u32_e64 s[2:3], v11, v27
	v_mov_b64_e32 v[18:19], 2
	s_and_saveexec_b64 s[20:21], s[2:3]
	s_cbranch_execz .LBB116_70
; %bb.59:                               ;   in Loop: Header=BB116_38 Depth=1
	v_cmp_eq_u32_e64 s[2:3], v11, v26
	;; [unrolled: 6-line block ×6, first 2 shown]
	v_cmp_ne_u32_e64 s[8:9], v11, v22
	v_mov_b64_e32 v[18:19], 7
	s_and_saveexec_b64 s[36:37], s[8:9]
; %bb.64:                               ;   in Loop: Header=BB116_38 Depth=1
	v_cmp_eq_u32_e64 s[8:9], v11, v21
	s_andn2_b64 s[34:35], s[34:35], exec
	s_and_b64 s[8:9], s[8:9], exec
	v_mov_b64_e32 v[18:19], 8
	s_or_b64 s[34:35], s[34:35], s[8:9]
; %bb.65:                               ;   in Loop: Header=BB116_38 Depth=1
	s_or_b64 exec, exec, s[36:37]
	s_andn2_b64 s[8:9], s[28:29], exec
	s_and_b64 s[28:29], s[34:35], exec
	s_or_b64 s[28:29], s[8:9], s[28:29]
.LBB116_66:                             ;   in Loop: Header=BB116_38 Depth=1
	s_or_b64 exec, exec, s[30:31]
	s_andn2_b64 s[6:7], s[6:7], exec
	s_and_b64 s[8:9], s[28:29], exec
	s_or_b64 s[6:7], s[6:7], s[8:9]
.LBB116_67:                             ;   in Loop: Header=BB116_38 Depth=1
	s_or_b64 exec, exec, s[26:27]
	s_andn2_b64 s[4:5], s[4:5], exec
	s_and_b64 s[6:7], s[6:7], exec
	s_or_b64 s[4:5], s[4:5], s[6:7]
.LBB116_68:                             ;   in Loop: Header=BB116_38 Depth=1
	s_or_b64 exec, exec, s[24:25]
	s_andn2_b64 s[2:3], s[2:3], exec
	s_and_b64 s[4:5], s[4:5], exec
	s_or_b64 s[2:3], s[2:3], s[4:5]
.LBB116_69:                             ;   in Loop: Header=BB116_38 Depth=1
	s_or_b64 exec, exec, s[22:23]
	s_andn2_b64 s[0:1], s[0:1], exec
	s_and_b64 s[2:3], s[2:3], exec
	s_or_b64 s[0:1], s[0:1], s[2:3]
.LBB116_70:                             ;   in Loop: Header=BB116_38 Depth=1
	s_or_b64 exec, exec, s[20:21]
	s_andn2_b64 s[2:3], vcc, exec
	s_and_b64 s[0:1], s[0:1], exec
	s_or_b64 vcc, s[2:3], s[0:1]
.LBB116_71:                             ;   in Loop: Header=BB116_38 Depth=1
	s_or_b64 exec, exec, s[18:19]
	s_andn2_b64 s[0:1], s[10:11], exec
	s_and_b64 s[2:3], vcc, exec
	s_or_b64 s[10:11], s[0:1], s[2:3]
.LBB116_72:                             ;   in Loop: Header=BB116_38 Depth=1
	s_or_b64 exec, exec, s[12:13]
	s_and_saveexec_b64 s[0:1], s[10:11]
	s_cbranch_execz .LBB116_37
; %bb.73:                               ;   in Loop: Header=BB116_38 Depth=1
	v_cmp_eq_u32_e32 vcc, 1, v18
	s_nop 1
	v_cndmask_b32_e32 v11, v0, v1, vcc
	v_cmp_eq_u32_e32 vcc, 2, v18
	s_nop 1
	v_cndmask_b32_e32 v11, v11, v2, vcc
	;; [unrolled: 3-line block ×8, first 2 shown]
	v_mul_f32_e32 v11, v20, v11
	global_store_dword v[14:15], v11, off
	s_branch .LBB116_37
.LBB116_74:
	s_bitcmp0_b32 s33, 0
	s_mov_b32 s17, 0
	s_cbranch_scc1 .LBB116_32
; %bb.75:
	v_lshl_add_u64 v[12:13], s[16:17], 2, v[12:13]
	global_load_dword v11, v[12:13], off
	v_mov_b64_e32 v[12:13], 0
	s_waitcnt vmcnt(0)
	v_cmp_eq_u32_e64 s[10:11], v11, v9
	v_cmp_ne_u32_e32 vcc, v11, v9
	s_and_saveexec_b64 s[12:13], vcc
	s_cbranch_execz .LBB116_91
; %bb.76:
	v_cmp_eq_u32_e32 vcc, v11, v28
	v_cmp_ne_u32_e64 s[0:1], v11, v28
	v_mov_b64_e32 v[12:13], 1
	s_and_saveexec_b64 s[18:19], s[0:1]
	s_cbranch_execz .LBB116_90
; %bb.77:
	v_cmp_eq_u32_e64 s[0:1], v11, v27
	v_cmp_ne_u32_e64 s[2:3], v11, v27
	v_mov_b64_e32 v[12:13], 2
	s_and_saveexec_b64 s[20:21], s[2:3]
	s_cbranch_execz .LBB116_89
; %bb.78:
	v_cmp_eq_u32_e64 s[2:3], v11, v26
	;; [unrolled: 6-line block ×6, first 2 shown]
	v_cmp_ne_u32_e64 s[8:9], v11, v22
	v_mov_b64_e32 v[12:13], 7
	s_and_saveexec_b64 s[36:37], s[8:9]
; %bb.83:
	v_cmp_eq_u32_e64 s[8:9], v11, v21
	s_andn2_b64 s[34:35], s[34:35], exec
	s_and_b64 s[8:9], s[8:9], exec
	v_mov_b64_e32 v[12:13], 8
	s_or_b64 s[34:35], s[34:35], s[8:9]
; %bb.84:
	s_or_b64 exec, exec, s[36:37]
	s_andn2_b64 s[8:9], s[28:29], exec
	s_and_b64 s[28:29], s[34:35], exec
	s_or_b64 s[28:29], s[8:9], s[28:29]
.LBB116_85:
	s_or_b64 exec, exec, s[30:31]
	s_andn2_b64 s[6:7], s[6:7], exec
	s_and_b64 s[8:9], s[28:29], exec
	s_or_b64 s[6:7], s[6:7], s[8:9]
.LBB116_86:
	s_or_b64 exec, exec, s[26:27]
	s_andn2_b64 s[4:5], s[4:5], exec
	s_and_b64 s[6:7], s[6:7], exec
	s_or_b64 s[4:5], s[4:5], s[6:7]
.LBB116_87:
	s_or_b64 exec, exec, s[24:25]
	s_andn2_b64 s[2:3], s[2:3], exec
	s_and_b64 s[4:5], s[4:5], exec
	s_or_b64 s[2:3], s[2:3], s[4:5]
.LBB116_88:
	s_or_b64 exec, exec, s[22:23]
	s_andn2_b64 s[0:1], s[0:1], exec
	s_and_b64 s[2:3], s[2:3], exec
	s_or_b64 s[0:1], s[0:1], s[2:3]
.LBB116_89:
	s_or_b64 exec, exec, s[20:21]
	s_andn2_b64 s[2:3], vcc, exec
	s_and_b64 s[0:1], s[0:1], exec
	s_or_b64 vcc, s[2:3], s[0:1]
.LBB116_90:
	s_or_b64 exec, exec, s[18:19]
	s_andn2_b64 s[0:1], s[10:11], exec
	s_and_b64 s[2:3], vcc, exec
	s_or_b64 s[10:11], s[0:1], s[2:3]
.LBB116_91:
	s_or_b64 exec, exec, s[12:13]
	s_and_b64 exec, exec, s[10:11]
	s_cbranch_execz .LBB116_32
; %bb.92:
	v_cmp_eq_u32_e32 vcc, 1, v12
	v_add_u32_e32 v10, s16, v10
	v_ashrrev_i32_e32 v11, 31, v10
	v_cndmask_b32_e32 v0, v0, v1, vcc
	v_cmp_eq_u32_e32 vcc, 2, v12
	s_nop 1
	v_cndmask_b32_e32 v0, v0, v2, vcc
	v_cmp_eq_u32_e32 vcc, 3, v12
	s_nop 1
	;; [unrolled: 3-line block ×7, first 2 shown]
	v_cndmask_b32_e32 v0, v0, v8, vcc
	v_mul_f32_e32 v2, v20, v0
	s_waitcnt lgkmcnt(0)
	v_lshl_add_u64 v[0:1], v[10:11], 2, s[14:15]
	global_store_dword v[0:1], v2, off
	s_endpgm
	.section	.rodata,"a",@progbits
	.p2align	6, 0x0
	.amdhsa_kernel _ZN4vllm3moe22topkGatingSoftplusSqrtILi9ELi576ELi4ELi4ELi64ELb1EjfEEvPKT6_PKbPfiPT5_PiiiibdPKfPKS8_SE_
		.amdhsa_group_segment_fixed_size 0
		.amdhsa_private_segment_fixed_size 0
		.amdhsa_kernarg_size 96
		.amdhsa_user_sgpr_count 2
		.amdhsa_user_sgpr_dispatch_ptr 0
		.amdhsa_user_sgpr_queue_ptr 0
		.amdhsa_user_sgpr_kernarg_segment_ptr 1
		.amdhsa_user_sgpr_dispatch_id 0
		.amdhsa_user_sgpr_kernarg_preload_length 0
		.amdhsa_user_sgpr_kernarg_preload_offset 0
		.amdhsa_user_sgpr_private_segment_size 0
		.amdhsa_uses_dynamic_stack 0
		.amdhsa_enable_private_segment 0
		.amdhsa_system_sgpr_workgroup_id_x 1
		.amdhsa_system_sgpr_workgroup_id_y 0
		.amdhsa_system_sgpr_workgroup_id_z 0
		.amdhsa_system_sgpr_workgroup_info 0
		.amdhsa_system_vgpr_workitem_id 1
		.amdhsa_next_free_vgpr 32
		.amdhsa_next_free_sgpr 38
		.amdhsa_accum_offset 32
		.amdhsa_reserve_vcc 1
		.amdhsa_float_round_mode_32 0
		.amdhsa_float_round_mode_16_64 0
		.amdhsa_float_denorm_mode_32 3
		.amdhsa_float_denorm_mode_16_64 3
		.amdhsa_dx10_clamp 1
		.amdhsa_ieee_mode 1
		.amdhsa_fp16_overflow 0
		.amdhsa_tg_split 0
		.amdhsa_exception_fp_ieee_invalid_op 0
		.amdhsa_exception_fp_denorm_src 0
		.amdhsa_exception_fp_ieee_div_zero 0
		.amdhsa_exception_fp_ieee_overflow 0
		.amdhsa_exception_fp_ieee_underflow 0
		.amdhsa_exception_fp_ieee_inexact 0
		.amdhsa_exception_int_div_zero 0
	.end_amdhsa_kernel
	.section	.text._ZN4vllm3moe22topkGatingSoftplusSqrtILi9ELi576ELi4ELi4ELi64ELb1EjfEEvPKT6_PKbPfiPT5_PiiiibdPKfPKS8_SE_,"axG",@progbits,_ZN4vllm3moe22topkGatingSoftplusSqrtILi9ELi576ELi4ELi4ELi64ELb1EjfEEvPKT6_PKbPfiPT5_PiiiibdPKfPKS8_SE_,comdat
.Lfunc_end116:
	.size	_ZN4vllm3moe22topkGatingSoftplusSqrtILi9ELi576ELi4ELi4ELi64ELb1EjfEEvPKT6_PKbPfiPT5_PiiiibdPKfPKS8_SE_, .Lfunc_end116-_ZN4vllm3moe22topkGatingSoftplusSqrtILi9ELi576ELi4ELi4ELi64ELb1EjfEEvPKT6_PKbPfiPT5_PiiiibdPKfPKS8_SE_
                                        ; -- End function
	.section	.AMDGPU.csdata,"",@progbits
; Kernel info:
; codeLenInByte = 5196
; NumSgprs: 44
; NumVgprs: 32
; NumAgprs: 0
; TotalNumVgprs: 32
; ScratchSize: 0
; MemoryBound: 0
; FloatMode: 240
; IeeeMode: 1
; LDSByteSize: 0 bytes/workgroup (compile time only)
; SGPRBlocks: 5
; VGPRBlocks: 3
; NumSGPRsForWavesPerEU: 44
; NumVGPRsForWavesPerEU: 32
; AccumOffset: 32
; Occupancy: 8
; WaveLimiterHint : 1
; COMPUTE_PGM_RSRC2:SCRATCH_EN: 0
; COMPUTE_PGM_RSRC2:USER_SGPR: 2
; COMPUTE_PGM_RSRC2:TRAP_HANDLER: 0
; COMPUTE_PGM_RSRC2:TGID_X_EN: 1
; COMPUTE_PGM_RSRC2:TGID_Y_EN: 0
; COMPUTE_PGM_RSRC2:TGID_Z_EN: 0
; COMPUTE_PGM_RSRC2:TIDIG_COMP_CNT: 1
; COMPUTE_PGM_RSRC3_GFX90A:ACCUM_OFFSET: 7
; COMPUTE_PGM_RSRC3_GFX90A:TG_SPLIT: 0
	.section	.text._ZN4vllm3moe22topkGatingSoftplusSqrtILi9ELi576ELi4ELi4ELi64ELb0EjfEEvPKT6_PKbPfiPT5_PiiiibdPKfPKS8_SE_,"axG",@progbits,_ZN4vllm3moe22topkGatingSoftplusSqrtILi9ELi576ELi4ELi4ELi64ELb0EjfEEvPKT6_PKbPfiPT5_PiiiibdPKfPKS8_SE_,comdat
	.protected	_ZN4vllm3moe22topkGatingSoftplusSqrtILi9ELi576ELi4ELi4ELi64ELb0EjfEEvPKT6_PKbPfiPT5_PiiiibdPKfPKS8_SE_ ; -- Begin function _ZN4vllm3moe22topkGatingSoftplusSqrtILi9ELi576ELi4ELi4ELi64ELb0EjfEEvPKT6_PKbPfiPT5_PiiiibdPKfPKS8_SE_
	.globl	_ZN4vllm3moe22topkGatingSoftplusSqrtILi9ELi576ELi4ELi4ELi64ELb0EjfEEvPKT6_PKbPfiPT5_PiiiibdPKfPKS8_SE_
	.p2align	8
	.type	_ZN4vllm3moe22topkGatingSoftplusSqrtILi9ELi576ELi4ELi4ELi64ELb0EjfEEvPKT6_PKbPfiPT5_PiiiibdPKfPKS8_SE_,@function
_ZN4vllm3moe22topkGatingSoftplusSqrtILi9ELi576ELi4ELi4ELi64ELb0EjfEEvPKT6_PKbPfiPT5_PiiiibdPKfPKS8_SE_: ; @_ZN4vllm3moe22topkGatingSoftplusSqrtILi9ELi576ELi4ELi4ELi64ELb0EjfEEvPKT6_PKbPfiPT5_PiiiibdPKfPKS8_SE_
; %bb.0:
	s_load_dword s30, s[0:1], 0x18
	v_and_b32_e32 v1, 0x3ff, v0
	s_lshl_b32 s2, s2, 2
	v_lshrrev_b32_e32 v2, 6, v1
	v_bfe_u32 v0, v0, 10, 10
	v_add3_u32 v10, s2, v0, v2
	s_waitcnt lgkmcnt(0)
	v_cmp_gt_i32_e32 vcc, s30, v10
	s_and_saveexec_b64 s[2:3], vcc
	s_cbranch_execz .LBB117_67
; %bb.1:
	s_load_dwordx4 s[4:7], s[0:1], 0x0
	s_load_dwordx2 s[20:21], s[0:1], 0x10
	s_waitcnt lgkmcnt(0)
	s_cmp_eq_u64 s[6:7], 0
	s_cbranch_scc1 .LBB117_3
; %bb.2:
	v_ashrrev_i32_e32 v11, 31, v10
	v_lshl_add_u64 v[2:3], s[6:7], 0, v[10:11]
	global_load_ubyte v0, v[2:3], off
	s_waitcnt vmcnt(0)
	v_and_b32_e32 v0, 1, v0
	v_cmp_eq_u32_e32 vcc, 1, v0
	s_xor_b64 s[2:3], vcc, -1
	s_orn2_b64 s[22:23], s[2:3], exec
	s_branch .LBB117_4
.LBB117_3:
	s_mov_b64 s[22:23], -1
.LBB117_4:
	s_movk_i32 s2, 0x240
	v_mul_lo_u32 v4, v10, s2
	v_mov_b32_e32 v2, s4
	v_mov_b32_e32 v3, s5
	v_ashrrev_i32_e32 v5, 31, v4
	v_and_b32_e32 v12, 63, v1
	v_lshl_add_u64 v[2:3], v[4:5], 2, v[2:3]
	v_mov_b32_e32 v15, 0
	v_lshlrev_b32_e32 v14, 2, v12
	v_lshl_add_u64 v[16:17], v[2:3], 0, v[14:15]
	global_load_dword v0, v[16:17], off
	global_load_dword v1, v[16:17], off offset:256
	global_load_dword v2, v[16:17], off offset:512
	global_load_dword v3, v[16:17], off offset:768
	global_load_dword v4, v[16:17], off offset:1024
	global_load_dword v5, v[16:17], off offset:1280
	global_load_dword v6, v[16:17], off offset:1536
	global_load_dword v7, v[16:17], off offset:1792
	global_load_dword v8, v[16:17], off offset:2048
	s_mov_b32 s16, 0x800000
	v_mov_b32_e32 v13, 0x4f800000
	s_mov_b32 s13, 0x3f317217
	s_mov_b32 s14, 0x7f800000
	v_mov_b32_e32 v11, 0x41b17218
	s_mov_b32 s12, 0x41a00000
	s_mov_b32 s15, 0xf800000
	s_load_dwordx4 s[8:11], s[0:1], 0x40
	s_waitcnt lgkmcnt(0)
	s_cmp_lg_u64 s[10:11], 0
	s_cselect_b64 s[6:7], -1, 0
	s_and_b64 s[2:3], exec, s[6:7]
	s_waitcnt vmcnt(8)
	v_mul_f32_e32 v9, 0x3fb8aa3b, v0
	v_exp_f32_e32 v9, v9
	s_nop 0
	v_add_f32_e32 v9, 1.0, v9
	v_cmp_gt_f32_e32 vcc, s16, v9
	s_nop 1
	v_cndmask_b32_e32 v15, 1.0, v13, vcc
	v_mul_f32_e32 v9, v9, v15
	v_log_f32_e32 v15, v9
	v_cndmask_b32_e32 v16, 0, v11, vcc
	v_mov_b32_e32 v9, 0x260
	v_mul_f32_e32 v17, 0x3f317217, v15
	v_fma_f32 v17, v15, s13, -v17
	v_fmac_f32_e32 v17, 0x3377d1cf, v15
	v_fmac_f32_e32 v17, 0x3f317217, v15
	v_cmp_lt_f32_e64 vcc, |v15|, s14
	s_nop 1
	v_cndmask_b32_e32 v15, v15, v17, vcc
	v_sub_f32_e32 v15, v15, v16
	v_cmp_lt_f32_e32 vcc, s12, v0
	s_nop 1
	v_cndmask_b32_e32 v0, v15, v0, vcc
	v_mul_f32_e32 v15, 0x4f800000, v0
	v_cmp_gt_f32_e32 vcc, s15, v0
	s_nop 1
	v_cndmask_b32_e32 v0, v0, v15, vcc
	v_sqrt_f32_e32 v15, v0
	s_nop 0
	v_add_u32_e32 v16, -1, v15
	v_add_u32_e32 v17, 1, v15
	v_fma_f32 v18, -v16, v15, v0
	v_fma_f32 v19, -v17, v15, v0
	v_cmp_ge_f32_e64 s[4:5], 0, v18
	s_nop 1
	v_cndmask_b32_e64 v15, v15, v16, s[4:5]
	v_cmp_lt_f32_e64 s[4:5], 0, v19
	s_nop 1
	v_cndmask_b32_e64 v15, v15, v17, s[4:5]
	v_mul_f32_e32 v16, 0x37800000, v15
	v_cndmask_b32_e32 v15, v15, v16, vcc
	v_cmp_class_f32_e32 vcc, v0, v9
	s_nop 1
	v_cndmask_b32_e32 v0, v15, v0, vcc
	s_mov_b64 vcc, s[2:3]
	s_cbranch_vccz .LBB117_6
; %bb.5:
	global_load_dword v15, v14, s[10:11]
	s_waitcnt vmcnt(0)
	v_add_f32_e32 v0, v0, v15
.LBB117_6:
	s_waitcnt vmcnt(7)
	v_mul_f32_e32 v15, 0x3fb8aa3b, v1
	v_exp_f32_e32 v15, v15
	s_nop 0
	v_add_f32_e32 v15, 1.0, v15
	v_cmp_gt_f32_e32 vcc, s16, v15
	s_nop 1
	v_cndmask_b32_e32 v13, 1.0, v13, vcc
	v_mul_f32_e32 v13, v15, v13
	v_log_f32_e32 v13, v13
	v_cndmask_b32_e32 v11, 0, v11, vcc
	v_mul_f32_e32 v15, 0x3f317217, v13
	v_fma_f32 v15, v13, s13, -v15
	v_fmac_f32_e32 v15, 0x3377d1cf, v13
	v_fmac_f32_e32 v15, 0x3f317217, v13
	v_cmp_lt_f32_e64 vcc, |v13|, s14
	s_nop 1
	v_cndmask_b32_e32 v13, v13, v15, vcc
	v_sub_f32_e32 v11, v13, v11
	v_cmp_lt_f32_e32 vcc, s12, v1
	s_nop 1
	v_cndmask_b32_e32 v1, v11, v1, vcc
	v_mul_f32_e32 v11, 0x4f800000, v1
	v_cmp_gt_f32_e32 vcc, s15, v1
	s_nop 1
	v_cndmask_b32_e32 v1, v1, v11, vcc
	v_sqrt_f32_e32 v11, v1
	v_cmp_class_f32_e64 s[4:5], v1, v9
	v_add_u32_e32 v13, -1, v11
	v_add_u32_e32 v15, 1, v11
	v_fma_f32 v16, -v13, v11, v1
	v_fma_f32 v17, -v15, v11, v1
	v_cmp_ge_f32_e64 s[2:3], 0, v16
	s_nop 1
	v_cndmask_b32_e64 v11, v11, v13, s[2:3]
	v_cmp_lt_f32_e64 s[2:3], 0, v17
	s_nop 1
	v_cndmask_b32_e64 v11, v11, v15, s[2:3]
	v_mul_f32_e32 v13, 0x37800000, v11
	v_cndmask_b32_e32 v11, v11, v13, vcc
	v_cndmask_b32_e64 v13, 0, 1, s[6:7]
	v_cmp_ne_u32_e64 s[2:3], 1, v13
	s_andn2_b64 vcc, exec, s[6:7]
	v_cndmask_b32_e64 v1, v11, v1, s[4:5]
	s_cbranch_vccnz .LBB117_8
; %bb.7:
	global_load_dword v9, v14, s[10:11] offset:256
	s_waitcnt vmcnt(0)
	v_add_f32_e32 v1, v1, v9
.LBB117_8:
	s_waitcnt vmcnt(6)
	v_mul_f32_e32 v9, 0x3fb8aa3b, v2
	v_exp_f32_e32 v9, v9
	s_mov_b32 s14, 0x800000
	v_mov_b32_e32 v11, 0x4f800000
	s_mov_b32 s7, 0x3f317217
	v_add_f32_e32 v9, 1.0, v9
	v_cmp_gt_f32_e32 vcc, s14, v9
	s_mov_b32 s12, 0x7f800000
	s_mov_b32 s6, 0x41a00000
	v_cndmask_b32_e32 v13, 1.0, v11, vcc
	v_mul_f32_e32 v9, v9, v13
	v_log_f32_e32 v9, v9
	s_mov_b32 s13, 0xf800000
	v_mul_f32_e32 v13, 0x3f317217, v9
	v_fma_f32 v13, v9, s7, -v13
	v_fmac_f32_e32 v13, 0x3377d1cf, v9
	v_fmac_f32_e32 v13, 0x3f317217, v9
	v_cmp_lt_f32_e64 s[4:5], |v9|, s12
	s_nop 1
	v_cndmask_b32_e64 v9, v9, v13, s[4:5]
	v_mov_b32_e32 v13, 0x41b17218
	v_cndmask_b32_e32 v15, 0, v13, vcc
	v_sub_f32_e32 v9, v9, v15
	v_cmp_lt_f32_e32 vcc, s6, v2
	s_nop 1
	v_cndmask_b32_e32 v2, v9, v2, vcc
	v_mul_f32_e32 v9, 0x4f800000, v2
	v_cmp_gt_f32_e32 vcc, s13, v2
	s_nop 1
	v_cndmask_b32_e32 v2, v2, v9, vcc
	v_sqrt_f32_e32 v9, v2
	s_nop 0
	v_add_u32_e32 v15, -1, v9
	v_fma_f32 v16, -v15, v9, v2
	v_cmp_ge_f32_e64 s[4:5], 0, v16
	v_add_u32_e32 v16, 1, v9
	s_nop 0
	v_cndmask_b32_e64 v15, v9, v15, s[4:5]
	v_fma_f32 v9, -v16, v9, v2
	v_cmp_lt_f32_e64 s[4:5], 0, v9
	s_nop 1
	v_cndmask_b32_e64 v9, v15, v16, s[4:5]
	v_mul_f32_e32 v15, 0x37800000, v9
	v_cndmask_b32_e32 v15, v9, v15, vcc
	v_mov_b32_e32 v9, 0x260
	v_cmp_class_f32_e64 s[4:5], v2, v9
	s_and_b64 vcc, exec, s[2:3]
	s_nop 0
	v_cndmask_b32_e64 v2, v15, v2, s[4:5]
	s_cbranch_vccnz .LBB117_10
; %bb.9:
	global_load_dword v15, v14, s[10:11] offset:512
	s_waitcnt vmcnt(0)
	v_add_f32_e32 v2, v2, v15
.LBB117_10:
	s_waitcnt vmcnt(5)
	v_mul_f32_e32 v15, 0x3fb8aa3b, v3
	v_exp_f32_e32 v15, v15
	s_nop 0
	v_add_f32_e32 v15, 1.0, v15
	v_cmp_gt_f32_e32 vcc, s14, v15
	s_nop 1
	v_cndmask_b32_e32 v11, 1.0, v11, vcc
	v_mul_f32_e32 v11, v15, v11
	v_log_f32_e32 v11, v11
	v_cndmask_b32_e32 v13, 0, v13, vcc
	v_mul_f32_e32 v15, 0x3f317217, v11
	v_fma_f32 v15, v11, s7, -v15
	v_fmac_f32_e32 v15, 0x3377d1cf, v11
	v_fmac_f32_e32 v15, 0x3f317217, v11
	v_cmp_lt_f32_e64 vcc, |v11|, s12
	s_nop 1
	v_cndmask_b32_e32 v11, v11, v15, vcc
	v_sub_f32_e32 v11, v11, v13
	v_cmp_lt_f32_e32 vcc, s6, v3
	s_nop 1
	v_cndmask_b32_e32 v3, v11, v3, vcc
	v_mul_f32_e32 v11, 0x4f800000, v3
	v_cmp_gt_f32_e32 vcc, s13, v3
	s_nop 1
	v_cndmask_b32_e32 v3, v3, v11, vcc
	v_sqrt_f32_e32 v11, v3
	s_nop 0
	v_add_u32_e32 v13, -1, v11
	v_add_u32_e32 v15, 1, v11
	v_fma_f32 v16, -v13, v11, v3
	v_fma_f32 v17, -v15, v11, v3
	v_cmp_ge_f32_e64 s[4:5], 0, v16
	s_nop 1
	v_cndmask_b32_e64 v11, v11, v13, s[4:5]
	v_cmp_lt_f32_e64 s[4:5], 0, v17
	s_nop 1
	v_cndmask_b32_e64 v11, v11, v15, s[4:5]
	v_mul_f32_e32 v13, 0x37800000, v11
	v_cndmask_b32_e32 v11, v11, v13, vcc
	v_cmp_class_f32_e64 s[4:5], v3, v9
	s_and_b64 vcc, exec, s[2:3]
	s_nop 0
	v_cndmask_b32_e64 v3, v11, v3, s[4:5]
	s_cbranch_vccnz .LBB117_12
; %bb.11:
	global_load_dword v9, v14, s[10:11] offset:768
	s_waitcnt vmcnt(0)
	v_add_f32_e32 v3, v3, v9
.LBB117_12:
	s_waitcnt vmcnt(4)
	v_mul_f32_e32 v9, 0x3fb8aa3b, v4
	v_exp_f32_e32 v9, v9
	v_mov_b32_e32 v11, 0x4f800000
	v_add_f32_e32 v9, 1.0, v9
	v_cmp_gt_f32_e32 vcc, s14, v9
	s_nop 1
	v_cndmask_b32_e32 v13, 1.0, v11, vcc
	v_mul_f32_e32 v9, v9, v13
	v_log_f32_e32 v9, v9
	s_nop 0
	v_mul_f32_e32 v13, 0x3f317217, v9
	v_fma_f32 v13, v9, s7, -v13
	v_fmac_f32_e32 v13, 0x3377d1cf, v9
	v_fmac_f32_e32 v13, 0x3f317217, v9
	v_cmp_lt_f32_e64 s[4:5], |v9|, s12
	s_nop 1
	v_cndmask_b32_e64 v9, v9, v13, s[4:5]
	v_mov_b32_e32 v13, 0x41b17218
	v_cndmask_b32_e32 v15, 0, v13, vcc
	v_sub_f32_e32 v9, v9, v15
	v_cmp_lt_f32_e32 vcc, s6, v4
	s_nop 1
	v_cndmask_b32_e32 v4, v9, v4, vcc
	v_mul_f32_e32 v9, 0x4f800000, v4
	v_cmp_gt_f32_e32 vcc, s13, v4
	s_nop 1
	v_cndmask_b32_e32 v4, v4, v9, vcc
	v_sqrt_f32_e32 v9, v4
	s_nop 0
	v_add_u32_e32 v15, -1, v9
	v_fma_f32 v16, -v15, v9, v4
	v_cmp_ge_f32_e64 s[4:5], 0, v16
	v_add_u32_e32 v16, 1, v9
	s_nop 0
	v_cndmask_b32_e64 v15, v9, v15, s[4:5]
	v_fma_f32 v9, -v16, v9, v4
	v_cmp_lt_f32_e64 s[4:5], 0, v9
	s_nop 1
	v_cndmask_b32_e64 v9, v15, v16, s[4:5]
	v_mul_f32_e32 v15, 0x37800000, v9
	v_cndmask_b32_e32 v15, v9, v15, vcc
	v_mov_b32_e32 v9, 0x260
	v_cmp_class_f32_e64 s[4:5], v4, v9
	s_and_b64 vcc, exec, s[2:3]
	s_nop 0
	v_cndmask_b32_e64 v4, v15, v4, s[4:5]
	s_cbranch_vccnz .LBB117_14
; %bb.13:
	global_load_dword v15, v14, s[10:11] offset:1024
	s_waitcnt vmcnt(0)
	v_add_f32_e32 v4, v4, v15
.LBB117_14:
	s_waitcnt vmcnt(3)
	v_mul_f32_e32 v15, 0x3fb8aa3b, v5
	v_exp_f32_e32 v15, v15
	s_nop 0
	v_add_f32_e32 v15, 1.0, v15
	v_cmp_gt_f32_e32 vcc, s14, v15
	s_nop 1
	v_cndmask_b32_e32 v11, 1.0, v11, vcc
	v_mul_f32_e32 v11, v15, v11
	v_log_f32_e32 v11, v11
	v_cndmask_b32_e32 v13, 0, v13, vcc
	v_mul_f32_e32 v15, 0x3f317217, v11
	v_fma_f32 v15, v11, s7, -v15
	v_fmac_f32_e32 v15, 0x3377d1cf, v11
	v_fmac_f32_e32 v15, 0x3f317217, v11
	v_cmp_lt_f32_e64 vcc, |v11|, s12
	s_nop 1
	v_cndmask_b32_e32 v11, v11, v15, vcc
	v_sub_f32_e32 v11, v11, v13
	v_cmp_lt_f32_e32 vcc, s6, v5
	s_nop 1
	v_cndmask_b32_e32 v5, v11, v5, vcc
	v_mul_f32_e32 v11, 0x4f800000, v5
	v_cmp_gt_f32_e32 vcc, s13, v5
	s_nop 1
	v_cndmask_b32_e32 v5, v5, v11, vcc
	v_sqrt_f32_e32 v11, v5
	s_nop 0
	v_add_u32_e32 v13, -1, v11
	v_add_u32_e32 v15, 1, v11
	v_fma_f32 v16, -v13, v11, v5
	v_fma_f32 v17, -v15, v11, v5
	v_cmp_ge_f32_e64 s[4:5], 0, v16
	s_nop 1
	v_cndmask_b32_e64 v11, v11, v13, s[4:5]
	v_cmp_lt_f32_e64 s[4:5], 0, v17
	s_nop 1
	v_cndmask_b32_e64 v11, v11, v15, s[4:5]
	v_mul_f32_e32 v13, 0x37800000, v11
	v_cndmask_b32_e32 v11, v11, v13, vcc
	v_cmp_class_f32_e64 s[4:5], v5, v9
	s_and_b64 vcc, exec, s[2:3]
	s_nop 0
	v_cndmask_b32_e64 v5, v11, v5, s[4:5]
	s_cbranch_vccnz .LBB117_16
; %bb.15:
	global_load_dword v9, v14, s[10:11] offset:1280
	s_waitcnt vmcnt(0)
	v_add_f32_e32 v5, v5, v9
.LBB117_16:
	s_waitcnt vmcnt(2)
	v_mul_f32_e32 v9, 0x3fb8aa3b, v6
	v_exp_f32_e32 v9, v9
	v_mov_b32_e32 v11, 0x4f800000
	v_add_f32_e32 v9, 1.0, v9
	v_cmp_gt_f32_e32 vcc, s14, v9
	s_nop 1
	v_cndmask_b32_e32 v13, 1.0, v11, vcc
	v_mul_f32_e32 v9, v9, v13
	v_log_f32_e32 v9, v9
	s_nop 0
	v_mul_f32_e32 v13, 0x3f317217, v9
	v_fma_f32 v13, v9, s7, -v13
	v_fmac_f32_e32 v13, 0x3377d1cf, v9
	v_fmac_f32_e32 v13, 0x3f317217, v9
	v_cmp_lt_f32_e64 s[4:5], |v9|, s12
	s_nop 1
	v_cndmask_b32_e64 v9, v9, v13, s[4:5]
	v_mov_b32_e32 v13, 0x41b17218
	v_cndmask_b32_e32 v15, 0, v13, vcc
	v_sub_f32_e32 v9, v9, v15
	v_cmp_lt_f32_e32 vcc, s6, v6
	s_nop 1
	v_cndmask_b32_e32 v6, v9, v6, vcc
	v_mul_f32_e32 v9, 0x4f800000, v6
	v_cmp_gt_f32_e32 vcc, s13, v6
	s_nop 1
	v_cndmask_b32_e32 v6, v6, v9, vcc
	v_sqrt_f32_e32 v9, v6
	s_nop 0
	v_add_u32_e32 v15, -1, v9
	v_fma_f32 v16, -v15, v9, v6
	v_cmp_ge_f32_e64 s[4:5], 0, v16
	v_add_u32_e32 v16, 1, v9
	s_nop 0
	v_cndmask_b32_e64 v15, v9, v15, s[4:5]
	v_fma_f32 v9, -v16, v9, v6
	v_cmp_lt_f32_e64 s[4:5], 0, v9
	s_nop 1
	v_cndmask_b32_e64 v9, v15, v16, s[4:5]
	v_mul_f32_e32 v15, 0x37800000, v9
	v_cndmask_b32_e32 v15, v9, v15, vcc
	v_mov_b32_e32 v9, 0x260
	v_cmp_class_f32_e64 s[4:5], v6, v9
	s_and_b64 vcc, exec, s[2:3]
	s_nop 0
	v_cndmask_b32_e64 v6, v15, v6, s[4:5]
	s_cbranch_vccnz .LBB117_18
; %bb.17:
	global_load_dword v15, v14, s[10:11] offset:1536
	s_waitcnt vmcnt(0)
	v_add_f32_e32 v6, v6, v15
.LBB117_18:
	s_waitcnt vmcnt(1)
	v_mul_f32_e32 v15, 0x3fb8aa3b, v7
	v_exp_f32_e32 v15, v15
	s_nop 0
	v_add_f32_e32 v15, 1.0, v15
	v_cmp_gt_f32_e32 vcc, s14, v15
	s_nop 1
	v_cndmask_b32_e32 v11, 1.0, v11, vcc
	v_mul_f32_e32 v11, v15, v11
	v_log_f32_e32 v11, v11
	v_cndmask_b32_e32 v13, 0, v13, vcc
	v_mul_f32_e32 v15, 0x3f317217, v11
	v_fma_f32 v15, v11, s7, -v15
	v_fmac_f32_e32 v15, 0x3377d1cf, v11
	v_fmac_f32_e32 v15, 0x3f317217, v11
	v_cmp_lt_f32_e64 vcc, |v11|, s12
	s_nop 1
	v_cndmask_b32_e32 v11, v11, v15, vcc
	v_sub_f32_e32 v11, v11, v13
	v_cmp_lt_f32_e32 vcc, s6, v7
	s_nop 1
	v_cndmask_b32_e32 v7, v11, v7, vcc
	v_mul_f32_e32 v11, 0x4f800000, v7
	v_cmp_gt_f32_e32 vcc, s13, v7
	s_nop 1
	v_cndmask_b32_e32 v7, v7, v11, vcc
	v_sqrt_f32_e32 v11, v7
	s_nop 0
	v_add_u32_e32 v13, -1, v11
	v_add_u32_e32 v15, 1, v11
	v_fma_f32 v16, -v13, v11, v7
	v_fma_f32 v17, -v15, v11, v7
	v_cmp_ge_f32_e64 s[4:5], 0, v16
	s_nop 1
	v_cndmask_b32_e64 v11, v11, v13, s[4:5]
	v_cmp_lt_f32_e64 s[4:5], 0, v17
	s_nop 1
	v_cndmask_b32_e64 v11, v11, v15, s[4:5]
	v_mul_f32_e32 v13, 0x37800000, v11
	v_cndmask_b32_e32 v11, v11, v13, vcc
	v_cmp_class_f32_e64 s[4:5], v7, v9
	s_and_b64 vcc, exec, s[2:3]
	s_nop 0
	v_cndmask_b32_e64 v7, v11, v7, s[4:5]
	s_cbranch_vccnz .LBB117_20
; %bb.19:
	global_load_dword v9, v14, s[10:11] offset:1792
	s_waitcnt vmcnt(0)
	v_add_f32_e32 v7, v7, v9
.LBB117_20:
	s_waitcnt vmcnt(0)
	v_mul_f32_e32 v9, 0x3fb8aa3b, v8
	v_exp_f32_e32 v9, v9
	s_mov_b32 s4, 0x800000
	v_mov_b32_e32 v11, 0x4f800000
	s_mov_b32 s5, 0x7f800000
	v_add_f32_e32 v9, 1.0, v9
	v_cmp_gt_f32_e32 vcc, s4, v9
	s_mov_b32 s4, 0x3f317217
	s_nop 0
	v_cndmask_b32_e32 v11, 1.0, v11, vcc
	v_mul_f32_e32 v9, v9, v11
	v_log_f32_e32 v9, v9
	s_nop 0
	v_mul_f32_e32 v11, 0x3f317217, v9
	v_fma_f32 v11, v9, s4, -v11
	v_fmamk_f32 v11, v9, 0x3377d1cf, v11
	v_fmac_f32_e32 v11, 0x3f317217, v9
	v_cmp_lt_f32_e64 s[4:5], |v9|, s5
	s_nop 1
	v_cndmask_b32_e64 v9, v9, v11, s[4:5]
	v_mov_b32_e32 v11, 0x41b17218
	v_cndmask_b32_e32 v11, 0, v11, vcc
	v_sub_f32_e32 v9, v9, v11
	v_cmp_lt_f32_e32 vcc, s6, v8
	s_mov_b32 s4, 0xf800000
	s_nop 0
	v_cndmask_b32_e32 v8, v9, v8, vcc
	v_mul_f32_e32 v9, 0x4f800000, v8
	v_cmp_gt_f32_e32 vcc, s4, v8
	s_nop 1
	v_cndmask_b32_e32 v8, v8, v9, vcc
	v_sqrt_f32_e32 v9, v8
	s_nop 0
	v_add_u32_e32 v11, -1, v9
	v_fma_f32 v13, -v11, v9, v8
	v_cmp_ge_f32_e64 s[4:5], 0, v13
	v_add_u32_e32 v13, 1, v9
	s_nop 0
	v_cndmask_b32_e64 v11, v9, v11, s[4:5]
	v_fma_f32 v9, -v13, v9, v8
	v_cmp_lt_f32_e64 s[4:5], 0, v9
	s_nop 1
	v_cndmask_b32_e64 v9, v11, v13, s[4:5]
	v_mul_f32_e32 v11, 0x37800000, v9
	v_cndmask_b32_e32 v9, v9, v11, vcc
	v_mov_b32_e32 v11, 0x260
	v_cmp_class_f32_e64 s[4:5], v8, v11
	s_and_b64 vcc, exec, s[2:3]
	s_nop 0
	v_cndmask_b32_e64 v8, v9, v8, s[4:5]
	s_cbranch_vccnz .LBB117_22
; %bb.21:
	global_load_dword v9, v14, s[10:11] offset:2048
	s_waitcnt vmcnt(0)
	v_add_f32_e32 v8, v8, v9
.LBB117_22:
	s_load_dwordx4 s[12:15], s[0:1], 0x30
	v_cmp_eq_u32_e64 s[6:7], 0, v12
	s_waitcnt lgkmcnt(0)
	s_bitcmp1_b32 s15, 0
	s_cselect_b64 s[4:5], -1, 0
	s_cmp_gt_i32 s12, 0
	s_cselect_b64 s[24:25], -1, 0
	s_and_b64 vcc, exec, s[24:25]
	s_cbranch_vccz .LBB117_53
; %bb.23:
	v_mbcnt_lo_u32_b32 v9, -1, 0
	v_mbcnt_hi_u32_b32 v14, -1, v9
	v_and_b32_e32 v9, 64, v14
	v_add_u32_e32 v15, 64, v9
	v_xor_b32_e32 v18, 32, v14
	v_cmp_lt_i32_e32 vcc, v18, v15
	s_load_dwordx4 s[16:19], s[0:1], 0x20
	s_mov_b32 s15, 0
	v_cndmask_b32_e32 v18, v14, v18, vcc
	v_lshlrev_b32_e32 v23, 2, v18
	v_xor_b32_e32 v18, 16, v14
	v_cmp_lt_i32_e32 vcc, v18, v15
	v_mul_lo_u32 v9, v10, s12
	v_or_b32_e32 v11, 64, v12
	v_cndmask_b32_e32 v18, v14, v18, vcc
	v_lshlrev_b32_e32 v24, 2, v18
	v_xor_b32_e32 v18, 8, v14
	v_cmp_lt_i32_e32 vcc, v18, v15
	v_or_b32_e32 v13, 0x80, v12
	v_or_b32_e32 v16, 0xc0, v12
	v_cndmask_b32_e32 v18, v14, v18, vcc
	v_lshlrev_b32_e32 v25, 2, v18
	v_xor_b32_e32 v18, 4, v14
	v_cmp_lt_i32_e32 vcc, v18, v15
	v_or_b32_e32 v17, 0x100, v12
	;; [unrolled: 6-line block ×4, first 2 shown]
	v_mov_b32_e32 v29, 0x240
	v_cndmask_b32_e32 v14, v14, v18, vcc
	v_lshlrev_b32_e32 v28, 2, v14
	v_mov_b32_e32 v18, 0
	v_mov_b32_e32 v30, 0xc61c4000
	;; [unrolled: 1-line block ×3, first 2 shown]
	s_branch .LBB117_26
.LBB117_24:                             ;   in Loop: Header=BB117_26 Depth=1
	v_add_u32_e32 v34, s15, v9
	v_cmp_le_i32_e32 vcc, s13, v14
	v_cmp_gt_i32_e64 s[0:1], s14, v14
	v_ashrrev_i32_e32 v35, 31, v34
	s_and_b64 s[0:1], vcc, s[0:1]
	v_lshlrev_b64 v[34:35], 2, v[34:35]
	v_lshl_add_u64 v[36:37], s[20:21], 0, v[34:35]
	v_subrev_u32_e32 v15, s13, v14
	s_and_b64 vcc, s[22:23], s[0:1]
	global_store_dword v[36:37], v32, off
	v_cndmask_b32_e32 v15, v29, v15, vcc
	v_lshl_add_u64 v[36:37], s[16:17], 0, v[34:35]
	global_store_dword v[36:37], v15, off
	v_add_f32_e32 v15, v18, v32
	v_lshl_add_u64 v[34:35], s[18:19], 0, v[34:35]
	v_cndmask_b32_e64 v18, v18, v15, s[4:5]
	global_store_dword v[34:35], v31, off
.LBB117_25:                             ;   in Loop: Header=BB117_26 Depth=1
	s_or_b64 exec, exec, s[26:27]
	v_ashrrev_i32_e32 v15, 31, v14
	v_lshrrev_b32_e32 v15, 26, v15
	v_add_u32_e32 v15, v14, v15
	v_and_b32_e32 v32, 0xffffffc0, v15
	v_sub_u32_e32 v14, v14, v32
	s_add_i32 s15, s15, 1
	v_cmp_eq_u32_e32 vcc, v12, v14
	s_cmp_lt_i32 s15, s12
	v_ashrrev_i32_e32 v14, 6, v15
	s_cselect_b64 s[26:27], -1, 0
	v_cmp_ne_u32_e64 s[0:1], 8, v14
	s_and_b64 vcc, s[26:27], vcc
	s_cmp_eq_u32 s12, s15
	v_cndmask_b32_e64 v15, v30, v8, s[0:1]
	v_cmp_ne_u32_e64 s[0:1], 7, v14
	v_cndmask_b32_e32 v8, v8, v15, vcc
	v_add_u32_e32 v31, s30, v31
	v_cndmask_b32_e64 v15, v30, v7, s[0:1]
	v_cmp_ne_u32_e64 s[0:1], 6, v14
	v_cndmask_b32_e32 v7, v7, v15, vcc
	s_nop 0
	v_cndmask_b32_e64 v15, v30, v6, s[0:1]
	v_cmp_ne_u32_e64 s[0:1], 5, v14
	v_cndmask_b32_e32 v6, v6, v15, vcc
	s_nop 0
	;; [unrolled: 4-line block ×7, first 2 shown]
	v_cndmask_b32_e64 v14, v30, v0, s[0:1]
	v_cndmask_b32_e32 v0, v0, v14, vcc
	s_cbranch_scc1 .LBB117_54
.LBB117_26:                             ; =>This Inner Loop Header: Depth=1
	v_cmp_gt_f32_e32 vcc, v1, v0
	s_nop 1
	v_cndmask_b32_e32 v15, v0, v1, vcc
	v_cndmask_b32_e32 v14, v12, v11, vcc
	v_cmp_gt_f32_e32 vcc, v2, v15
	s_nop 1
	v_cndmask_b32_e32 v15, v15, v2, vcc
	v_cndmask_b32_e32 v14, v14, v13, vcc
	;; [unrolled: 4-line block ×8, first 2 shown]
	ds_bpermute_b32 v15, v23, v32
	s_waitcnt lgkmcnt(0)
	ds_bpermute_b32 v33, v23, v14
	s_waitcnt lgkmcnt(0)
	v_cmp_lt_f32_e64 s[26:27], v32, v15
	v_cmp_nlt_f32_e32 vcc, v32, v15
	s_and_saveexec_b64 s[28:29], vcc
; %bb.27:                               ;   in Loop: Header=BB117_26 Depth=1
	v_cmp_eq_f32_e32 vcc, v32, v15
	v_cmp_lt_i32_e64 s[0:1], v33, v14
	s_and_b64 s[0:1], vcc, s[0:1]
	s_andn2_b64 s[26:27], s[26:27], exec
	s_and_b64 s[0:1], s[0:1], exec
	s_or_b64 s[26:27], s[26:27], s[0:1]
; %bb.28:                               ;   in Loop: Header=BB117_26 Depth=1
	s_or_b64 exec, exec, s[28:29]
	s_and_saveexec_b64 s[0:1], s[26:27]
; %bb.29:                               ;   in Loop: Header=BB117_26 Depth=1
	v_mov_b32_e32 v32, v15
	v_mov_b32_e32 v14, v33
; %bb.30:                               ;   in Loop: Header=BB117_26 Depth=1
	s_or_b64 exec, exec, s[0:1]
	ds_bpermute_b32 v15, v24, v32
	ds_bpermute_b32 v33, v24, v14
	s_waitcnt lgkmcnt(1)
	v_cmp_lt_f32_e64 s[26:27], v32, v15
	v_cmp_nlt_f32_e32 vcc, v32, v15
	s_and_saveexec_b64 s[28:29], vcc
	s_cbranch_execz .LBB117_32
; %bb.31:                               ;   in Loop: Header=BB117_26 Depth=1
	v_cmp_eq_f32_e32 vcc, v32, v15
	s_waitcnt lgkmcnt(0)
	v_cmp_lt_i32_e64 s[0:1], v33, v14
	s_and_b64 s[0:1], vcc, s[0:1]
	s_andn2_b64 s[26:27], s[26:27], exec
	s_and_b64 s[0:1], s[0:1], exec
	s_or_b64 s[26:27], s[26:27], s[0:1]
.LBB117_32:                             ;   in Loop: Header=BB117_26 Depth=1
	s_or_b64 exec, exec, s[28:29]
	s_and_saveexec_b64 s[0:1], s[26:27]
	s_cbranch_execz .LBB117_34
; %bb.33:                               ;   in Loop: Header=BB117_26 Depth=1
	v_mov_b32_e32 v32, v15
	s_waitcnt lgkmcnt(0)
	v_mov_b32_e32 v14, v33
.LBB117_34:                             ;   in Loop: Header=BB117_26 Depth=1
	s_or_b64 exec, exec, s[0:1]
	ds_bpermute_b32 v15, v25, v32
	s_waitcnt lgkmcnt(1)
	ds_bpermute_b32 v33, v25, v14
	s_waitcnt lgkmcnt(1)
	v_cmp_lt_f32_e64 s[26:27], v32, v15
	v_cmp_nlt_f32_e32 vcc, v32, v15
	s_and_saveexec_b64 s[28:29], vcc
	s_cbranch_execz .LBB117_36
; %bb.35:                               ;   in Loop: Header=BB117_26 Depth=1
	v_cmp_eq_f32_e32 vcc, v32, v15
	s_waitcnt lgkmcnt(0)
	v_cmp_lt_i32_e64 s[0:1], v33, v14
	s_and_b64 s[0:1], vcc, s[0:1]
	s_andn2_b64 s[26:27], s[26:27], exec
	s_and_b64 s[0:1], s[0:1], exec
	s_or_b64 s[26:27], s[26:27], s[0:1]
.LBB117_36:                             ;   in Loop: Header=BB117_26 Depth=1
	s_or_b64 exec, exec, s[28:29]
	s_and_saveexec_b64 s[0:1], s[26:27]
	s_cbranch_execz .LBB117_38
; %bb.37:                               ;   in Loop: Header=BB117_26 Depth=1
	v_mov_b32_e32 v32, v15
	s_waitcnt lgkmcnt(0)
	v_mov_b32_e32 v14, v33
.LBB117_38:                             ;   in Loop: Header=BB117_26 Depth=1
	s_or_b64 exec, exec, s[0:1]
	ds_bpermute_b32 v15, v26, v32
	s_waitcnt lgkmcnt(1)
	;; [unrolled: 26-line block ×4, first 2 shown]
	ds_bpermute_b32 v33, v28, v14
	s_waitcnt lgkmcnt(1)
	v_cmp_lt_f32_e64 s[26:27], v32, v15
	v_cmp_nlt_f32_e32 vcc, v32, v15
	s_and_saveexec_b64 s[28:29], vcc
	s_cbranch_execnz .LBB117_49
; %bb.47:                               ;   in Loop: Header=BB117_26 Depth=1
	s_or_b64 exec, exec, s[28:29]
	s_and_saveexec_b64 s[0:1], s[26:27]
	s_cbranch_execnz .LBB117_50
.LBB117_48:                             ;   in Loop: Header=BB117_26 Depth=1
	s_or_b64 exec, exec, s[0:1]
	s_and_saveexec_b64 s[26:27], s[6:7]
	s_cbranch_execz .LBB117_25
	s_branch .LBB117_51
.LBB117_49:                             ;   in Loop: Header=BB117_26 Depth=1
	v_cmp_eq_f32_e32 vcc, v32, v15
	s_waitcnt lgkmcnt(0)
	v_cmp_lt_i32_e64 s[0:1], v33, v14
	s_and_b64 s[0:1], vcc, s[0:1]
	s_andn2_b64 s[26:27], s[26:27], exec
	s_and_b64 s[0:1], s[0:1], exec
	s_or_b64 s[26:27], s[26:27], s[0:1]
	s_or_b64 exec, exec, s[28:29]
	s_and_saveexec_b64 s[0:1], s[26:27]
	s_cbranch_execz .LBB117_48
.LBB117_50:                             ;   in Loop: Header=BB117_26 Depth=1
	s_waitcnt lgkmcnt(0)
	v_mov_b32_e32 v14, v33
	v_mov_b32_e32 v32, v15
	s_or_b64 exec, exec, s[0:1]
	s_and_saveexec_b64 s[26:27], s[6:7]
	s_cbranch_execz .LBB117_25
.LBB117_51:                             ;   in Loop: Header=BB117_26 Depth=1
	s_and_b64 vcc, exec, s[2:3]
	s_cbranch_vccnz .LBB117_24
; %bb.52:                               ;   in Loop: Header=BB117_26 Depth=1
	v_ashrrev_i32_e32 v15, 31, v14
	v_lshl_add_u64 v[34:35], v[14:15], 2, s[10:11]
	global_load_dword v15, v[34:35], off
	s_waitcnt vmcnt(0)
	v_sub_f32_e32 v32, v32, v15
	s_branch .LBB117_24
.LBB117_53:
	v_mov_b32_e32 v18, 0
.LBB117_54:
	v_cmp_eq_u32_e32 vcc, 0, v12
	s_and_b64 exec, exec, vcc
	s_cbranch_execz .LBB117_67
; %bb.55:
	s_andn2_b64 vcc, exec, s[4:5]
	v_cvt_f32_f64_e32 v0, s[8:9]
	s_cbranch_vccnz .LBB117_57
; %bb.56:
	v_cmp_lt_f32_e32 vcc, 0, v18
	s_nop 1
	v_cndmask_b32_e32 v1, 1.0, v18, vcc
	v_div_scale_f32 v2, s[0:1], v1, v1, v0
	v_rcp_f32_e32 v3, v2
	s_nop 0
	v_fma_f32 v4, -v2, v3, 1.0
	v_fmac_f32_e32 v3, v4, v3
	v_div_scale_f32 v4, vcc, v0, v1, v0
	v_mul_f32_e32 v5, v4, v3
	v_fma_f32 v6, -v2, v5, v4
	v_fmac_f32_e32 v5, v6, v3
	v_fma_f32 v2, -v2, v5, v4
	v_div_fmas_f32 v2, v2, v3, v5
	v_div_fixup_f32 v0, v2, v1, v0
.LBB117_57:
	s_andn2_b64 vcc, exec, s[24:25]
	s_cbranch_vccnz .LBB117_67
; %bb.58:
	v_mul_lo_u32 v2, v10, s12
	s_cmp_gt_u32 s12, 3
	v_ashrrev_i32_e32 v3, 31, v2
	s_cbranch_scc0 .LBB117_62
; %bb.59:
	s_and_b32 s0, s12, 0x7ffffffc
	v_lshl_add_u64 v[4:5], v[2:3], 2, s[20:21]
	v_mov_b32_e32 v1, v0
	v_lshl_add_u64 v[4:5], v[4:5], 0, 8
	s_mov_b32 s1, s0
.LBB117_60:                             ; =>This Inner Loop Header: Depth=1
	global_load_dwordx4 v[6:9], v[4:5], off offset:-8
	s_add_i32 s1, s1, -4
	s_cmp_lg_u32 s1, 0
	s_waitcnt vmcnt(0)
	v_pk_mul_f32 v[6:7], v[0:1], v[6:7]
	v_pk_mul_f32 v[8:9], v[0:1], v[8:9]
	global_store_dwordx4 v[4:5], v[6:9], off offset:-8
	v_lshl_add_u64 v[4:5], v[4:5], 0, 16
	s_cbranch_scc1 .LBB117_60
; %bb.61:
	s_cmp_lg_u32 s0, s12
	s_cselect_b64 s[2:3], -1, 0
	s_branch .LBB117_64
.LBB117_62:
	s_mov_b64 s[2:3], 0
                                        ; implicit-def: $sgpr0
	s_cbranch_execz .LBB117_64
; %bb.63:
	s_mov_b64 s[2:3], -1
	s_mov_b32 s0, 0
.LBB117_64:
	s_andn2_b64 vcc, exec, s[2:3]
	s_cbranch_vccnz .LBB117_67
; %bb.65:
	s_mov_b32 s1, 0
	v_lshl_add_u64 v[2:3], v[2:3], 0, s[0:1]
	s_sub_i32 s2, s12, s0
	v_lshl_add_u64 v[2:3], v[2:3], 2, s[20:21]
.LBB117_66:                             ; =>This Inner Loop Header: Depth=1
	global_load_dword v1, v[2:3], off
	s_add_i32 s2, s2, -1
	s_cmp_lg_u32 s2, 0
	s_waitcnt vmcnt(0)
	v_mul_f32_e32 v1, v0, v1
	global_store_dword v[2:3], v1, off
	v_lshl_add_u64 v[2:3], v[2:3], 0, 4
	s_cbranch_scc1 .LBB117_66
.LBB117_67:
	s_endpgm
	.section	.rodata,"a",@progbits
	.p2align	6, 0x0
	.amdhsa_kernel _ZN4vllm3moe22topkGatingSoftplusSqrtILi9ELi576ELi4ELi4ELi64ELb0EjfEEvPKT6_PKbPfiPT5_PiiiibdPKfPKS8_SE_
		.amdhsa_group_segment_fixed_size 0
		.amdhsa_private_segment_fixed_size 0
		.amdhsa_kernarg_size 96
		.amdhsa_user_sgpr_count 2
		.amdhsa_user_sgpr_dispatch_ptr 0
		.amdhsa_user_sgpr_queue_ptr 0
		.amdhsa_user_sgpr_kernarg_segment_ptr 1
		.amdhsa_user_sgpr_dispatch_id 0
		.amdhsa_user_sgpr_kernarg_preload_length 0
		.amdhsa_user_sgpr_kernarg_preload_offset 0
		.amdhsa_user_sgpr_private_segment_size 0
		.amdhsa_uses_dynamic_stack 0
		.amdhsa_enable_private_segment 0
		.amdhsa_system_sgpr_workgroup_id_x 1
		.amdhsa_system_sgpr_workgroup_id_y 0
		.amdhsa_system_sgpr_workgroup_id_z 0
		.amdhsa_system_sgpr_workgroup_info 0
		.amdhsa_system_vgpr_workitem_id 1
		.amdhsa_next_free_vgpr 38
		.amdhsa_next_free_sgpr 31
		.amdhsa_accum_offset 40
		.amdhsa_reserve_vcc 1
		.amdhsa_float_round_mode_32 0
		.amdhsa_float_round_mode_16_64 0
		.amdhsa_float_denorm_mode_32 3
		.amdhsa_float_denorm_mode_16_64 3
		.amdhsa_dx10_clamp 1
		.amdhsa_ieee_mode 1
		.amdhsa_fp16_overflow 0
		.amdhsa_tg_split 0
		.amdhsa_exception_fp_ieee_invalid_op 0
		.amdhsa_exception_fp_denorm_src 0
		.amdhsa_exception_fp_ieee_div_zero 0
		.amdhsa_exception_fp_ieee_overflow 0
		.amdhsa_exception_fp_ieee_underflow 0
		.amdhsa_exception_fp_ieee_inexact 0
		.amdhsa_exception_int_div_zero 0
	.end_amdhsa_kernel
	.section	.text._ZN4vllm3moe22topkGatingSoftplusSqrtILi9ELi576ELi4ELi4ELi64ELb0EjfEEvPKT6_PKbPfiPT5_PiiiibdPKfPKS8_SE_,"axG",@progbits,_ZN4vllm3moe22topkGatingSoftplusSqrtILi9ELi576ELi4ELi4ELi64ELb0EjfEEvPKT6_PKbPfiPT5_PiiiibdPKfPKS8_SE_,comdat
.Lfunc_end117:
	.size	_ZN4vllm3moe22topkGatingSoftplusSqrtILi9ELi576ELi4ELi4ELi64ELb0EjfEEvPKT6_PKbPfiPT5_PiiiibdPKfPKS8_SE_, .Lfunc_end117-_ZN4vllm3moe22topkGatingSoftplusSqrtILi9ELi576ELi4ELi4ELi64ELb0EjfEEvPKT6_PKbPfiPT5_PiiiibdPKfPKS8_SE_
                                        ; -- End function
	.section	.AMDGPU.csdata,"",@progbits
; Kernel info:
; codeLenInByte = 4656
; NumSgprs: 37
; NumVgprs: 38
; NumAgprs: 0
; TotalNumVgprs: 38
; ScratchSize: 0
; MemoryBound: 0
; FloatMode: 240
; IeeeMode: 1
; LDSByteSize: 0 bytes/workgroup (compile time only)
; SGPRBlocks: 4
; VGPRBlocks: 4
; NumSGPRsForWavesPerEU: 37
; NumVGPRsForWavesPerEU: 38
; AccumOffset: 40
; Occupancy: 8
; WaveLimiterHint : 1
; COMPUTE_PGM_RSRC2:SCRATCH_EN: 0
; COMPUTE_PGM_RSRC2:USER_SGPR: 2
; COMPUTE_PGM_RSRC2:TRAP_HANDLER: 0
; COMPUTE_PGM_RSRC2:TGID_X_EN: 1
; COMPUTE_PGM_RSRC2:TGID_Y_EN: 0
; COMPUTE_PGM_RSRC2:TGID_Z_EN: 0
; COMPUTE_PGM_RSRC2:TIDIG_COMP_CNT: 1
; COMPUTE_PGM_RSRC3_GFX90A:ACCUM_OFFSET: 9
; COMPUTE_PGM_RSRC3_GFX90A:TG_SPLIT: 0
	.section	.text._ZN4vllm3moe22topkGatingSoftplusSqrtILi18ELi576ELi4ELi4ELi32ELb1EjfEEvPKT6_PKbPfiPT5_PiiiibdPKfPKS8_SE_,"axG",@progbits,_ZN4vllm3moe22topkGatingSoftplusSqrtILi18ELi576ELi4ELi4ELi32ELb1EjfEEvPKT6_PKbPfiPT5_PiiiibdPKfPKS8_SE_,comdat
	.protected	_ZN4vllm3moe22topkGatingSoftplusSqrtILi18ELi576ELi4ELi4ELi32ELb1EjfEEvPKT6_PKbPfiPT5_PiiiibdPKfPKS8_SE_ ; -- Begin function _ZN4vllm3moe22topkGatingSoftplusSqrtILi18ELi576ELi4ELi4ELi32ELb1EjfEEvPKT6_PKbPfiPT5_PiiiibdPKfPKS8_SE_
	.globl	_ZN4vllm3moe22topkGatingSoftplusSqrtILi18ELi576ELi4ELi4ELi32ELb1EjfEEvPKT6_PKbPfiPT5_PiiiibdPKfPKS8_SE_
	.p2align	8
	.type	_ZN4vllm3moe22topkGatingSoftplusSqrtILi18ELi576ELi4ELi4ELi32ELb1EjfEEvPKT6_PKbPfiPT5_PiiiibdPKfPKS8_SE_,@function
_ZN4vllm3moe22topkGatingSoftplusSqrtILi18ELi576ELi4ELi4ELi32ELb1EjfEEvPKT6_PKbPfiPT5_PiiiibdPKfPKS8_SE_: ; @_ZN4vllm3moe22topkGatingSoftplusSqrtILi18ELi576ELi4ELi4ELi32ELb1EjfEEvPKT6_PKbPfiPT5_PiiiibdPKfPKS8_SE_
; %bb.0:
	s_load_dword s3, s[0:1], 0x18
	v_and_b32_e32 v1, 0x3ff, v0
	s_lshl_b32 s2, s2, 2
	v_lshrrev_b32_e32 v2, 5, v1
	v_bfe_u32 v0, v0, 10, 10
	v_add3_u32 v6, s2, v0, v2
	s_waitcnt lgkmcnt(0)
	v_cmp_gt_i32_e32 vcc, s3, v6
	s_and_saveexec_b64 s[2:3], vcc
	s_cbranch_execz .LBB118_72
; %bb.1:
	s_load_dwordx4 s[4:7], s[0:1], 0x50
	s_load_dwordx2 s[2:3], s[0:1], 0x0
	s_load_dword s33, s[0:1], 0x30
	s_movk_i32 s8, 0x240
	v_mul_lo_u32 v2, v6, s8
	v_ashrrev_i32_e32 v3, 31, v2
	v_and_b32_e32 v12, 31, v1
	s_waitcnt lgkmcnt(0)
	v_lshl_add_u64 v[2:3], v[2:3], 2, s[2:3]
	v_lshlrev_b32_e32 v4, 2, v12
	v_mov_b32_e32 v5, 0
	v_lshl_add_u64 v[20:21], v[2:3], 0, v[4:5]
	global_load_dword v19, v[20:21], off
	global_load_dword v24, v[20:21], off offset:128
	global_load_dword v25, v[20:21], off offset:256
	;; [unrolled: 1-line block ×7, first 2 shown]
	v_mov_b32_e32 v8, s4
	v_mov_b32_e32 v9, s5
	v_ashrrev_i32_e32 v7, 31, v6
	v_lshl_add_u64 v[8:9], v[6:7], 2, v[8:9]
	global_load_dword v4, v[8:9], off
	global_load_dword v27, v[20:21], off offset:512
	global_load_dword v28, v[20:21], off offset:640
	;; [unrolled: 1-line block ×10, first 2 shown]
	s_mov_b32 s13, 0x800000
	v_mov_b32_e32 v11, 0x4f800000
	s_mov_b32 s11, 0x3f317217
	s_mov_b32 s12, 0x7f800000
	v_mov_b32_e32 v10, 0x41b17218
	s_mov_b32 s9, 0x41a00000
	s_mov_b32 s10, 0xf800000
	v_mov_b32_e32 v8, s6
	v_mov_b32_e32 v9, s7
	;; [unrolled: 1-line block ×3, first 2 shown]
	s_cmp_gt_i32 s33, 0
	s_mov_b32 s8, 0
	s_waitcnt vmcnt(18)
	v_mul_f32_e32 v20, 0x3fb8aa3b, v19
	s_waitcnt vmcnt(17)
	v_mul_f32_e32 v21, 0x3fb8aa3b, v24
	v_exp_f32_e32 v20, v20
	v_exp_f32_e32 v21, v21
	s_waitcnt vmcnt(16)
	v_mul_f32_e32 v22, 0x3fb8aa3b, v25
	s_waitcnt vmcnt(15)
	v_mul_f32_e32 v23, 0x3fb8aa3b, v26
	v_exp_f32_e32 v22, v22
	v_pk_add_f32 v[20:21], v[20:21], 1.0 op_sel_hi:[1,0]
	v_exp_f32_e32 v23, v23
	v_cmp_gt_f32_e32 vcc, s13, v21
	v_cmp_gt_f32_e64 s[2:3], s13, v20
	s_waitcnt vmcnt(11)
	scratch_store_dwordx4 off, v[0:3], off offset:32
	v_cndmask_b32_e32 v31, 1.0, v11, vcc
	v_cndmask_b32_e64 v32, 1.0, v11, s[2:3]
	v_mul_f32_e32 v21, v21, v31
	v_mul_f32_e32 v20, v20, v32
	v_log_f32_e32 v21, v21
	v_pk_add_f32 v[22:23], v[22:23], 1.0 op_sel_hi:[1,0]
	v_log_f32_e32 v20, v20
	v_cmp_gt_f32_e64 s[4:5], s13, v23
	v_cndmask_b32_e32 v31, 0, v10, vcc
	v_cmp_lt_f32_e64 vcc, |v21|, s12
	v_cndmask_b32_e64 v33, 1.0, v11, s[4:5]
	v_mul_f32_e32 v23, v23, v33
	v_mul_f32_e32 v33, 0x3f317217, v21
	;; [unrolled: 1-line block ×3, first 2 shown]
	v_fma_f32 v33, v21, s11, -v33
	v_fma_f32 v34, v20, s11, -v34
	v_fmac_f32_e32 v33, 0x3377d1cf, v21
	v_fmac_f32_e32 v34, 0x3377d1cf, v20
	;; [unrolled: 1-line block ×4, first 2 shown]
	v_cndmask_b32_e32 v21, v21, v33, vcc
	v_cmp_lt_f32_e64 vcc, |v20|, s12
	v_cndmask_b32_e64 v32, 0, v10, s[2:3]
	v_sub_f32_e32 v21, v21, v31
	v_cndmask_b32_e32 v20, v20, v34, vcc
	v_sub_f32_e32 v20, v20, v32
	v_cmp_lt_f32_e32 vcc, s9, v19
	v_log_f32_e32 v23, v23
	s_waitcnt vmcnt(11)
	v_mul_lo_u32 v4, v4, s33
	v_cndmask_b32_e32 v19, v20, v19, vcc
	v_cmp_lt_f32_e32 vcc, s9, v24
	v_cmp_gt_f32_e64 s[2:3], s10, v19
	s_nop 0
	v_cndmask_b32_e32 v20, v21, v24, vcc
	v_mul_f32_e32 v21, 0x4f800000, v20
	v_cmp_gt_f32_e32 vcc, s10, v20
	v_mul_f32_e32 v24, 0x4f800000, v19
	v_cndmask_b32_e64 v19, v19, v24, s[2:3]
	v_cndmask_b32_e32 v20, v20, v21, vcc
	v_sqrt_f32_e32 v21, v20
	v_sqrt_f32_e32 v24, v19
	v_add_u32_e32 v31, -1, v21
	v_add_u32_e32 v33, -1, v24
	v_fma_f32 v35, -v31, v21, v20
	v_add_u32_e32 v32, 1, v21
	v_fma_f32 v37, -v33, v24, v19
	v_cmp_ge_f32_e64 s[6:7], 0, v35
	v_add_u32_e32 v34, 1, v24
	v_fma_f32 v36, -v32, v21, v20
	v_cndmask_b32_e64 v21, v21, v31, s[6:7]
	v_cmp_ge_f32_e64 s[6:7], 0, v37
	v_fma_f32 v38, -v34, v24, v19
	s_nop 0
	v_cndmask_b32_e64 v24, v24, v33, s[6:7]
	v_cmp_lt_f32_e64 s[6:7], 0, v36
	s_nop 1
	v_cndmask_b32_e64 v21, v21, v32, s[6:7]
	v_cmp_lt_f32_e64 s[6:7], 0, v38
	v_mul_f32_e32 v31, 0x37800000, v21
	v_cndmask_b32_e32 v21, v21, v31, vcc
	v_cndmask_b32_e64 v24, v24, v34, s[6:7]
	v_mul_f32_e32 v32, 0x37800000, v24
	v_cmp_class_f32_e32 vcc, v20, v7
	v_cndmask_b32_e64 v24, v24, v32, s[2:3]
	v_cmp_lt_f32_e64 s[2:3], |v23|, s12
	v_cndmask_b32_e32 v21, v21, v20, vcc
	v_cmp_class_f32_e32 vcc, v19, v7
	s_nop 1
	v_cndmask_b32_e32 v20, v24, v19, vcc
	v_cmp_gt_f32_e32 vcc, s13, v22
	v_mul_f32_e32 v19, 0x3f317217, v23
	v_fma_f32 v19, v23, s11, -v19
	v_cndmask_b32_e32 v24, 1.0, v11, vcc
	v_mul_f32_e32 v22, v22, v24
	v_log_f32_e32 v22, v22
	v_fmac_f32_e32 v19, 0x3377d1cf, v23
	v_fmac_f32_e32 v19, 0x3f317217, v23
	v_cndmask_b32_e64 v19, v23, v19, s[2:3]
	v_cndmask_b32_e64 v23, 0, v10, s[4:5]
	v_sub_f32_e32 v19, v19, v23
	v_mul_f32_e32 v23, 0x3f317217, v22
	v_fma_f32 v23, v22, s11, -v23
	v_fmac_f32_e32 v23, 0x3377d1cf, v22
	v_fmac_f32_e32 v23, 0x3f317217, v22
	v_cmp_lt_f32_e64 s[2:3], |v22|, s12
	s_nop 1
	v_cndmask_b32_e64 v22, v22, v23, s[2:3]
	v_cndmask_b32_e32 v23, 0, v10, vcc
	v_cmp_lt_f32_e32 vcc, s9, v26
	v_sub_f32_e32 v22, v22, v23
	v_cmp_lt_f32_e64 s[2:3], s9, v25
	v_cndmask_b32_e32 v19, v19, v26, vcc
	v_mul_f32_e32 v24, 0x4f800000, v19
	v_cmp_gt_f32_e32 vcc, s10, v19
	v_cndmask_b32_e64 v22, v22, v25, s[2:3]
	s_nop 0
	v_cndmask_b32_e32 v19, v19, v24, vcc
	v_sqrt_f32_e32 v24, v19
	s_nop 0
	v_add_u32_e32 v23, -1, v24
	v_fma_f32 v25, -v23, v24, v19
	v_cmp_ge_f32_e64 s[2:3], 0, v25
	v_add_u32_e32 v25, 1, v24
	s_nop 0
	v_cndmask_b32_e64 v23, v24, v23, s[2:3]
	v_fma_f32 v24, -v25, v24, v19
	v_cmp_lt_f32_e64 s[2:3], 0, v24
	s_nop 1
	v_cndmask_b32_e64 v23, v23, v25, s[2:3]
	v_mul_f32_e32 v25, 0x4f800000, v22
	v_cmp_gt_f32_e64 s[2:3], s10, v22
	v_mul_f32_e32 v24, 0x37800000, v23
	v_cndmask_b32_e32 v23, v23, v24, vcc
	v_cndmask_b32_e64 v22, v22, v25, s[2:3]
	v_sqrt_f32_e32 v25, v22
	v_cmp_class_f32_e32 vcc, v19, v7
	v_add_u32_e32 v26, 1, v25
	s_nop 0
	v_cndmask_b32_e32 v23, v23, v19, vcc
	v_add_u32_e32 v19, -1, v25
	v_fma_f32 v24, -v19, v25, v22
	v_cmp_ge_f32_e32 vcc, 0, v24
	v_fma_f32 v31, -v26, v25, v22
	s_waitcnt vmcnt(10)
	v_mul_f32_e32 v24, 0x3fb8aa3b, v27
	v_cndmask_b32_e32 v19, v25, v19, vcc
	s_waitcnt vmcnt(9)
	v_mul_f32_e32 v25, 0x3fb8aa3b, v28
	v_exp_f32_e32 v24, v24
	v_exp_f32_e32 v25, v25
	v_cmp_lt_f32_e32 vcc, 0, v31
	v_pk_add_f32 v[24:25], v[24:25], 1.0 op_sel_hi:[1,0]
	s_nop 0
	v_cndmask_b32_e32 v19, v19, v26, vcc
	v_mul_f32_e32 v26, 0x37800000, v19
	v_cmp_gt_f32_e32 vcc, s13, v25
	v_cndmask_b32_e64 v19, v19, v26, s[2:3]
	v_cmp_class_f32_e64 s[2:3], v22, v7
	v_cndmask_b32_e32 v26, 1.0, v11, vcc
	v_mul_f32_e32 v25, v25, v26
	v_log_f32_e32 v25, v25
	v_cndmask_b32_e64 v22, v19, v22, s[2:3]
	v_cmp_gt_f32_e64 s[2:3], s13, v24
	scratch_store_dwordx4 off, v[20:23], off
	v_mul_f32_e32 v19, 0x3f317217, v25
	v_fma_f32 v19, v25, s11, -v19
	v_cndmask_b32_e64 v20, 1.0, v11, s[2:3]
	v_mul_f32_e32 v20, v24, v20
	v_log_f32_e32 v20, v20
	v_fmac_f32_e32 v19, 0x3377d1cf, v25
	v_fmac_f32_e32 v19, 0x3f317217, v25
	v_cmp_lt_f32_e64 s[4:5], |v25|, s12
	v_cndmask_b32_e32 v21, 0, v10, vcc
	v_cmp_lt_f32_e64 vcc, |v20|, s12
	v_cndmask_b32_e64 v19, v25, v19, s[4:5]
	v_sub_f32_e32 v19, v19, v21
	v_mul_f32_e32 v21, 0x3f317217, v20
	v_fma_f32 v21, v20, s11, -v21
	v_fmac_f32_e32 v21, 0x3377d1cf, v20
	v_fmac_f32_e32 v21, 0x3f317217, v20
	v_cndmask_b32_e32 v20, v20, v21, vcc
	v_cmp_lt_f32_e32 vcc, s9, v28
	v_cndmask_b32_e64 v21, 0, v10, s[2:3]
	v_sub_f32_e32 v20, v20, v21
	v_cndmask_b32_e32 v19, v19, v28, vcc
	v_mul_f32_e32 v22, 0x4f800000, v19
	v_cmp_gt_f32_e32 vcc, s10, v19
	v_cmp_lt_f32_e64 s[2:3], s9, v27
	s_nop 0
	v_cndmask_b32_e32 v19, v19, v22, vcc
	v_sqrt_f32_e32 v22, v19
	v_cndmask_b32_e64 v20, v20, v27, s[2:3]
	v_add_u32_e32 v21, -1, v22
	v_fma_f32 v23, -v21, v22, v19
	v_cmp_ge_f32_e64 s[2:3], 0, v23
	v_add_u32_e32 v23, 1, v22
	s_nop 0
	v_cndmask_b32_e64 v21, v22, v21, s[2:3]
	v_fma_f32 v22, -v23, v22, v19
	v_cmp_lt_f32_e64 s[2:3], 0, v22
	s_nop 1
	v_cndmask_b32_e64 v21, v21, v23, s[2:3]
	v_mul_f32_e32 v23, 0x4f800000, v20
	v_cmp_gt_f32_e64 s[2:3], s10, v20
	v_mul_f32_e32 v22, 0x37800000, v21
	v_cndmask_b32_e32 v21, v21, v22, vcc
	v_cndmask_b32_e64 v20, v20, v23, s[2:3]
	v_sqrt_f32_e32 v23, v20
	v_cmp_class_f32_e32 vcc, v19, v7
	v_add_u32_e32 v24, 1, v23
	s_nop 0
	v_cndmask_b32_e32 v21, v21, v19, vcc
	v_add_u32_e32 v19, -1, v23
	v_fma_f32 v22, -v19, v23, v20
	v_cmp_ge_f32_e32 vcc, 0, v22
	v_fma_f32 v25, -v24, v23, v20
	s_waitcnt vmcnt(9)
	v_mul_f32_e32 v22, 0x3fb8aa3b, v29
	v_cndmask_b32_e32 v19, v23, v19, vcc
	s_waitcnt vmcnt(8)
	v_mul_f32_e32 v23, 0x3fb8aa3b, v30
	v_exp_f32_e32 v22, v22
	v_exp_f32_e32 v23, v23
	v_cmp_lt_f32_e32 vcc, 0, v25
	v_pk_add_f32 v[22:23], v[22:23], 1.0 op_sel_hi:[1,0]
	s_nop 0
	v_cndmask_b32_e32 v19, v19, v24, vcc
	v_cmp_gt_f32_e32 vcc, s13, v23
	v_mul_f32_e32 v24, 0x37800000, v19
	v_cndmask_b32_e64 v19, v19, v24, s[2:3]
	v_cndmask_b32_e32 v25, 1.0, v11, vcc
	v_mul_f32_e32 v23, v23, v25
	v_log_f32_e32 v23, v23
	v_cmp_class_f32_e64 s[2:3], v20, v7
	v_cmp_lt_f32_e64 s[4:5], |v23|, s12
	s_nop 0
	v_cndmask_b32_e64 v20, v19, v20, s[2:3]
	v_cmp_gt_f32_e64 s[2:3], s13, v22
	v_mul_f32_e32 v19, 0x3f317217, v23
	v_fma_f32 v19, v23, s11, -v19
	v_cndmask_b32_e64 v24, 1.0, v11, s[2:3]
	v_mul_f32_e32 v22, v22, v24
	v_log_f32_e32 v22, v22
	v_fmac_f32_e32 v19, 0x3377d1cf, v23
	v_fmac_f32_e32 v19, 0x3f317217, v23
	v_cndmask_b32_e64 v19, v23, v19, s[4:5]
	v_cndmask_b32_e32 v23, 0, v10, vcc
	v_sub_f32_e32 v19, v19, v23
	v_mul_f32_e32 v23, 0x3f317217, v22
	v_fma_f32 v23, v22, s11, -v23
	v_fmac_f32_e32 v23, 0x3377d1cf, v22
	v_fmac_f32_e32 v23, 0x3f317217, v22
	v_cmp_lt_f32_e64 vcc, |v22|, s12
	s_nop 1
	v_cndmask_b32_e32 v22, v22, v23, vcc
	v_cmp_lt_f32_e32 vcc, s9, v30
	v_cndmask_b32_e64 v23, 0, v10, s[2:3]
	v_sub_f32_e32 v22, v22, v23
	v_cndmask_b32_e32 v19, v19, v30, vcc
	v_mul_f32_e32 v24, 0x4f800000, v19
	v_cmp_gt_f32_e32 vcc, s10, v19
	v_cmp_lt_f32_e64 s[2:3], s9, v29
	s_nop 0
	v_cndmask_b32_e32 v19, v19, v24, vcc
	v_sqrt_f32_e32 v24, v19
	v_cndmask_b32_e64 v22, v22, v29, s[2:3]
	v_add_u32_e32 v23, -1, v24
	v_fma_f32 v25, -v23, v24, v19
	v_cmp_ge_f32_e64 s[2:3], 0, v25
	v_add_u32_e32 v25, 1, v24
	s_nop 0
	v_cndmask_b32_e64 v23, v24, v23, s[2:3]
	v_fma_f32 v24, -v25, v24, v19
	v_cmp_lt_f32_e64 s[2:3], 0, v24
	s_nop 1
	v_cndmask_b32_e64 v23, v23, v25, s[2:3]
	v_mul_f32_e32 v25, 0x4f800000, v22
	v_cmp_gt_f32_e64 s[2:3], s10, v22
	v_mul_f32_e32 v24, 0x37800000, v23
	v_cndmask_b32_e32 v23, v23, v24, vcc
	v_cndmask_b32_e64 v22, v22, v25, s[2:3]
	v_sqrt_f32_e32 v25, v22
	v_cmp_class_f32_e32 vcc, v19, v7
	v_add_u32_e32 v26, 1, v25
	s_nop 0
	v_cndmask_b32_e32 v23, v23, v19, vcc
	v_add_u32_e32 v19, -1, v25
	v_fma_f32 v24, -v19, v25, v22
	v_cmp_ge_f32_e32 vcc, 0, v24
	v_fma_f32 v27, -v26, v25, v22
	v_mul_f32_e32 v24, 0x3fb8aa3b, v0
	v_cndmask_b32_e32 v19, v25, v19, vcc
	v_mul_f32_e32 v25, 0x3fb8aa3b, v1
	v_exp_f32_e32 v24, v24
	v_exp_f32_e32 v25, v25
	v_cmp_lt_f32_e32 vcc, 0, v27
	v_pk_add_f32 v[24:25], v[24:25], 1.0 op_sel_hi:[1,0]
	s_nop 0
	v_cndmask_b32_e32 v19, v19, v26, vcc
	v_mul_f32_e32 v26, 0x37800000, v19
	v_cmp_gt_f32_e32 vcc, s13, v25
	v_cndmask_b32_e64 v19, v19, v26, s[2:3]
	v_cmp_class_f32_e64 s[2:3], v22, v7
	v_cndmask_b32_e32 v26, 1.0, v11, vcc
	v_mul_f32_e32 v25, v25, v26
	v_log_f32_e32 v25, v25
	v_cndmask_b32_e64 v22, v19, v22, s[2:3]
	v_cmp_gt_f32_e64 s[2:3], s13, v24
	scratch_store_dwordx4 off, v[20:23], off offset:16
	v_mul_f32_e32 v19, 0x3f317217, v25
	v_fma_f32 v19, v25, s11, -v19
	v_cndmask_b32_e64 v20, 1.0, v11, s[2:3]
	v_mul_f32_e32 v20, v24, v20
	v_log_f32_e32 v20, v20
	v_fmac_f32_e32 v19, 0x3377d1cf, v25
	v_fmac_f32_e32 v19, 0x3f317217, v25
	v_cmp_lt_f32_e64 s[4:5], |v25|, s12
	v_cndmask_b32_e32 v21, 0, v10, vcc
	v_cmp_lt_f32_e64 vcc, |v20|, s12
	v_cndmask_b32_e64 v19, v25, v19, s[4:5]
	v_sub_f32_e32 v19, v19, v21
	v_mul_f32_e32 v21, 0x3f317217, v20
	v_fma_f32 v21, v20, s11, -v21
	v_fmac_f32_e32 v21, 0x3377d1cf, v20
	v_fmac_f32_e32 v21, 0x3f317217, v20
	v_cndmask_b32_e32 v20, v20, v21, vcc
	v_cmp_lt_f32_e32 vcc, s9, v1
	v_cndmask_b32_e64 v21, 0, v10, s[2:3]
	v_sub_f32_e32 v20, v20, v21
	v_cndmask_b32_e32 v1, v19, v1, vcc
	v_mul_f32_e32 v19, 0x4f800000, v1
	v_cmp_gt_f32_e32 vcc, s10, v1
	v_cmp_lt_f32_e64 s[2:3], s9, v0
	s_nop 0
	v_cndmask_b32_e32 v1, v1, v19, vcc
	v_sqrt_f32_e32 v19, v1
	v_cndmask_b32_e64 v0, v20, v0, s[2:3]
	v_add_u32_e32 v20, -1, v19
	v_fma_f32 v21, -v20, v19, v1
	v_cmp_ge_f32_e64 s[2:3], 0, v21
	v_add_u32_e32 v21, 1, v19
	s_nop 0
	v_cndmask_b32_e64 v20, v19, v20, s[2:3]
	v_fma_f32 v19, -v21, v19, v1
	v_cmp_lt_f32_e64 s[2:3], 0, v19
	s_nop 1
	v_cndmask_b32_e64 v19, v20, v21, s[2:3]
	v_mul_f32_e32 v21, 0x4f800000, v0
	v_cmp_gt_f32_e64 s[2:3], s10, v0
	v_mul_f32_e32 v20, 0x37800000, v19
	v_cndmask_b32_e32 v19, v19, v20, vcc
	v_cndmask_b32_e64 v0, v0, v21, s[2:3]
	v_sqrt_f32_e32 v21, v0
	v_cmp_class_f32_e32 vcc, v1, v7
	v_add_u32_e32 v22, 1, v21
	s_nop 0
	v_cndmask_b32_e32 v1, v19, v1, vcc
	v_add_u32_e32 v19, -1, v21
	v_fma_f32 v20, -v19, v21, v0
	v_cmp_ge_f32_e32 vcc, 0, v20
	v_fma_f32 v23, -v22, v21, v0
	v_mul_f32_e32 v20, 0x3fb8aa3b, v2
	v_cndmask_b32_e32 v19, v21, v19, vcc
	v_mul_f32_e32 v21, 0x3fb8aa3b, v3
	v_exp_f32_e32 v20, v20
	v_exp_f32_e32 v21, v21
	v_cmp_lt_f32_e32 vcc, 0, v23
	v_pk_add_f32 v[20:21], v[20:21], 1.0 op_sel_hi:[1,0]
	s_nop 0
	v_cndmask_b32_e32 v19, v19, v22, vcc
	v_cmp_gt_f32_e32 vcc, s13, v21
	v_mul_f32_e32 v22, 0x37800000, v19
	v_cndmask_b32_e64 v19, v19, v22, s[2:3]
	v_cndmask_b32_e32 v23, 1.0, v11, vcc
	v_mul_f32_e32 v21, v21, v23
	v_log_f32_e32 v21, v21
	v_cmp_class_f32_e64 s[2:3], v0, v7
	v_cmp_lt_f32_e64 s[4:5], |v21|, s12
	s_nop 0
	v_cndmask_b32_e64 v0, v19, v0, s[2:3]
	v_cmp_gt_f32_e64 s[2:3], s13, v20
	v_mul_f32_e32 v19, 0x3f317217, v21
	v_fma_f32 v19, v21, s11, -v19
	v_cndmask_b32_e64 v22, 1.0, v11, s[2:3]
	v_mul_f32_e32 v20, v20, v22
	v_log_f32_e32 v20, v20
	v_fmac_f32_e32 v19, 0x3377d1cf, v21
	v_fmac_f32_e32 v19, 0x3f317217, v21
	v_cndmask_b32_e64 v19, v21, v19, s[4:5]
	v_cndmask_b32_e32 v21, 0, v10, vcc
	v_sub_f32_e32 v19, v19, v21
	v_mul_f32_e32 v21, 0x3f317217, v20
	v_fma_f32 v21, v20, s11, -v21
	v_fmac_f32_e32 v21, 0x3377d1cf, v20
	v_fmac_f32_e32 v21, 0x3f317217, v20
	v_cmp_lt_f32_e64 vcc, |v20|, s12
	s_nop 1
	v_cndmask_b32_e32 v20, v20, v21, vcc
	v_cmp_lt_f32_e32 vcc, s9, v3
	v_cndmask_b32_e64 v21, 0, v10, s[2:3]
	v_sub_f32_e32 v20, v20, v21
	v_cndmask_b32_e32 v3, v19, v3, vcc
	v_mul_f32_e32 v19, 0x4f800000, v3
	v_cmp_gt_f32_e32 vcc, s10, v3
	v_cmp_lt_f32_e64 s[2:3], s9, v2
	s_nop 0
	v_cndmask_b32_e32 v3, v3, v19, vcc
	v_sqrt_f32_e32 v19, v3
	v_cndmask_b32_e64 v2, v20, v2, s[2:3]
	v_add_u32_e32 v20, -1, v19
	v_fma_f32 v21, -v20, v19, v3
	v_cmp_ge_f32_e64 s[2:3], 0, v21
	v_add_u32_e32 v21, 1, v19
	s_nop 0
	v_cndmask_b32_e64 v20, v19, v20, s[2:3]
	v_fma_f32 v19, -v21, v19, v3
	v_cmp_lt_f32_e64 s[2:3], 0, v19
	s_nop 1
	v_cndmask_b32_e64 v19, v20, v21, s[2:3]
	v_mul_f32_e32 v21, 0x4f800000, v2
	v_cmp_gt_f32_e64 s[2:3], s10, v2
	v_mul_f32_e32 v20, 0x37800000, v19
	v_cndmask_b32_e32 v19, v19, v20, vcc
	v_cndmask_b32_e64 v2, v2, v21, s[2:3]
	v_sqrt_f32_e32 v21, v2
	v_cmp_class_f32_e32 vcc, v3, v7
	v_add_u32_e32 v22, 1, v21
	s_nop 0
	v_cndmask_b32_e32 v3, v19, v3, vcc
	v_add_u32_e32 v19, -1, v21
	v_fma_f32 v20, -v19, v21, v2
	v_cmp_ge_f32_e32 vcc, 0, v20
	v_fma_f32 v23, -v22, v21, v2
	s_waitcnt vmcnt(8)
	v_mul_f32_e32 v20, 0x3fb8aa3b, v17
	v_cndmask_b32_e32 v19, v21, v19, vcc
	s_waitcnt vmcnt(7)
	v_mul_f32_e32 v21, 0x3fb8aa3b, v18
	v_exp_f32_e32 v20, v20
	v_exp_f32_e32 v21, v21
	v_cmp_lt_f32_e32 vcc, 0, v23
	v_pk_add_f32 v[20:21], v[20:21], 1.0 op_sel_hi:[1,0]
	s_nop 0
	v_cndmask_b32_e32 v19, v19, v22, vcc
	v_mul_f32_e32 v22, 0x37800000, v19
	v_cmp_gt_f32_e32 vcc, s13, v21
	v_cndmask_b32_e64 v19, v19, v22, s[2:3]
	v_cmp_class_f32_e64 s[2:3], v2, v7
	v_cndmask_b32_e32 v22, 1.0, v11, vcc
	v_mul_f32_e32 v21, v21, v22
	v_log_f32_e32 v21, v21
	v_cndmask_b32_e64 v2, v19, v2, s[2:3]
	v_cmp_gt_f32_e64 s[2:3], s13, v20
	scratch_store_dwordx4 off, v[0:3], off offset:32
	v_cmp_lt_f32_e64 s[4:5], |v21|, s12
	s_nop 0
	v_cndmask_b32_e64 v1, 1.0, v11, s[2:3]
	v_mul_f32_e32 v0, 0x3f317217, v21
	v_mul_f32_e32 v1, v20, v1
	v_fma_f32 v0, v21, s11, -v0
	v_log_f32_e32 v1, v1
	v_fmac_f32_e32 v0, 0x3377d1cf, v21
	v_fmac_f32_e32 v0, 0x3f317217, v21
	v_cndmask_b32_e64 v0, v21, v0, s[4:5]
	v_cndmask_b32_e32 v2, 0, v10, vcc
	v_sub_f32_e32 v0, v0, v2
	v_mul_f32_e32 v2, 0x3f317217, v1
	v_fma_f32 v2, v1, s11, -v2
	v_fmac_f32_e32 v2, 0x3377d1cf, v1
	v_fmac_f32_e32 v2, 0x3f317217, v1
	v_cmp_lt_f32_e64 vcc, |v1|, s12
	s_nop 1
	v_cndmask_b32_e32 v1, v1, v2, vcc
	v_cmp_lt_f32_e32 vcc, s9, v18
	v_cndmask_b32_e64 v2, 0, v10, s[2:3]
	v_sub_f32_e32 v1, v1, v2
	v_cndmask_b32_e32 v0, v0, v18, vcc
	v_mul_f32_e32 v3, 0x4f800000, v0
	v_cmp_gt_f32_e32 vcc, s10, v0
	v_cmp_lt_f32_e64 s[2:3], s9, v17
	s_nop 0
	v_cndmask_b32_e32 v0, v0, v3, vcc
	v_sqrt_f32_e32 v3, v0
	v_cndmask_b32_e64 v1, v1, v17, s[2:3]
	v_add_u32_e32 v2, -1, v3
	v_fma_f32 v17, -v2, v3, v0
	v_cmp_ge_f32_e64 s[2:3], 0, v17
	v_add_u32_e32 v17, 1, v3
	s_nop 0
	v_cndmask_b32_e64 v2, v3, v2, s[2:3]
	v_fma_f32 v3, -v17, v3, v0
	v_cmp_lt_f32_e64 s[2:3], 0, v3
	s_nop 1
	v_cndmask_b32_e64 v2, v2, v17, s[2:3]
	v_mul_f32_e32 v17, 0x4f800000, v1
	v_cmp_gt_f32_e64 s[2:3], s10, v1
	v_mul_f32_e32 v3, 0x37800000, v2
	s_nop 0
	v_cndmask_b32_e64 v17, v1, v17, s[2:3]
	v_sqrt_f32_e32 v18, v17
	v_cndmask_b32_e32 v1, v2, v3, vcc
	v_cmp_class_f32_e32 vcc, v0, v7
	s_waitcnt vmcnt(6)
	v_mul_f32_e32 v3, 0x3fb8aa3b, v16
	v_exp_f32_e32 v3, v3
	v_cndmask_b32_e32 v1, v1, v0, vcc
	v_add_u32_e32 v0, -1, v18
	v_fma_f32 v2, -v0, v18, v17
	v_cmp_ge_f32_e32 vcc, 0, v2
	v_mul_f32_e32 v2, 0x3fb8aa3b, v15
	v_exp_f32_e32 v2, v2
	v_add_u32_e32 v19, 1, v18
	v_cndmask_b32_e32 v0, v18, v0, vcc
	v_fma_f32 v18, -v19, v18, v17
	v_cmp_lt_f32_e32 vcc, 0, v18
	v_pk_add_f32 v[2:3], v[2:3], 1.0 op_sel_hi:[1,0]
	s_nop 0
	v_cndmask_b32_e32 v0, v0, v19, vcc
	v_cmp_gt_f32_e32 vcc, s13, v3
	v_mul_f32_e32 v18, 0x37800000, v0
	v_cndmask_b32_e64 v0, v0, v18, s[2:3]
	v_cndmask_b32_e32 v19, 1.0, v11, vcc
	v_mul_f32_e32 v3, v3, v19
	v_log_f32_e32 v3, v3
	v_cmp_class_f32_e64 s[2:3], v17, v7
	v_cmp_lt_f32_e64 s[4:5], |v3|, s12
	s_nop 0
	v_cndmask_b32_e64 v0, v0, v17, s[2:3]
	v_cmp_gt_f32_e64 s[2:3], s13, v2
	v_mul_f32_e32 v17, 0x3f317217, v3
	v_fma_f32 v17, v3, s11, -v17
	v_cndmask_b32_e64 v18, 1.0, v11, s[2:3]
	v_mul_f32_e32 v2, v2, v18
	v_log_f32_e32 v2, v2
	v_fmac_f32_e32 v17, 0x3377d1cf, v3
	v_fmac_f32_e32 v17, 0x3f317217, v3
	v_cndmask_b32_e64 v3, v3, v17, s[4:5]
	v_cndmask_b32_e32 v17, 0, v10, vcc
	v_sub_f32_e32 v3, v3, v17
	v_mul_f32_e32 v17, 0x3f317217, v2
	v_fma_f32 v17, v2, s11, -v17
	v_fmac_f32_e32 v17, 0x3377d1cf, v2
	v_fmac_f32_e32 v17, 0x3f317217, v2
	v_cmp_lt_f32_e64 vcc, |v2|, s12
	s_nop 1
	v_cndmask_b32_e32 v2, v2, v17, vcc
	v_cmp_lt_f32_e32 vcc, s9, v16
	v_cndmask_b32_e64 v17, 0, v10, s[2:3]
	v_sub_f32_e32 v2, v2, v17
	v_cndmask_b32_e32 v3, v3, v16, vcc
	v_mul_f32_e32 v16, 0x4f800000, v3
	v_cmp_gt_f32_e32 vcc, s10, v3
	v_cmp_lt_f32_e64 s[2:3], s9, v15
	s_nop 0
	v_cndmask_b32_e32 v3, v3, v16, vcc
	v_sqrt_f32_e32 v16, v3
	v_cndmask_b32_e64 v2, v2, v15, s[2:3]
	v_add_u32_e32 v15, -1, v16
	v_fma_f32 v17, -v15, v16, v3
	v_cmp_ge_f32_e64 s[2:3], 0, v17
	v_add_u32_e32 v17, 1, v16
	s_nop 0
	v_cndmask_b32_e64 v15, v16, v15, s[2:3]
	v_fma_f32 v16, -v17, v16, v3
	v_cmp_lt_f32_e64 s[2:3], 0, v16
	s_nop 1
	v_cndmask_b32_e64 v15, v15, v17, s[2:3]
	v_mul_f32_e32 v17, 0x4f800000, v2
	v_cmp_gt_f32_e64 s[2:3], s10, v2
	v_mul_f32_e32 v16, 0x37800000, v15
	v_cndmask_b32_e32 v15, v15, v16, vcc
	v_cndmask_b32_e64 v2, v2, v17, s[2:3]
	v_sqrt_f32_e32 v17, v2
	v_cmp_class_f32_e32 vcc, v3, v7
	v_add_u32_e32 v18, 1, v17
	s_nop 0
	v_cndmask_b32_e32 v3, v15, v3, vcc
	v_add_u32_e32 v15, -1, v17
	v_fma_f32 v16, -v15, v17, v2
	v_cmp_ge_f32_e32 vcc, 0, v16
	v_fma_f32 v19, -v18, v17, v2
	s_waitcnt vmcnt(5)
	v_mul_f32_e32 v16, 0x3fb8aa3b, v13
	v_cndmask_b32_e32 v15, v17, v15, vcc
	s_waitcnt vmcnt(4)
	v_mul_f32_e32 v17, 0x3fb8aa3b, v14
	v_exp_f32_e32 v16, v16
	v_exp_f32_e32 v17, v17
	v_cmp_lt_f32_e32 vcc, 0, v19
	v_pk_add_f32 v[16:17], v[16:17], 1.0 op_sel_hi:[1,0]
	s_nop 0
	v_cndmask_b32_e32 v15, v15, v18, vcc
	v_mul_f32_e32 v18, 0x37800000, v15
	v_cmp_gt_f32_e32 vcc, s13, v17
	v_cndmask_b32_e64 v15, v15, v18, s[2:3]
	v_cmp_class_f32_e64 s[2:3], v2, v7
	v_cndmask_b32_e32 v18, 1.0, v11, vcc
	v_mul_f32_e32 v17, v17, v18
	v_log_f32_e32 v17, v17
	v_cndmask_b32_e64 v2, v15, v2, s[2:3]
	v_cmp_gt_f32_e64 s[2:3], s13, v16
	scratch_store_dwordx4 off, v[0:3], off offset:48
	v_cmp_lt_f32_e64 s[4:5], |v17|, s12
	s_nop 0
	v_cndmask_b32_e64 v1, 1.0, v11, s[2:3]
	v_mul_f32_e32 v0, 0x3f317217, v17
	v_mul_f32_e32 v1, v16, v1
	v_fma_f32 v0, v17, s11, -v0
	v_log_f32_e32 v1, v1
	v_fmac_f32_e32 v0, 0x3377d1cf, v17
	v_fmac_f32_e32 v0, 0x3f317217, v17
	v_cndmask_b32_e64 v0, v17, v0, s[4:5]
	v_cndmask_b32_e32 v2, 0, v10, vcc
	v_sub_f32_e32 v0, v0, v2
	v_mul_f32_e32 v2, 0x3f317217, v1
	v_fma_f32 v2, v1, s11, -v2
	v_fmac_f32_e32 v2, 0x3377d1cf, v1
	v_fmac_f32_e32 v2, 0x3f317217, v1
	v_cmp_lt_f32_e64 vcc, |v1|, s12
	s_cselect_b64 s[4:5], -1, 0
	s_cmp_lt_i32 s33, 1
	v_cndmask_b32_e32 v1, v1, v2, vcc
	v_cmp_lt_f32_e32 vcc, s9, v14
	v_cndmask_b32_e64 v2, 0, v10, s[2:3]
	v_sub_f32_e32 v1, v1, v2
	v_cndmask_b32_e32 v0, v0, v14, vcc
	v_mul_f32_e32 v3, 0x4f800000, v0
	v_cmp_gt_f32_e32 vcc, s10, v0
	v_cmp_lt_f32_e64 s[2:3], s9, v13
	s_nop 0
	v_cndmask_b32_e32 v0, v0, v3, vcc
	v_sqrt_f32_e32 v3, v0
	v_cndmask_b32_e64 v1, v1, v13, s[2:3]
	v_add_u32_e32 v2, -1, v3
	v_fma_f32 v10, -v2, v3, v0
	v_cmp_ge_f32_e64 s[2:3], 0, v10
	v_add_u32_e32 v10, 1, v3
	s_nop 0
	v_cndmask_b32_e64 v2, v3, v2, s[2:3]
	v_fma_f32 v3, -v10, v3, v0
	v_cmp_lt_f32_e64 s[2:3], 0, v3
	s_nop 1
	v_cndmask_b32_e64 v2, v2, v10, s[2:3]
	v_mul_f32_e32 v10, 0x4f800000, v1
	v_cmp_gt_f32_e64 s[2:3], s10, v1
	v_mul_f32_e32 v3, 0x37800000, v2
	s_nop 0
	v_cndmask_b32_e64 v10, v1, v10, s[2:3]
	v_sqrt_f32_e32 v11, v10
	v_cndmask_b32_e32 v1, v2, v3, vcc
	v_cmp_class_f32_e32 vcc, v0, v7
	s_nop 1
	v_cndmask_b32_e32 v1, v1, v0, vcc
	v_add_u32_e32 v0, -1, v11
	v_fma_f32 v2, -v0, v11, v10
	v_cmp_ge_f32_e32 vcc, 0, v2
	v_add_u32_e32 v2, 1, v11
	v_fma_f32 v3, -v2, v11, v10
	v_cndmask_b32_e32 v0, v11, v0, vcc
	v_cmp_lt_f32_e32 vcc, 0, v3
	s_nop 1
	v_cndmask_b32_e32 v0, v0, v2, vcc
	v_mul_f32_e32 v2, 0x37800000, v0
	v_cndmask_b32_e64 v0, v0, v2, s[2:3]
	v_cmp_class_f32_e32 vcc, v10, v7
	v_mul_lo_u32 v2, v6, s33
	s_nop 0
	v_cndmask_b32_e32 v0, v0, v10, vcc
	scratch_store_dwordx2 off, v[0:1], off offset:64
	v_lshl_add_u64 v[0:1], v[4:5], 2, v[8:9]
	s_cbranch_scc1 .LBB118_29
; %bb.2:
	s_load_dwordx2 s[6:7], s[0:1], 0x20
	s_cmp_lt_u32 s33, 4
	v_mul_lo_u32 v6, v6, s33
	s_cbranch_scc1 .LBB118_21
; %bb.3:
	s_mov_b32 s11, 0
	s_and_b32 s8, s33, 0x7ffffffc
	v_ashrrev_i32_e32 v7, 31, v6
	v_mov_b32_e32 v5, 0
	s_mov_b32 s10, s11
	s_branch .LBB118_5
.LBB118_4:                              ;   in Loop: Header=BB118_5 Depth=1
	s_or_b64 exec, exec, s[12:13]
	s_add_i32 s10, s10, 4
	s_cmp_eq_u32 s10, s8
	s_cbranch_scc1 .LBB118_22
.LBB118_5:                              ; =>This Loop Header: Depth=1
                                        ;     Child Loop BB118_7 Depth 2
                                        ;     Child Loop BB118_11 Depth 2
	;; [unrolled: 1-line block ×4, first 2 shown]
	v_lshl_add_u64 v[8:9], s[10:11], 2, v[0:1]
	global_load_dword v3, v[8:9], off
	v_add_u32_e32 v10, s10, v6
	v_ashrrev_i32_e32 v11, 31, v10
	s_waitcnt lgkmcnt(0)
	v_lshl_add_u64 v[10:11], v[10:11], 2, s[6:7]
	v_mov_b32_e32 v4, 0
	s_mov_b64 s[12:13], 0
	v_mov_b32_e32 v13, v12
	s_mov_b32 s9, 0
	s_branch .LBB118_7
.LBB118_6:                              ;   in Loop: Header=BB118_7 Depth=2
	s_or_b64 exec, exec, s[14:15]
	s_add_i32 s16, s9, 1
	s_cmp_gt_u32 s9, 16
	s_cselect_b64 s[2:3], -1, 0
	s_xor_b64 s[14:15], vcc, -1
	s_or_b64 s[2:3], s[14:15], s[2:3]
	s_and_b64 s[2:3], exec, s[2:3]
	v_add_u32_e32 v13, 32, v13
	v_add_u32_e32 v4, 4, v4
	s_or_b64 s[12:13], s[2:3], s[12:13]
	s_mov_b32 s9, s16
	s_andn2_b64 exec, exec, s[12:13]
	s_cbranch_execz .LBB118_9
.LBB118_7:                              ;   Parent Loop BB118_5 Depth=1
                                        ; =>  This Inner Loop Header: Depth=2
	s_waitcnt vmcnt(0)
	v_cmp_ne_u32_e32 vcc, v3, v13
	v_cmp_eq_u32_e64 s[2:3], v3, v13
	s_and_saveexec_b64 s[14:15], s[2:3]
	s_cbranch_execz .LBB118_6
; %bb.8:                                ;   in Loop: Header=BB118_7 Depth=2
	scratch_load_dword v14, v4, off
	s_waitcnt vmcnt(0)
	v_add_f32_e32 v5, v5, v14
	global_store_dword v[10:11], v3, off
	s_branch .LBB118_6
.LBB118_9:                              ;   in Loop: Header=BB118_5 Depth=1
	s_or_b64 exec, exec, s[12:13]
	global_load_dword v3, v[8:9], off offset:4
	s_ashr_i32 s3, s10, 31
	s_mov_b32 s2, s10
	v_lshl_add_u64 v[10:11], s[2:3], 0, v[6:7]
	v_lshl_add_u64 v[10:11], v[10:11], 2, s[6:7]
	v_mov_b32_e32 v4, 0
	s_mov_b32 s9, 0
	s_mov_b64 s[12:13], 0
	v_mov_b32_e32 v13, v12
	s_branch .LBB118_11
.LBB118_10:                             ;   in Loop: Header=BB118_11 Depth=2
	s_or_b64 exec, exec, s[14:15]
	s_add_i32 s16, s9, 1
	s_cmp_gt_u32 s9, 16
	s_cselect_b64 s[2:3], -1, 0
	s_xor_b64 s[14:15], vcc, -1
	s_or_b64 s[2:3], s[14:15], s[2:3]
	s_and_b64 s[2:3], exec, s[2:3]
	v_add_u32_e32 v4, 4, v4
	v_add_u32_e32 v13, 32, v13
	s_or_b64 s[12:13], s[2:3], s[12:13]
	s_mov_b32 s9, s16
	s_andn2_b64 exec, exec, s[12:13]
	s_cbranch_execz .LBB118_13
.LBB118_11:                             ;   Parent Loop BB118_5 Depth=1
                                        ; =>  This Inner Loop Header: Depth=2
	s_waitcnt vmcnt(0)
	v_cmp_ne_u32_e32 vcc, v3, v13
	v_cmp_eq_u32_e64 s[2:3], v3, v13
	s_and_saveexec_b64 s[14:15], s[2:3]
	s_cbranch_execz .LBB118_10
; %bb.12:                               ;   in Loop: Header=BB118_11 Depth=2
	scratch_load_dword v14, v4, off
	s_waitcnt vmcnt(0)
	v_add_f32_e32 v5, v5, v14
	global_store_dword v[10:11], v3, off offset:4
	s_branch .LBB118_10
.LBB118_13:                             ;   in Loop: Header=BB118_5 Depth=1
	s_or_b64 exec, exec, s[12:13]
	global_load_dword v3, v[8:9], off offset:8
	v_mov_b32_e32 v4, 0
	s_mov_b32 s9, 0
	s_mov_b64 s[12:13], 0
	v_mov_b32_e32 v13, v12
	s_branch .LBB118_15
.LBB118_14:                             ;   in Loop: Header=BB118_15 Depth=2
	s_or_b64 exec, exec, s[14:15]
	s_add_i32 s16, s9, 1
	s_cmp_gt_u32 s9, 16
	s_cselect_b64 s[2:3], -1, 0
	s_xor_b64 s[14:15], vcc, -1
	s_or_b64 s[2:3], s[14:15], s[2:3]
	s_and_b64 s[2:3], exec, s[2:3]
	v_add_u32_e32 v4, 4, v4
	v_add_u32_e32 v13, 32, v13
	s_or_b64 s[12:13], s[2:3], s[12:13]
	s_mov_b32 s9, s16
	s_andn2_b64 exec, exec, s[12:13]
	s_cbranch_execz .LBB118_17
.LBB118_15:                             ;   Parent Loop BB118_5 Depth=1
                                        ; =>  This Inner Loop Header: Depth=2
	s_waitcnt vmcnt(0)
	v_cmp_ne_u32_e32 vcc, v3, v13
	v_cmp_eq_u32_e64 s[2:3], v3, v13
	s_and_saveexec_b64 s[14:15], s[2:3]
	s_cbranch_execz .LBB118_14
; %bb.16:                               ;   in Loop: Header=BB118_15 Depth=2
	scratch_load_dword v14, v4, off
	s_waitcnt vmcnt(0)
	v_add_f32_e32 v5, v5, v14
	global_store_dword v[10:11], v3, off offset:8
	s_branch .LBB118_14
.LBB118_17:                             ;   in Loop: Header=BB118_5 Depth=1
	s_or_b64 exec, exec, s[12:13]
	global_load_dword v3, v[8:9], off offset:12
	v_mov_b32_e32 v4, 0
	s_mov_b32 s9, 0
	s_mov_b64 s[12:13], 0
	v_mov_b32_e32 v8, v12
	s_branch .LBB118_19
.LBB118_18:                             ;   in Loop: Header=BB118_19 Depth=2
	s_or_b64 exec, exec, s[14:15]
	s_add_i32 s16, s9, 1
	s_cmp_gt_u32 s9, 16
	s_cselect_b64 s[2:3], -1, 0
	s_xor_b64 s[14:15], vcc, -1
	s_or_b64 s[2:3], s[14:15], s[2:3]
	s_and_b64 s[2:3], exec, s[2:3]
	v_add_u32_e32 v4, 4, v4
	v_add_u32_e32 v8, 32, v8
	s_or_b64 s[12:13], s[2:3], s[12:13]
	s_mov_b32 s9, s16
	s_andn2_b64 exec, exec, s[12:13]
	s_cbranch_execz .LBB118_4
.LBB118_19:                             ;   Parent Loop BB118_5 Depth=1
                                        ; =>  This Inner Loop Header: Depth=2
	s_waitcnt vmcnt(0)
	v_cmp_ne_u32_e32 vcc, v3, v8
	v_cmp_eq_u32_e64 s[2:3], v3, v8
	s_and_saveexec_b64 s[14:15], s[2:3]
	s_cbranch_execz .LBB118_18
; %bb.20:                               ;   in Loop: Header=BB118_19 Depth=2
	scratch_load_dword v9, v4, off
	s_waitcnt vmcnt(0)
	v_add_f32_e32 v5, v5, v9
	global_store_dword v[10:11], v3, off offset:12
	s_branch .LBB118_18
.LBB118_21:
	v_mov_b32_e32 v5, 0
.LBB118_22:
	s_and_b32 s14, s33, 3
	s_cmp_eq_u32 s14, 0
	s_mov_b32 s9, 0
	s_cbranch_scc1 .LBB118_29
; %bb.23:
	s_mov_b32 s15, s9
	s_branch .LBB118_25
.LBB118_24:                             ;   in Loop: Header=BB118_25 Depth=1
	s_or_b64 exec, exec, s[10:11]
	s_add_i32 s8, s8, 1
	s_add_i32 s15, s15, 1
	s_cmp_lg_u32 s15, s14
	s_cbranch_scc0 .LBB118_29
.LBB118_25:                             ; =>This Loop Header: Depth=1
                                        ;     Child Loop BB118_27 Depth 2
	v_lshl_add_u64 v[8:9], s[8:9], 2, v[0:1]
	global_load_dword v3, v[8:9], off
	v_add_u32_e32 v8, s8, v6
	v_ashrrev_i32_e32 v9, 31, v8
	s_waitcnt lgkmcnt(0)
	v_lshl_add_u64 v[8:9], v[8:9], 2, s[6:7]
	v_mov_b32_e32 v4, 0
	s_mov_b32 s16, 0
	s_mov_b64 s[10:11], 0
	v_mov_b32_e32 v7, v12
	s_branch .LBB118_27
.LBB118_26:                             ;   in Loop: Header=BB118_27 Depth=2
	s_or_b64 exec, exec, s[12:13]
	s_add_i32 s17, s16, 1
	s_cmp_gt_u32 s16, 16
	s_cselect_b64 s[2:3], -1, 0
	s_xor_b64 s[12:13], vcc, -1
	s_or_b64 s[2:3], s[12:13], s[2:3]
	s_and_b64 s[2:3], exec, s[2:3]
	v_add_u32_e32 v4, 4, v4
	v_add_u32_e32 v7, 32, v7
	s_or_b64 s[10:11], s[2:3], s[10:11]
	s_mov_b32 s16, s17
	s_andn2_b64 exec, exec, s[10:11]
	s_cbranch_execz .LBB118_24
.LBB118_27:                             ;   Parent Loop BB118_25 Depth=1
                                        ; =>  This Inner Loop Header: Depth=2
	s_waitcnt vmcnt(0)
	v_cmp_ne_u32_e32 vcc, v3, v7
	v_cmp_eq_u32_e64 s[2:3], v3, v7
	s_and_saveexec_b64 s[12:13], s[2:3]
	s_cbranch_execz .LBB118_26
; %bb.28:                               ;   in Loop: Header=BB118_27 Depth=2
	scratch_load_dword v10, v4, off
	s_waitcnt vmcnt(0)
	v_add_f32_e32 v5, v5, v10
	global_store_dword v[8:9], v3, off
	s_branch .LBB118_26
.LBB118_29:
	s_waitcnt lgkmcnt(0)
	s_load_dword s6, s[0:1], 0x3c
	s_waitcnt lgkmcnt(0)
	s_bitcmp1_b32 s6, 0
	s_cselect_b64 s[2:3], -1, 0
	s_bitcmp0_b32 s6, 0
	s_cbranch_scc0 .LBB118_32
; %bb.30:
	s_load_dwordx2 s[6:7], s[0:1], 0x40
	s_andn2_b64 vcc, exec, s[2:3]
	s_waitcnt lgkmcnt(0)
	v_cvt_f32_f64_e32 v4, s[6:7]
	s_cbranch_vccz .LBB118_33
.LBB118_31:
	s_andn2_b64 vcc, exec, s[4:5]
	s_cbranch_vccz .LBB118_34
	s_branch .LBB118_72
.LBB118_32:
	v_mbcnt_lo_u32_b32 v3, -1, 0
	v_mbcnt_hi_u32_b32 v3, -1, v3
	v_and_b32_e32 v4, 0x60, v3
	v_add_u32_e32 v4, 32, v4
	v_xor_b32_e32 v6, 16, v3
	v_cmp_lt_i32_e32 vcc, v6, v4
	v_xor_b32_e32 v7, 8, v3
	s_nop 0
	v_cndmask_b32_e32 v6, v3, v6, vcc
	v_lshlrev_b32_e32 v6, 2, v6
	ds_bpermute_b32 v6, v6, v5
	v_cmp_lt_i32_e32 vcc, v7, v4
	s_waitcnt lgkmcnt(0)
	v_add_f32_e32 v5, v5, v6
	v_cndmask_b32_e32 v6, v3, v7, vcc
	v_lshlrev_b32_e32 v6, 2, v6
	ds_bpermute_b32 v6, v6, v5
	v_xor_b32_e32 v7, 4, v3
	v_cmp_lt_i32_e32 vcc, v7, v4
	s_waitcnt lgkmcnt(0)
	v_add_f32_e32 v5, v5, v6
	v_cndmask_b32_e32 v6, v3, v7, vcc
	v_lshlrev_b32_e32 v6, 2, v6
	ds_bpermute_b32 v6, v6, v5
	v_xor_b32_e32 v7, 2, v3
	;; [unrolled: 7-line block ×3, first 2 shown]
	v_cmp_lt_i32_e32 vcc, v7, v4
	s_waitcnt lgkmcnt(0)
	v_add_f32_e32 v5, v5, v6
	v_cndmask_b32_e32 v3, v3, v7, vcc
	v_lshlrev_b32_e32 v3, 2, v3
	ds_bpermute_b32 v3, v3, v5
	s_waitcnt lgkmcnt(0)
	v_add_f32_e32 v5, v5, v3
	s_load_dwordx2 s[6:7], s[0:1], 0x40
	s_andn2_b64 vcc, exec, s[2:3]
	s_waitcnt lgkmcnt(0)
	v_cvt_f32_f64_e32 v4, s[6:7]
	s_cbranch_vccnz .LBB118_31
.LBB118_33:
	v_cmp_lt_f32_e32 vcc, 0, v5
	s_nop 1
	v_cndmask_b32_e32 v3, 1.0, v5, vcc
	v_div_scale_f32 v5, s[2:3], v3, v3, v4
	v_rcp_f32_e32 v6, v5
	s_nop 0
	v_fma_f32 v7, -v5, v6, 1.0
	v_fmac_f32_e32 v6, v7, v6
	v_div_scale_f32 v7, vcc, v4, v3, v4
	v_mul_f32_e32 v8, v7, v6
	v_fma_f32 v9, -v5, v8, v7
	v_fmac_f32_e32 v8, v9, v6
	v_fma_f32 v5, -v5, v8, v7
	v_div_fmas_f32 v5, v5, v6, v8
	v_div_fixup_f32 v4, v5, v3, v4
	s_andn2_b64 vcc, exec, s[4:5]
	s_cbranch_vccnz .LBB118_72
.LBB118_34:
	s_load_dwordx2 s[34:35], s[0:1], 0x10
	v_mov_b32_e32 v3, 0
	v_or_b32_e32 v5, 4, v3
	v_or_b32_e32 v6, 8, v3
	;; [unrolled: 1-line block ×3, first 2 shown]
	v_add_u32_e32 v8, 16, v3
	v_add_u32_e32 v9, 20, v3
	;; [unrolled: 1-line block ×14, first 2 shown]
	v_or_b32_e32 v23, 32, v12
	v_or_b32_e32 v24, 64, v12
	;; [unrolled: 1-line block ×17, first 2 shown]
	s_branch .LBB118_36
.LBB118_35:                             ;   in Loop: Header=BB118_36 Depth=1
	s_or_b64 exec, exec, s[0:1]
	s_add_i32 s33, s33, -1
	v_add_u32_e32 v2, 1, v2
	s_cmp_eq_u32 s33, 0
	v_lshl_add_u64 v[0:1], v[0:1], 0, 4
	s_cbranch_scc1 .LBB118_72
.LBB118_36:                             ; =>This Inner Loop Header: Depth=1
	global_load_dword v40, v[0:1], off
	v_mov_b32_e32 v3, 0
	s_waitcnt vmcnt(0)
	v_cmp_eq_u32_e32 vcc, v40, v12
	v_cmp_ne_u32_e64 s[0:1], v40, v12
	s_and_saveexec_b64 s[36:37], s[0:1]
	s_cbranch_execz .LBB118_70
; %bb.37:                               ;   in Loop: Header=BB118_36 Depth=1
	v_cmp_eq_u32_e64 s[0:1], v40, v23
	v_cmp_ne_u32_e64 s[2:3], v40, v23
	v_mov_b32_e32 v3, v5
	s_and_saveexec_b64 s[38:39], s[2:3]
	s_cbranch_execz .LBB118_69
; %bb.38:                               ;   in Loop: Header=BB118_36 Depth=1
	v_cmp_eq_u32_e64 s[2:3], v40, v24
	v_cmp_ne_u32_e64 s[4:5], v40, v24
	v_mov_b32_e32 v3, v6
	;; [unrolled: 6-line block ×16, first 2 shown]
	s_and_saveexec_b64 s[70:71], s[30:31]
	s_xor_b64 s[70:71], exec, s[70:71]
; %bb.53:                               ;   in Loop: Header=BB118_36 Depth=1
	v_cmp_eq_u32_e64 s[30:31], v40, v39
	s_andn2_b64 s[68:69], s[68:69], exec
	s_and_b64 s[30:31], s[30:31], exec
	s_or_b64 s[68:69], s[68:69], s[30:31]
	v_mov_b32_e32 v3, v22
; %bb.54:                               ;   in Loop: Header=BB118_36 Depth=1
	s_or_b64 exec, exec, s[70:71]
	s_andn2_b64 s[28:29], s[28:29], exec
	s_and_b64 s[30:31], s[68:69], exec
	s_or_b64 s[28:29], s[28:29], s[30:31]
.LBB118_55:                             ;   in Loop: Header=BB118_36 Depth=1
	s_or_b64 exec, exec, s[66:67]
	s_andn2_b64 s[26:27], s[26:27], exec
	s_and_b64 s[28:29], s[28:29], exec
	s_or_b64 s[26:27], s[26:27], s[28:29]
.LBB118_56:                             ;   in Loop: Header=BB118_36 Depth=1
	s_or_b64 exec, exec, s[64:65]
	s_andn2_b64 s[24:25], s[24:25], exec
	s_and_b64 s[26:27], s[26:27], exec
	s_or_b64 s[24:25], s[24:25], s[26:27]
.LBB118_57:                             ;   in Loop: Header=BB118_36 Depth=1
	s_or_b64 exec, exec, s[62:63]
	s_andn2_b64 s[22:23], s[22:23], exec
	s_and_b64 s[24:25], s[24:25], exec
	s_or_b64 s[22:23], s[22:23], s[24:25]
.LBB118_58:                             ;   in Loop: Header=BB118_36 Depth=1
	s_or_b64 exec, exec, s[60:61]
	s_andn2_b64 s[20:21], s[20:21], exec
	s_and_b64 s[22:23], s[22:23], exec
	s_or_b64 s[20:21], s[20:21], s[22:23]
.LBB118_59:                             ;   in Loop: Header=BB118_36 Depth=1
	s_or_b64 exec, exec, s[58:59]
	s_andn2_b64 s[18:19], s[18:19], exec
	s_and_b64 s[20:21], s[20:21], exec
	s_or_b64 s[18:19], s[18:19], s[20:21]
.LBB118_60:                             ;   in Loop: Header=BB118_36 Depth=1
	s_or_b64 exec, exec, s[56:57]
	s_andn2_b64 s[16:17], s[16:17], exec
	s_and_b64 s[18:19], s[18:19], exec
	s_or_b64 s[16:17], s[16:17], s[18:19]
.LBB118_61:                             ;   in Loop: Header=BB118_36 Depth=1
	s_or_b64 exec, exec, s[54:55]
	s_andn2_b64 s[14:15], s[14:15], exec
	s_and_b64 s[16:17], s[16:17], exec
	s_or_b64 s[14:15], s[14:15], s[16:17]
.LBB118_62:                             ;   in Loop: Header=BB118_36 Depth=1
	s_or_b64 exec, exec, s[52:53]
	s_andn2_b64 s[12:13], s[12:13], exec
	s_and_b64 s[14:15], s[14:15], exec
	s_or_b64 s[12:13], s[12:13], s[14:15]
.LBB118_63:                             ;   in Loop: Header=BB118_36 Depth=1
	s_or_b64 exec, exec, s[50:51]
	s_andn2_b64 s[10:11], s[10:11], exec
	s_and_b64 s[12:13], s[12:13], exec
	s_or_b64 s[10:11], s[10:11], s[12:13]
.LBB118_64:                             ;   in Loop: Header=BB118_36 Depth=1
	s_or_b64 exec, exec, s[48:49]
	s_andn2_b64 s[8:9], s[8:9], exec
	s_and_b64 s[10:11], s[10:11], exec
	s_or_b64 s[8:9], s[8:9], s[10:11]
.LBB118_65:                             ;   in Loop: Header=BB118_36 Depth=1
	s_or_b64 exec, exec, s[46:47]
	s_andn2_b64 s[6:7], s[6:7], exec
	s_and_b64 s[8:9], s[8:9], exec
	s_or_b64 s[6:7], s[6:7], s[8:9]
.LBB118_66:                             ;   in Loop: Header=BB118_36 Depth=1
	s_or_b64 exec, exec, s[44:45]
	s_andn2_b64 s[4:5], s[4:5], exec
	s_and_b64 s[6:7], s[6:7], exec
	s_or_b64 s[4:5], s[4:5], s[6:7]
.LBB118_67:                             ;   in Loop: Header=BB118_36 Depth=1
	s_or_b64 exec, exec, s[42:43]
	s_andn2_b64 s[2:3], s[2:3], exec
	s_and_b64 s[4:5], s[4:5], exec
	s_or_b64 s[2:3], s[2:3], s[4:5]
.LBB118_68:                             ;   in Loop: Header=BB118_36 Depth=1
	s_or_b64 exec, exec, s[40:41]
	s_andn2_b64 s[0:1], s[0:1], exec
	s_and_b64 s[2:3], s[2:3], exec
	s_or_b64 s[0:1], s[0:1], s[2:3]
.LBB118_69:                             ;   in Loop: Header=BB118_36 Depth=1
	s_or_b64 exec, exec, s[38:39]
	s_andn2_b64 s[2:3], vcc, exec
	s_and_b64 s[0:1], s[0:1], exec
	s_or_b64 vcc, s[2:3], s[0:1]
.LBB118_70:                             ;   in Loop: Header=BB118_36 Depth=1
	s_or_b64 exec, exec, s[36:37]
	s_and_saveexec_b64 s[0:1], vcc
	s_cbranch_execz .LBB118_35
; %bb.71:                               ;   in Loop: Header=BB118_36 Depth=1
	scratch_load_dword v40, v3, off
	v_ashrrev_i32_e32 v3, 31, v2
	s_waitcnt vmcnt(0)
	v_mul_f32_e32 v42, v4, v40
	s_waitcnt lgkmcnt(0)
	v_lshl_add_u64 v[40:41], v[2:3], 2, s[34:35]
	global_store_dword v[40:41], v42, off
	s_branch .LBB118_35
.LBB118_72:
	s_endpgm
	.section	.rodata,"a",@progbits
	.p2align	6, 0x0
	.amdhsa_kernel _ZN4vllm3moe22topkGatingSoftplusSqrtILi18ELi576ELi4ELi4ELi32ELb1EjfEEvPKT6_PKbPfiPT5_PiiiibdPKfPKS8_SE_
		.amdhsa_group_segment_fixed_size 0
		.amdhsa_private_segment_fixed_size 80
		.amdhsa_kernarg_size 96
		.amdhsa_user_sgpr_count 2
		.amdhsa_user_sgpr_dispatch_ptr 0
		.amdhsa_user_sgpr_queue_ptr 0
		.amdhsa_user_sgpr_kernarg_segment_ptr 1
		.amdhsa_user_sgpr_dispatch_id 0
		.amdhsa_user_sgpr_kernarg_preload_length 0
		.amdhsa_user_sgpr_kernarg_preload_offset 0
		.amdhsa_user_sgpr_private_segment_size 0
		.amdhsa_uses_dynamic_stack 0
		.amdhsa_enable_private_segment 1
		.amdhsa_system_sgpr_workgroup_id_x 1
		.amdhsa_system_sgpr_workgroup_id_y 0
		.amdhsa_system_sgpr_workgroup_id_z 0
		.amdhsa_system_sgpr_workgroup_info 0
		.amdhsa_system_vgpr_workitem_id 1
		.amdhsa_next_free_vgpr 43
		.amdhsa_next_free_sgpr 72
		.amdhsa_accum_offset 44
		.amdhsa_reserve_vcc 1
		.amdhsa_float_round_mode_32 0
		.amdhsa_float_round_mode_16_64 0
		.amdhsa_float_denorm_mode_32 3
		.amdhsa_float_denorm_mode_16_64 3
		.amdhsa_dx10_clamp 1
		.amdhsa_ieee_mode 1
		.amdhsa_fp16_overflow 0
		.amdhsa_tg_split 0
		.amdhsa_exception_fp_ieee_invalid_op 0
		.amdhsa_exception_fp_denorm_src 0
		.amdhsa_exception_fp_ieee_div_zero 0
		.amdhsa_exception_fp_ieee_overflow 0
		.amdhsa_exception_fp_ieee_underflow 0
		.amdhsa_exception_fp_ieee_inexact 0
		.amdhsa_exception_int_div_zero 0
	.end_amdhsa_kernel
	.section	.text._ZN4vllm3moe22topkGatingSoftplusSqrtILi18ELi576ELi4ELi4ELi32ELb1EjfEEvPKT6_PKbPfiPT5_PiiiibdPKfPKS8_SE_,"axG",@progbits,_ZN4vllm3moe22topkGatingSoftplusSqrtILi18ELi576ELi4ELi4ELi32ELb1EjfEEvPKT6_PKbPfiPT5_PiiiibdPKfPKS8_SE_,comdat
.Lfunc_end118:
	.size	_ZN4vllm3moe22topkGatingSoftplusSqrtILi18ELi576ELi4ELi4ELi32ELb1EjfEEvPKT6_PKbPfiPT5_PiiiibdPKfPKS8_SE_, .Lfunc_end118-_ZN4vllm3moe22topkGatingSoftplusSqrtILi18ELi576ELi4ELi4ELi32ELb1EjfEEvPKT6_PKbPfiPT5_PiiiibdPKfPKS8_SE_
                                        ; -- End function
	.section	.AMDGPU.csdata,"",@progbits
; Kernel info:
; codeLenInByte = 6696
; NumSgprs: 78
; NumVgprs: 43
; NumAgprs: 0
; TotalNumVgprs: 43
; ScratchSize: 80
; MemoryBound: 0
; FloatMode: 240
; IeeeMode: 1
; LDSByteSize: 0 bytes/workgroup (compile time only)
; SGPRBlocks: 9
; VGPRBlocks: 5
; NumSGPRsForWavesPerEU: 78
; NumVGPRsForWavesPerEU: 43
; AccumOffset: 44
; Occupancy: 8
; WaveLimiterHint : 1
; COMPUTE_PGM_RSRC2:SCRATCH_EN: 1
; COMPUTE_PGM_RSRC2:USER_SGPR: 2
; COMPUTE_PGM_RSRC2:TRAP_HANDLER: 0
; COMPUTE_PGM_RSRC2:TGID_X_EN: 1
; COMPUTE_PGM_RSRC2:TGID_Y_EN: 0
; COMPUTE_PGM_RSRC2:TGID_Z_EN: 0
; COMPUTE_PGM_RSRC2:TIDIG_COMP_CNT: 1
; COMPUTE_PGM_RSRC3_GFX90A:ACCUM_OFFSET: 10
; COMPUTE_PGM_RSRC3_GFX90A:TG_SPLIT: 0
	.section	.text._ZN4vllm3moe22topkGatingSoftplusSqrtILi18ELi576ELi4ELi4ELi32ELb0EjfEEvPKT6_PKbPfiPT5_PiiiibdPKfPKS8_SE_,"axG",@progbits,_ZN4vllm3moe22topkGatingSoftplusSqrtILi18ELi576ELi4ELi4ELi32ELb0EjfEEvPKT6_PKbPfiPT5_PiiiibdPKfPKS8_SE_,comdat
	.protected	_ZN4vllm3moe22topkGatingSoftplusSqrtILi18ELi576ELi4ELi4ELi32ELb0EjfEEvPKT6_PKbPfiPT5_PiiiibdPKfPKS8_SE_ ; -- Begin function _ZN4vllm3moe22topkGatingSoftplusSqrtILi18ELi576ELi4ELi4ELi32ELb0EjfEEvPKT6_PKbPfiPT5_PiiiibdPKfPKS8_SE_
	.globl	_ZN4vllm3moe22topkGatingSoftplusSqrtILi18ELi576ELi4ELi4ELi32ELb0EjfEEvPKT6_PKbPfiPT5_PiiiibdPKfPKS8_SE_
	.p2align	8
	.type	_ZN4vllm3moe22topkGatingSoftplusSqrtILi18ELi576ELi4ELi4ELi32ELb0EjfEEvPKT6_PKbPfiPT5_PiiiibdPKfPKS8_SE_,@function
_ZN4vllm3moe22topkGatingSoftplusSqrtILi18ELi576ELi4ELi4ELi32ELb0EjfEEvPKT6_PKbPfiPT5_PiiiibdPKfPKS8_SE_: ; @_ZN4vllm3moe22topkGatingSoftplusSqrtILi18ELi576ELi4ELi4ELi32ELb0EjfEEvPKT6_PKbPfiPT5_PiiiibdPKfPKS8_SE_
; %bb.0:
	s_load_dword s30, s[0:1], 0x18
	v_and_b32_e32 v1, 0x3ff, v0
	s_lshl_b32 s2, s2, 2
	v_lshrrev_b32_e32 v2, 5, v1
	v_bfe_u32 v0, v0, 10, 10
	v_add3_u32 v16, s2, v0, v2
	s_waitcnt lgkmcnt(0)
	v_cmp_gt_i32_e32 vcc, s30, v16
	s_and_saveexec_b64 s[2:3], vcc
	s_cbranch_execz .LBB119_83
; %bb.1:
	s_load_dwordx4 s[4:7], s[0:1], 0x0
	s_load_dwordx2 s[20:21], s[0:1], 0x10
	s_waitcnt lgkmcnt(0)
	s_cmp_eq_u64 s[6:7], 0
	s_cbranch_scc1 .LBB119_3
; %bb.2:
	v_ashrrev_i32_e32 v17, 31, v16
	v_lshl_add_u64 v[2:3], s[6:7], 0, v[16:17]
	global_load_ubyte v0, v[2:3], off
	s_waitcnt vmcnt(0)
	v_and_b32_e32 v0, 1, v0
	v_cmp_eq_u32_e32 vcc, 1, v0
	s_xor_b64 s[2:3], vcc, -1
	s_orn2_b64 s[22:23], s[2:3], exec
	s_branch .LBB119_4
.LBB119_3:
	s_mov_b64 s[22:23], -1
.LBB119_4:
	s_movk_i32 s2, 0x240
	v_mul_lo_u32 v4, v16, s2
	v_mov_b32_e32 v2, s4
	v_mov_b32_e32 v3, s5
	v_ashrrev_i32_e32 v5, 31, v4
	v_and_b32_e32 v18, 31, v1
	v_lshl_add_u64 v[2:3], v[4:5], 2, v[2:3]
	v_mov_b32_e32 v21, 0
	v_lshlrev_b32_e32 v20, 2, v18
	v_lshl_add_u64 v[24:25], v[2:3], 0, v[20:21]
	global_load_dword v12, v[24:25], off
	global_load_dword v13, v[24:25], off offset:128
	global_load_dword v14, v[24:25], off offset:256
	;; [unrolled: 1-line block ×17, first 2 shown]
	s_mov_b32 s16, 0x800000
	v_mov_b32_e32 v19, 0x4f800000
	s_mov_b32 s13, 0x3f317217
	s_mov_b32 s14, 0x7f800000
	v_mov_b32_e32 v21, 0x41b17218
	s_mov_b32 s12, 0x41a00000
	s_mov_b32 s15, 0xf800000
	s_load_dwordx4 s[8:11], s[0:1], 0x40
	v_mov_b32_e32 v17, 0x260
	s_waitcnt vmcnt(14)
	scratch_store_dwordx4 off, v[12:15], off
	s_waitcnt vmcnt(11)
	scratch_store_dwordx4 off, v[8:11], off offset:16
	v_mul_f32_e32 v24, 0x3fb8aa3b, v12
	v_exp_f32_e32 v24, v24
	s_waitcnt lgkmcnt(0)
	s_cmp_lg_u64 s[10:11], 0
	s_cselect_b64 s[6:7], -1, 0
	s_and_b64 vcc, exec, s[6:7]
	v_add_f32_e32 v24, 1.0, v24
	v_cmp_gt_f32_e64 s[2:3], s16, v24
	s_waitcnt vmcnt(8)
	scratch_store_dwordx4 off, v[4:7], off offset:32
	s_waitcnt vmcnt(5)
	scratch_store_dwordx4 off, v[0:3], off offset:48
	s_waitcnt vmcnt(4)
	scratch_store_dwordx2 off, v[22:23], off offset:64
	v_cndmask_b32_e64 v25, 1.0, v19, s[2:3]
	v_mul_f32_e32 v24, v24, v25
	v_log_f32_e32 v24, v24
	v_cndmask_b32_e64 v25, 0, v21, s[2:3]
	v_mul_f32_e32 v26, 0x3f317217, v24
	v_fma_f32 v26, v24, s13, -v26
	v_fmac_f32_e32 v26, 0x3377d1cf, v24
	v_fmac_f32_e32 v26, 0x3f317217, v24
	v_cmp_lt_f32_e64 s[2:3], |v24|, s14
	s_nop 1
	v_cndmask_b32_e64 v24, v24, v26, s[2:3]
	v_sub_f32_e32 v24, v24, v25
	v_cmp_lt_f32_e64 s[2:3], s12, v12
	s_nop 1
	v_cndmask_b32_e64 v12, v24, v12, s[2:3]
	v_mul_f32_e32 v24, 0x4f800000, v12
	v_cmp_gt_f32_e64 s[2:3], s15, v12
	s_nop 1
	v_cndmask_b32_e64 v12, v12, v24, s[2:3]
	v_sqrt_f32_e32 v24, v12
	s_nop 0
	v_add_u32_e32 v25, -1, v24
	v_add_u32_e32 v26, 1, v24
	v_fma_f32 v27, -v25, v24, v12
	v_fma_f32 v28, -v26, v24, v12
	v_cmp_ge_f32_e64 s[4:5], 0, v27
	s_nop 1
	v_cndmask_b32_e64 v24, v24, v25, s[4:5]
	v_cmp_lt_f32_e64 s[4:5], 0, v28
	s_nop 1
	v_cndmask_b32_e64 v24, v24, v26, s[4:5]
	v_mul_f32_e32 v25, 0x37800000, v24
	v_cndmask_b32_e64 v24, v24, v25, s[2:3]
	v_cmp_class_f32_e64 s[2:3], v12, v17
	s_nop 1
	v_cndmask_b32_e64 v12, v24, v12, s[2:3]
	s_cbranch_vccz .LBB119_6
; %bb.5:
	global_load_dword v24, v20, s[10:11]
	s_waitcnt vmcnt(0)
	v_add_f32_e32 v12, v12, v24
.LBB119_6:
	v_mul_f32_e32 v24, 0x3fb8aa3b, v13
	v_exp_f32_e32 v24, v24
	scratch_store_dword off, v12, off
	v_add_f32_e32 v24, 1.0, v24
	v_cmp_gt_f32_e32 vcc, s16, v24
	s_nop 1
	v_cndmask_b32_e32 v19, 1.0, v19, vcc
	v_mul_f32_e32 v19, v24, v19
	v_log_f32_e32 v19, v19
	v_cndmask_b32_e32 v21, 0, v21, vcc
	v_mul_f32_e32 v24, 0x3f317217, v19
	v_fma_f32 v24, v19, s13, -v24
	v_fmac_f32_e32 v24, 0x3377d1cf, v19
	v_fmac_f32_e32 v24, 0x3f317217, v19
	v_cmp_lt_f32_e64 vcc, |v19|, s14
	s_nop 1
	v_cndmask_b32_e32 v19, v19, v24, vcc
	v_sub_f32_e32 v19, v19, v21
	v_cmp_lt_f32_e32 vcc, s12, v13
	s_nop 1
	v_cndmask_b32_e32 v13, v19, v13, vcc
	v_mul_f32_e32 v19, 0x4f800000, v13
	v_cmp_gt_f32_e32 vcc, s15, v13
	s_nop 1
	v_cndmask_b32_e32 v13, v13, v19, vcc
	v_sqrt_f32_e32 v19, v13
	v_cmp_class_f32_e64 s[4:5], v13, v17
	v_add_u32_e32 v12, -1, v19
	v_add_u32_e32 v21, 1, v19
	v_fma_f32 v24, -v12, v19, v13
	v_fma_f32 v25, -v21, v19, v13
	v_cmp_ge_f32_e64 s[2:3], 0, v24
	s_nop 1
	v_cndmask_b32_e64 v12, v19, v12, s[2:3]
	v_cmp_lt_f32_e64 s[2:3], 0, v25
	s_nop 1
	v_cndmask_b32_e64 v12, v12, v21, s[2:3]
	v_mul_f32_e32 v19, 0x37800000, v12
	v_cndmask_b32_e32 v12, v12, v19, vcc
	v_cndmask_b32_e64 v19, 0, 1, s[6:7]
	v_cmp_ne_u32_e64 s[2:3], 1, v19
	s_andn2_b64 vcc, exec, s[6:7]
	v_cndmask_b32_e64 v13, v12, v13, s[4:5]
	s_cbranch_vccnz .LBB119_8
; %bb.7:
	global_load_dword v12, v20, s[10:11] offset:128
	s_waitcnt vmcnt(0)
	v_add_f32_e32 v13, v13, v12
.LBB119_8:
	v_mul_f32_e32 v12, 0x3fb8aa3b, v14
	v_exp_f32_e32 v17, v12
	s_mov_b32 s13, 0x800000
	v_mov_b32_e32 v12, 0x4f800000
	s_mov_b32 s7, 0x3f317217
	v_add_f32_e32 v17, 1.0, v17
	v_cmp_gt_f32_e32 vcc, s13, v17
	s_mov_b32 s12, 0x7f800000
	s_mov_b32 s6, 0x41a00000
	v_cndmask_b32_e32 v19, 1.0, v12, vcc
	v_mul_f32_e32 v17, v17, v19
	v_log_f32_e32 v17, v17
	s_mov_b32 s14, 0xf800000
	scratch_store_dword off, v13, off offset:4
	v_mul_f32_e32 v19, 0x3f317217, v17
	v_fma_f32 v19, v17, s7, -v19
	v_fmac_f32_e32 v19, 0x3377d1cf, v17
	v_fmac_f32_e32 v19, 0x3f317217, v17
	v_cmp_lt_f32_e64 s[4:5], |v17|, s12
	s_nop 1
	v_cndmask_b32_e64 v19, v17, v19, s[4:5]
	v_mov_b32_e32 v17, 0x41b17218
	v_cndmask_b32_e32 v21, 0, v17, vcc
	v_sub_f32_e32 v19, v19, v21
	v_cmp_lt_f32_e32 vcc, s6, v14
	s_nop 1
	v_cndmask_b32_e32 v14, v19, v14, vcc
	v_mul_f32_e32 v19, 0x4f800000, v14
	v_cmp_gt_f32_e32 vcc, s14, v14
	s_nop 1
	v_cndmask_b32_e32 v14, v14, v19, vcc
	v_sqrt_f32_e32 v19, v14
	s_nop 0
	v_add_u32_e32 v13, -1, v19
	v_fma_f32 v21, -v13, v19, v14
	v_cmp_ge_f32_e64 s[4:5], 0, v21
	v_add_u32_e32 v21, 1, v19
	s_nop 0
	v_cndmask_b32_e64 v13, v19, v13, s[4:5]
	v_fma_f32 v19, -v21, v19, v14
	v_cmp_lt_f32_e64 s[4:5], 0, v19
	s_nop 1
	v_cndmask_b32_e64 v13, v13, v21, s[4:5]
	v_mul_f32_e32 v19, 0x37800000, v13
	v_cndmask_b32_e32 v19, v13, v19, vcc
	v_mov_b32_e32 v13, 0x260
	v_cmp_class_f32_e64 s[4:5], v14, v13
	s_and_b64 vcc, exec, s[2:3]
	s_nop 0
	v_cndmask_b32_e64 v14, v19, v14, s[4:5]
	s_cbranch_vccnz .LBB119_10
; %bb.9:
	global_load_dword v19, v20, s[10:11] offset:256
	s_waitcnt vmcnt(0)
	v_add_f32_e32 v14, v14, v19
.LBB119_10:
	v_mul_f32_e32 v19, 0x3fb8aa3b, v15
	v_exp_f32_e32 v19, v19
	scratch_store_dword off, v14, off offset:8
	v_add_f32_e32 v19, 1.0, v19
	v_cmp_gt_f32_e32 vcc, s13, v19
	s_nop 1
	v_cndmask_b32_e32 v12, 1.0, v12, vcc
	v_mul_f32_e32 v12, v19, v12
	v_log_f32_e32 v12, v12
	v_cndmask_b32_e32 v17, 0, v17, vcc
	v_mul_f32_e32 v19, 0x3f317217, v12
	v_fma_f32 v19, v12, s7, -v19
	v_fmac_f32_e32 v19, 0x3377d1cf, v12
	v_fmac_f32_e32 v19, 0x3f317217, v12
	v_cmp_lt_f32_e64 vcc, |v12|, s12
	s_nop 1
	v_cndmask_b32_e32 v12, v12, v19, vcc
	v_sub_f32_e32 v12, v12, v17
	v_cmp_lt_f32_e32 vcc, s6, v15
	s_nop 1
	v_cndmask_b32_e32 v12, v12, v15, vcc
	v_mul_f32_e32 v15, 0x4f800000, v12
	v_cmp_gt_f32_e32 vcc, s14, v12
	s_nop 1
	v_cndmask_b32_e32 v12, v12, v15, vcc
	v_sqrt_f32_e32 v15, v12
	s_nop 0
	v_add_u32_e32 v14, -1, v15
	v_add_u32_e32 v17, 1, v15
	v_fma_f32 v19, -v14, v15, v12
	v_fma_f32 v21, -v17, v15, v12
	v_cmp_ge_f32_e64 s[4:5], 0, v19
	s_nop 1
	v_cndmask_b32_e64 v14, v15, v14, s[4:5]
	v_cmp_lt_f32_e64 s[4:5], 0, v21
	s_nop 1
	v_cndmask_b32_e64 v14, v14, v17, s[4:5]
	v_mul_f32_e32 v15, 0x37800000, v14
	v_cndmask_b32_e32 v14, v14, v15, vcc
	v_cmp_class_f32_e64 s[4:5], v12, v13
	s_and_b64 vcc, exec, s[2:3]
	s_nop 0
	v_cndmask_b32_e64 v14, v14, v12, s[4:5]
	s_cbranch_vccnz .LBB119_12
; %bb.11:
	global_load_dword v12, v20, s[10:11] offset:384
	s_waitcnt vmcnt(0)
	v_add_f32_e32 v14, v14, v12
.LBB119_12:
	v_mul_f32_e32 v12, 0x3fb8aa3b, v8
	v_exp_f32_e32 v13, v12
	v_mov_b32_e32 v12, 0x4f800000
	scratch_store_dword off, v14, off offset:12
	v_add_f32_e32 v13, 1.0, v13
	v_cmp_gt_f32_e32 vcc, s13, v13
	s_nop 1
	v_cndmask_b32_e32 v15, 1.0, v12, vcc
	v_mul_f32_e32 v13, v13, v15
	v_log_f32_e32 v13, v13
	s_nop 0
	v_mul_f32_e32 v15, 0x3f317217, v13
	v_fma_f32 v15, v13, s7, -v15
	v_fmac_f32_e32 v15, 0x3377d1cf, v13
	v_fmac_f32_e32 v15, 0x3f317217, v13
	v_cmp_lt_f32_e64 s[4:5], |v13|, s12
	s_nop 1
	v_cndmask_b32_e64 v15, v13, v15, s[4:5]
	v_mov_b32_e32 v13, 0x41b17218
	v_cndmask_b32_e32 v17, 0, v13, vcc
	v_sub_f32_e32 v15, v15, v17
	v_cmp_lt_f32_e32 vcc, s6, v8
	s_nop 1
	v_cndmask_b32_e32 v8, v15, v8, vcc
	v_mul_f32_e32 v15, 0x4f800000, v8
	v_cmp_gt_f32_e32 vcc, s14, v8
	s_nop 1
	v_cndmask_b32_e32 v15, v8, v15, vcc
	v_sqrt_f32_e32 v8, v15
	s_nop 0
	v_add_u32_e32 v14, -1, v8
	v_fma_f32 v17, -v14, v8, v15
	v_cmp_ge_f32_e64 s[4:5], 0, v17
	v_add_u32_e32 v17, 1, v8
	s_nop 0
	v_cndmask_b32_e64 v14, v8, v14, s[4:5]
	v_fma_f32 v8, -v17, v8, v15
	v_cmp_lt_f32_e64 s[4:5], 0, v8
	s_nop 1
	v_cndmask_b32_e64 v8, v14, v17, s[4:5]
	v_mul_f32_e32 v14, 0x37800000, v8
	v_cndmask_b32_e32 v14, v8, v14, vcc
	v_mov_b32_e32 v8, 0x260
	v_cmp_class_f32_e64 s[4:5], v15, v8
	s_and_b64 vcc, exec, s[2:3]
	s_nop 0
	v_cndmask_b32_e64 v14, v14, v15, s[4:5]
	s_cbranch_vccnz .LBB119_14
; %bb.13:
	global_load_dword v15, v20, s[10:11] offset:512
	s_waitcnt vmcnt(0)
	v_add_f32_e32 v14, v14, v15
.LBB119_14:
	v_mul_f32_e32 v15, 0x3fb8aa3b, v9
	v_exp_f32_e32 v15, v15
	scratch_store_dword off, v14, off offset:16
	v_add_f32_e32 v15, 1.0, v15
	v_cmp_gt_f32_e32 vcc, s13, v15
	s_nop 1
	v_cndmask_b32_e32 v12, 1.0, v12, vcc
	v_mul_f32_e32 v12, v15, v12
	v_log_f32_e32 v12, v12
	v_cndmask_b32_e32 v13, 0, v13, vcc
	v_mul_f32_e32 v15, 0x3f317217, v12
	v_fma_f32 v15, v12, s7, -v15
	v_fmac_f32_e32 v15, 0x3377d1cf, v12
	v_fmac_f32_e32 v15, 0x3f317217, v12
	v_cmp_lt_f32_e64 vcc, |v12|, s12
	s_nop 1
	v_cndmask_b32_e32 v12, v12, v15, vcc
	v_sub_f32_e32 v12, v12, v13
	v_cmp_lt_f32_e32 vcc, s6, v9
	s_nop 1
	v_cndmask_b32_e32 v9, v12, v9, vcc
	v_mul_f32_e32 v12, 0x4f800000, v9
	v_cmp_gt_f32_e32 vcc, s14, v9
	s_nop 1
	v_cndmask_b32_e32 v9, v9, v12, vcc
	v_sqrt_f32_e32 v12, v9
	s_nop 0
	v_add_u32_e32 v13, -1, v12
	v_add_u32_e32 v14, 1, v12
	v_fma_f32 v15, -v13, v12, v9
	v_fma_f32 v17, -v14, v12, v9
	v_cmp_ge_f32_e64 s[4:5], 0, v15
	s_nop 1
	v_cndmask_b32_e64 v12, v12, v13, s[4:5]
	v_cmp_lt_f32_e64 s[4:5], 0, v17
	s_nop 1
	v_cndmask_b32_e64 v12, v12, v14, s[4:5]
	v_mul_f32_e32 v13, 0x37800000, v12
	v_cndmask_b32_e32 v12, v12, v13, vcc
	v_cmp_class_f32_e64 s[4:5], v9, v8
	s_and_b64 vcc, exec, s[2:3]
	s_nop 0
	v_cndmask_b32_e64 v9, v12, v9, s[4:5]
	s_cbranch_vccnz .LBB119_16
; %bb.15:
	global_load_dword v8, v20, s[10:11] offset:640
	s_waitcnt vmcnt(0)
	v_add_f32_e32 v9, v9, v8
.LBB119_16:
	v_mul_f32_e32 v8, 0x3fb8aa3b, v10
	v_exp_f32_e32 v12, v8
	v_mov_b32_e32 v8, 0x4f800000
	scratch_store_dword off, v9, off offset:20
	v_add_f32_e32 v12, 1.0, v12
	v_cmp_gt_f32_e32 vcc, s13, v12
	s_nop 1
	v_cndmask_b32_e32 v13, 1.0, v8, vcc
	v_mul_f32_e32 v12, v12, v13
	v_log_f32_e32 v12, v12
	s_nop 0
	v_mul_f32_e32 v13, 0x3f317217, v12
	v_fma_f32 v13, v12, s7, -v13
	v_fmac_f32_e32 v13, 0x3377d1cf, v12
	v_fmac_f32_e32 v13, 0x3f317217, v12
	v_cmp_lt_f32_e64 s[4:5], |v12|, s12
	s_nop 1
	v_cndmask_b32_e64 v13, v12, v13, s[4:5]
	v_mov_b32_e32 v12, 0x41b17218
	v_cndmask_b32_e32 v14, 0, v12, vcc
	v_sub_f32_e32 v13, v13, v14
	v_cmp_lt_f32_e32 vcc, s6, v10
	s_nop 1
	v_cndmask_b32_e32 v10, v13, v10, vcc
	v_mul_f32_e32 v13, 0x4f800000, v10
	v_cmp_gt_f32_e32 vcc, s14, v10
	s_nop 1
	v_cndmask_b32_e32 v10, v10, v13, vcc
	v_sqrt_f32_e32 v13, v10
	s_nop 0
	v_add_u32_e32 v9, -1, v13
	v_fma_f32 v14, -v9, v13, v10
	v_cmp_ge_f32_e64 s[4:5], 0, v14
	v_add_u32_e32 v14, 1, v13
	s_nop 0
	v_cndmask_b32_e64 v9, v13, v9, s[4:5]
	v_fma_f32 v13, -v14, v13, v10
	v_cmp_lt_f32_e64 s[4:5], 0, v13
	s_nop 1
	v_cndmask_b32_e64 v9, v9, v14, s[4:5]
	v_mul_f32_e32 v13, 0x37800000, v9
	v_cndmask_b32_e32 v13, v9, v13, vcc
	v_mov_b32_e32 v9, 0x260
	v_cmp_class_f32_e64 s[4:5], v10, v9
	s_and_b64 vcc, exec, s[2:3]
	s_nop 0
	v_cndmask_b32_e64 v10, v13, v10, s[4:5]
	s_cbranch_vccnz .LBB119_18
; %bb.17:
	global_load_dword v13, v20, s[10:11] offset:768
	s_waitcnt vmcnt(0)
	v_add_f32_e32 v10, v10, v13
.LBB119_18:
	v_mul_f32_e32 v13, 0x3fb8aa3b, v11
	v_exp_f32_e32 v13, v13
	scratch_store_dword off, v10, off offset:24
	v_add_f32_e32 v13, 1.0, v13
	v_cmp_gt_f32_e32 vcc, s13, v13
	s_nop 1
	v_cndmask_b32_e32 v8, 1.0, v8, vcc
	v_mul_f32_e32 v8, v13, v8
	v_log_f32_e32 v8, v8
	v_cndmask_b32_e32 v12, 0, v12, vcc
	v_mul_f32_e32 v13, 0x3f317217, v8
	v_fma_f32 v13, v8, s7, -v13
	v_fmac_f32_e32 v13, 0x3377d1cf, v8
	v_fmac_f32_e32 v13, 0x3f317217, v8
	v_cmp_lt_f32_e64 vcc, |v8|, s12
	s_nop 1
	v_cndmask_b32_e32 v8, v8, v13, vcc
	v_sub_f32_e32 v8, v8, v12
	v_cmp_lt_f32_e32 vcc, s6, v11
	s_nop 1
	v_cndmask_b32_e32 v8, v8, v11, vcc
	v_mul_f32_e32 v11, 0x4f800000, v8
	v_cmp_gt_f32_e32 vcc, s14, v8
	s_nop 1
	v_cndmask_b32_e32 v8, v8, v11, vcc
	v_sqrt_f32_e32 v11, v8
	s_nop 0
	v_add_u32_e32 v10, -1, v11
	v_add_u32_e32 v12, 1, v11
	v_fma_f32 v13, -v10, v11, v8
	v_fma_f32 v14, -v12, v11, v8
	v_cmp_ge_f32_e64 s[4:5], 0, v13
	s_nop 1
	v_cndmask_b32_e64 v10, v11, v10, s[4:5]
	v_cmp_lt_f32_e64 s[4:5], 0, v14
	s_nop 1
	v_cndmask_b32_e64 v10, v10, v12, s[4:5]
	v_mul_f32_e32 v11, 0x37800000, v10
	v_cndmask_b32_e32 v10, v10, v11, vcc
	v_cmp_class_f32_e64 s[4:5], v8, v9
	s_and_b64 vcc, exec, s[2:3]
	s_nop 0
	v_cndmask_b32_e64 v10, v10, v8, s[4:5]
	s_cbranch_vccnz .LBB119_20
; %bb.19:
	global_load_dword v8, v20, s[10:11] offset:896
	s_waitcnt vmcnt(0)
	v_add_f32_e32 v10, v10, v8
.LBB119_20:
	v_mul_f32_e32 v8, 0x3fb8aa3b, v4
	v_exp_f32_e32 v9, v8
	v_mov_b32_e32 v8, 0x4f800000
	scratch_store_dword off, v10, off offset:28
	v_add_f32_e32 v9, 1.0, v9
	v_cmp_gt_f32_e32 vcc, s13, v9
	s_nop 1
	v_cndmask_b32_e32 v11, 1.0, v8, vcc
	v_mul_f32_e32 v9, v9, v11
	v_log_f32_e32 v9, v9
	s_nop 0
	v_mul_f32_e32 v11, 0x3f317217, v9
	v_fma_f32 v11, v9, s7, -v11
	v_fmac_f32_e32 v11, 0x3377d1cf, v9
	v_fmac_f32_e32 v11, 0x3f317217, v9
	v_cmp_lt_f32_e64 s[4:5], |v9|, s12
	s_nop 1
	v_cndmask_b32_e64 v11, v9, v11, s[4:5]
	v_mov_b32_e32 v9, 0x41b17218
	v_cndmask_b32_e32 v12, 0, v9, vcc
	v_sub_f32_e32 v11, v11, v12
	v_cmp_lt_f32_e32 vcc, s6, v4
	s_nop 1
	v_cndmask_b32_e32 v4, v11, v4, vcc
	v_mul_f32_e32 v11, 0x4f800000, v4
	v_cmp_gt_f32_e32 vcc, s14, v4
	s_nop 1
	v_cndmask_b32_e32 v11, v4, v11, vcc
	v_sqrt_f32_e32 v4, v11
	s_nop 0
	v_add_u32_e32 v10, -1, v4
	v_fma_f32 v12, -v10, v4, v11
	v_cmp_ge_f32_e64 s[4:5], 0, v12
	v_add_u32_e32 v12, 1, v4
	s_nop 0
	v_cndmask_b32_e64 v10, v4, v10, s[4:5]
	v_fma_f32 v4, -v12, v4, v11
	v_cmp_lt_f32_e64 s[4:5], 0, v4
	s_nop 1
	v_cndmask_b32_e64 v4, v10, v12, s[4:5]
	v_mul_f32_e32 v10, 0x37800000, v4
	v_cndmask_b32_e32 v10, v4, v10, vcc
	v_mov_b32_e32 v4, 0x260
	v_cmp_class_f32_e64 s[4:5], v11, v4
	s_and_b64 vcc, exec, s[2:3]
	s_nop 0
	v_cndmask_b32_e64 v10, v10, v11, s[4:5]
	s_cbranch_vccnz .LBB119_22
; %bb.21:
	global_load_dword v11, v20, s[10:11] offset:1024
	s_waitcnt vmcnt(0)
	v_add_f32_e32 v10, v10, v11
.LBB119_22:
	v_mul_f32_e32 v11, 0x3fb8aa3b, v5
	v_exp_f32_e32 v11, v11
	scratch_store_dword off, v10, off offset:32
	v_add_f32_e32 v11, 1.0, v11
	v_cmp_gt_f32_e32 vcc, s13, v11
	s_nop 1
	v_cndmask_b32_e32 v8, 1.0, v8, vcc
	v_mul_f32_e32 v8, v11, v8
	v_log_f32_e32 v8, v8
	v_cndmask_b32_e32 v9, 0, v9, vcc
	v_mul_f32_e32 v11, 0x3f317217, v8
	v_fma_f32 v11, v8, s7, -v11
	v_fmac_f32_e32 v11, 0x3377d1cf, v8
	v_fmac_f32_e32 v11, 0x3f317217, v8
	v_cmp_lt_f32_e64 vcc, |v8|, s12
	s_nop 1
	v_cndmask_b32_e32 v8, v8, v11, vcc
	v_sub_f32_e32 v8, v8, v9
	v_cmp_lt_f32_e32 vcc, s6, v5
	s_nop 1
	v_cndmask_b32_e32 v5, v8, v5, vcc
	v_mul_f32_e32 v8, 0x4f800000, v5
	v_cmp_gt_f32_e32 vcc, s14, v5
	s_nop 1
	v_cndmask_b32_e32 v5, v5, v8, vcc
	v_sqrt_f32_e32 v8, v5
	s_nop 0
	v_add_u32_e32 v9, -1, v8
	v_add_u32_e32 v10, 1, v8
	v_fma_f32 v11, -v9, v8, v5
	v_fma_f32 v12, -v10, v8, v5
	v_cmp_ge_f32_e64 s[4:5], 0, v11
	s_nop 1
	v_cndmask_b32_e64 v8, v8, v9, s[4:5]
	v_cmp_lt_f32_e64 s[4:5], 0, v12
	s_nop 1
	v_cndmask_b32_e64 v8, v8, v10, s[4:5]
	v_mul_f32_e32 v9, 0x37800000, v8
	v_cndmask_b32_e32 v8, v8, v9, vcc
	v_cmp_class_f32_e64 s[4:5], v5, v4
	s_and_b64 vcc, exec, s[2:3]
	s_nop 0
	v_cndmask_b32_e64 v5, v8, v5, s[4:5]
	s_cbranch_vccnz .LBB119_24
; %bb.23:
	global_load_dword v4, v20, s[10:11] offset:1152
	s_waitcnt vmcnt(0)
	v_add_f32_e32 v5, v5, v4
.LBB119_24:
	v_mul_f32_e32 v4, 0x3fb8aa3b, v6
	v_exp_f32_e32 v8, v4
	v_mov_b32_e32 v4, 0x4f800000
	scratch_store_dword off, v5, off offset:36
	v_add_f32_e32 v8, 1.0, v8
	v_cmp_gt_f32_e32 vcc, s13, v8
	s_nop 1
	v_cndmask_b32_e32 v9, 1.0, v4, vcc
	v_mul_f32_e32 v8, v8, v9
	v_log_f32_e32 v8, v8
	s_nop 0
	v_mul_f32_e32 v9, 0x3f317217, v8
	v_fma_f32 v9, v8, s7, -v9
	v_fmac_f32_e32 v9, 0x3377d1cf, v8
	v_fmac_f32_e32 v9, 0x3f317217, v8
	v_cmp_lt_f32_e64 s[4:5], |v8|, s12
	s_nop 1
	v_cndmask_b32_e64 v9, v8, v9, s[4:5]
	v_mov_b32_e32 v8, 0x41b17218
	v_cndmask_b32_e32 v10, 0, v8, vcc
	v_sub_f32_e32 v9, v9, v10
	v_cmp_lt_f32_e32 vcc, s6, v6
	s_nop 1
	v_cndmask_b32_e32 v6, v9, v6, vcc
	v_mul_f32_e32 v9, 0x4f800000, v6
	v_cmp_gt_f32_e32 vcc, s14, v6
	s_nop 1
	v_cndmask_b32_e32 v6, v6, v9, vcc
	v_sqrt_f32_e32 v9, v6
	s_nop 0
	v_add_u32_e32 v5, -1, v9
	v_fma_f32 v10, -v5, v9, v6
	v_cmp_ge_f32_e64 s[4:5], 0, v10
	v_add_u32_e32 v10, 1, v9
	s_nop 0
	v_cndmask_b32_e64 v5, v9, v5, s[4:5]
	v_fma_f32 v9, -v10, v9, v6
	v_cmp_lt_f32_e64 s[4:5], 0, v9
	s_nop 1
	v_cndmask_b32_e64 v5, v5, v10, s[4:5]
	v_mul_f32_e32 v9, 0x37800000, v5
	v_cndmask_b32_e32 v9, v5, v9, vcc
	v_mov_b32_e32 v5, 0x260
	v_cmp_class_f32_e64 s[4:5], v6, v5
	s_and_b64 vcc, exec, s[2:3]
	s_nop 0
	v_cndmask_b32_e64 v6, v9, v6, s[4:5]
	s_cbranch_vccnz .LBB119_26
; %bb.25:
	global_load_dword v9, v20, s[10:11] offset:1280
	s_waitcnt vmcnt(0)
	v_add_f32_e32 v6, v6, v9
.LBB119_26:
	v_mul_f32_e32 v9, 0x3fb8aa3b, v7
	v_exp_f32_e32 v9, v9
	scratch_store_dword off, v6, off offset:40
	v_add_f32_e32 v9, 1.0, v9
	v_cmp_gt_f32_e32 vcc, s13, v9
	s_nop 1
	v_cndmask_b32_e32 v4, 1.0, v4, vcc
	v_mul_f32_e32 v4, v9, v4
	v_log_f32_e32 v4, v4
	v_cndmask_b32_e32 v8, 0, v8, vcc
	v_mul_f32_e32 v9, 0x3f317217, v4
	v_fma_f32 v9, v4, s7, -v9
	v_fmac_f32_e32 v9, 0x3377d1cf, v4
	v_fmac_f32_e32 v9, 0x3f317217, v4
	v_cmp_lt_f32_e64 vcc, |v4|, s12
	s_nop 1
	v_cndmask_b32_e32 v4, v4, v9, vcc
	v_sub_f32_e32 v4, v4, v8
	v_cmp_lt_f32_e32 vcc, s6, v7
	s_nop 1
	v_cndmask_b32_e32 v4, v4, v7, vcc
	v_mul_f32_e32 v7, 0x4f800000, v4
	v_cmp_gt_f32_e32 vcc, s14, v4
	s_nop 1
	v_cndmask_b32_e32 v4, v4, v7, vcc
	v_sqrt_f32_e32 v7, v4
	s_nop 0
	v_add_u32_e32 v6, -1, v7
	v_add_u32_e32 v8, 1, v7
	v_fma_f32 v9, -v6, v7, v4
	v_fma_f32 v10, -v8, v7, v4
	v_cmp_ge_f32_e64 s[4:5], 0, v9
	s_nop 1
	v_cndmask_b32_e64 v6, v7, v6, s[4:5]
	v_cmp_lt_f32_e64 s[4:5], 0, v10
	s_nop 1
	v_cndmask_b32_e64 v6, v6, v8, s[4:5]
	v_mul_f32_e32 v7, 0x37800000, v6
	v_cndmask_b32_e32 v6, v6, v7, vcc
	v_cmp_class_f32_e64 s[4:5], v4, v5
	s_and_b64 vcc, exec, s[2:3]
	s_nop 0
	v_cndmask_b32_e64 v6, v6, v4, s[4:5]
	s_cbranch_vccnz .LBB119_28
; %bb.27:
	global_load_dword v4, v20, s[10:11] offset:1408
	s_waitcnt vmcnt(0)
	v_add_f32_e32 v6, v6, v4
.LBB119_28:
	v_mul_f32_e32 v4, 0x3fb8aa3b, v0
	v_exp_f32_e32 v5, v4
	v_mov_b32_e32 v4, 0x4f800000
	scratch_store_dword off, v6, off offset:44
	v_add_f32_e32 v5, 1.0, v5
	v_cmp_gt_f32_e32 vcc, s13, v5
	s_nop 1
	v_cndmask_b32_e32 v7, 1.0, v4, vcc
	v_mul_f32_e32 v5, v5, v7
	v_log_f32_e32 v5, v5
	s_nop 0
	v_mul_f32_e32 v7, 0x3f317217, v5
	v_fma_f32 v7, v5, s7, -v7
	v_fmac_f32_e32 v7, 0x3377d1cf, v5
	v_fmac_f32_e32 v7, 0x3f317217, v5
	v_cmp_lt_f32_e64 s[4:5], |v5|, s12
	s_nop 1
	v_cndmask_b32_e64 v7, v5, v7, s[4:5]
	v_mov_b32_e32 v5, 0x41b17218
	v_cndmask_b32_e32 v8, 0, v5, vcc
	v_sub_f32_e32 v7, v7, v8
	v_cmp_lt_f32_e32 vcc, s6, v0
	s_nop 1
	v_cndmask_b32_e32 v0, v7, v0, vcc
	v_mul_f32_e32 v7, 0x4f800000, v0
	v_cmp_gt_f32_e32 vcc, s14, v0
	s_nop 1
	v_cndmask_b32_e32 v7, v0, v7, vcc
	v_sqrt_f32_e32 v0, v7
	s_nop 0
	v_add_u32_e32 v6, -1, v0
	v_fma_f32 v8, -v6, v0, v7
	v_cmp_ge_f32_e64 s[4:5], 0, v8
	v_add_u32_e32 v8, 1, v0
	s_nop 0
	v_cndmask_b32_e64 v6, v0, v6, s[4:5]
	v_fma_f32 v0, -v8, v0, v7
	v_cmp_lt_f32_e64 s[4:5], 0, v0
	s_nop 1
	v_cndmask_b32_e64 v0, v6, v8, s[4:5]
	v_mul_f32_e32 v6, 0x37800000, v0
	v_cndmask_b32_e32 v6, v0, v6, vcc
	v_mov_b32_e32 v0, 0x260
	v_cmp_class_f32_e64 s[4:5], v7, v0
	s_and_b64 vcc, exec, s[2:3]
	s_nop 0
	v_cndmask_b32_e64 v6, v6, v7, s[4:5]
	s_cbranch_vccnz .LBB119_30
; %bb.29:
	global_load_dword v7, v20, s[10:11] offset:1536
	s_waitcnt vmcnt(0)
	v_add_f32_e32 v6, v6, v7
.LBB119_30:
	v_mul_f32_e32 v7, 0x3fb8aa3b, v1
	v_exp_f32_e32 v7, v7
	scratch_store_dword off, v6, off offset:48
	v_add_f32_e32 v7, 1.0, v7
	v_cmp_gt_f32_e32 vcc, s13, v7
	s_nop 1
	v_cndmask_b32_e32 v4, 1.0, v4, vcc
	v_mul_f32_e32 v4, v7, v4
	v_log_f32_e32 v4, v4
	v_cndmask_b32_e32 v5, 0, v5, vcc
	v_mul_f32_e32 v7, 0x3f317217, v4
	v_fma_f32 v7, v4, s7, -v7
	v_fmac_f32_e32 v7, 0x3377d1cf, v4
	v_fmac_f32_e32 v7, 0x3f317217, v4
	v_cmp_lt_f32_e64 vcc, |v4|, s12
	s_nop 1
	v_cndmask_b32_e32 v4, v4, v7, vcc
	v_sub_f32_e32 v4, v4, v5
	v_cmp_lt_f32_e32 vcc, s6, v1
	s_nop 1
	v_cndmask_b32_e32 v1, v4, v1, vcc
	v_mul_f32_e32 v4, 0x4f800000, v1
	v_cmp_gt_f32_e32 vcc, s14, v1
	s_nop 1
	v_cndmask_b32_e32 v1, v1, v4, vcc
	v_sqrt_f32_e32 v4, v1
	s_nop 0
	v_add_u32_e32 v5, -1, v4
	v_add_u32_e32 v6, 1, v4
	v_fma_f32 v7, -v5, v4, v1
	v_fma_f32 v8, -v6, v4, v1
	v_cmp_ge_f32_e64 s[4:5], 0, v7
	s_nop 1
	v_cndmask_b32_e64 v4, v4, v5, s[4:5]
	v_cmp_lt_f32_e64 s[4:5], 0, v8
	s_nop 1
	v_cndmask_b32_e64 v4, v4, v6, s[4:5]
	v_mul_f32_e32 v5, 0x37800000, v4
	v_cndmask_b32_e32 v4, v4, v5, vcc
	v_cmp_class_f32_e64 s[4:5], v1, v0
	s_and_b64 vcc, exec, s[2:3]
	s_nop 0
	v_cndmask_b32_e64 v1, v4, v1, s[4:5]
	s_cbranch_vccnz .LBB119_32
; %bb.31:
	global_load_dword v0, v20, s[10:11] offset:1664
	s_waitcnt vmcnt(0)
	v_add_f32_e32 v1, v1, v0
.LBB119_32:
	v_mul_f32_e32 v0, 0x3fb8aa3b, v2
	v_exp_f32_e32 v4, v0
	v_mov_b32_e32 v0, 0x4f800000
	scratch_store_dword off, v1, off offset:52
	v_add_f32_e32 v4, 1.0, v4
	v_cmp_gt_f32_e32 vcc, s13, v4
	s_nop 1
	v_cndmask_b32_e32 v5, 1.0, v0, vcc
	v_mul_f32_e32 v4, v4, v5
	v_log_f32_e32 v4, v4
	s_nop 0
	v_mul_f32_e32 v5, 0x3f317217, v4
	v_fma_f32 v5, v4, s7, -v5
	v_fmac_f32_e32 v5, 0x3377d1cf, v4
	v_fmac_f32_e32 v5, 0x3f317217, v4
	v_cmp_lt_f32_e64 s[4:5], |v4|, s12
	s_nop 1
	v_cndmask_b32_e64 v5, v4, v5, s[4:5]
	v_mov_b32_e32 v4, 0x41b17218
	v_cndmask_b32_e32 v6, 0, v4, vcc
	v_sub_f32_e32 v5, v5, v6
	v_cmp_lt_f32_e32 vcc, s6, v2
	s_nop 1
	v_cndmask_b32_e32 v2, v5, v2, vcc
	v_mul_f32_e32 v5, 0x4f800000, v2
	v_cmp_gt_f32_e32 vcc, s14, v2
	s_nop 1
	v_cndmask_b32_e32 v2, v2, v5, vcc
	v_sqrt_f32_e32 v5, v2
	s_nop 0
	v_add_u32_e32 v1, -1, v5
	v_fma_f32 v6, -v1, v5, v2
	v_cmp_ge_f32_e64 s[4:5], 0, v6
	v_add_u32_e32 v6, 1, v5
	s_nop 0
	v_cndmask_b32_e64 v1, v5, v1, s[4:5]
	v_fma_f32 v5, -v6, v5, v2
	v_cmp_lt_f32_e64 s[4:5], 0, v5
	s_nop 1
	v_cndmask_b32_e64 v1, v1, v6, s[4:5]
	v_mul_f32_e32 v5, 0x37800000, v1
	v_cndmask_b32_e32 v5, v1, v5, vcc
	v_mov_b32_e32 v1, 0x260
	v_cmp_class_f32_e64 s[4:5], v2, v1
	s_and_b64 vcc, exec, s[2:3]
	s_nop 0
	v_cndmask_b32_e64 v2, v5, v2, s[4:5]
	s_cbranch_vccnz .LBB119_34
; %bb.33:
	global_load_dword v5, v20, s[10:11] offset:1792
	s_waitcnt vmcnt(0)
	v_add_f32_e32 v2, v2, v5
.LBB119_34:
	v_mul_f32_e32 v5, 0x3fb8aa3b, v3
	v_exp_f32_e32 v5, v5
	scratch_store_dword off, v2, off offset:56
	v_add_f32_e32 v5, 1.0, v5
	v_cmp_gt_f32_e32 vcc, s13, v5
	s_nop 1
	v_cndmask_b32_e32 v0, 1.0, v0, vcc
	v_mul_f32_e32 v0, v5, v0
	v_log_f32_e32 v0, v0
	v_cndmask_b32_e32 v4, 0, v4, vcc
	v_mul_f32_e32 v5, 0x3f317217, v0
	v_fma_f32 v5, v0, s7, -v5
	v_fmac_f32_e32 v5, 0x3377d1cf, v0
	v_fmac_f32_e32 v5, 0x3f317217, v0
	v_cmp_lt_f32_e64 vcc, |v0|, s12
	s_nop 1
	v_cndmask_b32_e32 v0, v0, v5, vcc
	v_sub_f32_e32 v0, v0, v4
	v_cmp_lt_f32_e32 vcc, s6, v3
	s_nop 1
	v_cndmask_b32_e32 v0, v0, v3, vcc
	v_mul_f32_e32 v3, 0x4f800000, v0
	v_cmp_gt_f32_e32 vcc, s14, v0
	s_nop 1
	v_cndmask_b32_e32 v0, v0, v3, vcc
	v_sqrt_f32_e32 v3, v0
	s_nop 0
	v_add_u32_e32 v2, -1, v3
	v_add_u32_e32 v4, 1, v3
	v_fma_f32 v5, -v2, v3, v0
	v_fma_f32 v6, -v4, v3, v0
	v_cmp_ge_f32_e64 s[4:5], 0, v5
	s_nop 1
	v_cndmask_b32_e64 v2, v3, v2, s[4:5]
	v_cmp_lt_f32_e64 s[4:5], 0, v6
	s_nop 1
	v_cndmask_b32_e64 v2, v2, v4, s[4:5]
	v_mul_f32_e32 v3, 0x37800000, v2
	v_cndmask_b32_e32 v2, v2, v3, vcc
	v_cmp_class_f32_e64 s[4:5], v0, v1
	s_and_b64 vcc, exec, s[2:3]
	s_nop 0
	v_cndmask_b32_e64 v1, v2, v0, s[4:5]
	s_cbranch_vccnz .LBB119_36
; %bb.35:
	global_load_dword v0, v20, s[10:11] offset:1920
	s_waitcnt vmcnt(0)
	v_add_f32_e32 v1, v1, v0
.LBB119_36:
	v_mul_f32_e32 v0, 0x3fb8aa3b, v22
	v_exp_f32_e32 v2, v0
	v_mov_b32_e32 v0, 0x4f800000
	scratch_store_dword off, v1, off offset:60
	v_add_f32_e32 v2, 1.0, v2
	v_cmp_gt_f32_e32 vcc, s13, v2
	s_nop 1
	v_cndmask_b32_e32 v3, 1.0, v0, vcc
	v_mul_f32_e32 v2, v2, v3
	v_log_f32_e32 v2, v2
	s_nop 0
	v_mul_f32_e32 v3, 0x3f317217, v2
	v_fma_f32 v3, v2, s7, -v3
	v_fmac_f32_e32 v3, 0x3377d1cf, v2
	v_fmac_f32_e32 v3, 0x3f317217, v2
	v_cmp_lt_f32_e64 s[4:5], |v2|, s12
	s_nop 1
	v_cndmask_b32_e64 v3, v2, v3, s[4:5]
	v_mov_b32_e32 v2, 0x41b17218
	v_cndmask_b32_e32 v4, 0, v2, vcc
	v_sub_f32_e32 v3, v3, v4
	v_cmp_lt_f32_e32 vcc, s6, v22
	s_nop 1
	v_cndmask_b32_e32 v3, v3, v22, vcc
	v_mul_f32_e32 v4, 0x4f800000, v3
	v_cmp_gt_f32_e32 vcc, s14, v3
	s_nop 1
	v_cndmask_b32_e32 v3, v3, v4, vcc
	v_sqrt_f32_e32 v4, v3
	s_nop 0
	v_add_u32_e32 v1, -1, v4
	v_fma_f32 v5, -v1, v4, v3
	v_cmp_ge_f32_e64 s[4:5], 0, v5
	v_add_u32_e32 v5, 1, v4
	s_nop 0
	v_cndmask_b32_e64 v1, v4, v1, s[4:5]
	v_fma_f32 v4, -v5, v4, v3
	v_cmp_lt_f32_e64 s[4:5], 0, v4
	s_nop 1
	v_cndmask_b32_e64 v1, v1, v5, s[4:5]
	v_mul_f32_e32 v4, 0x37800000, v1
	v_cndmask_b32_e32 v4, v1, v4, vcc
	v_mov_b32_e32 v1, 0x260
	v_cmp_class_f32_e64 s[4:5], v3, v1
	s_and_b64 vcc, exec, s[2:3]
	s_nop 0
	v_cndmask_b32_e64 v3, v4, v3, s[4:5]
	s_cbranch_vccnz .LBB119_38
; %bb.37:
	global_load_dword v4, v20, s[10:11] offset:2048
	s_waitcnt vmcnt(0)
	v_add_f32_e32 v3, v3, v4
.LBB119_38:
	v_mul_f32_e32 v4, 0x3fb8aa3b, v23
	v_exp_f32_e32 v4, v4
	scratch_store_dword off, v3, off offset:64
	v_add_f32_e32 v4, 1.0, v4
	v_cmp_gt_f32_e32 vcc, s13, v4
	s_nop 1
	v_cndmask_b32_e32 v0, 1.0, v0, vcc
	v_mul_f32_e32 v0, v4, v0
	v_log_f32_e32 v0, v0
	v_cndmask_b32_e32 v2, 0, v2, vcc
	v_mul_f32_e32 v4, 0x3f317217, v0
	v_fma_f32 v4, v0, s7, -v4
	v_fmac_f32_e32 v4, 0x3377d1cf, v0
	v_fmac_f32_e32 v4, 0x3f317217, v0
	v_cmp_lt_f32_e64 vcc, |v0|, s12
	s_nop 1
	v_cndmask_b32_e32 v0, v0, v4, vcc
	v_sub_f32_e32 v0, v0, v2
	v_cmp_lt_f32_e32 vcc, s6, v23
	s_nop 1
	v_cndmask_b32_e32 v0, v0, v23, vcc
	v_mul_f32_e32 v2, 0x4f800000, v0
	v_cmp_gt_f32_e32 vcc, s14, v0
	s_nop 1
	v_cndmask_b32_e32 v0, v0, v2, vcc
	v_sqrt_f32_e32 v2, v0
	s_nop 0
	v_add_u32_e32 v3, -1, v2
	v_add_u32_e32 v4, 1, v2
	v_fma_f32 v5, -v3, v2, v0
	v_fma_f32 v6, -v4, v2, v0
	v_cmp_ge_f32_e64 s[4:5], 0, v5
	s_nop 1
	v_cndmask_b32_e64 v2, v2, v3, s[4:5]
	v_cmp_lt_f32_e64 s[4:5], 0, v6
	s_nop 1
	v_cndmask_b32_e64 v2, v2, v4, s[4:5]
	v_mul_f32_e32 v3, 0x37800000, v2
	v_cndmask_b32_e32 v2, v2, v3, vcc
	v_cmp_class_f32_e64 s[4:5], v0, v1
	s_and_b64 vcc, exec, s[2:3]
	s_nop 0
	v_cndmask_b32_e64 v0, v2, v0, s[4:5]
	s_cbranch_vccnz .LBB119_40
; %bb.39:
	global_load_dword v1, v20, s[10:11] offset:2176
	s_waitcnt vmcnt(0)
	v_add_f32_e32 v0, v0, v1
.LBB119_40:
	s_load_dwordx4 s[12:15], s[0:1], 0x30
	s_mov_b32 s31, 0
	v_cmp_eq_u32_e64 s[6:7], 0, v18
	scratch_store_dword off, v0, off offset:68
	s_waitcnt lgkmcnt(0)
	s_bitcmp1_b32 s15, 0
	s_cselect_b64 s[4:5], -1, 0
	s_cmp_gt_i32 s12, 0
	s_cselect_b64 s[24:25], -1, 0
	s_and_b64 vcc, exec, s[24:25]
	s_cbranch_vccz .LBB119_69
; %bb.41:
	v_mbcnt_lo_u32_b32 v0, -1, 0
	v_mbcnt_hi_u32_b32 v0, -1, v0
	v_and_b32_e32 v1, 0x60, v0
	v_add_u32_e32 v1, 32, v1
	v_xor_b32_e32 v12, 16, v0
	v_cmp_lt_i32_e32 vcc, v12, v1
	s_load_dwordx4 s[16:19], s[0:1], 0x20
	v_mul_lo_u32 v2, v16, s12
	v_cndmask_b32_e32 v12, v0, v12, vcc
	v_lshlrev_b32_e32 v23, 2, v12
	v_xor_b32_e32 v12, 8, v0
	v_cmp_lt_i32_e32 vcc, v12, v1
	v_or_b32_e32 v3, 32, v18
	v_or_b32_e32 v4, 64, v18
	v_cndmask_b32_e32 v12, v0, v12, vcc
	v_lshlrev_b32_e32 v24, 2, v12
	v_xor_b32_e32 v12, 4, v0
	v_cmp_lt_i32_e32 vcc, v12, v1
	v_or_b32_e32 v5, 0x60, v18
	v_or_b32_e32 v6, 0x80, v18
	;; [unrolled: 6-line block ×4, first 2 shown]
	v_cndmask_b32_e32 v0, v0, v12, vcc
	v_or_b32_e32 v11, 0x120, v18
	v_or_b32_e32 v13, 0x140, v18
	;; [unrolled: 1-line block ×9, first 2 shown]
	v_lshlrev_b32_e32 v27, 2, v0
	v_mov_b32_e32 v12, 0
	v_mov_b32_e32 v28, 0
	;; [unrolled: 1-line block ×5, first 2 shown]
	s_branch .LBB119_43
.LBB119_42:                             ;   in Loop: Header=BB119_43 Depth=1
	s_or_b64 exec, exec, s[0:1]
	s_cmp_eq_u32 s12, s31
	v_add_u32_e32 v31, s30, v31
	s_cbranch_scc1 .LBB119_70
.LBB119_43:                             ; =>This Inner Loop Header: Depth=1
	s_waitcnt lgkmcnt(0)
	scratch_load_dwordx4 v[32:35], off, off
	scratch_load_dwordx4 v[36:39], off, off offset:16
	scratch_load_dwordx4 v[40:43], off, off offset:32
	;; [unrolled: 1-line block ×3, first 2 shown]
	scratch_load_dwordx2 v[0:1], off, off offset:64
	s_waitcnt vmcnt(4)
	v_cmp_gt_f32_e32 vcc, v33, v32
	s_nop 1
	v_cndmask_b32_e32 v32, v32, v33, vcc
	v_cndmask_b32_e32 v48, v18, v3, vcc
	v_cmp_gt_f32_e32 vcc, v34, v32
	s_nop 1
	v_cndmask_b32_e32 v32, v32, v34, vcc
	v_cndmask_b32_e32 v33, v48, v4, vcc
	v_cmp_gt_f32_e32 vcc, v35, v32
	s_nop 1
	v_cndmask_b32_e32 v32, v32, v35, vcc
	v_cndmask_b32_e32 v33, v33, v5, vcc
	s_waitcnt vmcnt(3)
	v_cmp_gt_f32_e32 vcc, v36, v32
	s_nop 1
	v_cndmask_b32_e32 v32, v32, v36, vcc
	v_cndmask_b32_e32 v33, v33, v6, vcc
	v_cmp_gt_f32_e32 vcc, v37, v32
	s_nop 1
	v_cndmask_b32_e32 v32, v32, v37, vcc
	v_cndmask_b32_e32 v33, v33, v7, vcc
	v_cmp_gt_f32_e32 vcc, v38, v32
	s_nop 1
	v_cndmask_b32_e32 v32, v32, v38, vcc
	v_cndmask_b32_e32 v33, v33, v8, vcc
	v_cmp_gt_f32_e32 vcc, v39, v32
	s_nop 1
	v_cndmask_b32_e32 v32, v32, v39, vcc
	v_cndmask_b32_e32 v33, v33, v9, vcc
	s_waitcnt vmcnt(2)
	v_cmp_gt_f32_e32 vcc, v40, v32
	s_nop 1
	v_cndmask_b32_e32 v32, v32, v40, vcc
	v_cndmask_b32_e32 v33, v33, v10, vcc
	v_cmp_gt_f32_e32 vcc, v41, v32
	s_nop 1
	v_cndmask_b32_e32 v32, v32, v41, vcc
	v_cndmask_b32_e32 v33, v33, v11, vcc
	v_cmp_gt_f32_e32 vcc, v42, v32
	s_nop 1
	v_cndmask_b32_e32 v32, v32, v42, vcc
	v_cndmask_b32_e32 v33, v33, v13, vcc
	v_cmp_gt_f32_e32 vcc, v43, v32
	s_nop 1
	v_cndmask_b32_e32 v32, v32, v43, vcc
	v_cndmask_b32_e32 v33, v33, v14, vcc
	s_waitcnt vmcnt(1)
	v_cmp_gt_f32_e32 vcc, v44, v32
	s_nop 1
	v_cndmask_b32_e32 v32, v32, v44, vcc
	v_cndmask_b32_e32 v33, v33, v15, vcc
	v_cmp_gt_f32_e32 vcc, v45, v32
	s_nop 1
	v_cndmask_b32_e32 v32, v32, v45, vcc
	v_cndmask_b32_e32 v33, v33, v17, vcc
	v_cmp_gt_f32_e32 vcc, v46, v32
	s_nop 1
	v_cndmask_b32_e32 v32, v32, v46, vcc
	v_cndmask_b32_e32 v33, v33, v19, vcc
	v_cmp_gt_f32_e32 vcc, v47, v32
	s_nop 1
	v_cndmask_b32_e32 v32, v32, v47, vcc
	v_cndmask_b32_e32 v33, v33, v20, vcc
	s_waitcnt vmcnt(0)
	v_cmp_gt_f32_e32 vcc, v0, v32
	s_nop 1
	v_cndmask_b32_e32 v32, v32, v0, vcc
	v_cndmask_b32_e32 v33, v33, v21, vcc
	v_cmp_gt_f32_e32 vcc, v1, v32
	s_nop 1
	v_cndmask_b32_e32 v32, v32, v1, vcc
	v_cndmask_b32_e32 v0, v33, v22, vcc
	ds_bpermute_b32 v1, v23, v32
	ds_bpermute_b32 v33, v23, v0
	s_waitcnt lgkmcnt(0)
	v_cmp_lt_f32_e64 s[26:27], v32, v1
	v_cmp_nlt_f32_e32 vcc, v32, v1
	s_and_saveexec_b64 s[28:29], vcc
; %bb.44:                               ;   in Loop: Header=BB119_43 Depth=1
	v_cmp_eq_f32_e32 vcc, v32, v1
	v_cmp_lt_i32_e64 s[0:1], v33, v0
	s_and_b64 s[0:1], vcc, s[0:1]
	s_andn2_b64 s[26:27], s[26:27], exec
	s_and_b64 s[0:1], s[0:1], exec
	s_or_b64 s[26:27], s[26:27], s[0:1]
; %bb.45:                               ;   in Loop: Header=BB119_43 Depth=1
	s_or_b64 exec, exec, s[28:29]
	s_and_saveexec_b64 s[0:1], s[26:27]
; %bb.46:                               ;   in Loop: Header=BB119_43 Depth=1
	v_mov_b32_e32 v32, v1
	v_mov_b32_e32 v0, v33
; %bb.47:                               ;   in Loop: Header=BB119_43 Depth=1
	s_or_b64 exec, exec, s[0:1]
	ds_bpermute_b32 v1, v24, v32
	ds_bpermute_b32 v33, v24, v0
	s_waitcnt lgkmcnt(1)
	v_cmp_lt_f32_e64 s[26:27], v32, v1
	v_cmp_nlt_f32_e32 vcc, v32, v1
	s_and_saveexec_b64 s[28:29], vcc
	s_cbranch_execz .LBB119_49
; %bb.48:                               ;   in Loop: Header=BB119_43 Depth=1
	v_cmp_eq_f32_e32 vcc, v32, v1
	s_waitcnt lgkmcnt(0)
	v_cmp_lt_i32_e64 s[0:1], v33, v0
	s_and_b64 s[0:1], vcc, s[0:1]
	s_andn2_b64 s[26:27], s[26:27], exec
	s_and_b64 s[0:1], s[0:1], exec
	s_or_b64 s[26:27], s[26:27], s[0:1]
.LBB119_49:                             ;   in Loop: Header=BB119_43 Depth=1
	s_or_b64 exec, exec, s[28:29]
	s_and_saveexec_b64 s[0:1], s[26:27]
	s_cbranch_execz .LBB119_51
; %bb.50:                               ;   in Loop: Header=BB119_43 Depth=1
	v_mov_b32_e32 v32, v1
	s_waitcnt lgkmcnt(0)
	v_mov_b32_e32 v0, v33
.LBB119_51:                             ;   in Loop: Header=BB119_43 Depth=1
	s_or_b64 exec, exec, s[0:1]
	ds_bpermute_b32 v1, v25, v32
	s_waitcnt lgkmcnt(1)
	ds_bpermute_b32 v33, v25, v0
	s_waitcnt lgkmcnt(1)
	v_cmp_lt_f32_e64 s[26:27], v32, v1
	v_cmp_nlt_f32_e32 vcc, v32, v1
	s_and_saveexec_b64 s[28:29], vcc
	s_cbranch_execz .LBB119_53
; %bb.52:                               ;   in Loop: Header=BB119_43 Depth=1
	v_cmp_eq_f32_e32 vcc, v32, v1
	s_waitcnt lgkmcnt(0)
	v_cmp_lt_i32_e64 s[0:1], v33, v0
	s_and_b64 s[0:1], vcc, s[0:1]
	s_andn2_b64 s[26:27], s[26:27], exec
	s_and_b64 s[0:1], s[0:1], exec
	s_or_b64 s[26:27], s[26:27], s[0:1]
.LBB119_53:                             ;   in Loop: Header=BB119_43 Depth=1
	s_or_b64 exec, exec, s[28:29]
	s_and_saveexec_b64 s[0:1], s[26:27]
	s_cbranch_execz .LBB119_55
; %bb.54:                               ;   in Loop: Header=BB119_43 Depth=1
	v_mov_b32_e32 v32, v1
	s_waitcnt lgkmcnt(0)
	v_mov_b32_e32 v0, v33
.LBB119_55:                             ;   in Loop: Header=BB119_43 Depth=1
	s_or_b64 exec, exec, s[0:1]
	ds_bpermute_b32 v1, v26, v32
	s_waitcnt lgkmcnt(1)
	;; [unrolled: 26-line block ×3, first 2 shown]
	ds_bpermute_b32 v33, v27, v0
	s_waitcnt lgkmcnt(1)
	v_cmp_lt_f32_e64 s[26:27], v32, v1
	v_cmp_nlt_f32_e32 vcc, v32, v1
	s_and_saveexec_b64 s[28:29], vcc
	s_cbranch_execnz .LBB119_62
; %bb.60:                               ;   in Loop: Header=BB119_43 Depth=1
	s_or_b64 exec, exec, s[28:29]
	s_and_saveexec_b64 s[0:1], s[26:27]
	s_cbranch_execnz .LBB119_63
.LBB119_61:                             ;   in Loop: Header=BB119_43 Depth=1
	s_or_b64 exec, exec, s[0:1]
	s_and_saveexec_b64 s[26:27], s[6:7]
	s_cbranch_execnz .LBB119_64
	s_branch .LBB119_67
.LBB119_62:                             ;   in Loop: Header=BB119_43 Depth=1
	v_cmp_eq_f32_e32 vcc, v32, v1
	s_waitcnt lgkmcnt(0)
	v_cmp_lt_i32_e64 s[0:1], v33, v0
	s_and_b64 s[0:1], vcc, s[0:1]
	s_andn2_b64 s[26:27], s[26:27], exec
	s_and_b64 s[0:1], s[0:1], exec
	s_or_b64 s[26:27], s[26:27], s[0:1]
	s_or_b64 exec, exec, s[28:29]
	s_and_saveexec_b64 s[0:1], s[26:27]
	s_cbranch_execz .LBB119_61
.LBB119_63:                             ;   in Loop: Header=BB119_43 Depth=1
	s_waitcnt lgkmcnt(0)
	v_mov_b32_e32 v0, v33
	v_mov_b32_e32 v32, v1
	s_or_b64 exec, exec, s[0:1]
	s_and_saveexec_b64 s[26:27], s[6:7]
	s_cbranch_execz .LBB119_67
.LBB119_64:                             ;   in Loop: Header=BB119_43 Depth=1
	s_and_b64 vcc, exec, s[2:3]
	s_cbranch_vccnz .LBB119_66
; %bb.65:                               ;   in Loop: Header=BB119_43 Depth=1
	v_ashrrev_i32_e32 v1, 31, v0
	v_lshl_add_u64 v[34:35], v[0:1], 2, s[10:11]
	global_load_dword v1, v[34:35], off
	s_waitcnt vmcnt(0)
	v_sub_f32_e32 v32, v32, v1
.LBB119_66:                             ;   in Loop: Header=BB119_43 Depth=1
	v_add_u32_e32 v34, s31, v2
	v_cmp_le_i32_e32 vcc, s13, v0
	v_cmp_gt_i32_e64 s[0:1], s14, v0
	v_ashrrev_i32_e32 v35, 31, v34
	s_and_b64 s[0:1], vcc, s[0:1]
	v_lshlrev_b64 v[34:35], 2, v[34:35]
	v_lshl_add_u64 v[36:37], s[20:21], 0, v[34:35]
	v_subrev_u32_e32 v1, s13, v0
	s_and_b64 vcc, s[22:23], s[0:1]
	global_store_dword v[36:37], v32, off
	v_cndmask_b32_e32 v1, v30, v1, vcc
	v_lshl_add_u64 v[36:37], s[16:17], 0, v[34:35]
	global_store_dword v[36:37], v1, off
	v_add_f32_e32 v1, v12, v32
	v_lshl_add_u64 v[34:35], s[18:19], 0, v[34:35]
	v_cndmask_b32_e64 v12, v12, v1, s[4:5]
	global_store_dword v[34:35], v31, off
.LBB119_67:                             ;   in Loop: Header=BB119_43 Depth=1
	s_or_b64 exec, exec, s[26:27]
	v_ashrrev_i32_e32 v1, 31, v0
	v_lshrrev_b32_e32 v1, 27, v1
	v_add_u32_e32 v1, v0, v1
	s_add_i32 s31, s31, 1
	v_and_b32_e32 v32, 0xffffffe0, v1
	s_cmp_lt_i32 s31, s12
	v_sub_u32_e32 v0, v0, v32
	s_cselect_b64 s[0:1], -1, 0
	v_cmp_eq_u32_e32 vcc, v18, v0
	s_and_b64 s[26:27], s[0:1], vcc
	s_and_saveexec_b64 s[0:1], s[26:27]
	s_cbranch_execz .LBB119_42
; %bb.68:                               ;   in Loop: Header=BB119_43 Depth=1
	v_ashrrev_i32_e32 v0, 5, v1
	v_lshl_add_u32 v0, v0, 2, v28
	scratch_store_dword v0, v29, off
	s_branch .LBB119_42
.LBB119_69:
	v_mov_b32_e32 v12, 0
.LBB119_70:
	v_cmp_eq_u32_e32 vcc, 0, v18
	s_and_b64 exec, exec, vcc
	s_cbranch_execz .LBB119_83
; %bb.71:
	s_andn2_b64 vcc, exec, s[4:5]
	v_cvt_f32_f64_e32 v0, s[8:9]
	s_cbranch_vccnz .LBB119_73
; %bb.72:
	v_cmp_lt_f32_e32 vcc, 0, v12
	s_nop 1
	v_cndmask_b32_e32 v1, 1.0, v12, vcc
	v_div_scale_f32 v2, s[0:1], v1, v1, v0
	v_rcp_f32_e32 v3, v2
	s_nop 0
	v_fma_f32 v4, -v2, v3, 1.0
	v_fmac_f32_e32 v3, v4, v3
	v_div_scale_f32 v4, vcc, v0, v1, v0
	v_mul_f32_e32 v5, v4, v3
	v_fma_f32 v6, -v2, v5, v4
	v_fmac_f32_e32 v5, v6, v3
	v_fma_f32 v2, -v2, v5, v4
	v_div_fmas_f32 v2, v2, v3, v5
	v_div_fixup_f32 v0, v2, v1, v0
.LBB119_73:
	s_andn2_b64 vcc, exec, s[24:25]
	s_cbranch_vccnz .LBB119_83
; %bb.74:
	v_mul_lo_u32 v2, v16, s12
	s_cmp_gt_u32 s12, 3
	v_ashrrev_i32_e32 v3, 31, v2
	s_cbranch_scc0 .LBB119_78
; %bb.75:
	s_and_b32 s0, s12, 0x7ffffffc
	v_lshl_add_u64 v[4:5], v[2:3], 2, s[20:21]
	v_mov_b32_e32 v1, v0
	v_lshl_add_u64 v[4:5], v[4:5], 0, 8
	s_mov_b32 s1, s0
.LBB119_76:                             ; =>This Inner Loop Header: Depth=1
	global_load_dwordx4 v[6:9], v[4:5], off offset:-8
	s_add_i32 s1, s1, -4
	s_cmp_lg_u32 s1, 0
	s_waitcnt vmcnt(0)
	v_pk_mul_f32 v[6:7], v[0:1], v[6:7]
	v_pk_mul_f32 v[8:9], v[0:1], v[8:9]
	global_store_dwordx4 v[4:5], v[6:9], off offset:-8
	v_lshl_add_u64 v[4:5], v[4:5], 0, 16
	s_cbranch_scc1 .LBB119_76
; %bb.77:
	s_cmp_lg_u32 s0, s12
	s_cselect_b64 s[2:3], -1, 0
	s_branch .LBB119_80
.LBB119_78:
	s_mov_b64 s[2:3], 0
                                        ; implicit-def: $sgpr0
	s_cbranch_execz .LBB119_80
; %bb.79:
	s_mov_b64 s[2:3], -1
	s_mov_b32 s0, 0
.LBB119_80:
	s_andn2_b64 vcc, exec, s[2:3]
	s_cbranch_vccnz .LBB119_83
; %bb.81:
	s_mov_b32 s1, 0
	v_lshl_add_u64 v[2:3], v[2:3], 0, s[0:1]
	s_sub_i32 s2, s12, s0
	v_lshl_add_u64 v[2:3], v[2:3], 2, s[20:21]
.LBB119_82:                             ; =>This Inner Loop Header: Depth=1
	global_load_dword v1, v[2:3], off
	s_add_i32 s2, s2, -1
	s_cmp_lg_u32 s2, 0
	s_waitcnt vmcnt(0)
	v_mul_f32_e32 v1, v0, v1
	global_store_dword v[2:3], v1, off
	v_lshl_add_u64 v[2:3], v[2:3], 0, 4
	s_cbranch_scc1 .LBB119_82
.LBB119_83:
	s_endpgm
	.section	.rodata,"a",@progbits
	.p2align	6, 0x0
	.amdhsa_kernel _ZN4vllm3moe22topkGatingSoftplusSqrtILi18ELi576ELi4ELi4ELi32ELb0EjfEEvPKT6_PKbPfiPT5_PiiiibdPKfPKS8_SE_
		.amdhsa_group_segment_fixed_size 0
		.amdhsa_private_segment_fixed_size 80
		.amdhsa_kernarg_size 96
		.amdhsa_user_sgpr_count 2
		.amdhsa_user_sgpr_dispatch_ptr 0
		.amdhsa_user_sgpr_queue_ptr 0
		.amdhsa_user_sgpr_kernarg_segment_ptr 1
		.amdhsa_user_sgpr_dispatch_id 0
		.amdhsa_user_sgpr_kernarg_preload_length 0
		.amdhsa_user_sgpr_kernarg_preload_offset 0
		.amdhsa_user_sgpr_private_segment_size 0
		.amdhsa_uses_dynamic_stack 0
		.amdhsa_enable_private_segment 1
		.amdhsa_system_sgpr_workgroup_id_x 1
		.amdhsa_system_sgpr_workgroup_id_y 0
		.amdhsa_system_sgpr_workgroup_id_z 0
		.amdhsa_system_sgpr_workgroup_info 0
		.amdhsa_system_vgpr_workitem_id 1
		.amdhsa_next_free_vgpr 49
		.amdhsa_next_free_sgpr 32
		.amdhsa_accum_offset 52
		.amdhsa_reserve_vcc 1
		.amdhsa_float_round_mode_32 0
		.amdhsa_float_round_mode_16_64 0
		.amdhsa_float_denorm_mode_32 3
		.amdhsa_float_denorm_mode_16_64 3
		.amdhsa_dx10_clamp 1
		.amdhsa_ieee_mode 1
		.amdhsa_fp16_overflow 0
		.amdhsa_tg_split 0
		.amdhsa_exception_fp_ieee_invalid_op 0
		.amdhsa_exception_fp_denorm_src 0
		.amdhsa_exception_fp_ieee_div_zero 0
		.amdhsa_exception_fp_ieee_overflow 0
		.amdhsa_exception_fp_ieee_underflow 0
		.amdhsa_exception_fp_ieee_inexact 0
		.amdhsa_exception_int_div_zero 0
	.end_amdhsa_kernel
	.section	.text._ZN4vllm3moe22topkGatingSoftplusSqrtILi18ELi576ELi4ELi4ELi32ELb0EjfEEvPKT6_PKbPfiPT5_PiiiibdPKfPKS8_SE_,"axG",@progbits,_ZN4vllm3moe22topkGatingSoftplusSqrtILi18ELi576ELi4ELi4ELi32ELb0EjfEEvPKT6_PKbPfiPT5_PiiiibdPKfPKS8_SE_,comdat
.Lfunc_end119:
	.size	_ZN4vllm3moe22topkGatingSoftplusSqrtILi18ELi576ELi4ELi4ELi32ELb0EjfEEvPKT6_PKbPfiPT5_PiiiibdPKfPKS8_SE_, .Lfunc_end119-_ZN4vllm3moe22topkGatingSoftplusSqrtILi18ELi576ELi4ELi4ELi32ELb0EjfEEvPKT6_PKbPfiPT5_PiiiibdPKfPKS8_SE_
                                        ; -- End function
	.section	.AMDGPU.csdata,"",@progbits
; Kernel info:
; codeLenInByte = 7256
; NumSgprs: 38
; NumVgprs: 49
; NumAgprs: 0
; TotalNumVgprs: 49
; ScratchSize: 80
; MemoryBound: 0
; FloatMode: 240
; IeeeMode: 1
; LDSByteSize: 0 bytes/workgroup (compile time only)
; SGPRBlocks: 4
; VGPRBlocks: 6
; NumSGPRsForWavesPerEU: 38
; NumVGPRsForWavesPerEU: 49
; AccumOffset: 52
; Occupancy: 8
; WaveLimiterHint : 1
; COMPUTE_PGM_RSRC2:SCRATCH_EN: 1
; COMPUTE_PGM_RSRC2:USER_SGPR: 2
; COMPUTE_PGM_RSRC2:TRAP_HANDLER: 0
; COMPUTE_PGM_RSRC2:TGID_X_EN: 1
; COMPUTE_PGM_RSRC2:TGID_Y_EN: 0
; COMPUTE_PGM_RSRC2:TGID_Z_EN: 0
; COMPUTE_PGM_RSRC2:TIDIG_COMP_CNT: 1
; COMPUTE_PGM_RSRC3_GFX90A:ACCUM_OFFSET: 12
; COMPUTE_PGM_RSRC3_GFX90A:TG_SPLIT: 0
	.section	.text._ZN4vllm3moe22topkGatingSoftplusSqrtILi1ELi1ELi4ELi4ELi64ELb1ElfEEvPKT6_PKbPfiPT5_PiiiibdPKfPKS8_SE_,"axG",@progbits,_ZN4vllm3moe22topkGatingSoftplusSqrtILi1ELi1ELi4ELi4ELi64ELb1ElfEEvPKT6_PKbPfiPT5_PiiiibdPKfPKS8_SE_,comdat
	.protected	_ZN4vllm3moe22topkGatingSoftplusSqrtILi1ELi1ELi4ELi4ELi64ELb1ElfEEvPKT6_PKbPfiPT5_PiiiibdPKfPKS8_SE_ ; -- Begin function _ZN4vllm3moe22topkGatingSoftplusSqrtILi1ELi1ELi4ELi4ELi64ELb1ElfEEvPKT6_PKbPfiPT5_PiiiibdPKfPKS8_SE_
	.globl	_ZN4vllm3moe22topkGatingSoftplusSqrtILi1ELi1ELi4ELi4ELi64ELb1ElfEEvPKT6_PKbPfiPT5_PiiiibdPKfPKS8_SE_
	.p2align	8
	.type	_ZN4vllm3moe22topkGatingSoftplusSqrtILi1ELi1ELi4ELi4ELi64ELb1ElfEEvPKT6_PKbPfiPT5_PiiiibdPKfPKS8_SE_,@function
_ZN4vllm3moe22topkGatingSoftplusSqrtILi1ELi1ELi4ELi4ELi64ELb1ElfEEvPKT6_PKbPfiPT5_PiiiibdPKfPKS8_SE_: ; @_ZN4vllm3moe22topkGatingSoftplusSqrtILi1ELi1ELi4ELi4ELi64ELb1ElfEEvPKT6_PKbPfiPT5_PiiiibdPKfPKS8_SE_
; %bb.0:
	s_load_dword s3, s[0:1], 0x18
	v_bfe_u32 v1, v0, 10, 10
	s_lshl_b32 s2, s2, 8
	v_lshlrev_b32_e32 v1, 6, v1
	v_and_b32_e32 v0, 0x3ff, v0
	v_add3_u32 v0, v1, v0, s2
	s_waitcnt lgkmcnt(0)
	v_cmp_gt_i32_e32 vcc, s3, v0
	s_and_saveexec_b64 s[2:3], vcc
	s_cbranch_execz .LBB120_54
; %bb.1:
	s_load_dwordx2 s[2:3], s[0:1], 0x0
	s_load_dword s8, s[0:1], 0x30
	v_ashrrev_i32_e32 v1, 31, v0
	s_load_dwordx4 s[4:7], s[0:1], 0x50
	v_mov_b32_e32 v5, 0x4f800000
	s_waitcnt lgkmcnt(0)
	v_lshl_add_u64 v[2:3], v[0:1], 2, s[2:3]
	global_load_dword v4, v[2:3], off
	s_ashr_i32 s9, s8, 31
	v_mov_b32_e32 v2, s4
	v_mov_b32_e32 v3, s5
	v_lshl_add_u64 v[2:3], v[0:1], 3, v[2:3]
	global_load_dwordx2 v[2:3], v[2:3], off
	s_mov_b32 s5, 0x800000
	v_cmp_lt_i64_e64 s[2:3], s[8:9], 1
	s_and_b64 vcc, exec, s[2:3]
	v_mov_b32_e32 v6, 0x41b17218
	s_mov_b32 s13, 0x3f317217
	s_mov_b32 s14, 0x7f800000
	;; [unrolled: 1-line block ×4, first 2 shown]
	v_mov_b32_e32 v7, 0x260
	s_mov_b32 s12, 0
	v_mov_b32_e32 v1, 0
	v_mul_lo_u32 v0, v0, s8
	v_cmp_gt_i64_e64 s[10:11], s[8:9], 0
	s_waitcnt vmcnt(1)
	v_mul_f32_e32 v8, 0x3fb8aa3b, v4
	v_exp_f32_e32 v8, v8
	s_waitcnt vmcnt(0)
	v_mul_lo_u32 v9, v2, s9
	v_add_f32_e32 v8, 1.0, v8
	v_cmp_gt_f32_e64 s[2:3], s5, v8
	s_nop 1
	v_cndmask_b32_e64 v5, 1.0, v5, s[2:3]
	v_mul_f32_e32 v5, v8, v5
	v_log_f32_e32 v5, v5
	v_mul_lo_u32 v8, v3, s8
	v_cndmask_b32_e64 v3, 0, v6, s[2:3]
	v_mul_f32_e32 v6, 0x3f317217, v5
	v_fma_f32 v6, v5, s13, -v6
	v_fmamk_f32 v6, v5, 0x3377d1cf, v6
	v_fmac_f32_e32 v6, 0x3f317217, v5
	v_cmp_lt_f32_e64 s[2:3], |v5|, s14
	s_nop 1
	v_cndmask_b32_e64 v5, v5, v6, s[2:3]
	v_sub_f32_e32 v3, v5, v3
	v_cmp_lt_f32_e64 s[2:3], s4, v4
	s_nop 1
	v_cndmask_b32_e64 v3, v3, v4, s[2:3]
	v_mul_f32_e32 v4, 0x4f800000, v3
	v_cmp_gt_f32_e64 s[2:3], s15, v3
	s_nop 1
	v_cndmask_b32_e64 v4, v3, v4, s[2:3]
	v_sqrt_f32_e32 v5, v4
	v_mad_u64_u32 v[2:3], s[4:5], v2, s8, 0
	v_add3_u32 v3, v3, v9, v8
	v_add_u32_e32 v6, -1, v5
	v_add_u32_e32 v8, 1, v5
	v_fma_f32 v9, -v6, v5, v4
	v_fma_f32 v10, -v8, v5, v4
	v_cmp_ge_f32_e64 s[4:5], 0, v9
	s_nop 1
	v_cndmask_b32_e64 v5, v5, v6, s[4:5]
	v_cmp_lt_f32_e64 s[4:5], 0, v10
	s_nop 1
	v_cndmask_b32_e64 v5, v5, v8, s[4:5]
	v_mul_f32_e32 v6, 0x37800000, v5
	v_cndmask_b32_e64 v5, v5, v6, s[2:3]
	v_cmp_class_f32_e64 s[2:3], v4, v7
	s_nop 1
	v_cndmask_b32_e64 v12, v5, v4, s[2:3]
	s_cbranch_vccnz .LBB120_27
; %bb.2:
	s_load_dwordx2 s[2:3], s[0:1], 0x20
	s_cmp_lt_u32 s8, 8
	s_cbranch_scc1 .LBB120_21
; %bb.3:
	v_ashrrev_i32_e32 v1, 31, v0
	v_lshl_add_u64 v[4:5], v[2:3], 3, s[6:7]
	s_and_b32 s12, s8, 0x7ffffff8
	s_waitcnt lgkmcnt(0)
	v_lshl_add_u64 v[6:7], v[0:1], 3, s[2:3]
	s_mov_b32 s9, 0
	s_mov_b64 s[4:5], 0
	v_mov_b32_e32 v8, 0
	v_mov_b32_e32 v1, 0
	s_branch .LBB120_5
.LBB120_4:                              ;   in Loop: Header=BB120_5 Depth=1
	s_or_b64 exec, exec, s[14:15]
	s_add_i32 s9, s9, 8
	s_add_u32 s4, s4, 64
	s_addc_u32 s5, s5, 0
	s_cmp_eq_u32 s12, s9
	s_cbranch_scc1 .LBB120_22
.LBB120_5:                              ; =>This Inner Loop Header: Depth=1
	v_lshl_add_u64 v[10:11], v[4:5], 0, s[4:5]
	global_load_dword v9, v[10:11], off
	s_waitcnt vmcnt(0)
	v_cmp_eq_u32_e32 vcc, 0, v9
	s_and_saveexec_b64 s[14:15], vcc
	s_cbranch_execz .LBB120_7
; %bb.6:                                ;   in Loop: Header=BB120_5 Depth=1
	v_add_u32_e32 v14, s9, v0
	v_ashrrev_i32_e32 v15, 31, v14
	v_lshl_add_u64 v[14:15], v[14:15], 3, s[2:3]
	v_add_f32_e32 v1, v12, v1
	v_mov_b32_e32 v9, v8
	global_store_dwordx2 v[14:15], v[8:9], off
.LBB120_7:                              ;   in Loop: Header=BB120_5 Depth=1
	s_or_b64 exec, exec, s[14:15]
	global_load_dword v9, v[10:11], off offset:8
	s_waitcnt vmcnt(0)
	v_cmp_eq_u32_e32 vcc, 0, v9
	s_and_saveexec_b64 s[14:15], vcc
	s_cbranch_execz .LBB120_9
; %bb.8:                                ;   in Loop: Header=BB120_5 Depth=1
	v_lshl_add_u64 v[14:15], v[6:7], 0, s[4:5]
	v_add_f32_e32 v1, v12, v1
	v_mov_b32_e32 v9, v8
	global_store_dwordx2 v[14:15], v[8:9], off offset:8
.LBB120_9:                              ;   in Loop: Header=BB120_5 Depth=1
	s_or_b64 exec, exec, s[14:15]
	global_load_dword v9, v[10:11], off offset:16
	s_waitcnt vmcnt(0)
	v_cmp_eq_u32_e32 vcc, 0, v9
	s_and_saveexec_b64 s[14:15], vcc
	s_cbranch_execz .LBB120_11
; %bb.10:                               ;   in Loop: Header=BB120_5 Depth=1
	v_lshl_add_u64 v[14:15], v[6:7], 0, s[4:5]
	v_add_f32_e32 v1, v12, v1
	v_mov_b32_e32 v9, v8
	global_store_dwordx2 v[14:15], v[8:9], off offset:16
.LBB120_11:                             ;   in Loop: Header=BB120_5 Depth=1
	s_or_b64 exec, exec, s[14:15]
	global_load_dword v9, v[10:11], off offset:24
	s_waitcnt vmcnt(0)
	v_cmp_eq_u32_e32 vcc, 0, v9
	s_and_saveexec_b64 s[14:15], vcc
	s_cbranch_execz .LBB120_13
; %bb.12:                               ;   in Loop: Header=BB120_5 Depth=1
	v_lshl_add_u64 v[14:15], v[6:7], 0, s[4:5]
	v_add_f32_e32 v1, v12, v1
	v_mov_b32_e32 v9, v8
	global_store_dwordx2 v[14:15], v[8:9], off offset:24
.LBB120_13:                             ;   in Loop: Header=BB120_5 Depth=1
	s_or_b64 exec, exec, s[14:15]
	global_load_dword v9, v[10:11], off offset:32
	s_waitcnt vmcnt(0)
	v_cmp_eq_u32_e32 vcc, 0, v9
	s_and_saveexec_b64 s[14:15], vcc
	s_cbranch_execz .LBB120_15
; %bb.14:                               ;   in Loop: Header=BB120_5 Depth=1
	v_lshl_add_u64 v[14:15], v[6:7], 0, s[4:5]
	v_add_f32_e32 v1, v12, v1
	v_mov_b32_e32 v9, v8
	global_store_dwordx2 v[14:15], v[8:9], off offset:32
.LBB120_15:                             ;   in Loop: Header=BB120_5 Depth=1
	s_or_b64 exec, exec, s[14:15]
	global_load_dword v9, v[10:11], off offset:40
	s_waitcnt vmcnt(0)
	v_cmp_eq_u32_e32 vcc, 0, v9
	s_and_saveexec_b64 s[14:15], vcc
	s_cbranch_execz .LBB120_17
; %bb.16:                               ;   in Loop: Header=BB120_5 Depth=1
	v_lshl_add_u64 v[14:15], v[6:7], 0, s[4:5]
	v_add_f32_e32 v1, v12, v1
	v_mov_b32_e32 v9, v8
	global_store_dwordx2 v[14:15], v[8:9], off offset:40
.LBB120_17:                             ;   in Loop: Header=BB120_5 Depth=1
	s_or_b64 exec, exec, s[14:15]
	global_load_dword v9, v[10:11], off offset:48
	s_waitcnt vmcnt(0)
	v_cmp_eq_u32_e32 vcc, 0, v9
	s_and_saveexec_b64 s[14:15], vcc
	s_cbranch_execz .LBB120_19
; %bb.18:                               ;   in Loop: Header=BB120_5 Depth=1
	v_lshl_add_u64 v[14:15], v[6:7], 0, s[4:5]
	v_add_f32_e32 v1, v12, v1
	v_mov_b32_e32 v9, v8
	global_store_dwordx2 v[14:15], v[8:9], off offset:48
.LBB120_19:                             ;   in Loop: Header=BB120_5 Depth=1
	s_or_b64 exec, exec, s[14:15]
	global_load_dword v9, v[10:11], off offset:56
	s_waitcnt vmcnt(0)
	v_cmp_eq_u32_e32 vcc, 0, v9
	s_and_saveexec_b64 s[14:15], vcc
	s_cbranch_execz .LBB120_4
; %bb.20:                               ;   in Loop: Header=BB120_5 Depth=1
	v_lshl_add_u64 v[10:11], v[6:7], 0, s[4:5]
	v_add_f32_e32 v1, v12, v1
	v_mov_b32_e32 v9, v8
	global_store_dwordx2 v[10:11], v[8:9], off offset:56
	s_branch .LBB120_4
.LBB120_21:
	v_mov_b32_e32 v1, 0
.LBB120_22:
	s_and_b32 s9, s8, 7
	s_cmp_eq_u32 s9, 0
	s_mov_b32 s13, 0
	s_cbranch_scc1 .LBB120_27
; %bb.23:
	s_lshl_b64 s[4:5], s[12:13], 3
	s_add_u32 s4, s6, s4
	s_addc_u32 s5, s7, s5
	v_add_u32_e32 v4, s12, v0
	v_lshl_add_u64 v[6:7], v[2:3], 3, s[4:5]
	v_mov_b32_e32 v8, 0
	s_branch .LBB120_25
.LBB120_24:                             ;   in Loop: Header=BB120_25 Depth=1
	s_or_b64 exec, exec, s[4:5]
	s_add_i32 s9, s9, -1
	v_add_u32_e32 v4, 1, v4
	s_cmp_lg_u32 s9, 0
	v_lshl_add_u64 v[6:7], v[6:7], 0, 8
	s_cbranch_scc0 .LBB120_27
.LBB120_25:                             ; =>This Inner Loop Header: Depth=1
	global_load_dword v5, v[6:7], off
	s_waitcnt vmcnt(0)
	v_cmp_eq_u32_e32 vcc, 0, v5
	s_and_saveexec_b64 s[4:5], vcc
	s_cbranch_execz .LBB120_24
; %bb.26:                               ;   in Loop: Header=BB120_25 Depth=1
	v_ashrrev_i32_e32 v5, 31, v4
	s_waitcnt lgkmcnt(0)
	v_lshl_add_u64 v[10:11], v[4:5], 3, s[2:3]
	v_add_f32_e32 v1, v12, v1
	v_mov_b32_e32 v9, v8
	global_store_dwordx2 v[10:11], v[8:9], off
	s_branch .LBB120_24
.LBB120_27:
	s_load_dword s4, s[0:1], 0x3c
	s_waitcnt lgkmcnt(0)
	s_load_dwordx2 s[2:3], s[0:1], 0x40
	s_bitcmp1_b32 s4, 0
	s_cselect_b64 s[4:5], -1, 0
	s_waitcnt lgkmcnt(0)
	v_cvt_f32_f64_e32 v4, s[2:3]
	s_and_b64 vcc, exec, s[4:5]
	s_cbranch_vccz .LBB120_29
; %bb.28:
	v_cmp_lt_f32_e32 vcc, 0, v1
	s_nop 1
	v_cndmask_b32_e32 v1, 1.0, v1, vcc
	v_div_scale_f32 v5, s[2:3], v1, v1, v4
	v_rcp_f32_e32 v6, v5
	s_nop 0
	v_fma_f32 v7, -v5, v6, 1.0
	v_fmac_f32_e32 v6, v7, v6
	v_div_scale_f32 v7, vcc, v4, v1, v4
	v_mul_f32_e32 v8, v7, v6
	v_fma_f32 v9, -v5, v8, v7
	v_fmac_f32_e32 v8, v9, v6
	v_fma_f32 v5, -v5, v8, v7
	v_div_fmas_f32 v5, v5, v6, v8
	v_div_fixup_f32 v4, v5, v1, v4
.LBB120_29:
	s_andn2_b64 vcc, exec, s[10:11]
	s_cbranch_vccnz .LBB120_54
; %bb.30:
	s_load_dwordx2 s[0:1], s[0:1], 0x10
	v_mul_f32_e32 v8, v12, v4
	s_cmp_lt_u32 s8, 8
	s_mov_b32 s2, 0
	s_cbranch_scc1 .LBB120_49
; %bb.31:
	v_ashrrev_i32_e32 v1, 31, v0
	s_waitcnt lgkmcnt(0)
	v_lshl_add_u64 v[4:5], v[0:1], 2, s[0:1]
	v_lshl_add_u64 v[6:7], v[2:3], 3, s[6:7]
	s_and_b32 s2, s8, 0x7ffffff8
	v_lshl_add_u64 v[4:5], v[4:5], 0, 28
	v_lshl_add_u64 v[6:7], v[6:7], 0, 56
	s_mov_b32 s3, 0
	s_branch .LBB120_33
.LBB120_32:                             ;   in Loop: Header=BB120_33 Depth=1
	s_or_b64 exec, exec, s[4:5]
	s_add_i32 s3, s3, 8
	v_lshl_add_u64 v[4:5], v[4:5], 0, 32
	s_cmp_lg_u32 s2, s3
	v_lshl_add_u64 v[6:7], v[6:7], 0, 64
	s_cbranch_scc0 .LBB120_49
.LBB120_33:                             ; =>This Inner Loop Header: Depth=1
	global_load_dword v1, v[6:7], off offset:-56
	s_waitcnt vmcnt(0)
	v_cmp_eq_u32_e32 vcc, 0, v1
	s_and_saveexec_b64 s[4:5], vcc
	s_cbranch_execz .LBB120_35
; %bb.34:                               ;   in Loop: Header=BB120_33 Depth=1
	v_add_u32_e32 v10, s3, v0
	v_ashrrev_i32_e32 v11, 31, v10
	v_lshl_add_u64 v[10:11], v[10:11], 2, s[0:1]
	global_store_dword v[10:11], v8, off
.LBB120_35:                             ;   in Loop: Header=BB120_33 Depth=1
	s_or_b64 exec, exec, s[4:5]
	global_load_dword v1, v[6:7], off offset:-48
	s_waitcnt vmcnt(0)
	v_cmp_eq_u32_e32 vcc, 0, v1
	s_and_saveexec_b64 s[4:5], vcc
	s_cbranch_execz .LBB120_37
; %bb.36:                               ;   in Loop: Header=BB120_33 Depth=1
	global_store_dword v[4:5], v8, off offset:-24
.LBB120_37:                             ;   in Loop: Header=BB120_33 Depth=1
	s_or_b64 exec, exec, s[4:5]
	global_load_dword v1, v[6:7], off offset:-40
	s_waitcnt vmcnt(0)
	v_cmp_eq_u32_e32 vcc, 0, v1
	s_and_saveexec_b64 s[4:5], vcc
	s_cbranch_execz .LBB120_39
; %bb.38:                               ;   in Loop: Header=BB120_33 Depth=1
	global_store_dword v[4:5], v8, off offset:-20
.LBB120_39:                             ;   in Loop: Header=BB120_33 Depth=1
	;; [unrolled: 9-line block ×6, first 2 shown]
	s_or_b64 exec, exec, s[4:5]
	global_load_dword v1, v[6:7], off
	s_waitcnt vmcnt(0)
	v_cmp_eq_u32_e32 vcc, 0, v1
	s_and_saveexec_b64 s[4:5], vcc
	s_cbranch_execz .LBB120_32
; %bb.48:                               ;   in Loop: Header=BB120_33 Depth=1
	global_store_dword v[4:5], v8, off
	s_branch .LBB120_32
.LBB120_49:
	s_and_b32 s4, s8, 7
	s_cmp_eq_u32 s4, 0
	s_mov_b32 s3, 0
	s_cbranch_scc1 .LBB120_54
; %bb.50:
	v_add_u32_e32 v0, s2, v0
	s_lshl_b64 s[2:3], s[2:3], 3
	s_add_u32 s2, s6, s2
	s_addc_u32 s3, s7, s3
	v_lshl_add_u64 v[2:3], v[2:3], 3, s[2:3]
	s_branch .LBB120_52
.LBB120_51:                             ;   in Loop: Header=BB120_52 Depth=1
	s_or_b64 exec, exec, s[2:3]
	s_add_i32 s4, s4, -1
	v_add_u32_e32 v0, 1, v0
	s_cmp_lg_u32 s4, 0
	v_lshl_add_u64 v[2:3], v[2:3], 0, 8
	s_cbranch_scc0 .LBB120_54
.LBB120_52:                             ; =>This Inner Loop Header: Depth=1
	global_load_dword v1, v[2:3], off
	s_waitcnt vmcnt(0)
	v_cmp_eq_u32_e32 vcc, 0, v1
	s_and_saveexec_b64 s[2:3], vcc
	s_cbranch_execz .LBB120_51
; %bb.53:                               ;   in Loop: Header=BB120_52 Depth=1
	v_ashrrev_i32_e32 v1, 31, v0
	s_waitcnt lgkmcnt(0)
	v_lshl_add_u64 v[4:5], v[0:1], 2, s[0:1]
	global_store_dword v[4:5], v8, off
	s_branch .LBB120_51
.LBB120_54:
	s_endpgm
	.section	.rodata,"a",@progbits
	.p2align	6, 0x0
	.amdhsa_kernel _ZN4vllm3moe22topkGatingSoftplusSqrtILi1ELi1ELi4ELi4ELi64ELb1ElfEEvPKT6_PKbPfiPT5_PiiiibdPKfPKS8_SE_
		.amdhsa_group_segment_fixed_size 0
		.amdhsa_private_segment_fixed_size 0
		.amdhsa_kernarg_size 96
		.amdhsa_user_sgpr_count 2
		.amdhsa_user_sgpr_dispatch_ptr 0
		.amdhsa_user_sgpr_queue_ptr 0
		.amdhsa_user_sgpr_kernarg_segment_ptr 1
		.amdhsa_user_sgpr_dispatch_id 0
		.amdhsa_user_sgpr_kernarg_preload_length 0
		.amdhsa_user_sgpr_kernarg_preload_offset 0
		.amdhsa_user_sgpr_private_segment_size 0
		.amdhsa_uses_dynamic_stack 0
		.amdhsa_enable_private_segment 0
		.amdhsa_system_sgpr_workgroup_id_x 1
		.amdhsa_system_sgpr_workgroup_id_y 0
		.amdhsa_system_sgpr_workgroup_id_z 0
		.amdhsa_system_sgpr_workgroup_info 0
		.amdhsa_system_vgpr_workitem_id 1
		.amdhsa_next_free_vgpr 16
		.amdhsa_next_free_sgpr 16
		.amdhsa_accum_offset 16
		.amdhsa_reserve_vcc 1
		.amdhsa_float_round_mode_32 0
		.amdhsa_float_round_mode_16_64 0
		.amdhsa_float_denorm_mode_32 3
		.amdhsa_float_denorm_mode_16_64 3
		.amdhsa_dx10_clamp 1
		.amdhsa_ieee_mode 1
		.amdhsa_fp16_overflow 0
		.amdhsa_tg_split 0
		.amdhsa_exception_fp_ieee_invalid_op 0
		.amdhsa_exception_fp_denorm_src 0
		.amdhsa_exception_fp_ieee_div_zero 0
		.amdhsa_exception_fp_ieee_overflow 0
		.amdhsa_exception_fp_ieee_underflow 0
		.amdhsa_exception_fp_ieee_inexact 0
		.amdhsa_exception_int_div_zero 0
	.end_amdhsa_kernel
	.section	.text._ZN4vllm3moe22topkGatingSoftplusSqrtILi1ELi1ELi4ELi4ELi64ELb1ElfEEvPKT6_PKbPfiPT5_PiiiibdPKfPKS8_SE_,"axG",@progbits,_ZN4vllm3moe22topkGatingSoftplusSqrtILi1ELi1ELi4ELi4ELi64ELb1ElfEEvPKT6_PKbPfiPT5_PiiiibdPKfPKS8_SE_,comdat
.Lfunc_end120:
	.size	_ZN4vllm3moe22topkGatingSoftplusSqrtILi1ELi1ELi4ELi4ELi64ELb1ElfEEvPKT6_PKbPfiPT5_PiiiibdPKfPKS8_SE_, .Lfunc_end120-_ZN4vllm3moe22topkGatingSoftplusSqrtILi1ELi1ELi4ELi4ELi64ELb1ElfEEvPKT6_PKbPfiPT5_PiiiibdPKfPKS8_SE_
                                        ; -- End function
	.section	.AMDGPU.csdata,"",@progbits
; Kernel info:
; codeLenInByte = 1884
; NumSgprs: 22
; NumVgprs: 16
; NumAgprs: 0
; TotalNumVgprs: 16
; ScratchSize: 0
; MemoryBound: 0
; FloatMode: 240
; IeeeMode: 1
; LDSByteSize: 0 bytes/workgroup (compile time only)
; SGPRBlocks: 2
; VGPRBlocks: 1
; NumSGPRsForWavesPerEU: 22
; NumVGPRsForWavesPerEU: 16
; AccumOffset: 16
; Occupancy: 8
; WaveLimiterHint : 1
; COMPUTE_PGM_RSRC2:SCRATCH_EN: 0
; COMPUTE_PGM_RSRC2:USER_SGPR: 2
; COMPUTE_PGM_RSRC2:TRAP_HANDLER: 0
; COMPUTE_PGM_RSRC2:TGID_X_EN: 1
; COMPUTE_PGM_RSRC2:TGID_Y_EN: 0
; COMPUTE_PGM_RSRC2:TGID_Z_EN: 0
; COMPUTE_PGM_RSRC2:TIDIG_COMP_CNT: 1
; COMPUTE_PGM_RSRC3_GFX90A:ACCUM_OFFSET: 3
; COMPUTE_PGM_RSRC3_GFX90A:TG_SPLIT: 0
	.section	.text._ZN4vllm3moe22topkGatingSoftplusSqrtILi1ELi1ELi4ELi4ELi64ELb0ElfEEvPKT6_PKbPfiPT5_PiiiibdPKfPKS8_SE_,"axG",@progbits,_ZN4vllm3moe22topkGatingSoftplusSqrtILi1ELi1ELi4ELi4ELi64ELb0ElfEEvPKT6_PKbPfiPT5_PiiiibdPKfPKS8_SE_,comdat
	.protected	_ZN4vllm3moe22topkGatingSoftplusSqrtILi1ELi1ELi4ELi4ELi64ELb0ElfEEvPKT6_PKbPfiPT5_PiiiibdPKfPKS8_SE_ ; -- Begin function _ZN4vllm3moe22topkGatingSoftplusSqrtILi1ELi1ELi4ELi4ELi64ELb0ElfEEvPKT6_PKbPfiPT5_PiiiibdPKfPKS8_SE_
	.globl	_ZN4vllm3moe22topkGatingSoftplusSqrtILi1ELi1ELi4ELi4ELi64ELb0ElfEEvPKT6_PKbPfiPT5_PiiiibdPKfPKS8_SE_
	.p2align	8
	.type	_ZN4vllm3moe22topkGatingSoftplusSqrtILi1ELi1ELi4ELi4ELi64ELb0ElfEEvPKT6_PKbPfiPT5_PiiiibdPKfPKS8_SE_,@function
_ZN4vllm3moe22topkGatingSoftplusSqrtILi1ELi1ELi4ELi4ELi64ELb0ElfEEvPKT6_PKbPfiPT5_PiiiibdPKfPKS8_SE_: ; @_ZN4vllm3moe22topkGatingSoftplusSqrtILi1ELi1ELi4ELi4ELi64ELb0ElfEEvPKT6_PKbPfiPT5_PiiiibdPKfPKS8_SE_
; %bb.0:
	s_load_dword s24, s[0:1], 0x18
	v_bfe_u32 v1, v0, 10, 10
	s_lshl_b32 s2, s2, 8
	v_lshlrev_b32_e32 v1, 6, v1
	v_and_b32_e32 v0, 0x3ff, v0
	v_add3_u32 v2, v1, v0, s2
	s_waitcnt lgkmcnt(0)
	v_cmp_gt_i32_e32 vcc, s24, v2
	s_and_saveexec_b64 s[2:3], vcc
	s_cbranch_execz .LBB121_24
; %bb.1:
	s_load_dwordx4 s[4:7], s[0:1], 0x0
	s_load_dwordx2 s[16:17], s[0:1], 0x10
	v_ashrrev_i32_e32 v3, 31, v2
	s_waitcnt lgkmcnt(0)
	s_cmp_eq_u64 s[6:7], 0
	s_cbranch_scc1 .LBB121_3
; %bb.2:
	v_lshl_add_u64 v[0:1], s[6:7], 0, v[2:3]
	global_load_ubyte v0, v[0:1], off
	s_waitcnt vmcnt(0)
	v_and_b32_e32 v0, 1, v0
	v_cmp_eq_u32_e32 vcc, 1, v0
	s_xor_b64 s[2:3], vcc, -1
	s_orn2_b64 s[18:19], s[2:3], exec
	s_branch .LBB121_4
.LBB121_3:
	s_mov_b64 s[18:19], -1
.LBB121_4:
	v_mov_b32_e32 v0, s4
	v_mov_b32_e32 v1, s5
	v_lshl_add_u64 v[0:1], v[2:3], 2, v[0:1]
	global_load_dword v0, v[0:1], off
	s_mov_b32 s3, 0x800000
	v_mov_b32_e32 v1, 0x4f800000
	s_mov_b32 s4, 0x3f317217
	s_mov_b32 s5, 0x7f800000
	v_mov_b32_e32 v4, 0x41b17218
	s_mov_b32 s2, 0x41a00000
	s_load_dwordx4 s[8:11], s[0:1], 0x40
	s_waitcnt lgkmcnt(0)
	s_cmp_lg_u64 s[10:11], 0
	s_cselect_b64 s[22:23], -1, 0
	s_cmp_eq_u64 s[10:11], 0
	s_waitcnt vmcnt(0)
	v_mul_f32_e32 v3, 0x3fb8aa3b, v0
	v_exp_f32_e32 v3, v3
	s_nop 0
	v_add_f32_e32 v3, 1.0, v3
	v_cmp_gt_f32_e32 vcc, s3, v3
	s_mov_b32 s3, 0xf800000
	s_nop 0
	v_cndmask_b32_e32 v1, 1.0, v1, vcc
	v_mul_f32_e32 v1, v3, v1
	v_log_f32_e32 v1, v1
	v_cndmask_b32_e32 v4, 0, v4, vcc
	v_mov_b32_e32 v3, 0x260
	v_mul_f32_e32 v5, 0x3f317217, v1
	v_fma_f32 v5, v1, s4, -v5
	v_fmamk_f32 v5, v1, 0x3377d1cf, v5
	v_fmac_f32_e32 v5, 0x3f317217, v1
	v_cmp_lt_f32_e64 vcc, |v1|, s5
	s_nop 1
	v_cndmask_b32_e32 v1, v1, v5, vcc
	v_sub_f32_e32 v1, v1, v4
	v_cmp_lt_f32_e32 vcc, s2, v0
	s_nop 1
	v_cndmask_b32_e32 v0, v1, v0, vcc
	v_mul_f32_e32 v1, 0x4f800000, v0
	v_cmp_gt_f32_e32 vcc, s3, v0
	s_nop 1
	v_cndmask_b32_e32 v0, v0, v1, vcc
	v_sqrt_f32_e32 v1, v0
	s_nop 0
	v_add_u32_e32 v4, -1, v1
	v_add_u32_e32 v5, 1, v1
	v_fma_f32 v6, -v4, v1, v0
	v_fma_f32 v7, -v5, v1, v0
	v_cmp_ge_f32_e64 s[2:3], 0, v6
	s_nop 1
	v_cndmask_b32_e64 v1, v1, v4, s[2:3]
	v_cmp_lt_f32_e64 s[2:3], 0, v7
	s_nop 1
	v_cndmask_b32_e64 v1, v1, v5, s[2:3]
	v_mul_f32_e32 v4, 0x37800000, v1
	v_cndmask_b32_e32 v1, v1, v4, vcc
	v_cmp_class_f32_e32 vcc, v0, v3
	s_nop 1
	v_cndmask_b32_e32 v1, v1, v0, vcc
	s_cbranch_scc1 .LBB121_6
; %bb.5:
	s_load_dword s2, s[10:11], 0x0
	s_waitcnt lgkmcnt(0)
	v_add_f32_e32 v1, s2, v1
.LBB121_6:
	s_load_dwordx4 s[4:7], s[0:1], 0x30
	s_waitcnt lgkmcnt(0)
	s_bitcmp1_b32 s7, 0
	s_cselect_b64 s[2:3], -1, 0
	s_cmp_gt_i32 s4, 0
	s_cselect_b64 s[20:21], -1, 0
	s_cmp_lt_i32 s4, 1
	v_mul_lo_u32 v0, v2, s4
	s_cbranch_scc1 .LBB121_11
; %bb.7:
	s_cmp_lt_i32 s5, 1
	s_load_dwordx4 s[12:15], s[0:1], 0x20
	s_cselect_b64 s[0:1], -1, 0
	s_cmp_gt_i32 s6, 0
	s_cselect_b64 s[26:27], -1, 0
	s_sub_i32 s5, 0, s5
	s_and_b64 s[0:1], s[0:1], s[26:27]
	s_ashr_i32 s6, s5, 31
	v_mov_b32_e32 v3, s6
	s_and_b64 vcc, s[18:19], s[0:1]
	v_cndmask_b32_e32 v5, 0, v3, vcc
	v_mov_b32_e32 v3, s5
	v_cndmask_b32_e32 v4, 1, v3, vcc
	v_cndmask_b32_e64 v3, 0, 1, s[22:23]
	s_mov_b32 s7, 0
	v_mov_b32_e32 v6, 0
	v_cmp_ne_u32_e64 s[0:1], 1, v3
	v_mov_b32_e32 v7, 0xc61c4000
	v_mov_b32_e32 v3, 0
	s_branch .LBB121_9
.LBB121_8:                              ;   in Loop: Header=BB121_9 Depth=1
	v_add_u32_e32 v10, s7, v0
	v_ashrrev_i32_e32 v11, 31, v10
	v_lshlrev_b64 v[12:13], 2, v[10:11]
	s_add_i32 s7, s7, 1
	v_lshl_add_u64 v[14:15], s[16:17], 0, v[12:13]
	s_waitcnt lgkmcnt(0)
	v_lshl_add_u64 v[10:11], v[10:11], 3, s[12:13]
	s_cmp_ge_i32 s7, s4
	global_store_dword v[14:15], v8, off
	global_store_dwordx2 v[10:11], v[4:5], off
	v_lshl_add_u64 v[10:11], s[14:15], 0, v[12:13]
	v_add_f32_e32 v8, v3, v8
	s_cselect_b64 vcc, -1, 0
	global_store_dword v[10:11], v2, off
	v_cndmask_b32_e64 v3, v3, v8, s[2:3]
	v_cndmask_b32_e32 v1, v7, v1, vcc
	s_cmp_lg_u32 s4, s7
	v_add_u32_e32 v2, s24, v2
	s_cbranch_scc0 .LBB121_12
.LBB121_9:                              ; =>This Inner Loop Header: Depth=1
	s_and_b64 vcc, exec, s[0:1]
	v_mov_b32_e32 v8, v1
	s_cbranch_vccnz .LBB121_8
; %bb.10:                               ;   in Loop: Header=BB121_9 Depth=1
	global_load_dword v8, v6, s[10:11]
	s_waitcnt vmcnt(0)
	v_sub_f32_e32 v8, v1, v8
	s_branch .LBB121_8
.LBB121_11:
	v_mov_b32_e32 v3, 0
.LBB121_12:
	s_andn2_b64 vcc, exec, s[2:3]
	v_cvt_f32_f64_e32 v2, s[8:9]
	s_cbranch_vccnz .LBB121_14
; %bb.13:
	v_cmp_lt_f32_e32 vcc, 0, v3
	s_nop 1
	v_cndmask_b32_e32 v1, 1.0, v3, vcc
	v_div_scale_f32 v3, s[0:1], v1, v1, v2
	v_rcp_f32_e32 v4, v3
	s_nop 0
	v_fma_f32 v5, -v3, v4, 1.0
	v_fmac_f32_e32 v4, v5, v4
	v_div_scale_f32 v5, vcc, v2, v1, v2
	v_mul_f32_e32 v6, v5, v4
	v_fma_f32 v7, -v3, v6, v5
	v_fmac_f32_e32 v6, v7, v4
	v_fma_f32 v3, -v3, v6, v5
	v_div_fmas_f32 v3, v3, v4, v6
	v_div_fixup_f32 v2, v3, v1, v2
.LBB121_14:
	s_andn2_b64 vcc, exec, s[20:21]
	s_cbranch_vccnz .LBB121_24
; %bb.15:
	s_cmp_gt_u32 s4, 3
	v_ashrrev_i32_e32 v1, 31, v0
	s_cbranch_scc0 .LBB121_19
; %bb.16:
	s_and_b32 s0, s4, 0x7ffffffc
	v_lshl_add_u64 v[4:5], v[0:1], 2, s[16:17]
	v_mov_b32_e32 v3, v2
	v_lshl_add_u64 v[4:5], v[4:5], 0, 8
	s_mov_b32 s1, s0
.LBB121_17:                             ; =>This Inner Loop Header: Depth=1
	global_load_dwordx4 v[6:9], v[4:5], off offset:-8
	s_add_i32 s1, s1, -4
	s_cmp_lg_u32 s1, 0
	s_waitcnt vmcnt(0)
	v_pk_mul_f32 v[6:7], v[2:3], v[6:7]
	v_pk_mul_f32 v[8:9], v[2:3], v[8:9]
	global_store_dwordx4 v[4:5], v[6:9], off offset:-8
	v_lshl_add_u64 v[4:5], v[4:5], 0, 16
	s_cbranch_scc1 .LBB121_17
; %bb.18:
	s_cmp_lg_u32 s0, s4
	s_cselect_b64 s[2:3], -1, 0
	s_branch .LBB121_21
.LBB121_19:
	s_mov_b64 s[2:3], 0
                                        ; implicit-def: $sgpr0
	s_cbranch_execz .LBB121_21
; %bb.20:
	s_mov_b64 s[2:3], -1
	s_mov_b32 s0, 0
.LBB121_21:
	s_andn2_b64 vcc, exec, s[2:3]
	s_cbranch_vccnz .LBB121_24
; %bb.22:
	s_mov_b32 s1, 0
	v_lshl_add_u64 v[0:1], v[0:1], 0, s[0:1]
	s_sub_i32 s2, s4, s0
	v_lshl_add_u64 v[0:1], v[0:1], 2, s[16:17]
.LBB121_23:                             ; =>This Inner Loop Header: Depth=1
	global_load_dword v3, v[0:1], off
	s_add_i32 s2, s2, -1
	s_cmp_lg_u32 s2, 0
	s_waitcnt vmcnt(0)
	v_mul_f32_e32 v3, v2, v3
	global_store_dword v[0:1], v3, off
	v_lshl_add_u64 v[0:1], v[0:1], 0, 4
	s_cbranch_scc1 .LBB121_23
.LBB121_24:
	s_endpgm
	.section	.rodata,"a",@progbits
	.p2align	6, 0x0
	.amdhsa_kernel _ZN4vllm3moe22topkGatingSoftplusSqrtILi1ELi1ELi4ELi4ELi64ELb0ElfEEvPKT6_PKbPfiPT5_PiiiibdPKfPKS8_SE_
		.amdhsa_group_segment_fixed_size 0
		.amdhsa_private_segment_fixed_size 0
		.amdhsa_kernarg_size 96
		.amdhsa_user_sgpr_count 2
		.amdhsa_user_sgpr_dispatch_ptr 0
		.amdhsa_user_sgpr_queue_ptr 0
		.amdhsa_user_sgpr_kernarg_segment_ptr 1
		.amdhsa_user_sgpr_dispatch_id 0
		.amdhsa_user_sgpr_kernarg_preload_length 0
		.amdhsa_user_sgpr_kernarg_preload_offset 0
		.amdhsa_user_sgpr_private_segment_size 0
		.amdhsa_uses_dynamic_stack 0
		.amdhsa_enable_private_segment 0
		.amdhsa_system_sgpr_workgroup_id_x 1
		.amdhsa_system_sgpr_workgroup_id_y 0
		.amdhsa_system_sgpr_workgroup_id_z 0
		.amdhsa_system_sgpr_workgroup_info 0
		.amdhsa_system_vgpr_workitem_id 1
		.amdhsa_next_free_vgpr 16
		.amdhsa_next_free_sgpr 28
		.amdhsa_accum_offset 16
		.amdhsa_reserve_vcc 1
		.amdhsa_float_round_mode_32 0
		.amdhsa_float_round_mode_16_64 0
		.amdhsa_float_denorm_mode_32 3
		.amdhsa_float_denorm_mode_16_64 3
		.amdhsa_dx10_clamp 1
		.amdhsa_ieee_mode 1
		.amdhsa_fp16_overflow 0
		.amdhsa_tg_split 0
		.amdhsa_exception_fp_ieee_invalid_op 0
		.amdhsa_exception_fp_denorm_src 0
		.amdhsa_exception_fp_ieee_div_zero 0
		.amdhsa_exception_fp_ieee_overflow 0
		.amdhsa_exception_fp_ieee_underflow 0
		.amdhsa_exception_fp_ieee_inexact 0
		.amdhsa_exception_int_div_zero 0
	.end_amdhsa_kernel
	.section	.text._ZN4vllm3moe22topkGatingSoftplusSqrtILi1ELi1ELi4ELi4ELi64ELb0ElfEEvPKT6_PKbPfiPT5_PiiiibdPKfPKS8_SE_,"axG",@progbits,_ZN4vllm3moe22topkGatingSoftplusSqrtILi1ELi1ELi4ELi4ELi64ELb0ElfEEvPKT6_PKbPfiPT5_PiiiibdPKfPKS8_SE_,comdat
.Lfunc_end121:
	.size	_ZN4vllm3moe22topkGatingSoftplusSqrtILi1ELi1ELi4ELi4ELi64ELb0ElfEEvPKT6_PKbPfiPT5_PiiiibdPKfPKS8_SE_, .Lfunc_end121-_ZN4vllm3moe22topkGatingSoftplusSqrtILi1ELi1ELi4ELi4ELi64ELb0ElfEEvPKT6_PKbPfiPT5_PiiiibdPKfPKS8_SE_
                                        ; -- End function
	.section	.AMDGPU.csdata,"",@progbits
; Kernel info:
; codeLenInByte = 1092
; NumSgprs: 34
; NumVgprs: 16
; NumAgprs: 0
; TotalNumVgprs: 16
; ScratchSize: 0
; MemoryBound: 0
; FloatMode: 240
; IeeeMode: 1
; LDSByteSize: 0 bytes/workgroup (compile time only)
; SGPRBlocks: 4
; VGPRBlocks: 1
; NumSGPRsForWavesPerEU: 34
; NumVGPRsForWavesPerEU: 16
; AccumOffset: 16
; Occupancy: 8
; WaveLimiterHint : 0
; COMPUTE_PGM_RSRC2:SCRATCH_EN: 0
; COMPUTE_PGM_RSRC2:USER_SGPR: 2
; COMPUTE_PGM_RSRC2:TRAP_HANDLER: 0
; COMPUTE_PGM_RSRC2:TGID_X_EN: 1
; COMPUTE_PGM_RSRC2:TGID_Y_EN: 0
; COMPUTE_PGM_RSRC2:TGID_Z_EN: 0
; COMPUTE_PGM_RSRC2:TIDIG_COMP_CNT: 1
; COMPUTE_PGM_RSRC3_GFX90A:ACCUM_OFFSET: 3
; COMPUTE_PGM_RSRC3_GFX90A:TG_SPLIT: 0
	.section	.text._ZN4vllm3moe22topkGatingSoftplusSqrtILi1ELi1ELi4ELi4ELi32ELb1ElfEEvPKT6_PKbPfiPT5_PiiiibdPKfPKS8_SE_,"axG",@progbits,_ZN4vllm3moe22topkGatingSoftplusSqrtILi1ELi1ELi4ELi4ELi32ELb1ElfEEvPKT6_PKbPfiPT5_PiiiibdPKfPKS8_SE_,comdat
	.protected	_ZN4vllm3moe22topkGatingSoftplusSqrtILi1ELi1ELi4ELi4ELi32ELb1ElfEEvPKT6_PKbPfiPT5_PiiiibdPKfPKS8_SE_ ; -- Begin function _ZN4vllm3moe22topkGatingSoftplusSqrtILi1ELi1ELi4ELi4ELi32ELb1ElfEEvPKT6_PKbPfiPT5_PiiiibdPKfPKS8_SE_
	.globl	_ZN4vllm3moe22topkGatingSoftplusSqrtILi1ELi1ELi4ELi4ELi32ELb1ElfEEvPKT6_PKbPfiPT5_PiiiibdPKfPKS8_SE_
	.p2align	8
	.type	_ZN4vllm3moe22topkGatingSoftplusSqrtILi1ELi1ELi4ELi4ELi32ELb1ElfEEvPKT6_PKbPfiPT5_PiiiibdPKfPKS8_SE_,@function
_ZN4vllm3moe22topkGatingSoftplusSqrtILi1ELi1ELi4ELi4ELi32ELb1ElfEEvPKT6_PKbPfiPT5_PiiiibdPKfPKS8_SE_: ; @_ZN4vllm3moe22topkGatingSoftplusSqrtILi1ELi1ELi4ELi4ELi32ELb1ElfEEvPKT6_PKbPfiPT5_PiiiibdPKfPKS8_SE_
; %bb.0:
	s_load_dword s3, s[0:1], 0x18
	v_bfe_u32 v1, v0, 10, 10
	s_lshl_b32 s2, s2, 7
	v_lshlrev_b32_e32 v1, 5, v1
	v_and_b32_e32 v0, 0x3ff, v0
	v_add3_u32 v0, v1, v0, s2
	s_waitcnt lgkmcnt(0)
	v_cmp_gt_i32_e32 vcc, s3, v0
	s_and_saveexec_b64 s[2:3], vcc
	s_cbranch_execz .LBB122_54
; %bb.1:
	s_load_dwordx2 s[2:3], s[0:1], 0x0
	s_load_dword s8, s[0:1], 0x30
	v_ashrrev_i32_e32 v1, 31, v0
	s_load_dwordx4 s[4:7], s[0:1], 0x50
	v_mov_b32_e32 v5, 0x4f800000
	s_waitcnt lgkmcnt(0)
	v_lshl_add_u64 v[2:3], v[0:1], 2, s[2:3]
	global_load_dword v4, v[2:3], off
	s_ashr_i32 s9, s8, 31
	v_mov_b32_e32 v2, s4
	v_mov_b32_e32 v3, s5
	v_lshl_add_u64 v[2:3], v[0:1], 3, v[2:3]
	global_load_dwordx2 v[2:3], v[2:3], off
	s_mov_b32 s5, 0x800000
	v_cmp_lt_i64_e64 s[2:3], s[8:9], 1
	s_and_b64 vcc, exec, s[2:3]
	v_mov_b32_e32 v6, 0x41b17218
	s_mov_b32 s13, 0x3f317217
	s_mov_b32 s14, 0x7f800000
	;; [unrolled: 1-line block ×4, first 2 shown]
	v_mov_b32_e32 v7, 0x260
	s_mov_b32 s12, 0
	v_mov_b32_e32 v1, 0
	v_mul_lo_u32 v0, v0, s8
	v_cmp_gt_i64_e64 s[10:11], s[8:9], 0
	s_waitcnt vmcnt(1)
	v_mul_f32_e32 v8, 0x3fb8aa3b, v4
	v_exp_f32_e32 v8, v8
	s_waitcnt vmcnt(0)
	v_mul_lo_u32 v9, v2, s9
	v_add_f32_e32 v8, 1.0, v8
	v_cmp_gt_f32_e64 s[2:3], s5, v8
	s_nop 1
	v_cndmask_b32_e64 v5, 1.0, v5, s[2:3]
	v_mul_f32_e32 v5, v8, v5
	v_log_f32_e32 v5, v5
	v_mul_lo_u32 v8, v3, s8
	v_cndmask_b32_e64 v3, 0, v6, s[2:3]
	v_mul_f32_e32 v6, 0x3f317217, v5
	v_fma_f32 v6, v5, s13, -v6
	v_fmamk_f32 v6, v5, 0x3377d1cf, v6
	v_fmac_f32_e32 v6, 0x3f317217, v5
	v_cmp_lt_f32_e64 s[2:3], |v5|, s14
	s_nop 1
	v_cndmask_b32_e64 v5, v5, v6, s[2:3]
	v_sub_f32_e32 v3, v5, v3
	v_cmp_lt_f32_e64 s[2:3], s4, v4
	s_nop 1
	v_cndmask_b32_e64 v3, v3, v4, s[2:3]
	v_mul_f32_e32 v4, 0x4f800000, v3
	v_cmp_gt_f32_e64 s[2:3], s15, v3
	s_nop 1
	v_cndmask_b32_e64 v4, v3, v4, s[2:3]
	v_sqrt_f32_e32 v5, v4
	v_mad_u64_u32 v[2:3], s[4:5], v2, s8, 0
	v_add3_u32 v3, v3, v9, v8
	v_add_u32_e32 v6, -1, v5
	v_add_u32_e32 v8, 1, v5
	v_fma_f32 v9, -v6, v5, v4
	v_fma_f32 v10, -v8, v5, v4
	v_cmp_ge_f32_e64 s[4:5], 0, v9
	s_nop 1
	v_cndmask_b32_e64 v5, v5, v6, s[4:5]
	v_cmp_lt_f32_e64 s[4:5], 0, v10
	s_nop 1
	v_cndmask_b32_e64 v5, v5, v8, s[4:5]
	v_mul_f32_e32 v6, 0x37800000, v5
	v_cndmask_b32_e64 v5, v5, v6, s[2:3]
	v_cmp_class_f32_e64 s[2:3], v4, v7
	s_nop 1
	v_cndmask_b32_e64 v12, v5, v4, s[2:3]
	s_cbranch_vccnz .LBB122_27
; %bb.2:
	s_load_dwordx2 s[2:3], s[0:1], 0x20
	s_cmp_lt_u32 s8, 8
	s_cbranch_scc1 .LBB122_21
; %bb.3:
	v_ashrrev_i32_e32 v1, 31, v0
	v_lshl_add_u64 v[4:5], v[2:3], 3, s[6:7]
	s_and_b32 s12, s8, 0x7ffffff8
	s_waitcnt lgkmcnt(0)
	v_lshl_add_u64 v[6:7], v[0:1], 3, s[2:3]
	s_mov_b32 s9, 0
	s_mov_b64 s[4:5], 0
	v_mov_b32_e32 v8, 0
	v_mov_b32_e32 v1, 0
	s_branch .LBB122_5
.LBB122_4:                              ;   in Loop: Header=BB122_5 Depth=1
	s_or_b64 exec, exec, s[14:15]
	s_add_i32 s9, s9, 8
	s_add_u32 s4, s4, 64
	s_addc_u32 s5, s5, 0
	s_cmp_eq_u32 s12, s9
	s_cbranch_scc1 .LBB122_22
.LBB122_5:                              ; =>This Inner Loop Header: Depth=1
	v_lshl_add_u64 v[10:11], v[4:5], 0, s[4:5]
	global_load_dword v9, v[10:11], off
	s_waitcnt vmcnt(0)
	v_cmp_eq_u32_e32 vcc, 0, v9
	s_and_saveexec_b64 s[14:15], vcc
	s_cbranch_execz .LBB122_7
; %bb.6:                                ;   in Loop: Header=BB122_5 Depth=1
	v_add_u32_e32 v14, s9, v0
	v_ashrrev_i32_e32 v15, 31, v14
	v_lshl_add_u64 v[14:15], v[14:15], 3, s[2:3]
	v_add_f32_e32 v1, v12, v1
	v_mov_b32_e32 v9, v8
	global_store_dwordx2 v[14:15], v[8:9], off
.LBB122_7:                              ;   in Loop: Header=BB122_5 Depth=1
	s_or_b64 exec, exec, s[14:15]
	global_load_dword v9, v[10:11], off offset:8
	s_waitcnt vmcnt(0)
	v_cmp_eq_u32_e32 vcc, 0, v9
	s_and_saveexec_b64 s[14:15], vcc
	s_cbranch_execz .LBB122_9
; %bb.8:                                ;   in Loop: Header=BB122_5 Depth=1
	v_lshl_add_u64 v[14:15], v[6:7], 0, s[4:5]
	v_add_f32_e32 v1, v12, v1
	v_mov_b32_e32 v9, v8
	global_store_dwordx2 v[14:15], v[8:9], off offset:8
.LBB122_9:                              ;   in Loop: Header=BB122_5 Depth=1
	s_or_b64 exec, exec, s[14:15]
	global_load_dword v9, v[10:11], off offset:16
	s_waitcnt vmcnt(0)
	v_cmp_eq_u32_e32 vcc, 0, v9
	s_and_saveexec_b64 s[14:15], vcc
	s_cbranch_execz .LBB122_11
; %bb.10:                               ;   in Loop: Header=BB122_5 Depth=1
	v_lshl_add_u64 v[14:15], v[6:7], 0, s[4:5]
	v_add_f32_e32 v1, v12, v1
	v_mov_b32_e32 v9, v8
	global_store_dwordx2 v[14:15], v[8:9], off offset:16
.LBB122_11:                             ;   in Loop: Header=BB122_5 Depth=1
	s_or_b64 exec, exec, s[14:15]
	global_load_dword v9, v[10:11], off offset:24
	s_waitcnt vmcnt(0)
	v_cmp_eq_u32_e32 vcc, 0, v9
	s_and_saveexec_b64 s[14:15], vcc
	s_cbranch_execz .LBB122_13
; %bb.12:                               ;   in Loop: Header=BB122_5 Depth=1
	v_lshl_add_u64 v[14:15], v[6:7], 0, s[4:5]
	v_add_f32_e32 v1, v12, v1
	v_mov_b32_e32 v9, v8
	global_store_dwordx2 v[14:15], v[8:9], off offset:24
.LBB122_13:                             ;   in Loop: Header=BB122_5 Depth=1
	;; [unrolled: 12-line block ×5, first 2 shown]
	s_or_b64 exec, exec, s[14:15]
	global_load_dword v9, v[10:11], off offset:56
	s_waitcnt vmcnt(0)
	v_cmp_eq_u32_e32 vcc, 0, v9
	s_and_saveexec_b64 s[14:15], vcc
	s_cbranch_execz .LBB122_4
; %bb.20:                               ;   in Loop: Header=BB122_5 Depth=1
	v_lshl_add_u64 v[10:11], v[6:7], 0, s[4:5]
	v_add_f32_e32 v1, v12, v1
	v_mov_b32_e32 v9, v8
	global_store_dwordx2 v[10:11], v[8:9], off offset:56
	s_branch .LBB122_4
.LBB122_21:
	v_mov_b32_e32 v1, 0
.LBB122_22:
	s_and_b32 s9, s8, 7
	s_cmp_eq_u32 s9, 0
	s_mov_b32 s13, 0
	s_cbranch_scc1 .LBB122_27
; %bb.23:
	s_lshl_b64 s[4:5], s[12:13], 3
	s_add_u32 s4, s6, s4
	s_addc_u32 s5, s7, s5
	v_add_u32_e32 v4, s12, v0
	v_lshl_add_u64 v[6:7], v[2:3], 3, s[4:5]
	v_mov_b32_e32 v8, 0
	s_branch .LBB122_25
.LBB122_24:                             ;   in Loop: Header=BB122_25 Depth=1
	s_or_b64 exec, exec, s[4:5]
	s_add_i32 s9, s9, -1
	v_add_u32_e32 v4, 1, v4
	s_cmp_lg_u32 s9, 0
	v_lshl_add_u64 v[6:7], v[6:7], 0, 8
	s_cbranch_scc0 .LBB122_27
.LBB122_25:                             ; =>This Inner Loop Header: Depth=1
	global_load_dword v5, v[6:7], off
	s_waitcnt vmcnt(0)
	v_cmp_eq_u32_e32 vcc, 0, v5
	s_and_saveexec_b64 s[4:5], vcc
	s_cbranch_execz .LBB122_24
; %bb.26:                               ;   in Loop: Header=BB122_25 Depth=1
	v_ashrrev_i32_e32 v5, 31, v4
	s_waitcnt lgkmcnt(0)
	v_lshl_add_u64 v[10:11], v[4:5], 3, s[2:3]
	v_add_f32_e32 v1, v12, v1
	v_mov_b32_e32 v9, v8
	global_store_dwordx2 v[10:11], v[8:9], off
	s_branch .LBB122_24
.LBB122_27:
	s_load_dword s4, s[0:1], 0x3c
	s_waitcnt lgkmcnt(0)
	s_load_dwordx2 s[2:3], s[0:1], 0x40
	s_bitcmp1_b32 s4, 0
	s_cselect_b64 s[4:5], -1, 0
	s_waitcnt lgkmcnt(0)
	v_cvt_f32_f64_e32 v4, s[2:3]
	s_and_b64 vcc, exec, s[4:5]
	s_cbranch_vccz .LBB122_29
; %bb.28:
	v_cmp_lt_f32_e32 vcc, 0, v1
	s_nop 1
	v_cndmask_b32_e32 v1, 1.0, v1, vcc
	v_div_scale_f32 v5, s[2:3], v1, v1, v4
	v_rcp_f32_e32 v6, v5
	s_nop 0
	v_fma_f32 v7, -v5, v6, 1.0
	v_fmac_f32_e32 v6, v7, v6
	v_div_scale_f32 v7, vcc, v4, v1, v4
	v_mul_f32_e32 v8, v7, v6
	v_fma_f32 v9, -v5, v8, v7
	v_fmac_f32_e32 v8, v9, v6
	v_fma_f32 v5, -v5, v8, v7
	v_div_fmas_f32 v5, v5, v6, v8
	v_div_fixup_f32 v4, v5, v1, v4
.LBB122_29:
	s_andn2_b64 vcc, exec, s[10:11]
	s_cbranch_vccnz .LBB122_54
; %bb.30:
	s_load_dwordx2 s[0:1], s[0:1], 0x10
	v_mul_f32_e32 v8, v12, v4
	s_cmp_lt_u32 s8, 8
	s_mov_b32 s2, 0
	s_cbranch_scc1 .LBB122_49
; %bb.31:
	v_ashrrev_i32_e32 v1, 31, v0
	s_waitcnt lgkmcnt(0)
	v_lshl_add_u64 v[4:5], v[0:1], 2, s[0:1]
	v_lshl_add_u64 v[6:7], v[2:3], 3, s[6:7]
	s_and_b32 s2, s8, 0x7ffffff8
	v_lshl_add_u64 v[4:5], v[4:5], 0, 28
	v_lshl_add_u64 v[6:7], v[6:7], 0, 56
	s_mov_b32 s3, 0
	s_branch .LBB122_33
.LBB122_32:                             ;   in Loop: Header=BB122_33 Depth=1
	s_or_b64 exec, exec, s[4:5]
	s_add_i32 s3, s3, 8
	v_lshl_add_u64 v[4:5], v[4:5], 0, 32
	s_cmp_lg_u32 s2, s3
	v_lshl_add_u64 v[6:7], v[6:7], 0, 64
	s_cbranch_scc0 .LBB122_49
.LBB122_33:                             ; =>This Inner Loop Header: Depth=1
	global_load_dword v1, v[6:7], off offset:-56
	s_waitcnt vmcnt(0)
	v_cmp_eq_u32_e32 vcc, 0, v1
	s_and_saveexec_b64 s[4:5], vcc
	s_cbranch_execz .LBB122_35
; %bb.34:                               ;   in Loop: Header=BB122_33 Depth=1
	v_add_u32_e32 v10, s3, v0
	v_ashrrev_i32_e32 v11, 31, v10
	v_lshl_add_u64 v[10:11], v[10:11], 2, s[0:1]
	global_store_dword v[10:11], v8, off
.LBB122_35:                             ;   in Loop: Header=BB122_33 Depth=1
	s_or_b64 exec, exec, s[4:5]
	global_load_dword v1, v[6:7], off offset:-48
	s_waitcnt vmcnt(0)
	v_cmp_eq_u32_e32 vcc, 0, v1
	s_and_saveexec_b64 s[4:5], vcc
	s_cbranch_execz .LBB122_37
; %bb.36:                               ;   in Loop: Header=BB122_33 Depth=1
	global_store_dword v[4:5], v8, off offset:-24
.LBB122_37:                             ;   in Loop: Header=BB122_33 Depth=1
	s_or_b64 exec, exec, s[4:5]
	global_load_dword v1, v[6:7], off offset:-40
	s_waitcnt vmcnt(0)
	v_cmp_eq_u32_e32 vcc, 0, v1
	s_and_saveexec_b64 s[4:5], vcc
	s_cbranch_execz .LBB122_39
; %bb.38:                               ;   in Loop: Header=BB122_33 Depth=1
	global_store_dword v[4:5], v8, off offset:-20
.LBB122_39:                             ;   in Loop: Header=BB122_33 Depth=1
	;; [unrolled: 9-line block ×6, first 2 shown]
	s_or_b64 exec, exec, s[4:5]
	global_load_dword v1, v[6:7], off
	s_waitcnt vmcnt(0)
	v_cmp_eq_u32_e32 vcc, 0, v1
	s_and_saveexec_b64 s[4:5], vcc
	s_cbranch_execz .LBB122_32
; %bb.48:                               ;   in Loop: Header=BB122_33 Depth=1
	global_store_dword v[4:5], v8, off
	s_branch .LBB122_32
.LBB122_49:
	s_and_b32 s4, s8, 7
	s_cmp_eq_u32 s4, 0
	s_mov_b32 s3, 0
	s_cbranch_scc1 .LBB122_54
; %bb.50:
	v_add_u32_e32 v0, s2, v0
	s_lshl_b64 s[2:3], s[2:3], 3
	s_add_u32 s2, s6, s2
	s_addc_u32 s3, s7, s3
	v_lshl_add_u64 v[2:3], v[2:3], 3, s[2:3]
	s_branch .LBB122_52
.LBB122_51:                             ;   in Loop: Header=BB122_52 Depth=1
	s_or_b64 exec, exec, s[2:3]
	s_add_i32 s4, s4, -1
	v_add_u32_e32 v0, 1, v0
	s_cmp_lg_u32 s4, 0
	v_lshl_add_u64 v[2:3], v[2:3], 0, 8
	s_cbranch_scc0 .LBB122_54
.LBB122_52:                             ; =>This Inner Loop Header: Depth=1
	global_load_dword v1, v[2:3], off
	s_waitcnt vmcnt(0)
	v_cmp_eq_u32_e32 vcc, 0, v1
	s_and_saveexec_b64 s[2:3], vcc
	s_cbranch_execz .LBB122_51
; %bb.53:                               ;   in Loop: Header=BB122_52 Depth=1
	v_ashrrev_i32_e32 v1, 31, v0
	s_waitcnt lgkmcnt(0)
	v_lshl_add_u64 v[4:5], v[0:1], 2, s[0:1]
	global_store_dword v[4:5], v8, off
	s_branch .LBB122_51
.LBB122_54:
	s_endpgm
	.section	.rodata,"a",@progbits
	.p2align	6, 0x0
	.amdhsa_kernel _ZN4vllm3moe22topkGatingSoftplusSqrtILi1ELi1ELi4ELi4ELi32ELb1ElfEEvPKT6_PKbPfiPT5_PiiiibdPKfPKS8_SE_
		.amdhsa_group_segment_fixed_size 0
		.amdhsa_private_segment_fixed_size 0
		.amdhsa_kernarg_size 96
		.amdhsa_user_sgpr_count 2
		.amdhsa_user_sgpr_dispatch_ptr 0
		.amdhsa_user_sgpr_queue_ptr 0
		.amdhsa_user_sgpr_kernarg_segment_ptr 1
		.amdhsa_user_sgpr_dispatch_id 0
		.amdhsa_user_sgpr_kernarg_preload_length 0
		.amdhsa_user_sgpr_kernarg_preload_offset 0
		.amdhsa_user_sgpr_private_segment_size 0
		.amdhsa_uses_dynamic_stack 0
		.amdhsa_enable_private_segment 0
		.amdhsa_system_sgpr_workgroup_id_x 1
		.amdhsa_system_sgpr_workgroup_id_y 0
		.amdhsa_system_sgpr_workgroup_id_z 0
		.amdhsa_system_sgpr_workgroup_info 0
		.amdhsa_system_vgpr_workitem_id 1
		.amdhsa_next_free_vgpr 16
		.amdhsa_next_free_sgpr 16
		.amdhsa_accum_offset 16
		.amdhsa_reserve_vcc 1
		.amdhsa_float_round_mode_32 0
		.amdhsa_float_round_mode_16_64 0
		.amdhsa_float_denorm_mode_32 3
		.amdhsa_float_denorm_mode_16_64 3
		.amdhsa_dx10_clamp 1
		.amdhsa_ieee_mode 1
		.amdhsa_fp16_overflow 0
		.amdhsa_tg_split 0
		.amdhsa_exception_fp_ieee_invalid_op 0
		.amdhsa_exception_fp_denorm_src 0
		.amdhsa_exception_fp_ieee_div_zero 0
		.amdhsa_exception_fp_ieee_overflow 0
		.amdhsa_exception_fp_ieee_underflow 0
		.amdhsa_exception_fp_ieee_inexact 0
		.amdhsa_exception_int_div_zero 0
	.end_amdhsa_kernel
	.section	.text._ZN4vllm3moe22topkGatingSoftplusSqrtILi1ELi1ELi4ELi4ELi32ELb1ElfEEvPKT6_PKbPfiPT5_PiiiibdPKfPKS8_SE_,"axG",@progbits,_ZN4vllm3moe22topkGatingSoftplusSqrtILi1ELi1ELi4ELi4ELi32ELb1ElfEEvPKT6_PKbPfiPT5_PiiiibdPKfPKS8_SE_,comdat
.Lfunc_end122:
	.size	_ZN4vllm3moe22topkGatingSoftplusSqrtILi1ELi1ELi4ELi4ELi32ELb1ElfEEvPKT6_PKbPfiPT5_PiiiibdPKfPKS8_SE_, .Lfunc_end122-_ZN4vllm3moe22topkGatingSoftplusSqrtILi1ELi1ELi4ELi4ELi32ELb1ElfEEvPKT6_PKbPfiPT5_PiiiibdPKfPKS8_SE_
                                        ; -- End function
	.section	.AMDGPU.csdata,"",@progbits
; Kernel info:
; codeLenInByte = 1884
; NumSgprs: 22
; NumVgprs: 16
; NumAgprs: 0
; TotalNumVgprs: 16
; ScratchSize: 0
; MemoryBound: 0
; FloatMode: 240
; IeeeMode: 1
; LDSByteSize: 0 bytes/workgroup (compile time only)
; SGPRBlocks: 2
; VGPRBlocks: 1
; NumSGPRsForWavesPerEU: 22
; NumVGPRsForWavesPerEU: 16
; AccumOffset: 16
; Occupancy: 8
; WaveLimiterHint : 1
; COMPUTE_PGM_RSRC2:SCRATCH_EN: 0
; COMPUTE_PGM_RSRC2:USER_SGPR: 2
; COMPUTE_PGM_RSRC2:TRAP_HANDLER: 0
; COMPUTE_PGM_RSRC2:TGID_X_EN: 1
; COMPUTE_PGM_RSRC2:TGID_Y_EN: 0
; COMPUTE_PGM_RSRC2:TGID_Z_EN: 0
; COMPUTE_PGM_RSRC2:TIDIG_COMP_CNT: 1
; COMPUTE_PGM_RSRC3_GFX90A:ACCUM_OFFSET: 3
; COMPUTE_PGM_RSRC3_GFX90A:TG_SPLIT: 0
	.section	.text._ZN4vllm3moe22topkGatingSoftplusSqrtILi1ELi1ELi4ELi4ELi32ELb0ElfEEvPKT6_PKbPfiPT5_PiiiibdPKfPKS8_SE_,"axG",@progbits,_ZN4vllm3moe22topkGatingSoftplusSqrtILi1ELi1ELi4ELi4ELi32ELb0ElfEEvPKT6_PKbPfiPT5_PiiiibdPKfPKS8_SE_,comdat
	.protected	_ZN4vllm3moe22topkGatingSoftplusSqrtILi1ELi1ELi4ELi4ELi32ELb0ElfEEvPKT6_PKbPfiPT5_PiiiibdPKfPKS8_SE_ ; -- Begin function _ZN4vllm3moe22topkGatingSoftplusSqrtILi1ELi1ELi4ELi4ELi32ELb0ElfEEvPKT6_PKbPfiPT5_PiiiibdPKfPKS8_SE_
	.globl	_ZN4vllm3moe22topkGatingSoftplusSqrtILi1ELi1ELi4ELi4ELi32ELb0ElfEEvPKT6_PKbPfiPT5_PiiiibdPKfPKS8_SE_
	.p2align	8
	.type	_ZN4vllm3moe22topkGatingSoftplusSqrtILi1ELi1ELi4ELi4ELi32ELb0ElfEEvPKT6_PKbPfiPT5_PiiiibdPKfPKS8_SE_,@function
_ZN4vllm3moe22topkGatingSoftplusSqrtILi1ELi1ELi4ELi4ELi32ELb0ElfEEvPKT6_PKbPfiPT5_PiiiibdPKfPKS8_SE_: ; @_ZN4vllm3moe22topkGatingSoftplusSqrtILi1ELi1ELi4ELi4ELi32ELb0ElfEEvPKT6_PKbPfiPT5_PiiiibdPKfPKS8_SE_
; %bb.0:
	s_load_dword s24, s[0:1], 0x18
	v_bfe_u32 v1, v0, 10, 10
	s_lshl_b32 s2, s2, 7
	v_lshlrev_b32_e32 v1, 5, v1
	v_and_b32_e32 v0, 0x3ff, v0
	v_add3_u32 v2, v1, v0, s2
	s_waitcnt lgkmcnt(0)
	v_cmp_gt_i32_e32 vcc, s24, v2
	s_and_saveexec_b64 s[2:3], vcc
	s_cbranch_execz .LBB123_24
; %bb.1:
	s_load_dwordx4 s[4:7], s[0:1], 0x0
	s_load_dwordx2 s[16:17], s[0:1], 0x10
	v_ashrrev_i32_e32 v3, 31, v2
	s_waitcnt lgkmcnt(0)
	s_cmp_eq_u64 s[6:7], 0
	s_cbranch_scc1 .LBB123_3
; %bb.2:
	v_lshl_add_u64 v[0:1], s[6:7], 0, v[2:3]
	global_load_ubyte v0, v[0:1], off
	s_waitcnt vmcnt(0)
	v_and_b32_e32 v0, 1, v0
	v_cmp_eq_u32_e32 vcc, 1, v0
	s_xor_b64 s[2:3], vcc, -1
	s_orn2_b64 s[18:19], s[2:3], exec
	s_branch .LBB123_4
.LBB123_3:
	s_mov_b64 s[18:19], -1
.LBB123_4:
	v_mov_b32_e32 v0, s4
	v_mov_b32_e32 v1, s5
	v_lshl_add_u64 v[0:1], v[2:3], 2, v[0:1]
	global_load_dword v0, v[0:1], off
	s_mov_b32 s3, 0x800000
	v_mov_b32_e32 v1, 0x4f800000
	s_mov_b32 s4, 0x3f317217
	s_mov_b32 s5, 0x7f800000
	v_mov_b32_e32 v4, 0x41b17218
	s_mov_b32 s2, 0x41a00000
	s_load_dwordx4 s[8:11], s[0:1], 0x40
	s_waitcnt lgkmcnt(0)
	s_cmp_lg_u64 s[10:11], 0
	s_cselect_b64 s[22:23], -1, 0
	s_cmp_eq_u64 s[10:11], 0
	s_waitcnt vmcnt(0)
	v_mul_f32_e32 v3, 0x3fb8aa3b, v0
	v_exp_f32_e32 v3, v3
	s_nop 0
	v_add_f32_e32 v3, 1.0, v3
	v_cmp_gt_f32_e32 vcc, s3, v3
	s_mov_b32 s3, 0xf800000
	s_nop 0
	v_cndmask_b32_e32 v1, 1.0, v1, vcc
	v_mul_f32_e32 v1, v3, v1
	v_log_f32_e32 v1, v1
	v_cndmask_b32_e32 v4, 0, v4, vcc
	v_mov_b32_e32 v3, 0x260
	v_mul_f32_e32 v5, 0x3f317217, v1
	v_fma_f32 v5, v1, s4, -v5
	v_fmamk_f32 v5, v1, 0x3377d1cf, v5
	v_fmac_f32_e32 v5, 0x3f317217, v1
	v_cmp_lt_f32_e64 vcc, |v1|, s5
	s_nop 1
	v_cndmask_b32_e32 v1, v1, v5, vcc
	v_sub_f32_e32 v1, v1, v4
	v_cmp_lt_f32_e32 vcc, s2, v0
	s_nop 1
	v_cndmask_b32_e32 v0, v1, v0, vcc
	v_mul_f32_e32 v1, 0x4f800000, v0
	v_cmp_gt_f32_e32 vcc, s3, v0
	s_nop 1
	v_cndmask_b32_e32 v0, v0, v1, vcc
	v_sqrt_f32_e32 v1, v0
	s_nop 0
	v_add_u32_e32 v4, -1, v1
	v_add_u32_e32 v5, 1, v1
	v_fma_f32 v6, -v4, v1, v0
	v_fma_f32 v7, -v5, v1, v0
	v_cmp_ge_f32_e64 s[2:3], 0, v6
	s_nop 1
	v_cndmask_b32_e64 v1, v1, v4, s[2:3]
	v_cmp_lt_f32_e64 s[2:3], 0, v7
	s_nop 1
	v_cndmask_b32_e64 v1, v1, v5, s[2:3]
	v_mul_f32_e32 v4, 0x37800000, v1
	v_cndmask_b32_e32 v1, v1, v4, vcc
	v_cmp_class_f32_e32 vcc, v0, v3
	s_nop 1
	v_cndmask_b32_e32 v1, v1, v0, vcc
	s_cbranch_scc1 .LBB123_6
; %bb.5:
	s_load_dword s2, s[10:11], 0x0
	s_waitcnt lgkmcnt(0)
	v_add_f32_e32 v1, s2, v1
.LBB123_6:
	s_load_dwordx4 s[4:7], s[0:1], 0x30
	s_waitcnt lgkmcnt(0)
	s_bitcmp1_b32 s7, 0
	s_cselect_b64 s[2:3], -1, 0
	s_cmp_gt_i32 s4, 0
	s_cselect_b64 s[20:21], -1, 0
	s_cmp_lt_i32 s4, 1
	v_mul_lo_u32 v0, v2, s4
	s_cbranch_scc1 .LBB123_11
; %bb.7:
	s_cmp_lt_i32 s5, 1
	s_load_dwordx4 s[12:15], s[0:1], 0x20
	s_cselect_b64 s[0:1], -1, 0
	s_cmp_gt_i32 s6, 0
	s_cselect_b64 s[26:27], -1, 0
	s_sub_i32 s5, 0, s5
	s_and_b64 s[0:1], s[0:1], s[26:27]
	s_ashr_i32 s6, s5, 31
	v_mov_b32_e32 v3, s6
	s_and_b64 vcc, s[18:19], s[0:1]
	v_cndmask_b32_e32 v5, 0, v3, vcc
	v_mov_b32_e32 v3, s5
	v_cndmask_b32_e32 v4, 1, v3, vcc
	v_cndmask_b32_e64 v3, 0, 1, s[22:23]
	s_mov_b32 s7, 0
	v_mov_b32_e32 v6, 0
	v_cmp_ne_u32_e64 s[0:1], 1, v3
	v_mov_b32_e32 v7, 0xc61c4000
	v_mov_b32_e32 v3, 0
	s_branch .LBB123_9
.LBB123_8:                              ;   in Loop: Header=BB123_9 Depth=1
	v_add_u32_e32 v10, s7, v0
	v_ashrrev_i32_e32 v11, 31, v10
	v_lshlrev_b64 v[12:13], 2, v[10:11]
	s_add_i32 s7, s7, 1
	v_lshl_add_u64 v[14:15], s[16:17], 0, v[12:13]
	s_waitcnt lgkmcnt(0)
	v_lshl_add_u64 v[10:11], v[10:11], 3, s[12:13]
	s_cmp_ge_i32 s7, s4
	global_store_dword v[14:15], v8, off
	global_store_dwordx2 v[10:11], v[4:5], off
	v_lshl_add_u64 v[10:11], s[14:15], 0, v[12:13]
	v_add_f32_e32 v8, v3, v8
	s_cselect_b64 vcc, -1, 0
	global_store_dword v[10:11], v2, off
	v_cndmask_b32_e64 v3, v3, v8, s[2:3]
	v_cndmask_b32_e32 v1, v7, v1, vcc
	s_cmp_lg_u32 s4, s7
	v_add_u32_e32 v2, s24, v2
	s_cbranch_scc0 .LBB123_12
.LBB123_9:                              ; =>This Inner Loop Header: Depth=1
	s_and_b64 vcc, exec, s[0:1]
	v_mov_b32_e32 v8, v1
	s_cbranch_vccnz .LBB123_8
; %bb.10:                               ;   in Loop: Header=BB123_9 Depth=1
	global_load_dword v8, v6, s[10:11]
	s_waitcnt vmcnt(0)
	v_sub_f32_e32 v8, v1, v8
	s_branch .LBB123_8
.LBB123_11:
	v_mov_b32_e32 v3, 0
.LBB123_12:
	s_andn2_b64 vcc, exec, s[2:3]
	v_cvt_f32_f64_e32 v2, s[8:9]
	s_cbranch_vccnz .LBB123_14
; %bb.13:
	v_cmp_lt_f32_e32 vcc, 0, v3
	s_nop 1
	v_cndmask_b32_e32 v1, 1.0, v3, vcc
	v_div_scale_f32 v3, s[0:1], v1, v1, v2
	v_rcp_f32_e32 v4, v3
	s_nop 0
	v_fma_f32 v5, -v3, v4, 1.0
	v_fmac_f32_e32 v4, v5, v4
	v_div_scale_f32 v5, vcc, v2, v1, v2
	v_mul_f32_e32 v6, v5, v4
	v_fma_f32 v7, -v3, v6, v5
	v_fmac_f32_e32 v6, v7, v4
	v_fma_f32 v3, -v3, v6, v5
	v_div_fmas_f32 v3, v3, v4, v6
	v_div_fixup_f32 v2, v3, v1, v2
.LBB123_14:
	s_andn2_b64 vcc, exec, s[20:21]
	s_cbranch_vccnz .LBB123_24
; %bb.15:
	s_cmp_gt_u32 s4, 3
	v_ashrrev_i32_e32 v1, 31, v0
	s_cbranch_scc0 .LBB123_19
; %bb.16:
	s_and_b32 s0, s4, 0x7ffffffc
	v_lshl_add_u64 v[4:5], v[0:1], 2, s[16:17]
	v_mov_b32_e32 v3, v2
	v_lshl_add_u64 v[4:5], v[4:5], 0, 8
	s_mov_b32 s1, s0
.LBB123_17:                             ; =>This Inner Loop Header: Depth=1
	global_load_dwordx4 v[6:9], v[4:5], off offset:-8
	s_add_i32 s1, s1, -4
	s_cmp_lg_u32 s1, 0
	s_waitcnt vmcnt(0)
	v_pk_mul_f32 v[6:7], v[2:3], v[6:7]
	v_pk_mul_f32 v[8:9], v[2:3], v[8:9]
	global_store_dwordx4 v[4:5], v[6:9], off offset:-8
	v_lshl_add_u64 v[4:5], v[4:5], 0, 16
	s_cbranch_scc1 .LBB123_17
; %bb.18:
	s_cmp_lg_u32 s0, s4
	s_cselect_b64 s[2:3], -1, 0
	s_branch .LBB123_21
.LBB123_19:
	s_mov_b64 s[2:3], 0
                                        ; implicit-def: $sgpr0
	s_cbranch_execz .LBB123_21
; %bb.20:
	s_mov_b64 s[2:3], -1
	s_mov_b32 s0, 0
.LBB123_21:
	s_andn2_b64 vcc, exec, s[2:3]
	s_cbranch_vccnz .LBB123_24
; %bb.22:
	s_mov_b32 s1, 0
	v_lshl_add_u64 v[0:1], v[0:1], 0, s[0:1]
	s_sub_i32 s2, s4, s0
	v_lshl_add_u64 v[0:1], v[0:1], 2, s[16:17]
.LBB123_23:                             ; =>This Inner Loop Header: Depth=1
	global_load_dword v3, v[0:1], off
	s_add_i32 s2, s2, -1
	s_cmp_lg_u32 s2, 0
	s_waitcnt vmcnt(0)
	v_mul_f32_e32 v3, v2, v3
	global_store_dword v[0:1], v3, off
	v_lshl_add_u64 v[0:1], v[0:1], 0, 4
	s_cbranch_scc1 .LBB123_23
.LBB123_24:
	s_endpgm
	.section	.rodata,"a",@progbits
	.p2align	6, 0x0
	.amdhsa_kernel _ZN4vllm3moe22topkGatingSoftplusSqrtILi1ELi1ELi4ELi4ELi32ELb0ElfEEvPKT6_PKbPfiPT5_PiiiibdPKfPKS8_SE_
		.amdhsa_group_segment_fixed_size 0
		.amdhsa_private_segment_fixed_size 0
		.amdhsa_kernarg_size 96
		.amdhsa_user_sgpr_count 2
		.amdhsa_user_sgpr_dispatch_ptr 0
		.amdhsa_user_sgpr_queue_ptr 0
		.amdhsa_user_sgpr_kernarg_segment_ptr 1
		.amdhsa_user_sgpr_dispatch_id 0
		.amdhsa_user_sgpr_kernarg_preload_length 0
		.amdhsa_user_sgpr_kernarg_preload_offset 0
		.amdhsa_user_sgpr_private_segment_size 0
		.amdhsa_uses_dynamic_stack 0
		.amdhsa_enable_private_segment 0
		.amdhsa_system_sgpr_workgroup_id_x 1
		.amdhsa_system_sgpr_workgroup_id_y 0
		.amdhsa_system_sgpr_workgroup_id_z 0
		.amdhsa_system_sgpr_workgroup_info 0
		.amdhsa_system_vgpr_workitem_id 1
		.amdhsa_next_free_vgpr 16
		.amdhsa_next_free_sgpr 28
		.amdhsa_accum_offset 16
		.amdhsa_reserve_vcc 1
		.amdhsa_float_round_mode_32 0
		.amdhsa_float_round_mode_16_64 0
		.amdhsa_float_denorm_mode_32 3
		.amdhsa_float_denorm_mode_16_64 3
		.amdhsa_dx10_clamp 1
		.amdhsa_ieee_mode 1
		.amdhsa_fp16_overflow 0
		.amdhsa_tg_split 0
		.amdhsa_exception_fp_ieee_invalid_op 0
		.amdhsa_exception_fp_denorm_src 0
		.amdhsa_exception_fp_ieee_div_zero 0
		.amdhsa_exception_fp_ieee_overflow 0
		.amdhsa_exception_fp_ieee_underflow 0
		.amdhsa_exception_fp_ieee_inexact 0
		.amdhsa_exception_int_div_zero 0
	.end_amdhsa_kernel
	.section	.text._ZN4vllm3moe22topkGatingSoftplusSqrtILi1ELi1ELi4ELi4ELi32ELb0ElfEEvPKT6_PKbPfiPT5_PiiiibdPKfPKS8_SE_,"axG",@progbits,_ZN4vllm3moe22topkGatingSoftplusSqrtILi1ELi1ELi4ELi4ELi32ELb0ElfEEvPKT6_PKbPfiPT5_PiiiibdPKfPKS8_SE_,comdat
.Lfunc_end123:
	.size	_ZN4vllm3moe22topkGatingSoftplusSqrtILi1ELi1ELi4ELi4ELi32ELb0ElfEEvPKT6_PKbPfiPT5_PiiiibdPKfPKS8_SE_, .Lfunc_end123-_ZN4vllm3moe22topkGatingSoftplusSqrtILi1ELi1ELi4ELi4ELi32ELb0ElfEEvPKT6_PKbPfiPT5_PiiiibdPKfPKS8_SE_
                                        ; -- End function
	.section	.AMDGPU.csdata,"",@progbits
; Kernel info:
; codeLenInByte = 1092
; NumSgprs: 34
; NumVgprs: 16
; NumAgprs: 0
; TotalNumVgprs: 16
; ScratchSize: 0
; MemoryBound: 0
; FloatMode: 240
; IeeeMode: 1
; LDSByteSize: 0 bytes/workgroup (compile time only)
; SGPRBlocks: 4
; VGPRBlocks: 1
; NumSGPRsForWavesPerEU: 34
; NumVGPRsForWavesPerEU: 16
; AccumOffset: 16
; Occupancy: 8
; WaveLimiterHint : 0
; COMPUTE_PGM_RSRC2:SCRATCH_EN: 0
; COMPUTE_PGM_RSRC2:USER_SGPR: 2
; COMPUTE_PGM_RSRC2:TRAP_HANDLER: 0
; COMPUTE_PGM_RSRC2:TGID_X_EN: 1
; COMPUTE_PGM_RSRC2:TGID_Y_EN: 0
; COMPUTE_PGM_RSRC2:TGID_Z_EN: 0
; COMPUTE_PGM_RSRC2:TIDIG_COMP_CNT: 1
; COMPUTE_PGM_RSRC3_GFX90A:ACCUM_OFFSET: 3
; COMPUTE_PGM_RSRC3_GFX90A:TG_SPLIT: 0
	.section	.text._ZN4vllm3moe22topkGatingSoftplusSqrtILi2ELi2ELi4ELi8ELi64ELb1ElfEEvPKT6_PKbPfiPT5_PiiiibdPKfPKS8_SE_,"axG",@progbits,_ZN4vllm3moe22topkGatingSoftplusSqrtILi2ELi2ELi4ELi8ELi64ELb1ElfEEvPKT6_PKbPfiPT5_PiiiibdPKfPKS8_SE_,comdat
	.protected	_ZN4vllm3moe22topkGatingSoftplusSqrtILi2ELi2ELi4ELi8ELi64ELb1ElfEEvPKT6_PKbPfiPT5_PiiiibdPKfPKS8_SE_ ; -- Begin function _ZN4vllm3moe22topkGatingSoftplusSqrtILi2ELi2ELi4ELi8ELi64ELb1ElfEEvPKT6_PKbPfiPT5_PiiiibdPKfPKS8_SE_
	.globl	_ZN4vllm3moe22topkGatingSoftplusSqrtILi2ELi2ELi4ELi8ELi64ELb1ElfEEvPKT6_PKbPfiPT5_PiiiibdPKfPKS8_SE_
	.p2align	8
	.type	_ZN4vllm3moe22topkGatingSoftplusSqrtILi2ELi2ELi4ELi8ELi64ELb1ElfEEvPKT6_PKbPfiPT5_PiiiibdPKfPKS8_SE_,@function
_ZN4vllm3moe22topkGatingSoftplusSqrtILi2ELi2ELi4ELi8ELi64ELb1ElfEEvPKT6_PKbPfiPT5_PiiiibdPKfPKS8_SE_: ; @_ZN4vllm3moe22topkGatingSoftplusSqrtILi2ELi2ELi4ELi8ELi64ELb1ElfEEvPKT6_PKbPfiPT5_PiiiibdPKfPKS8_SE_
; %bb.0:
	s_load_dword s3, s[0:1], 0x18
	v_bfe_u32 v1, v0, 10, 10
	s_lshl_b32 s2, s2, 8
	v_lshlrev_b32_e32 v1, 6, v1
	v_and_b32_e32 v0, 0x3ff, v0
	v_add3_u32 v0, v1, v0, s2
	s_waitcnt lgkmcnt(0)
	v_cmp_gt_i32_e32 vcc, s3, v0
	s_and_saveexec_b64 s[2:3], vcc
	s_cbranch_execz .LBB124_48
; %bb.1:
	s_load_dwordx4 s[8:11], s[0:1], 0x50
	s_load_dwordx2 s[2:3], s[0:1], 0x0
	s_load_dword s12, s[0:1], 0x30
	v_lshlrev_b32_e32 v2, 1, v0
	v_ashrrev_i32_e32 v3, 31, v2
	s_waitcnt lgkmcnt(0)
	v_mov_b32_e32 v4, s8
	v_lshl_add_u64 v[2:3], v[2:3], 2, s[2:3]
	global_load_dwordx2 v[6:7], v[2:3], off
	v_mov_b32_e32 v5, s9
	v_ashrrev_i32_e32 v1, 31, v0
	v_lshl_add_u64 v[2:3], v[0:1], 3, v[4:5]
	global_load_dwordx2 v[2:3], v[2:3], off
	s_ashr_i32 s13, s12, 31
	v_cmp_lt_i64_e64 s[2:3], s[12:13], 1
	s_mov_b32 s4, 0x800000
	s_and_b64 vcc, exec, s[2:3]
	v_mov_b32_e32 v1, 0x4f800000
	s_mov_b32 s7, 0x3f317217
	s_mov_b32 s9, 0x7f800000
	v_mov_b32_e32 v8, 0x41b17218
	s_mov_b32 s6, 0x41a00000
	s_mov_b32 s16, 0xf800000
	v_mov_b32_e32 v9, 0x260
	s_mov_b32 s8, 0
	v_mov_b32_e32 v14, 0
	v_mul_lo_u32 v0, v0, s12
	v_cmp_gt_i64_e64 s[14:15], s[12:13], 0
	s_waitcnt vmcnt(1)
	v_mul_f32_e32 v4, 0x3fb8aa3b, v6
	v_mul_f32_e32 v5, 0x3fb8aa3b, v7
	v_exp_f32_e32 v4, v4
	v_exp_f32_e32 v5, v5
	s_waitcnt vmcnt(0)
	v_mul_lo_u32 v10, v3, s12
	v_mul_lo_u32 v11, v2, s13
	v_mad_u64_u32 v[2:3], s[2:3], v2, s12, 0
	v_pk_add_f32 v[4:5], v[4:5], 1.0 op_sel_hi:[1,0]
	v_add3_u32 v3, v3, v11, v10
	v_cmp_gt_f32_e64 s[2:3], s4, v5
	v_cmp_gt_f32_e64 s[4:5], s4, v4
	s_nop 0
	v_cndmask_b32_e64 v12, 1.0, v1, s[2:3]
	v_cndmask_b32_e64 v1, 1.0, v1, s[4:5]
	v_mul_f32_e32 v5, v5, v12
	v_mul_f32_e32 v1, v4, v1
	v_log_f32_e32 v4, v5
	v_log_f32_e32 v1, v1
	v_cndmask_b32_e64 v5, 0, v8, s[2:3]
	v_cndmask_b32_e64 v8, 0, v8, s[4:5]
	v_mul_f32_e32 v12, 0x3f317217, v4
	v_mul_f32_e32 v13, 0x3f317217, v1
	v_fma_f32 v12, v4, s7, -v12
	v_fma_f32 v13, v1, s7, -v13
	v_fmac_f32_e32 v12, 0x3377d1cf, v4
	v_fmac_f32_e32 v13, 0x3377d1cf, v1
	;; [unrolled: 1-line block ×3, first 2 shown]
	v_cmp_lt_f32_e64 s[2:3], |v4|, s9
	v_fmac_f32_e32 v13, 0x3f317217, v1
	s_nop 0
	v_cndmask_b32_e64 v4, v4, v12, s[2:3]
	v_cmp_lt_f32_e64 s[2:3], |v1|, s9
	v_sub_f32_e32 v4, v4, v5
	s_nop 0
	v_cndmask_b32_e64 v1, v1, v13, s[2:3]
	v_sub_f32_e32 v1, v1, v8
	v_cmp_lt_f32_e64 s[2:3], s6, v6
	s_nop 1
	v_cndmask_b32_e64 v1, v1, v6, s[2:3]
	v_cmp_lt_f32_e64 s[2:3], s6, v7
	v_mul_f32_e32 v6, 0x4f800000, v1
	v_cmp_gt_f32_e64 s[4:5], s16, v1
	v_cndmask_b32_e64 v4, v4, v7, s[2:3]
	v_mul_f32_e32 v5, 0x4f800000, v4
	v_cmp_gt_f32_e64 s[2:3], s16, v4
	v_cndmask_b32_e64 v1, v1, v6, s[4:5]
	v_sqrt_f32_e32 v6, v1
	v_cndmask_b32_e64 v4, v4, v5, s[2:3]
	v_sqrt_f32_e32 v5, v4
	v_add_u32_e32 v10, -1, v6
	v_fma_f32 v15, -v10, v6, v1
	v_add_u32_e32 v7, -1, v5
	v_fma_f32 v12, -v7, v5, v4
	v_add_u32_e32 v8, 1, v5
	v_cmp_ge_f32_e64 s[6:7], 0, v12
	v_add_u32_e32 v11, 1, v6
	v_fma_f32 v13, -v8, v5, v4
	v_cndmask_b32_e64 v5, v5, v7, s[6:7]
	v_cmp_ge_f32_e64 s[6:7], 0, v15
	v_fma_f32 v16, -v11, v6, v1
	s_nop 0
	v_cndmask_b32_e64 v6, v6, v10, s[6:7]
	v_cmp_lt_f32_e64 s[6:7], 0, v13
	s_nop 1
	v_cndmask_b32_e64 v5, v5, v8, s[6:7]
	v_cmp_lt_f32_e64 s[6:7], 0, v16
	v_mul_f32_e32 v7, 0x37800000, v5
	v_cndmask_b32_e64 v5, v5, v7, s[2:3]
	v_cndmask_b32_e64 v6, v6, v11, s[6:7]
	v_mul_f32_e32 v8, 0x37800000, v6
	v_cmp_class_f32_e64 s[2:3], v4, v9
	v_cndmask_b32_e64 v6, v6, v8, s[4:5]
	s_nop 0
	v_cndmask_b32_e64 v12, v5, v4, s[2:3]
	v_cmp_class_f32_e64 s[2:3], v1, v9
	s_nop 1
	v_cndmask_b32_e64 v13, v6, v1, s[2:3]
	s_cbranch_vccnz .LBB124_29
; %bb.2:
	s_load_dwordx2 s[2:3], s[0:1], 0x20
	s_cmp_lt_u32 s12, 4
	v_lshl_add_u64 v[4:5], v[2:3], 3, s[10:11]
	s_cbranch_scc1 .LBB124_21
; %bb.3:
	s_mov_b32 s5, 0
	s_and_b32 s8, s12, 0x7ffffffc
	v_ashrrev_i32_e32 v1, 31, v0
	v_mov_b32_e32 v7, 0
	v_mov_b32_e32 v14, 0
	s_mov_b32 s4, s5
	s_branch .LBB124_5
.LBB124_4:                              ;   in Loop: Header=BB124_5 Depth=1
	s_or_b64 exec, exec, s[6:7]
	s_add_i32 s4, s4, 4
	s_cmp_eq_u32 s4, s8
	s_cbranch_scc1 .LBB124_22
.LBB124_5:                              ; =>This Loop Header: Depth=1
                                        ;     Child Loop BB124_7 Depth 2
                                        ;     Child Loop BB124_11 Depth 2
	;; [unrolled: 1-line block ×4, first 2 shown]
	v_lshl_add_u64 v[8:9], s[4:5], 3, v[4:5]
	global_load_dword v6, v[8:9], off
	v_add_u32_e32 v10, s4, v0
	v_ashrrev_i32_e32 v11, 31, v10
	s_mov_b64 s[6:7], 0
	s_waitcnt lgkmcnt(0)
	v_lshl_add_u64 v[10:11], v[10:11], 3, s[2:3]
	s_waitcnt vmcnt(0)
	v_cmp_eq_u32_e32 vcc, 0, v6
	s_nop 1
	v_cndmask_b32_e64 v15, 2, 1, vcc
	v_cmp_eq_u32_e32 vcc, 1, v6
	v_mov_b32_e32 v17, v6
	s_nop 0
	v_cndmask_b32_e32 v16, v13, v12, vcc
	s_branch .LBB124_7
.LBB124_6:                              ;   in Loop: Header=BB124_7 Depth=2
	s_or_b64 exec, exec, s[16:17]
	v_add_u32_e32 v15, -1, v15
	v_cmp_eq_u32_e32 vcc, 0, v15
	s_or_b64 s[6:7], vcc, s[6:7]
	v_add_u32_e32 v17, -1, v17
	s_andn2_b64 exec, exec, s[6:7]
	s_cbranch_execz .LBB124_9
.LBB124_7:                              ;   Parent Loop BB124_5 Depth=1
                                        ; =>  This Inner Loop Header: Depth=2
	v_cmp_eq_u32_e32 vcc, 0, v17
	s_and_saveexec_b64 s[16:17], vcc
	s_cbranch_execz .LBB124_6
; %bb.8:                                ;   in Loop: Header=BB124_7 Depth=2
	v_add_f32_e32 v14, v14, v16
	global_store_dwordx2 v[10:11], v[6:7], off
	s_branch .LBB124_6
.LBB124_9:                              ;   in Loop: Header=BB124_5 Depth=1
	s_or_b64 exec, exec, s[6:7]
	global_load_dword v6, v[8:9], off offset:8
	s_ashr_i32 s17, s4, 31
	s_mov_b32 s16, s4
	v_lshl_add_u64 v[10:11], s[16:17], 0, v[0:1]
	s_mov_b64 s[6:7], 0
	v_lshl_add_u64 v[10:11], v[10:11], 3, s[2:3]
	s_waitcnt vmcnt(0)
	v_cmp_eq_u32_e32 vcc, 0, v6
	s_nop 1
	v_cndmask_b32_e64 v15, 2, 1, vcc
	v_cmp_eq_u32_e32 vcc, 1, v6
	v_mov_b32_e32 v17, v6
	s_nop 0
	v_cndmask_b32_e32 v16, v13, v12, vcc
	s_branch .LBB124_11
.LBB124_10:                             ;   in Loop: Header=BB124_11 Depth=2
	s_or_b64 exec, exec, s[16:17]
	v_add_u32_e32 v15, -1, v15
	v_cmp_eq_u32_e32 vcc, 0, v15
	s_or_b64 s[6:7], vcc, s[6:7]
	v_add_u32_e32 v17, -1, v17
	s_andn2_b64 exec, exec, s[6:7]
	s_cbranch_execz .LBB124_13
.LBB124_11:                             ;   Parent Loop BB124_5 Depth=1
                                        ; =>  This Inner Loop Header: Depth=2
	v_cmp_eq_u32_e32 vcc, 0, v17
	s_and_saveexec_b64 s[16:17], vcc
	s_cbranch_execz .LBB124_10
; %bb.12:                               ;   in Loop: Header=BB124_11 Depth=2
	v_add_f32_e32 v14, v14, v16
	global_store_dwordx2 v[10:11], v[6:7], off offset:8
	s_branch .LBB124_10
.LBB124_13:                             ;   in Loop: Header=BB124_5 Depth=1
	s_or_b64 exec, exec, s[6:7]
	global_load_dword v6, v[8:9], off offset:16
	s_mov_b64 s[6:7], 0
	s_waitcnt vmcnt(0)
	v_cmp_eq_u32_e32 vcc, 0, v6
	s_nop 1
	v_cndmask_b32_e64 v15, 2, 1, vcc
	v_cmp_eq_u32_e32 vcc, 1, v6
	v_mov_b32_e32 v17, v6
	s_nop 0
	v_cndmask_b32_e32 v16, v13, v12, vcc
	s_branch .LBB124_15
.LBB124_14:                             ;   in Loop: Header=BB124_15 Depth=2
	s_or_b64 exec, exec, s[16:17]
	v_add_u32_e32 v15, -1, v15
	v_cmp_eq_u32_e32 vcc, 0, v15
	s_or_b64 s[6:7], vcc, s[6:7]
	v_add_u32_e32 v17, -1, v17
	s_andn2_b64 exec, exec, s[6:7]
	s_cbranch_execz .LBB124_17
.LBB124_15:                             ;   Parent Loop BB124_5 Depth=1
                                        ; =>  This Inner Loop Header: Depth=2
	v_cmp_eq_u32_e32 vcc, 0, v17
	s_and_saveexec_b64 s[16:17], vcc
	s_cbranch_execz .LBB124_14
; %bb.16:                               ;   in Loop: Header=BB124_15 Depth=2
	v_add_f32_e32 v14, v14, v16
	global_store_dwordx2 v[10:11], v[6:7], off offset:16
	s_branch .LBB124_14
.LBB124_17:                             ;   in Loop: Header=BB124_5 Depth=1
	s_or_b64 exec, exec, s[6:7]
	global_load_dword v6, v[8:9], off offset:24
	s_mov_b64 s[6:7], 0
	s_waitcnt vmcnt(0)
	v_cmp_eq_u32_e32 vcc, 0, v6
	s_nop 1
	v_cndmask_b32_e64 v8, 2, 1, vcc
	v_cmp_eq_u32_e32 vcc, 1, v6
	v_mov_b32_e32 v15, v6
	s_nop 0
	v_cndmask_b32_e32 v9, v13, v12, vcc
	s_branch .LBB124_19
.LBB124_18:                             ;   in Loop: Header=BB124_19 Depth=2
	s_or_b64 exec, exec, s[16:17]
	v_add_u32_e32 v8, -1, v8
	v_cmp_eq_u32_e32 vcc, 0, v8
	s_or_b64 s[6:7], vcc, s[6:7]
	v_add_u32_e32 v15, -1, v15
	s_andn2_b64 exec, exec, s[6:7]
	s_cbranch_execz .LBB124_4
.LBB124_19:                             ;   Parent Loop BB124_5 Depth=1
                                        ; =>  This Inner Loop Header: Depth=2
	v_cmp_eq_u32_e32 vcc, 0, v15
	s_and_saveexec_b64 s[16:17], vcc
	s_cbranch_execz .LBB124_18
; %bb.20:                               ;   in Loop: Header=BB124_19 Depth=2
	v_add_f32_e32 v14, v14, v9
	global_store_dwordx2 v[10:11], v[6:7], off offset:24
	s_branch .LBB124_18
.LBB124_21:
	v_mov_b32_e32 v14, 0
.LBB124_22:
	s_and_b32 s13, s12, 3
	s_cmp_eq_u32 s13, 0
	s_mov_b32 s9, 0
	s_cbranch_scc1 .LBB124_29
; %bb.23:
	v_mov_b32_e32 v7, 0
	s_mov_b32 s16, s9
	s_branch .LBB124_25
.LBB124_24:                             ;   in Loop: Header=BB124_25 Depth=1
	s_or_b64 exec, exec, s[4:5]
	s_add_i32 s8, s8, 1
	s_add_i32 s16, s16, 1
	s_cmp_lg_u32 s16, s13
	s_cbranch_scc0 .LBB124_29
.LBB124_25:                             ; =>This Loop Header: Depth=1
                                        ;     Child Loop BB124_27 Depth 2
	v_lshl_add_u64 v[8:9], s[8:9], 3, v[4:5]
	global_load_dword v6, v[8:9], off
	v_add_u32_e32 v8, s8, v0
	v_ashrrev_i32_e32 v9, 31, v8
	s_mov_b64 s[4:5], 0
	s_waitcnt lgkmcnt(0)
	v_lshl_add_u64 v[8:9], v[8:9], 3, s[2:3]
	s_waitcnt vmcnt(0)
	v_cmp_eq_u32_e32 vcc, 0, v6
	s_nop 1
	v_cndmask_b32_e64 v1, 2, 1, vcc
	v_cmp_eq_u32_e32 vcc, 1, v6
	v_mov_b32_e32 v11, v6
	s_nop 0
	v_cndmask_b32_e32 v10, v13, v12, vcc
	s_branch .LBB124_27
.LBB124_26:                             ;   in Loop: Header=BB124_27 Depth=2
	s_or_b64 exec, exec, s[6:7]
	v_add_u32_e32 v1, -1, v1
	v_cmp_eq_u32_e32 vcc, 0, v1
	s_or_b64 s[4:5], vcc, s[4:5]
	v_add_u32_e32 v11, -1, v11
	s_andn2_b64 exec, exec, s[4:5]
	s_cbranch_execz .LBB124_24
.LBB124_27:                             ;   Parent Loop BB124_25 Depth=1
                                        ; =>  This Inner Loop Header: Depth=2
	v_cmp_eq_u32_e32 vcc, 0, v11
	s_and_saveexec_b64 s[6:7], vcc
	s_cbranch_execz .LBB124_26
; %bb.28:                               ;   in Loop: Header=BB124_27 Depth=2
	v_add_f32_e32 v14, v14, v10
	global_store_dwordx2 v[8:9], v[6:7], off
	s_branch .LBB124_26
.LBB124_29:
	s_load_dword s4, s[0:1], 0x3c
	s_waitcnt lgkmcnt(0)
	s_load_dwordx2 s[2:3], s[0:1], 0x40
	s_bitcmp1_b32 s4, 0
	s_cselect_b64 s[4:5], -1, 0
	s_waitcnt lgkmcnt(0)
	v_cvt_f32_f64_e32 v15, s[2:3]
	s_and_b64 vcc, exec, s[4:5]
	s_cbranch_vccz .LBB124_31
; %bb.30:
	v_cmp_lt_f32_e32 vcc, 0, v14
	s_nop 1
	v_cndmask_b32_e32 v1, 1.0, v14, vcc
	v_div_scale_f32 v4, s[2:3], v1, v1, v15
	v_rcp_f32_e32 v5, v4
	s_nop 0
	v_fma_f32 v6, -v4, v5, 1.0
	v_fmac_f32_e32 v5, v6, v5
	v_div_scale_f32 v6, vcc, v15, v1, v15
	v_mul_f32_e32 v7, v6, v5
	v_fma_f32 v8, -v4, v7, v6
	v_fmac_f32_e32 v7, v8, v5
	v_fma_f32 v4, -v4, v7, v6
	v_div_fmas_f32 v4, v4, v5, v7
	v_div_fixup_f32 v15, v4, v1, v15
.LBB124_31:
	s_andn2_b64 vcc, exec, s[14:15]
	s_cbranch_vccnz .LBB124_48
; %bb.32:
	s_load_dwordx2 s[0:1], s[0:1], 0x10
	s_cmp_lt_u32 s12, 4
	s_mov_b32 s2, 0
	s_cbranch_scc1 .LBB124_43
; %bb.33:
	v_ashrrev_i32_e32 v1, 31, v0
	s_waitcnt lgkmcnt(0)
	v_lshl_add_u64 v[4:5], v[0:1], 2, s[0:1]
	v_lshl_add_u64 v[6:7], v[2:3], 3, s[10:11]
	s_and_b32 s2, s12, 0x7ffffffc
	v_lshl_add_u64 v[4:5], v[4:5], 0, 12
	v_lshl_add_u64 v[6:7], v[6:7], 0, 16
	s_mov_b32 s3, 0
	v_mov_b32_e32 v9, 0
	s_branch .LBB124_35
.LBB124_34:                             ;   in Loop: Header=BB124_35 Depth=1
	s_or_b64 exec, exec, s[4:5]
	s_add_i32 s3, s3, 4
	v_lshl_add_u64 v[4:5], v[4:5], 0, 16
	s_cmp_lg_u32 s2, s3
	v_lshl_add_u64 v[6:7], v[6:7], 0, 32
	s_cbranch_scc0 .LBB124_43
.LBB124_35:                             ; =>This Inner Loop Header: Depth=1
	global_load_dwordx2 v[10:11], v[6:7], off offset:-16
	s_waitcnt vmcnt(0)
	v_and_b32_e32 v8, -2, v10
	v_cmp_eq_u64_e32 vcc, 0, v[8:9]
	s_and_saveexec_b64 s[4:5], vcc
	s_cbranch_execz .LBB124_37
; %bb.36:                               ;   in Loop: Header=BB124_35 Depth=1
	v_and_b32_e32 v1, 1, v10
	v_add_u32_e32 v16, s3, v0
	v_cmp_eq_u32_e32 vcc, 1, v1
	v_ashrrev_i32_e32 v17, 31, v16
	v_lshl_add_u64 v[10:11], v[16:17], 2, s[0:1]
	v_cndmask_b32_e32 v1, v13, v12, vcc
	v_mul_f32_e32 v1, v15, v1
	global_store_dword v[10:11], v1, off
.LBB124_37:                             ;   in Loop: Header=BB124_35 Depth=1
	s_or_b64 exec, exec, s[4:5]
	global_load_dwordx2 v[10:11], v[6:7], off offset:-8
	s_waitcnt vmcnt(0)
	v_and_b32_e32 v8, -2, v10
	v_cmp_eq_u64_e32 vcc, 0, v[8:9]
	s_and_saveexec_b64 s[4:5], vcc
	s_cbranch_execz .LBB124_39
; %bb.38:                               ;   in Loop: Header=BB124_35 Depth=1
	v_and_b32_e32 v1, 1, v10
	v_cmp_eq_u32_e32 vcc, 1, v1
	s_nop 1
	v_cndmask_b32_e32 v1, v13, v12, vcc
	v_mul_f32_e32 v1, v15, v1
	global_store_dword v[4:5], v1, off offset:-8
.LBB124_39:                             ;   in Loop: Header=BB124_35 Depth=1
	s_or_b64 exec, exec, s[4:5]
	global_load_dwordx2 v[10:11], v[6:7], off
	s_waitcnt vmcnt(0)
	v_and_b32_e32 v8, -2, v10
	v_cmp_eq_u64_e32 vcc, 0, v[8:9]
	s_and_saveexec_b64 s[4:5], vcc
	s_cbranch_execz .LBB124_41
; %bb.40:                               ;   in Loop: Header=BB124_35 Depth=1
	v_and_b32_e32 v1, 1, v10
	v_cmp_eq_u32_e32 vcc, 1, v1
	s_nop 1
	v_cndmask_b32_e32 v1, v13, v12, vcc
	v_mul_f32_e32 v1, v15, v1
	global_store_dword v[4:5], v1, off offset:-4
.LBB124_41:                             ;   in Loop: Header=BB124_35 Depth=1
	s_or_b64 exec, exec, s[4:5]
	global_load_dwordx2 v[10:11], v[6:7], off offset:8
	s_waitcnt vmcnt(0)
	v_and_b32_e32 v8, -2, v10
	v_cmp_eq_u64_e32 vcc, 0, v[8:9]
	s_and_saveexec_b64 s[4:5], vcc
	s_cbranch_execz .LBB124_34
; %bb.42:                               ;   in Loop: Header=BB124_35 Depth=1
	v_and_b32_e32 v1, 1, v10
	v_cmp_eq_u32_e32 vcc, 1, v1
	s_nop 1
	v_cndmask_b32_e32 v1, v13, v12, vcc
	v_mul_f32_e32 v1, v15, v1
	global_store_dword v[4:5], v1, off
	s_branch .LBB124_34
.LBB124_43:
	s_and_b32 s4, s12, 3
	s_cmp_eq_u32 s4, 0
	s_mov_b32 s3, 0
	s_cbranch_scc1 .LBB124_48
; %bb.44:
	v_add_u32_e32 v0, s2, v0
	s_lshl_b64 s[2:3], s[2:3], 3
	s_add_u32 s2, s10, s2
	s_addc_u32 s3, s11, s3
	v_lshl_add_u64 v[2:3], v[2:3], 3, s[2:3]
	v_mov_b32_e32 v5, 0
	s_branch .LBB124_46
.LBB124_45:                             ;   in Loop: Header=BB124_46 Depth=1
	s_or_b64 exec, exec, s[2:3]
	s_add_i32 s4, s4, -1
	v_add_u32_e32 v0, 1, v0
	s_cmp_lg_u32 s4, 0
	v_lshl_add_u64 v[2:3], v[2:3], 0, 8
	s_cbranch_scc0 .LBB124_48
.LBB124_46:                             ; =>This Inner Loop Header: Depth=1
	global_load_dwordx2 v[6:7], v[2:3], off
	s_waitcnt vmcnt(0)
	v_and_b32_e32 v4, -2, v6
	v_cmp_eq_u64_e32 vcc, 0, v[4:5]
	s_and_saveexec_b64 s[2:3], vcc
	s_cbranch_execz .LBB124_45
; %bb.47:                               ;   in Loop: Header=BB124_46 Depth=1
	v_and_b32_e32 v1, 1, v6
	v_cmp_eq_u32_e32 vcc, 1, v1
	s_nop 1
	v_cndmask_b32_e32 v1, v13, v12, vcc
	v_mul_f32_e32 v4, v15, v1
	v_ashrrev_i32_e32 v1, 31, v0
	s_waitcnt lgkmcnt(0)
	v_lshl_add_u64 v[6:7], v[0:1], 2, s[0:1]
	global_store_dword v[6:7], v4, off
	s_branch .LBB124_45
.LBB124_48:
	s_endpgm
	.section	.rodata,"a",@progbits
	.p2align	6, 0x0
	.amdhsa_kernel _ZN4vllm3moe22topkGatingSoftplusSqrtILi2ELi2ELi4ELi8ELi64ELb1ElfEEvPKT6_PKbPfiPT5_PiiiibdPKfPKS8_SE_
		.amdhsa_group_segment_fixed_size 0
		.amdhsa_private_segment_fixed_size 0
		.amdhsa_kernarg_size 96
		.amdhsa_user_sgpr_count 2
		.amdhsa_user_sgpr_dispatch_ptr 0
		.amdhsa_user_sgpr_queue_ptr 0
		.amdhsa_user_sgpr_kernarg_segment_ptr 1
		.amdhsa_user_sgpr_dispatch_id 0
		.amdhsa_user_sgpr_kernarg_preload_length 0
		.amdhsa_user_sgpr_kernarg_preload_offset 0
		.amdhsa_user_sgpr_private_segment_size 0
		.amdhsa_uses_dynamic_stack 0
		.amdhsa_enable_private_segment 0
		.amdhsa_system_sgpr_workgroup_id_x 1
		.amdhsa_system_sgpr_workgroup_id_y 0
		.amdhsa_system_sgpr_workgroup_id_z 0
		.amdhsa_system_sgpr_workgroup_info 0
		.amdhsa_system_vgpr_workitem_id 1
		.amdhsa_next_free_vgpr 18
		.amdhsa_next_free_sgpr 18
		.amdhsa_accum_offset 20
		.amdhsa_reserve_vcc 1
		.amdhsa_float_round_mode_32 0
		.amdhsa_float_round_mode_16_64 0
		.amdhsa_float_denorm_mode_32 3
		.amdhsa_float_denorm_mode_16_64 3
		.amdhsa_dx10_clamp 1
		.amdhsa_ieee_mode 1
		.amdhsa_fp16_overflow 0
		.amdhsa_tg_split 0
		.amdhsa_exception_fp_ieee_invalid_op 0
		.amdhsa_exception_fp_denorm_src 0
		.amdhsa_exception_fp_ieee_div_zero 0
		.amdhsa_exception_fp_ieee_overflow 0
		.amdhsa_exception_fp_ieee_underflow 0
		.amdhsa_exception_fp_ieee_inexact 0
		.amdhsa_exception_int_div_zero 0
	.end_amdhsa_kernel
	.section	.text._ZN4vllm3moe22topkGatingSoftplusSqrtILi2ELi2ELi4ELi8ELi64ELb1ElfEEvPKT6_PKbPfiPT5_PiiiibdPKfPKS8_SE_,"axG",@progbits,_ZN4vllm3moe22topkGatingSoftplusSqrtILi2ELi2ELi4ELi8ELi64ELb1ElfEEvPKT6_PKbPfiPT5_PiiiibdPKfPKS8_SE_,comdat
.Lfunc_end124:
	.size	_ZN4vllm3moe22topkGatingSoftplusSqrtILi2ELi2ELi4ELi8ELi64ELb1ElfEEvPKT6_PKbPfiPT5_PiiiibdPKfPKS8_SE_, .Lfunc_end124-_ZN4vllm3moe22topkGatingSoftplusSqrtILi2ELi2ELi4ELi8ELi64ELb1ElfEEvPKT6_PKbPfiPT5_PiiiibdPKfPKS8_SE_
                                        ; -- End function
	.section	.AMDGPU.csdata,"",@progbits
; Kernel info:
; codeLenInByte = 2196
; NumSgprs: 24
; NumVgprs: 18
; NumAgprs: 0
; TotalNumVgprs: 18
; ScratchSize: 0
; MemoryBound: 0
; FloatMode: 240
; IeeeMode: 1
; LDSByteSize: 0 bytes/workgroup (compile time only)
; SGPRBlocks: 2
; VGPRBlocks: 2
; NumSGPRsForWavesPerEU: 24
; NumVGPRsForWavesPerEU: 18
; AccumOffset: 20
; Occupancy: 8
; WaveLimiterHint : 1
; COMPUTE_PGM_RSRC2:SCRATCH_EN: 0
; COMPUTE_PGM_RSRC2:USER_SGPR: 2
; COMPUTE_PGM_RSRC2:TRAP_HANDLER: 0
; COMPUTE_PGM_RSRC2:TGID_X_EN: 1
; COMPUTE_PGM_RSRC2:TGID_Y_EN: 0
; COMPUTE_PGM_RSRC2:TGID_Z_EN: 0
; COMPUTE_PGM_RSRC2:TIDIG_COMP_CNT: 1
; COMPUTE_PGM_RSRC3_GFX90A:ACCUM_OFFSET: 4
; COMPUTE_PGM_RSRC3_GFX90A:TG_SPLIT: 0
	.section	.text._ZN4vllm3moe22topkGatingSoftplusSqrtILi2ELi2ELi4ELi8ELi64ELb0ElfEEvPKT6_PKbPfiPT5_PiiiibdPKfPKS8_SE_,"axG",@progbits,_ZN4vllm3moe22topkGatingSoftplusSqrtILi2ELi2ELi4ELi8ELi64ELb0ElfEEvPKT6_PKbPfiPT5_PiiiibdPKfPKS8_SE_,comdat
	.protected	_ZN4vllm3moe22topkGatingSoftplusSqrtILi2ELi2ELi4ELi8ELi64ELb0ElfEEvPKT6_PKbPfiPT5_PiiiibdPKfPKS8_SE_ ; -- Begin function _ZN4vllm3moe22topkGatingSoftplusSqrtILi2ELi2ELi4ELi8ELi64ELb0ElfEEvPKT6_PKbPfiPT5_PiiiibdPKfPKS8_SE_
	.globl	_ZN4vllm3moe22topkGatingSoftplusSqrtILi2ELi2ELi4ELi8ELi64ELb0ElfEEvPKT6_PKbPfiPT5_PiiiibdPKfPKS8_SE_
	.p2align	8
	.type	_ZN4vllm3moe22topkGatingSoftplusSqrtILi2ELi2ELi4ELi8ELi64ELb0ElfEEvPKT6_PKbPfiPT5_PiiiibdPKfPKS8_SE_,@function
_ZN4vllm3moe22topkGatingSoftplusSqrtILi2ELi2ELi4ELi8ELi64ELb0ElfEEvPKT6_PKbPfiPT5_PiiiibdPKfPKS8_SE_: ; @_ZN4vllm3moe22topkGatingSoftplusSqrtILi2ELi2ELi4ELi8ELi64ELb0ElfEEvPKT6_PKbPfiPT5_PiiiibdPKfPKS8_SE_
; %bb.0:
	s_load_dword s24, s[0:1], 0x18
	v_bfe_u32 v1, v0, 10, 10
	s_lshl_b32 s2, s2, 8
	v_lshlrev_b32_e32 v1, 6, v1
	v_and_b32_e32 v0, 0x3ff, v0
	v_add3_u32 v0, v1, v0, s2
	s_waitcnt lgkmcnt(0)
	v_cmp_gt_i32_e32 vcc, s24, v0
	s_and_saveexec_b64 s[2:3], vcc
	s_cbranch_execz .LBB125_28
; %bb.1:
	s_load_dwordx4 s[4:7], s[0:1], 0x0
	s_load_dwordx2 s[16:17], s[0:1], 0x10
	s_waitcnt lgkmcnt(0)
	s_cmp_eq_u64 s[6:7], 0
	s_cbranch_scc1 .LBB125_3
; %bb.2:
	v_ashrrev_i32_e32 v1, 31, v0
	v_lshl_add_u64 v[2:3], s[6:7], 0, v[0:1]
	global_load_ubyte v1, v[2:3], off
	s_waitcnt vmcnt(0)
	v_and_b32_e32 v1, 1, v1
	v_cmp_eq_u32_e32 vcc, 1, v1
	s_xor_b64 s[2:3], vcc, -1
	s_orn2_b64 s[18:19], s[2:3], exec
	s_branch .LBB125_4
.LBB125_3:
	s_mov_b64 s[18:19], -1
.LBB125_4:
	v_lshlrev_b32_e32 v4, 1, v0
	v_mov_b32_e32 v2, s4
	v_mov_b32_e32 v3, s5
	v_ashrrev_i32_e32 v5, 31, v4
	v_lshl_add_u64 v[2:3], v[4:5], 2, v[2:3]
	global_load_dwordx2 v[2:3], v[2:3], off
	s_mov_b32 s14, 0x800000
	v_mov_b32_e32 v6, 0x4f800000
	s_mov_b32 s7, 0x3f317217
	s_mov_b32 s12, 0x7f800000
	v_mov_b32_e32 v5, 0x41b17218
	s_mov_b32 s6, 0x41a00000
	s_mov_b32 s13, 0xf800000
	s_load_dwordx4 s[8:11], s[0:1], 0x40
	s_waitcnt lgkmcnt(0)
	s_cmp_lg_u64 s[10:11], 0
	s_cselect_b64 s[20:21], -1, 0
	s_and_b64 s[2:3], exec, s[20:21]
	s_waitcnt vmcnt(0)
	v_mul_f32_e32 v1, 0x3fb8aa3b, v2
	v_exp_f32_e32 v1, v1
	s_nop 0
	v_add_f32_e32 v1, 1.0, v1
	v_cmp_gt_f32_e32 vcc, s14, v1
	s_nop 1
	v_cndmask_b32_e32 v4, 1.0, v6, vcc
	v_mul_f32_e32 v1, v1, v4
	v_log_f32_e32 v4, v1
	v_cndmask_b32_e32 v7, 0, v5, vcc
	v_mov_b32_e32 v1, 0x260
	v_mul_f32_e32 v8, 0x3f317217, v4
	v_fma_f32 v8, v4, s7, -v8
	v_fmac_f32_e32 v8, 0x3377d1cf, v4
	v_fmac_f32_e32 v8, 0x3f317217, v4
	v_cmp_lt_f32_e64 vcc, |v4|, s12
	s_nop 1
	v_cndmask_b32_e32 v4, v4, v8, vcc
	v_sub_f32_e32 v4, v4, v7
	v_cmp_lt_f32_e32 vcc, s6, v2
	s_nop 1
	v_cndmask_b32_e32 v2, v4, v2, vcc
	v_mul_f32_e32 v4, 0x4f800000, v2
	v_cmp_gt_f32_e32 vcc, s13, v2
	s_nop 1
	v_cndmask_b32_e32 v2, v2, v4, vcc
	v_sqrt_f32_e32 v4, v2
	s_nop 0
	v_add_u32_e32 v7, -1, v4
	v_add_u32_e32 v8, 1, v4
	v_fma_f32 v9, -v7, v4, v2
	v_fma_f32 v10, -v8, v4, v2
	v_cmp_ge_f32_e64 s[4:5], 0, v9
	s_nop 1
	v_cndmask_b32_e64 v4, v4, v7, s[4:5]
	v_cmp_lt_f32_e64 s[4:5], 0, v10
	s_nop 1
	v_cndmask_b32_e64 v4, v4, v8, s[4:5]
	v_mul_f32_e32 v7, 0x37800000, v4
	v_cndmask_b32_e32 v4, v4, v7, vcc
	v_cmp_class_f32_e32 vcc, v2, v1
	s_nop 1
	v_cndmask_b32_e32 v4, v4, v2, vcc
	s_mov_b64 vcc, s[2:3]
	s_cbranch_vccz .LBB125_6
; %bb.5:
	s_load_dword s2, s[10:11], 0x0
	s_waitcnt lgkmcnt(0)
	v_add_f32_e32 v4, s2, v4
.LBB125_6:
	v_mul_f32_e32 v2, 0x3fb8aa3b, v3
	v_exp_f32_e32 v2, v2
	s_nop 0
	v_add_f32_e32 v2, 1.0, v2
	v_cmp_gt_f32_e32 vcc, s14, v2
	s_nop 1
	v_cndmask_b32_e32 v6, 1.0, v6, vcc
	v_mul_f32_e32 v2, v2, v6
	v_log_f32_e32 v2, v2
	v_cndmask_b32_e32 v5, 0, v5, vcc
	v_mul_f32_e32 v6, 0x3f317217, v2
	v_fma_f32 v6, v2, s7, -v6
	v_fmac_f32_e32 v6, 0x3377d1cf, v2
	v_fmac_f32_e32 v6, 0x3f317217, v2
	v_cmp_lt_f32_e64 vcc, |v2|, s12
	s_nop 1
	v_cndmask_b32_e32 v2, v2, v6, vcc
	v_sub_f32_e32 v2, v2, v5
	v_cmp_lt_f32_e32 vcc, s6, v3
	s_nop 1
	v_cndmask_b32_e32 v2, v2, v3, vcc
	v_mul_f32_e32 v3, 0x4f800000, v2
	v_cmp_gt_f32_e32 vcc, s13, v2
	s_nop 1
	v_cndmask_b32_e32 v2, v2, v3, vcc
	v_sqrt_f32_e32 v3, v2
	s_nop 0
	v_add_u32_e32 v5, -1, v3
	v_add_u32_e32 v6, 1, v3
	v_fma_f32 v7, -v5, v3, v2
	v_fma_f32 v8, -v6, v3, v2
	v_cmp_ge_f32_e64 s[2:3], 0, v7
	s_nop 1
	v_cndmask_b32_e64 v3, v3, v5, s[2:3]
	v_cmp_lt_f32_e64 s[2:3], 0, v8
	s_nop 1
	v_cndmask_b32_e64 v3, v3, v6, s[2:3]
	v_mul_f32_e32 v5, 0x37800000, v3
	v_cndmask_b32_e32 v3, v3, v5, vcc
	v_cmp_class_f32_e64 s[2:3], v2, v1
	s_andn2_b64 vcc, exec, s[20:21]
	s_nop 0
	v_cndmask_b32_e64 v1, v3, v2, s[2:3]
	s_cbranch_vccnz .LBB125_8
; %bb.7:
	s_load_dword s2, s[10:11], 0x4
	s_waitcnt lgkmcnt(0)
	v_add_f32_e32 v1, s2, v1
.LBB125_8:
	s_load_dwordx4 s[4:7], s[0:1], 0x30
	s_mov_b32 s25, 0
	s_waitcnt lgkmcnt(0)
	s_bitcmp1_b32 s7, 0
	s_cselect_b64 s[2:3], -1, 0
	s_cmp_gt_i32 s4, 0
	s_cselect_b64 s[22:23], -1, 0
	s_and_b64 vcc, exec, s[22:23]
	v_mul_lo_u32 v2, v0, s4
	s_cbranch_vccz .LBB125_15
; %bb.9:
	s_load_dwordx4 s[12:15], s[0:1], 0x20
	v_mov_b32_e32 v3, 0
	v_mov_b32_e32 v5, 0xc61c4000
	s_branch .LBB125_11
.LBB125_10:                             ;   in Loop: Header=BB125_11 Depth=1
	v_add_u32_e32 v8, s25, v2
	v_ashrrev_i32_e32 v9, 31, v8
	v_lshlrev_b64 v[10:11], 2, v[8:9]
	v_cmp_le_i32_e32 vcc, s5, v6
	v_cmp_gt_i32_e64 s[0:1], s6, v6
	v_lshl_add_u64 v[12:13], s[16:17], 0, v[10:11]
	s_and_b64 s[0:1], vcc, s[0:1]
	global_store_dword v[12:13], v7, off
	v_subrev_u32_e32 v12, s5, v6
	v_ashrrev_i32_e32 v13, 31, v12
	s_and_b64 vcc, s[18:19], s[0:1]
	v_cndmask_b32_e32 v13, 0, v13, vcc
	v_cndmask_b32_e32 v12, 2, v12, vcc
	v_add_f32_e32 v7, v3, v7
	s_add_i32 s25, s25, 1
	v_cmp_ne_u32_e32 vcc, 0, v6
	s_waitcnt lgkmcnt(0)
	v_lshl_add_u64 v[8:9], v[8:9], 3, s[12:13]
	v_cndmask_b32_e64 v3, v3, v7, s[2:3]
	s_cmp_lt_i32 s25, s4
	v_cndmask_b32_e32 v7, v5, v4, vcc
	v_cmp_ne_u32_e32 vcc, 1, v6
	global_store_dwordx2 v[8:9], v[12:13], off
	v_lshl_add_u64 v[8:9], s[14:15], 0, v[10:11]
	v_cndmask_b32_e32 v6, v5, v1, vcc
	s_cselect_b64 vcc, -1, 0
	global_store_dword v[8:9], v0, off
	v_cndmask_b32_e32 v1, v1, v6, vcc
	v_cndmask_b32_e32 v4, v4, v7, vcc
	s_cmp_lg_u32 s4, s25
	v_add_u32_e32 v0, s24, v0
	s_cbranch_scc0 .LBB125_16
.LBB125_11:                             ; =>This Inner Loop Header: Depth=1
	v_cmp_gt_f32_e32 vcc, v1, v4
	s_and_b64 s[0:1], exec, s[20:21]
	s_nop 0
	v_cndmask_b32_e32 v8, v4, v1, vcc
	v_cndmask_b32_e64 v6, 0, 1, vcc
	s_mov_b64 vcc, s[0:1]
	s_cbranch_vccz .LBB125_13
; %bb.12:                               ;   in Loop: Header=BB125_11 Depth=1
	v_lshlrev_b32_e32 v7, 2, v6
	global_load_dword v7, v7, s[10:11]
	s_waitcnt vmcnt(0)
	v_sub_f32_e32 v7, v8, v7
	s_cbranch_execnz .LBB125_10
	s_branch .LBB125_14
.LBB125_13:                             ;   in Loop: Header=BB125_11 Depth=1
                                        ; implicit-def: $vgpr7
.LBB125_14:                             ;   in Loop: Header=BB125_11 Depth=1
	v_mov_b32_e32 v7, v8
	s_branch .LBB125_10
.LBB125_15:
	v_mov_b32_e32 v3, 0
.LBB125_16:
	s_andn2_b64 vcc, exec, s[2:3]
	v_cvt_f32_f64_e32 v0, s[8:9]
	s_cbranch_vccnz .LBB125_18
; %bb.17:
	v_cmp_lt_f32_e32 vcc, 0, v3
	s_nop 1
	v_cndmask_b32_e32 v1, 1.0, v3, vcc
	v_div_scale_f32 v3, s[0:1], v1, v1, v0
	v_rcp_f32_e32 v4, v3
	s_nop 0
	v_fma_f32 v5, -v3, v4, 1.0
	v_fmac_f32_e32 v4, v5, v4
	v_div_scale_f32 v5, vcc, v0, v1, v0
	v_mul_f32_e32 v6, v5, v4
	v_fma_f32 v7, -v3, v6, v5
	v_fmac_f32_e32 v6, v7, v4
	v_fma_f32 v3, -v3, v6, v5
	v_div_fmas_f32 v3, v3, v4, v6
	v_div_fixup_f32 v0, v3, v1, v0
.LBB125_18:
	s_andn2_b64 vcc, exec, s[22:23]
	s_cbranch_vccnz .LBB125_28
; %bb.19:
	s_cmp_gt_u32 s4, 3
	v_ashrrev_i32_e32 v3, 31, v2
	s_cbranch_scc0 .LBB125_23
; %bb.20:
	s_and_b32 s0, s4, 0x7ffffffc
	v_lshl_add_u64 v[4:5], v[2:3], 2, s[16:17]
	v_mov_b32_e32 v1, v0
	v_lshl_add_u64 v[4:5], v[4:5], 0, 8
	s_mov_b32 s1, s0
.LBB125_21:                             ; =>This Inner Loop Header: Depth=1
	global_load_dwordx4 v[6:9], v[4:5], off offset:-8
	s_add_i32 s1, s1, -4
	s_cmp_lg_u32 s1, 0
	s_waitcnt vmcnt(0)
	v_pk_mul_f32 v[6:7], v[0:1], v[6:7]
	v_pk_mul_f32 v[8:9], v[0:1], v[8:9]
	global_store_dwordx4 v[4:5], v[6:9], off offset:-8
	v_lshl_add_u64 v[4:5], v[4:5], 0, 16
	s_cbranch_scc1 .LBB125_21
; %bb.22:
	s_cmp_lg_u32 s0, s4
	s_cselect_b64 s[2:3], -1, 0
	s_branch .LBB125_25
.LBB125_23:
	s_mov_b64 s[2:3], 0
                                        ; implicit-def: $sgpr0
	s_cbranch_execz .LBB125_25
; %bb.24:
	s_mov_b64 s[2:3], -1
	s_mov_b32 s0, 0
.LBB125_25:
	s_andn2_b64 vcc, exec, s[2:3]
	s_cbranch_vccnz .LBB125_28
; %bb.26:
	s_mov_b32 s1, 0
	v_lshl_add_u64 v[2:3], v[2:3], 0, s[0:1]
	s_sub_i32 s2, s4, s0
	v_lshl_add_u64 v[2:3], v[2:3], 2, s[16:17]
.LBB125_27:                             ; =>This Inner Loop Header: Depth=1
	global_load_dword v1, v[2:3], off
	s_add_i32 s2, s2, -1
	s_cmp_lg_u32 s2, 0
	s_waitcnt vmcnt(0)
	v_mul_f32_e32 v1, v0, v1
	global_store_dword v[2:3], v1, off
	v_lshl_add_u64 v[2:3], v[2:3], 0, 4
	s_cbranch_scc1 .LBB125_27
.LBB125_28:
	s_endpgm
	.section	.rodata,"a",@progbits
	.p2align	6, 0x0
	.amdhsa_kernel _ZN4vllm3moe22topkGatingSoftplusSqrtILi2ELi2ELi4ELi8ELi64ELb0ElfEEvPKT6_PKbPfiPT5_PiiiibdPKfPKS8_SE_
		.amdhsa_group_segment_fixed_size 0
		.amdhsa_private_segment_fixed_size 0
		.amdhsa_kernarg_size 96
		.amdhsa_user_sgpr_count 2
		.amdhsa_user_sgpr_dispatch_ptr 0
		.amdhsa_user_sgpr_queue_ptr 0
		.amdhsa_user_sgpr_kernarg_segment_ptr 1
		.amdhsa_user_sgpr_dispatch_id 0
		.amdhsa_user_sgpr_kernarg_preload_length 0
		.amdhsa_user_sgpr_kernarg_preload_offset 0
		.amdhsa_user_sgpr_private_segment_size 0
		.amdhsa_uses_dynamic_stack 0
		.amdhsa_enable_private_segment 0
		.amdhsa_system_sgpr_workgroup_id_x 1
		.amdhsa_system_sgpr_workgroup_id_y 0
		.amdhsa_system_sgpr_workgroup_id_z 0
		.amdhsa_system_sgpr_workgroup_info 0
		.amdhsa_system_vgpr_workitem_id 1
		.amdhsa_next_free_vgpr 14
		.amdhsa_next_free_sgpr 26
		.amdhsa_accum_offset 16
		.amdhsa_reserve_vcc 1
		.amdhsa_float_round_mode_32 0
		.amdhsa_float_round_mode_16_64 0
		.amdhsa_float_denorm_mode_32 3
		.amdhsa_float_denorm_mode_16_64 3
		.amdhsa_dx10_clamp 1
		.amdhsa_ieee_mode 1
		.amdhsa_fp16_overflow 0
		.amdhsa_tg_split 0
		.amdhsa_exception_fp_ieee_invalid_op 0
		.amdhsa_exception_fp_denorm_src 0
		.amdhsa_exception_fp_ieee_div_zero 0
		.amdhsa_exception_fp_ieee_overflow 0
		.amdhsa_exception_fp_ieee_underflow 0
		.amdhsa_exception_fp_ieee_inexact 0
		.amdhsa_exception_int_div_zero 0
	.end_amdhsa_kernel
	.section	.text._ZN4vllm3moe22topkGatingSoftplusSqrtILi2ELi2ELi4ELi8ELi64ELb0ElfEEvPKT6_PKbPfiPT5_PiiiibdPKfPKS8_SE_,"axG",@progbits,_ZN4vllm3moe22topkGatingSoftplusSqrtILi2ELi2ELi4ELi8ELi64ELb0ElfEEvPKT6_PKbPfiPT5_PiiiibdPKfPKS8_SE_,comdat
.Lfunc_end125:
	.size	_ZN4vllm3moe22topkGatingSoftplusSqrtILi2ELi2ELi4ELi8ELi64ELb0ElfEEvPKT6_PKbPfiPT5_PiiiibdPKfPKS8_SE_, .Lfunc_end125-_ZN4vllm3moe22topkGatingSoftplusSqrtILi2ELi2ELi4ELi8ELi64ELb0ElfEEvPKT6_PKbPfiPT5_PiiiibdPKfPKS8_SE_
                                        ; -- End function
	.section	.AMDGPU.csdata,"",@progbits
; Kernel info:
; codeLenInByte = 1384
; NumSgprs: 32
; NumVgprs: 14
; NumAgprs: 0
; TotalNumVgprs: 14
; ScratchSize: 0
; MemoryBound: 0
; FloatMode: 240
; IeeeMode: 1
; LDSByteSize: 0 bytes/workgroup (compile time only)
; SGPRBlocks: 3
; VGPRBlocks: 1
; NumSGPRsForWavesPerEU: 32
; NumVGPRsForWavesPerEU: 14
; AccumOffset: 16
; Occupancy: 8
; WaveLimiterHint : 0
; COMPUTE_PGM_RSRC2:SCRATCH_EN: 0
; COMPUTE_PGM_RSRC2:USER_SGPR: 2
; COMPUTE_PGM_RSRC2:TRAP_HANDLER: 0
; COMPUTE_PGM_RSRC2:TGID_X_EN: 1
; COMPUTE_PGM_RSRC2:TGID_Y_EN: 0
; COMPUTE_PGM_RSRC2:TGID_Z_EN: 0
; COMPUTE_PGM_RSRC2:TIDIG_COMP_CNT: 1
; COMPUTE_PGM_RSRC3_GFX90A:ACCUM_OFFSET: 3
; COMPUTE_PGM_RSRC3_GFX90A:TG_SPLIT: 0
	.section	.text._ZN4vllm3moe22topkGatingSoftplusSqrtILi2ELi2ELi4ELi8ELi32ELb1ElfEEvPKT6_PKbPfiPT5_PiiiibdPKfPKS8_SE_,"axG",@progbits,_ZN4vllm3moe22topkGatingSoftplusSqrtILi2ELi2ELi4ELi8ELi32ELb1ElfEEvPKT6_PKbPfiPT5_PiiiibdPKfPKS8_SE_,comdat
	.protected	_ZN4vllm3moe22topkGatingSoftplusSqrtILi2ELi2ELi4ELi8ELi32ELb1ElfEEvPKT6_PKbPfiPT5_PiiiibdPKfPKS8_SE_ ; -- Begin function _ZN4vllm3moe22topkGatingSoftplusSqrtILi2ELi2ELi4ELi8ELi32ELb1ElfEEvPKT6_PKbPfiPT5_PiiiibdPKfPKS8_SE_
	.globl	_ZN4vllm3moe22topkGatingSoftplusSqrtILi2ELi2ELi4ELi8ELi32ELb1ElfEEvPKT6_PKbPfiPT5_PiiiibdPKfPKS8_SE_
	.p2align	8
	.type	_ZN4vllm3moe22topkGatingSoftplusSqrtILi2ELi2ELi4ELi8ELi32ELb1ElfEEvPKT6_PKbPfiPT5_PiiiibdPKfPKS8_SE_,@function
_ZN4vllm3moe22topkGatingSoftplusSqrtILi2ELi2ELi4ELi8ELi32ELb1ElfEEvPKT6_PKbPfiPT5_PiiiibdPKfPKS8_SE_: ; @_ZN4vllm3moe22topkGatingSoftplusSqrtILi2ELi2ELi4ELi8ELi32ELb1ElfEEvPKT6_PKbPfiPT5_PiiiibdPKfPKS8_SE_
; %bb.0:
	s_load_dword s3, s[0:1], 0x18
	v_bfe_u32 v1, v0, 10, 10
	s_lshl_b32 s2, s2, 7
	v_lshlrev_b32_e32 v1, 5, v1
	v_and_b32_e32 v0, 0x3ff, v0
	v_add3_u32 v0, v1, v0, s2
	s_waitcnt lgkmcnt(0)
	v_cmp_gt_i32_e32 vcc, s3, v0
	s_and_saveexec_b64 s[2:3], vcc
	s_cbranch_execz .LBB126_48
; %bb.1:
	s_load_dwordx4 s[8:11], s[0:1], 0x50
	s_load_dwordx2 s[2:3], s[0:1], 0x0
	s_load_dword s12, s[0:1], 0x30
	v_lshlrev_b32_e32 v2, 1, v0
	v_ashrrev_i32_e32 v3, 31, v2
	s_waitcnt lgkmcnt(0)
	v_mov_b32_e32 v4, s8
	v_lshl_add_u64 v[2:3], v[2:3], 2, s[2:3]
	global_load_dwordx2 v[6:7], v[2:3], off
	v_mov_b32_e32 v5, s9
	v_ashrrev_i32_e32 v1, 31, v0
	v_lshl_add_u64 v[2:3], v[0:1], 3, v[4:5]
	global_load_dwordx2 v[2:3], v[2:3], off
	s_ashr_i32 s13, s12, 31
	v_cmp_lt_i64_e64 s[2:3], s[12:13], 1
	s_mov_b32 s4, 0x800000
	s_and_b64 vcc, exec, s[2:3]
	v_mov_b32_e32 v1, 0x4f800000
	s_mov_b32 s7, 0x3f317217
	s_mov_b32 s9, 0x7f800000
	v_mov_b32_e32 v8, 0x41b17218
	s_mov_b32 s6, 0x41a00000
	s_mov_b32 s16, 0xf800000
	v_mov_b32_e32 v9, 0x260
	s_mov_b32 s8, 0
	v_mov_b32_e32 v14, 0
	v_mul_lo_u32 v0, v0, s12
	v_cmp_gt_i64_e64 s[14:15], s[12:13], 0
	s_waitcnt vmcnt(1)
	v_mul_f32_e32 v4, 0x3fb8aa3b, v6
	v_mul_f32_e32 v5, 0x3fb8aa3b, v7
	v_exp_f32_e32 v4, v4
	v_exp_f32_e32 v5, v5
	s_waitcnt vmcnt(0)
	v_mul_lo_u32 v10, v3, s12
	v_mul_lo_u32 v11, v2, s13
	v_mad_u64_u32 v[2:3], s[2:3], v2, s12, 0
	v_pk_add_f32 v[4:5], v[4:5], 1.0 op_sel_hi:[1,0]
	v_add3_u32 v3, v3, v11, v10
	v_cmp_gt_f32_e64 s[2:3], s4, v5
	v_cmp_gt_f32_e64 s[4:5], s4, v4
	s_nop 0
	v_cndmask_b32_e64 v12, 1.0, v1, s[2:3]
	v_cndmask_b32_e64 v1, 1.0, v1, s[4:5]
	v_mul_f32_e32 v5, v5, v12
	v_mul_f32_e32 v1, v4, v1
	v_log_f32_e32 v4, v5
	v_log_f32_e32 v1, v1
	v_cndmask_b32_e64 v5, 0, v8, s[2:3]
	v_cndmask_b32_e64 v8, 0, v8, s[4:5]
	v_mul_f32_e32 v12, 0x3f317217, v4
	v_mul_f32_e32 v13, 0x3f317217, v1
	v_fma_f32 v12, v4, s7, -v12
	v_fma_f32 v13, v1, s7, -v13
	v_fmac_f32_e32 v12, 0x3377d1cf, v4
	v_fmac_f32_e32 v13, 0x3377d1cf, v1
	;; [unrolled: 1-line block ×3, first 2 shown]
	v_cmp_lt_f32_e64 s[2:3], |v4|, s9
	v_fmac_f32_e32 v13, 0x3f317217, v1
	s_nop 0
	v_cndmask_b32_e64 v4, v4, v12, s[2:3]
	v_cmp_lt_f32_e64 s[2:3], |v1|, s9
	v_sub_f32_e32 v4, v4, v5
	s_nop 0
	v_cndmask_b32_e64 v1, v1, v13, s[2:3]
	v_sub_f32_e32 v1, v1, v8
	v_cmp_lt_f32_e64 s[2:3], s6, v6
	s_nop 1
	v_cndmask_b32_e64 v1, v1, v6, s[2:3]
	v_cmp_lt_f32_e64 s[2:3], s6, v7
	v_mul_f32_e32 v6, 0x4f800000, v1
	v_cmp_gt_f32_e64 s[4:5], s16, v1
	v_cndmask_b32_e64 v4, v4, v7, s[2:3]
	v_mul_f32_e32 v5, 0x4f800000, v4
	v_cmp_gt_f32_e64 s[2:3], s16, v4
	v_cndmask_b32_e64 v1, v1, v6, s[4:5]
	v_sqrt_f32_e32 v6, v1
	v_cndmask_b32_e64 v4, v4, v5, s[2:3]
	v_sqrt_f32_e32 v5, v4
	v_add_u32_e32 v10, -1, v6
	v_fma_f32 v15, -v10, v6, v1
	v_add_u32_e32 v7, -1, v5
	v_fma_f32 v12, -v7, v5, v4
	v_add_u32_e32 v8, 1, v5
	v_cmp_ge_f32_e64 s[6:7], 0, v12
	v_add_u32_e32 v11, 1, v6
	v_fma_f32 v13, -v8, v5, v4
	v_cndmask_b32_e64 v5, v5, v7, s[6:7]
	v_cmp_ge_f32_e64 s[6:7], 0, v15
	v_fma_f32 v16, -v11, v6, v1
	s_nop 0
	v_cndmask_b32_e64 v6, v6, v10, s[6:7]
	v_cmp_lt_f32_e64 s[6:7], 0, v13
	s_nop 1
	v_cndmask_b32_e64 v5, v5, v8, s[6:7]
	v_cmp_lt_f32_e64 s[6:7], 0, v16
	v_mul_f32_e32 v7, 0x37800000, v5
	v_cndmask_b32_e64 v5, v5, v7, s[2:3]
	v_cndmask_b32_e64 v6, v6, v11, s[6:7]
	v_mul_f32_e32 v8, 0x37800000, v6
	v_cmp_class_f32_e64 s[2:3], v4, v9
	v_cndmask_b32_e64 v6, v6, v8, s[4:5]
	s_nop 0
	v_cndmask_b32_e64 v12, v5, v4, s[2:3]
	v_cmp_class_f32_e64 s[2:3], v1, v9
	s_nop 1
	v_cndmask_b32_e64 v13, v6, v1, s[2:3]
	s_cbranch_vccnz .LBB126_29
; %bb.2:
	s_load_dwordx2 s[2:3], s[0:1], 0x20
	s_cmp_lt_u32 s12, 4
	v_lshl_add_u64 v[4:5], v[2:3], 3, s[10:11]
	s_cbranch_scc1 .LBB126_21
; %bb.3:
	s_mov_b32 s5, 0
	s_and_b32 s8, s12, 0x7ffffffc
	v_ashrrev_i32_e32 v1, 31, v0
	v_mov_b32_e32 v7, 0
	v_mov_b32_e32 v14, 0
	s_mov_b32 s4, s5
	s_branch .LBB126_5
.LBB126_4:                              ;   in Loop: Header=BB126_5 Depth=1
	s_or_b64 exec, exec, s[6:7]
	s_add_i32 s4, s4, 4
	s_cmp_eq_u32 s4, s8
	s_cbranch_scc1 .LBB126_22
.LBB126_5:                              ; =>This Loop Header: Depth=1
                                        ;     Child Loop BB126_7 Depth 2
                                        ;     Child Loop BB126_11 Depth 2
	;; [unrolled: 1-line block ×4, first 2 shown]
	v_lshl_add_u64 v[8:9], s[4:5], 3, v[4:5]
	global_load_dword v6, v[8:9], off
	v_add_u32_e32 v10, s4, v0
	v_ashrrev_i32_e32 v11, 31, v10
	s_mov_b64 s[6:7], 0
	s_waitcnt lgkmcnt(0)
	v_lshl_add_u64 v[10:11], v[10:11], 3, s[2:3]
	s_waitcnt vmcnt(0)
	v_cmp_eq_u32_e32 vcc, 0, v6
	s_nop 1
	v_cndmask_b32_e64 v15, 2, 1, vcc
	v_cmp_eq_u32_e32 vcc, 1, v6
	v_mov_b32_e32 v17, v6
	s_nop 0
	v_cndmask_b32_e32 v16, v13, v12, vcc
	s_branch .LBB126_7
.LBB126_6:                              ;   in Loop: Header=BB126_7 Depth=2
	s_or_b64 exec, exec, s[16:17]
	v_add_u32_e32 v15, -1, v15
	v_cmp_eq_u32_e32 vcc, 0, v15
	s_or_b64 s[6:7], vcc, s[6:7]
	v_add_u32_e32 v17, -1, v17
	s_andn2_b64 exec, exec, s[6:7]
	s_cbranch_execz .LBB126_9
.LBB126_7:                              ;   Parent Loop BB126_5 Depth=1
                                        ; =>  This Inner Loop Header: Depth=2
	v_cmp_eq_u32_e32 vcc, 0, v17
	s_and_saveexec_b64 s[16:17], vcc
	s_cbranch_execz .LBB126_6
; %bb.8:                                ;   in Loop: Header=BB126_7 Depth=2
	v_add_f32_e32 v14, v14, v16
	global_store_dwordx2 v[10:11], v[6:7], off
	s_branch .LBB126_6
.LBB126_9:                              ;   in Loop: Header=BB126_5 Depth=1
	s_or_b64 exec, exec, s[6:7]
	global_load_dword v6, v[8:9], off offset:8
	s_ashr_i32 s17, s4, 31
	s_mov_b32 s16, s4
	v_lshl_add_u64 v[10:11], s[16:17], 0, v[0:1]
	s_mov_b64 s[6:7], 0
	v_lshl_add_u64 v[10:11], v[10:11], 3, s[2:3]
	s_waitcnt vmcnt(0)
	v_cmp_eq_u32_e32 vcc, 0, v6
	s_nop 1
	v_cndmask_b32_e64 v15, 2, 1, vcc
	v_cmp_eq_u32_e32 vcc, 1, v6
	v_mov_b32_e32 v17, v6
	s_nop 0
	v_cndmask_b32_e32 v16, v13, v12, vcc
	s_branch .LBB126_11
.LBB126_10:                             ;   in Loop: Header=BB126_11 Depth=2
	s_or_b64 exec, exec, s[16:17]
	v_add_u32_e32 v15, -1, v15
	v_cmp_eq_u32_e32 vcc, 0, v15
	s_or_b64 s[6:7], vcc, s[6:7]
	v_add_u32_e32 v17, -1, v17
	s_andn2_b64 exec, exec, s[6:7]
	s_cbranch_execz .LBB126_13
.LBB126_11:                             ;   Parent Loop BB126_5 Depth=1
                                        ; =>  This Inner Loop Header: Depth=2
	v_cmp_eq_u32_e32 vcc, 0, v17
	s_and_saveexec_b64 s[16:17], vcc
	s_cbranch_execz .LBB126_10
; %bb.12:                               ;   in Loop: Header=BB126_11 Depth=2
	v_add_f32_e32 v14, v14, v16
	global_store_dwordx2 v[10:11], v[6:7], off offset:8
	s_branch .LBB126_10
.LBB126_13:                             ;   in Loop: Header=BB126_5 Depth=1
	s_or_b64 exec, exec, s[6:7]
	global_load_dword v6, v[8:9], off offset:16
	s_mov_b64 s[6:7], 0
	s_waitcnt vmcnt(0)
	v_cmp_eq_u32_e32 vcc, 0, v6
	s_nop 1
	v_cndmask_b32_e64 v15, 2, 1, vcc
	v_cmp_eq_u32_e32 vcc, 1, v6
	v_mov_b32_e32 v17, v6
	s_nop 0
	v_cndmask_b32_e32 v16, v13, v12, vcc
	s_branch .LBB126_15
.LBB126_14:                             ;   in Loop: Header=BB126_15 Depth=2
	s_or_b64 exec, exec, s[16:17]
	v_add_u32_e32 v15, -1, v15
	v_cmp_eq_u32_e32 vcc, 0, v15
	s_or_b64 s[6:7], vcc, s[6:7]
	v_add_u32_e32 v17, -1, v17
	s_andn2_b64 exec, exec, s[6:7]
	s_cbranch_execz .LBB126_17
.LBB126_15:                             ;   Parent Loop BB126_5 Depth=1
                                        ; =>  This Inner Loop Header: Depth=2
	v_cmp_eq_u32_e32 vcc, 0, v17
	s_and_saveexec_b64 s[16:17], vcc
	s_cbranch_execz .LBB126_14
; %bb.16:                               ;   in Loop: Header=BB126_15 Depth=2
	v_add_f32_e32 v14, v14, v16
	global_store_dwordx2 v[10:11], v[6:7], off offset:16
	s_branch .LBB126_14
.LBB126_17:                             ;   in Loop: Header=BB126_5 Depth=1
	s_or_b64 exec, exec, s[6:7]
	global_load_dword v6, v[8:9], off offset:24
	s_mov_b64 s[6:7], 0
	s_waitcnt vmcnt(0)
	v_cmp_eq_u32_e32 vcc, 0, v6
	s_nop 1
	v_cndmask_b32_e64 v8, 2, 1, vcc
	v_cmp_eq_u32_e32 vcc, 1, v6
	v_mov_b32_e32 v15, v6
	s_nop 0
	v_cndmask_b32_e32 v9, v13, v12, vcc
	s_branch .LBB126_19
.LBB126_18:                             ;   in Loop: Header=BB126_19 Depth=2
	s_or_b64 exec, exec, s[16:17]
	v_add_u32_e32 v8, -1, v8
	v_cmp_eq_u32_e32 vcc, 0, v8
	s_or_b64 s[6:7], vcc, s[6:7]
	v_add_u32_e32 v15, -1, v15
	s_andn2_b64 exec, exec, s[6:7]
	s_cbranch_execz .LBB126_4
.LBB126_19:                             ;   Parent Loop BB126_5 Depth=1
                                        ; =>  This Inner Loop Header: Depth=2
	v_cmp_eq_u32_e32 vcc, 0, v15
	s_and_saveexec_b64 s[16:17], vcc
	s_cbranch_execz .LBB126_18
; %bb.20:                               ;   in Loop: Header=BB126_19 Depth=2
	v_add_f32_e32 v14, v14, v9
	global_store_dwordx2 v[10:11], v[6:7], off offset:24
	s_branch .LBB126_18
.LBB126_21:
	v_mov_b32_e32 v14, 0
.LBB126_22:
	s_and_b32 s13, s12, 3
	s_cmp_eq_u32 s13, 0
	s_mov_b32 s9, 0
	s_cbranch_scc1 .LBB126_29
; %bb.23:
	v_mov_b32_e32 v7, 0
	s_mov_b32 s16, s9
	s_branch .LBB126_25
.LBB126_24:                             ;   in Loop: Header=BB126_25 Depth=1
	s_or_b64 exec, exec, s[4:5]
	s_add_i32 s8, s8, 1
	s_add_i32 s16, s16, 1
	s_cmp_lg_u32 s16, s13
	s_cbranch_scc0 .LBB126_29
.LBB126_25:                             ; =>This Loop Header: Depth=1
                                        ;     Child Loop BB126_27 Depth 2
	v_lshl_add_u64 v[8:9], s[8:9], 3, v[4:5]
	global_load_dword v6, v[8:9], off
	v_add_u32_e32 v8, s8, v0
	v_ashrrev_i32_e32 v9, 31, v8
	s_mov_b64 s[4:5], 0
	s_waitcnt lgkmcnt(0)
	v_lshl_add_u64 v[8:9], v[8:9], 3, s[2:3]
	s_waitcnt vmcnt(0)
	v_cmp_eq_u32_e32 vcc, 0, v6
	s_nop 1
	v_cndmask_b32_e64 v1, 2, 1, vcc
	v_cmp_eq_u32_e32 vcc, 1, v6
	v_mov_b32_e32 v11, v6
	s_nop 0
	v_cndmask_b32_e32 v10, v13, v12, vcc
	s_branch .LBB126_27
.LBB126_26:                             ;   in Loop: Header=BB126_27 Depth=2
	s_or_b64 exec, exec, s[6:7]
	v_add_u32_e32 v1, -1, v1
	v_cmp_eq_u32_e32 vcc, 0, v1
	s_or_b64 s[4:5], vcc, s[4:5]
	v_add_u32_e32 v11, -1, v11
	s_andn2_b64 exec, exec, s[4:5]
	s_cbranch_execz .LBB126_24
.LBB126_27:                             ;   Parent Loop BB126_25 Depth=1
                                        ; =>  This Inner Loop Header: Depth=2
	v_cmp_eq_u32_e32 vcc, 0, v11
	s_and_saveexec_b64 s[6:7], vcc
	s_cbranch_execz .LBB126_26
; %bb.28:                               ;   in Loop: Header=BB126_27 Depth=2
	v_add_f32_e32 v14, v14, v10
	global_store_dwordx2 v[8:9], v[6:7], off
	s_branch .LBB126_26
.LBB126_29:
	s_load_dword s4, s[0:1], 0x3c
	s_waitcnt lgkmcnt(0)
	s_load_dwordx2 s[2:3], s[0:1], 0x40
	s_bitcmp1_b32 s4, 0
	s_cselect_b64 s[4:5], -1, 0
	s_waitcnt lgkmcnt(0)
	v_cvt_f32_f64_e32 v15, s[2:3]
	s_and_b64 vcc, exec, s[4:5]
	s_cbranch_vccz .LBB126_31
; %bb.30:
	v_cmp_lt_f32_e32 vcc, 0, v14
	s_nop 1
	v_cndmask_b32_e32 v1, 1.0, v14, vcc
	v_div_scale_f32 v4, s[2:3], v1, v1, v15
	v_rcp_f32_e32 v5, v4
	s_nop 0
	v_fma_f32 v6, -v4, v5, 1.0
	v_fmac_f32_e32 v5, v6, v5
	v_div_scale_f32 v6, vcc, v15, v1, v15
	v_mul_f32_e32 v7, v6, v5
	v_fma_f32 v8, -v4, v7, v6
	v_fmac_f32_e32 v7, v8, v5
	v_fma_f32 v4, -v4, v7, v6
	v_div_fmas_f32 v4, v4, v5, v7
	v_div_fixup_f32 v15, v4, v1, v15
.LBB126_31:
	s_andn2_b64 vcc, exec, s[14:15]
	s_cbranch_vccnz .LBB126_48
; %bb.32:
	s_load_dwordx2 s[0:1], s[0:1], 0x10
	s_cmp_lt_u32 s12, 4
	s_mov_b32 s2, 0
	s_cbranch_scc1 .LBB126_43
; %bb.33:
	v_ashrrev_i32_e32 v1, 31, v0
	s_waitcnt lgkmcnt(0)
	v_lshl_add_u64 v[4:5], v[0:1], 2, s[0:1]
	v_lshl_add_u64 v[6:7], v[2:3], 3, s[10:11]
	s_and_b32 s2, s12, 0x7ffffffc
	v_lshl_add_u64 v[4:5], v[4:5], 0, 12
	v_lshl_add_u64 v[6:7], v[6:7], 0, 16
	s_mov_b32 s3, 0
	v_mov_b32_e32 v9, 0
	s_branch .LBB126_35
.LBB126_34:                             ;   in Loop: Header=BB126_35 Depth=1
	s_or_b64 exec, exec, s[4:5]
	s_add_i32 s3, s3, 4
	v_lshl_add_u64 v[4:5], v[4:5], 0, 16
	s_cmp_lg_u32 s2, s3
	v_lshl_add_u64 v[6:7], v[6:7], 0, 32
	s_cbranch_scc0 .LBB126_43
.LBB126_35:                             ; =>This Inner Loop Header: Depth=1
	global_load_dwordx2 v[10:11], v[6:7], off offset:-16
	s_waitcnt vmcnt(0)
	v_and_b32_e32 v8, -2, v10
	v_cmp_eq_u64_e32 vcc, 0, v[8:9]
	s_and_saveexec_b64 s[4:5], vcc
	s_cbranch_execz .LBB126_37
; %bb.36:                               ;   in Loop: Header=BB126_35 Depth=1
	v_and_b32_e32 v1, 1, v10
	v_add_u32_e32 v16, s3, v0
	v_cmp_eq_u32_e32 vcc, 1, v1
	v_ashrrev_i32_e32 v17, 31, v16
	v_lshl_add_u64 v[10:11], v[16:17], 2, s[0:1]
	v_cndmask_b32_e32 v1, v13, v12, vcc
	v_mul_f32_e32 v1, v15, v1
	global_store_dword v[10:11], v1, off
.LBB126_37:                             ;   in Loop: Header=BB126_35 Depth=1
	s_or_b64 exec, exec, s[4:5]
	global_load_dwordx2 v[10:11], v[6:7], off offset:-8
	s_waitcnt vmcnt(0)
	v_and_b32_e32 v8, -2, v10
	v_cmp_eq_u64_e32 vcc, 0, v[8:9]
	s_and_saveexec_b64 s[4:5], vcc
	s_cbranch_execz .LBB126_39
; %bb.38:                               ;   in Loop: Header=BB126_35 Depth=1
	v_and_b32_e32 v1, 1, v10
	v_cmp_eq_u32_e32 vcc, 1, v1
	s_nop 1
	v_cndmask_b32_e32 v1, v13, v12, vcc
	v_mul_f32_e32 v1, v15, v1
	global_store_dword v[4:5], v1, off offset:-8
.LBB126_39:                             ;   in Loop: Header=BB126_35 Depth=1
	s_or_b64 exec, exec, s[4:5]
	global_load_dwordx2 v[10:11], v[6:7], off
	s_waitcnt vmcnt(0)
	v_and_b32_e32 v8, -2, v10
	v_cmp_eq_u64_e32 vcc, 0, v[8:9]
	s_and_saveexec_b64 s[4:5], vcc
	s_cbranch_execz .LBB126_41
; %bb.40:                               ;   in Loop: Header=BB126_35 Depth=1
	v_and_b32_e32 v1, 1, v10
	v_cmp_eq_u32_e32 vcc, 1, v1
	s_nop 1
	v_cndmask_b32_e32 v1, v13, v12, vcc
	v_mul_f32_e32 v1, v15, v1
	global_store_dword v[4:5], v1, off offset:-4
.LBB126_41:                             ;   in Loop: Header=BB126_35 Depth=1
	s_or_b64 exec, exec, s[4:5]
	global_load_dwordx2 v[10:11], v[6:7], off offset:8
	s_waitcnt vmcnt(0)
	v_and_b32_e32 v8, -2, v10
	v_cmp_eq_u64_e32 vcc, 0, v[8:9]
	s_and_saveexec_b64 s[4:5], vcc
	s_cbranch_execz .LBB126_34
; %bb.42:                               ;   in Loop: Header=BB126_35 Depth=1
	v_and_b32_e32 v1, 1, v10
	v_cmp_eq_u32_e32 vcc, 1, v1
	s_nop 1
	v_cndmask_b32_e32 v1, v13, v12, vcc
	v_mul_f32_e32 v1, v15, v1
	global_store_dword v[4:5], v1, off
	s_branch .LBB126_34
.LBB126_43:
	s_and_b32 s4, s12, 3
	s_cmp_eq_u32 s4, 0
	s_mov_b32 s3, 0
	s_cbranch_scc1 .LBB126_48
; %bb.44:
	v_add_u32_e32 v0, s2, v0
	s_lshl_b64 s[2:3], s[2:3], 3
	s_add_u32 s2, s10, s2
	s_addc_u32 s3, s11, s3
	v_lshl_add_u64 v[2:3], v[2:3], 3, s[2:3]
	v_mov_b32_e32 v5, 0
	s_branch .LBB126_46
.LBB126_45:                             ;   in Loop: Header=BB126_46 Depth=1
	s_or_b64 exec, exec, s[2:3]
	s_add_i32 s4, s4, -1
	v_add_u32_e32 v0, 1, v0
	s_cmp_lg_u32 s4, 0
	v_lshl_add_u64 v[2:3], v[2:3], 0, 8
	s_cbranch_scc0 .LBB126_48
.LBB126_46:                             ; =>This Inner Loop Header: Depth=1
	global_load_dwordx2 v[6:7], v[2:3], off
	s_waitcnt vmcnt(0)
	v_and_b32_e32 v4, -2, v6
	v_cmp_eq_u64_e32 vcc, 0, v[4:5]
	s_and_saveexec_b64 s[2:3], vcc
	s_cbranch_execz .LBB126_45
; %bb.47:                               ;   in Loop: Header=BB126_46 Depth=1
	v_and_b32_e32 v1, 1, v6
	v_cmp_eq_u32_e32 vcc, 1, v1
	s_nop 1
	v_cndmask_b32_e32 v1, v13, v12, vcc
	v_mul_f32_e32 v4, v15, v1
	v_ashrrev_i32_e32 v1, 31, v0
	s_waitcnt lgkmcnt(0)
	v_lshl_add_u64 v[6:7], v[0:1], 2, s[0:1]
	global_store_dword v[6:7], v4, off
	s_branch .LBB126_45
.LBB126_48:
	s_endpgm
	.section	.rodata,"a",@progbits
	.p2align	6, 0x0
	.amdhsa_kernel _ZN4vllm3moe22topkGatingSoftplusSqrtILi2ELi2ELi4ELi8ELi32ELb1ElfEEvPKT6_PKbPfiPT5_PiiiibdPKfPKS8_SE_
		.amdhsa_group_segment_fixed_size 0
		.amdhsa_private_segment_fixed_size 0
		.amdhsa_kernarg_size 96
		.amdhsa_user_sgpr_count 2
		.amdhsa_user_sgpr_dispatch_ptr 0
		.amdhsa_user_sgpr_queue_ptr 0
		.amdhsa_user_sgpr_kernarg_segment_ptr 1
		.amdhsa_user_sgpr_dispatch_id 0
		.amdhsa_user_sgpr_kernarg_preload_length 0
		.amdhsa_user_sgpr_kernarg_preload_offset 0
		.amdhsa_user_sgpr_private_segment_size 0
		.amdhsa_uses_dynamic_stack 0
		.amdhsa_enable_private_segment 0
		.amdhsa_system_sgpr_workgroup_id_x 1
		.amdhsa_system_sgpr_workgroup_id_y 0
		.amdhsa_system_sgpr_workgroup_id_z 0
		.amdhsa_system_sgpr_workgroup_info 0
		.amdhsa_system_vgpr_workitem_id 1
		.amdhsa_next_free_vgpr 18
		.amdhsa_next_free_sgpr 18
		.amdhsa_accum_offset 20
		.amdhsa_reserve_vcc 1
		.amdhsa_float_round_mode_32 0
		.amdhsa_float_round_mode_16_64 0
		.amdhsa_float_denorm_mode_32 3
		.amdhsa_float_denorm_mode_16_64 3
		.amdhsa_dx10_clamp 1
		.amdhsa_ieee_mode 1
		.amdhsa_fp16_overflow 0
		.amdhsa_tg_split 0
		.amdhsa_exception_fp_ieee_invalid_op 0
		.amdhsa_exception_fp_denorm_src 0
		.amdhsa_exception_fp_ieee_div_zero 0
		.amdhsa_exception_fp_ieee_overflow 0
		.amdhsa_exception_fp_ieee_underflow 0
		.amdhsa_exception_fp_ieee_inexact 0
		.amdhsa_exception_int_div_zero 0
	.end_amdhsa_kernel
	.section	.text._ZN4vllm3moe22topkGatingSoftplusSqrtILi2ELi2ELi4ELi8ELi32ELb1ElfEEvPKT6_PKbPfiPT5_PiiiibdPKfPKS8_SE_,"axG",@progbits,_ZN4vllm3moe22topkGatingSoftplusSqrtILi2ELi2ELi4ELi8ELi32ELb1ElfEEvPKT6_PKbPfiPT5_PiiiibdPKfPKS8_SE_,comdat
.Lfunc_end126:
	.size	_ZN4vllm3moe22topkGatingSoftplusSqrtILi2ELi2ELi4ELi8ELi32ELb1ElfEEvPKT6_PKbPfiPT5_PiiiibdPKfPKS8_SE_, .Lfunc_end126-_ZN4vllm3moe22topkGatingSoftplusSqrtILi2ELi2ELi4ELi8ELi32ELb1ElfEEvPKT6_PKbPfiPT5_PiiiibdPKfPKS8_SE_
                                        ; -- End function
	.section	.AMDGPU.csdata,"",@progbits
; Kernel info:
; codeLenInByte = 2196
; NumSgprs: 24
; NumVgprs: 18
; NumAgprs: 0
; TotalNumVgprs: 18
; ScratchSize: 0
; MemoryBound: 0
; FloatMode: 240
; IeeeMode: 1
; LDSByteSize: 0 bytes/workgroup (compile time only)
; SGPRBlocks: 2
; VGPRBlocks: 2
; NumSGPRsForWavesPerEU: 24
; NumVGPRsForWavesPerEU: 18
; AccumOffset: 20
; Occupancy: 8
; WaveLimiterHint : 1
; COMPUTE_PGM_RSRC2:SCRATCH_EN: 0
; COMPUTE_PGM_RSRC2:USER_SGPR: 2
; COMPUTE_PGM_RSRC2:TRAP_HANDLER: 0
; COMPUTE_PGM_RSRC2:TGID_X_EN: 1
; COMPUTE_PGM_RSRC2:TGID_Y_EN: 0
; COMPUTE_PGM_RSRC2:TGID_Z_EN: 0
; COMPUTE_PGM_RSRC2:TIDIG_COMP_CNT: 1
; COMPUTE_PGM_RSRC3_GFX90A:ACCUM_OFFSET: 4
; COMPUTE_PGM_RSRC3_GFX90A:TG_SPLIT: 0
	.section	.text._ZN4vllm3moe22topkGatingSoftplusSqrtILi2ELi2ELi4ELi8ELi32ELb0ElfEEvPKT6_PKbPfiPT5_PiiiibdPKfPKS8_SE_,"axG",@progbits,_ZN4vllm3moe22topkGatingSoftplusSqrtILi2ELi2ELi4ELi8ELi32ELb0ElfEEvPKT6_PKbPfiPT5_PiiiibdPKfPKS8_SE_,comdat
	.protected	_ZN4vllm3moe22topkGatingSoftplusSqrtILi2ELi2ELi4ELi8ELi32ELb0ElfEEvPKT6_PKbPfiPT5_PiiiibdPKfPKS8_SE_ ; -- Begin function _ZN4vllm3moe22topkGatingSoftplusSqrtILi2ELi2ELi4ELi8ELi32ELb0ElfEEvPKT6_PKbPfiPT5_PiiiibdPKfPKS8_SE_
	.globl	_ZN4vllm3moe22topkGatingSoftplusSqrtILi2ELi2ELi4ELi8ELi32ELb0ElfEEvPKT6_PKbPfiPT5_PiiiibdPKfPKS8_SE_
	.p2align	8
	.type	_ZN4vllm3moe22topkGatingSoftplusSqrtILi2ELi2ELi4ELi8ELi32ELb0ElfEEvPKT6_PKbPfiPT5_PiiiibdPKfPKS8_SE_,@function
_ZN4vllm3moe22topkGatingSoftplusSqrtILi2ELi2ELi4ELi8ELi32ELb0ElfEEvPKT6_PKbPfiPT5_PiiiibdPKfPKS8_SE_: ; @_ZN4vllm3moe22topkGatingSoftplusSqrtILi2ELi2ELi4ELi8ELi32ELb0ElfEEvPKT6_PKbPfiPT5_PiiiibdPKfPKS8_SE_
; %bb.0:
	s_load_dword s24, s[0:1], 0x18
	v_bfe_u32 v1, v0, 10, 10
	s_lshl_b32 s2, s2, 7
	v_lshlrev_b32_e32 v1, 5, v1
	v_and_b32_e32 v0, 0x3ff, v0
	v_add3_u32 v0, v1, v0, s2
	s_waitcnt lgkmcnt(0)
	v_cmp_gt_i32_e32 vcc, s24, v0
	s_and_saveexec_b64 s[2:3], vcc
	s_cbranch_execz .LBB127_28
; %bb.1:
	s_load_dwordx4 s[4:7], s[0:1], 0x0
	s_load_dwordx2 s[16:17], s[0:1], 0x10
	s_waitcnt lgkmcnt(0)
	s_cmp_eq_u64 s[6:7], 0
	s_cbranch_scc1 .LBB127_3
; %bb.2:
	v_ashrrev_i32_e32 v1, 31, v0
	v_lshl_add_u64 v[2:3], s[6:7], 0, v[0:1]
	global_load_ubyte v1, v[2:3], off
	s_waitcnt vmcnt(0)
	v_and_b32_e32 v1, 1, v1
	v_cmp_eq_u32_e32 vcc, 1, v1
	s_xor_b64 s[2:3], vcc, -1
	s_orn2_b64 s[18:19], s[2:3], exec
	s_branch .LBB127_4
.LBB127_3:
	s_mov_b64 s[18:19], -1
.LBB127_4:
	v_lshlrev_b32_e32 v4, 1, v0
	v_mov_b32_e32 v2, s4
	v_mov_b32_e32 v3, s5
	v_ashrrev_i32_e32 v5, 31, v4
	v_lshl_add_u64 v[2:3], v[4:5], 2, v[2:3]
	global_load_dwordx2 v[2:3], v[2:3], off
	s_mov_b32 s14, 0x800000
	v_mov_b32_e32 v6, 0x4f800000
	s_mov_b32 s7, 0x3f317217
	s_mov_b32 s12, 0x7f800000
	v_mov_b32_e32 v5, 0x41b17218
	s_mov_b32 s6, 0x41a00000
	s_mov_b32 s13, 0xf800000
	s_load_dwordx4 s[8:11], s[0:1], 0x40
	s_waitcnt lgkmcnt(0)
	s_cmp_lg_u64 s[10:11], 0
	s_cselect_b64 s[20:21], -1, 0
	s_and_b64 s[2:3], exec, s[20:21]
	s_waitcnt vmcnt(0)
	v_mul_f32_e32 v1, 0x3fb8aa3b, v2
	v_exp_f32_e32 v1, v1
	s_nop 0
	v_add_f32_e32 v1, 1.0, v1
	v_cmp_gt_f32_e32 vcc, s14, v1
	s_nop 1
	v_cndmask_b32_e32 v4, 1.0, v6, vcc
	v_mul_f32_e32 v1, v1, v4
	v_log_f32_e32 v4, v1
	v_cndmask_b32_e32 v7, 0, v5, vcc
	v_mov_b32_e32 v1, 0x260
	v_mul_f32_e32 v8, 0x3f317217, v4
	v_fma_f32 v8, v4, s7, -v8
	v_fmac_f32_e32 v8, 0x3377d1cf, v4
	v_fmac_f32_e32 v8, 0x3f317217, v4
	v_cmp_lt_f32_e64 vcc, |v4|, s12
	s_nop 1
	v_cndmask_b32_e32 v4, v4, v8, vcc
	v_sub_f32_e32 v4, v4, v7
	v_cmp_lt_f32_e32 vcc, s6, v2
	s_nop 1
	v_cndmask_b32_e32 v2, v4, v2, vcc
	v_mul_f32_e32 v4, 0x4f800000, v2
	v_cmp_gt_f32_e32 vcc, s13, v2
	s_nop 1
	v_cndmask_b32_e32 v2, v2, v4, vcc
	v_sqrt_f32_e32 v4, v2
	s_nop 0
	v_add_u32_e32 v7, -1, v4
	v_add_u32_e32 v8, 1, v4
	v_fma_f32 v9, -v7, v4, v2
	v_fma_f32 v10, -v8, v4, v2
	v_cmp_ge_f32_e64 s[4:5], 0, v9
	s_nop 1
	v_cndmask_b32_e64 v4, v4, v7, s[4:5]
	v_cmp_lt_f32_e64 s[4:5], 0, v10
	s_nop 1
	v_cndmask_b32_e64 v4, v4, v8, s[4:5]
	v_mul_f32_e32 v7, 0x37800000, v4
	v_cndmask_b32_e32 v4, v4, v7, vcc
	v_cmp_class_f32_e32 vcc, v2, v1
	s_nop 1
	v_cndmask_b32_e32 v4, v4, v2, vcc
	s_mov_b64 vcc, s[2:3]
	s_cbranch_vccz .LBB127_6
; %bb.5:
	s_load_dword s2, s[10:11], 0x0
	s_waitcnt lgkmcnt(0)
	v_add_f32_e32 v4, s2, v4
.LBB127_6:
	v_mul_f32_e32 v2, 0x3fb8aa3b, v3
	v_exp_f32_e32 v2, v2
	s_nop 0
	v_add_f32_e32 v2, 1.0, v2
	v_cmp_gt_f32_e32 vcc, s14, v2
	s_nop 1
	v_cndmask_b32_e32 v6, 1.0, v6, vcc
	v_mul_f32_e32 v2, v2, v6
	v_log_f32_e32 v2, v2
	v_cndmask_b32_e32 v5, 0, v5, vcc
	v_mul_f32_e32 v6, 0x3f317217, v2
	v_fma_f32 v6, v2, s7, -v6
	v_fmac_f32_e32 v6, 0x3377d1cf, v2
	v_fmac_f32_e32 v6, 0x3f317217, v2
	v_cmp_lt_f32_e64 vcc, |v2|, s12
	s_nop 1
	v_cndmask_b32_e32 v2, v2, v6, vcc
	v_sub_f32_e32 v2, v2, v5
	v_cmp_lt_f32_e32 vcc, s6, v3
	s_nop 1
	v_cndmask_b32_e32 v2, v2, v3, vcc
	v_mul_f32_e32 v3, 0x4f800000, v2
	v_cmp_gt_f32_e32 vcc, s13, v2
	s_nop 1
	v_cndmask_b32_e32 v2, v2, v3, vcc
	v_sqrt_f32_e32 v3, v2
	s_nop 0
	v_add_u32_e32 v5, -1, v3
	v_add_u32_e32 v6, 1, v3
	v_fma_f32 v7, -v5, v3, v2
	v_fma_f32 v8, -v6, v3, v2
	v_cmp_ge_f32_e64 s[2:3], 0, v7
	s_nop 1
	v_cndmask_b32_e64 v3, v3, v5, s[2:3]
	v_cmp_lt_f32_e64 s[2:3], 0, v8
	s_nop 1
	v_cndmask_b32_e64 v3, v3, v6, s[2:3]
	v_mul_f32_e32 v5, 0x37800000, v3
	v_cndmask_b32_e32 v3, v3, v5, vcc
	v_cmp_class_f32_e64 s[2:3], v2, v1
	s_andn2_b64 vcc, exec, s[20:21]
	s_nop 0
	v_cndmask_b32_e64 v1, v3, v2, s[2:3]
	s_cbranch_vccnz .LBB127_8
; %bb.7:
	s_load_dword s2, s[10:11], 0x4
	s_waitcnt lgkmcnt(0)
	v_add_f32_e32 v1, s2, v1
.LBB127_8:
	s_load_dwordx4 s[4:7], s[0:1], 0x30
	s_mov_b32 s25, 0
	s_waitcnt lgkmcnt(0)
	s_bitcmp1_b32 s7, 0
	s_cselect_b64 s[2:3], -1, 0
	s_cmp_gt_i32 s4, 0
	s_cselect_b64 s[22:23], -1, 0
	s_and_b64 vcc, exec, s[22:23]
	v_mul_lo_u32 v2, v0, s4
	s_cbranch_vccz .LBB127_15
; %bb.9:
	s_load_dwordx4 s[12:15], s[0:1], 0x20
	v_mov_b32_e32 v3, 0
	v_mov_b32_e32 v5, 0xc61c4000
	s_branch .LBB127_11
.LBB127_10:                             ;   in Loop: Header=BB127_11 Depth=1
	v_add_u32_e32 v8, s25, v2
	v_ashrrev_i32_e32 v9, 31, v8
	v_lshlrev_b64 v[10:11], 2, v[8:9]
	v_cmp_le_i32_e32 vcc, s5, v6
	v_cmp_gt_i32_e64 s[0:1], s6, v6
	v_lshl_add_u64 v[12:13], s[16:17], 0, v[10:11]
	s_and_b64 s[0:1], vcc, s[0:1]
	global_store_dword v[12:13], v7, off
	v_subrev_u32_e32 v12, s5, v6
	v_ashrrev_i32_e32 v13, 31, v12
	s_and_b64 vcc, s[18:19], s[0:1]
	v_cndmask_b32_e32 v13, 0, v13, vcc
	v_cndmask_b32_e32 v12, 2, v12, vcc
	v_add_f32_e32 v7, v3, v7
	s_add_i32 s25, s25, 1
	v_cmp_ne_u32_e32 vcc, 0, v6
	s_waitcnt lgkmcnt(0)
	v_lshl_add_u64 v[8:9], v[8:9], 3, s[12:13]
	v_cndmask_b32_e64 v3, v3, v7, s[2:3]
	s_cmp_lt_i32 s25, s4
	v_cndmask_b32_e32 v7, v5, v4, vcc
	v_cmp_ne_u32_e32 vcc, 1, v6
	global_store_dwordx2 v[8:9], v[12:13], off
	v_lshl_add_u64 v[8:9], s[14:15], 0, v[10:11]
	v_cndmask_b32_e32 v6, v5, v1, vcc
	s_cselect_b64 vcc, -1, 0
	global_store_dword v[8:9], v0, off
	v_cndmask_b32_e32 v1, v1, v6, vcc
	v_cndmask_b32_e32 v4, v4, v7, vcc
	s_cmp_lg_u32 s4, s25
	v_add_u32_e32 v0, s24, v0
	s_cbranch_scc0 .LBB127_16
.LBB127_11:                             ; =>This Inner Loop Header: Depth=1
	v_cmp_gt_f32_e32 vcc, v1, v4
	s_and_b64 s[0:1], exec, s[20:21]
	s_nop 0
	v_cndmask_b32_e32 v8, v4, v1, vcc
	v_cndmask_b32_e64 v6, 0, 1, vcc
	s_mov_b64 vcc, s[0:1]
	s_cbranch_vccz .LBB127_13
; %bb.12:                               ;   in Loop: Header=BB127_11 Depth=1
	v_lshlrev_b32_e32 v7, 2, v6
	global_load_dword v7, v7, s[10:11]
	s_waitcnt vmcnt(0)
	v_sub_f32_e32 v7, v8, v7
	s_cbranch_execnz .LBB127_10
	s_branch .LBB127_14
.LBB127_13:                             ;   in Loop: Header=BB127_11 Depth=1
                                        ; implicit-def: $vgpr7
.LBB127_14:                             ;   in Loop: Header=BB127_11 Depth=1
	v_mov_b32_e32 v7, v8
	s_branch .LBB127_10
.LBB127_15:
	v_mov_b32_e32 v3, 0
.LBB127_16:
	s_andn2_b64 vcc, exec, s[2:3]
	v_cvt_f32_f64_e32 v0, s[8:9]
	s_cbranch_vccnz .LBB127_18
; %bb.17:
	v_cmp_lt_f32_e32 vcc, 0, v3
	s_nop 1
	v_cndmask_b32_e32 v1, 1.0, v3, vcc
	v_div_scale_f32 v3, s[0:1], v1, v1, v0
	v_rcp_f32_e32 v4, v3
	s_nop 0
	v_fma_f32 v5, -v3, v4, 1.0
	v_fmac_f32_e32 v4, v5, v4
	v_div_scale_f32 v5, vcc, v0, v1, v0
	v_mul_f32_e32 v6, v5, v4
	v_fma_f32 v7, -v3, v6, v5
	v_fmac_f32_e32 v6, v7, v4
	v_fma_f32 v3, -v3, v6, v5
	v_div_fmas_f32 v3, v3, v4, v6
	v_div_fixup_f32 v0, v3, v1, v0
.LBB127_18:
	s_andn2_b64 vcc, exec, s[22:23]
	s_cbranch_vccnz .LBB127_28
; %bb.19:
	s_cmp_gt_u32 s4, 3
	v_ashrrev_i32_e32 v3, 31, v2
	s_cbranch_scc0 .LBB127_23
; %bb.20:
	s_and_b32 s0, s4, 0x7ffffffc
	v_lshl_add_u64 v[4:5], v[2:3], 2, s[16:17]
	v_mov_b32_e32 v1, v0
	v_lshl_add_u64 v[4:5], v[4:5], 0, 8
	s_mov_b32 s1, s0
.LBB127_21:                             ; =>This Inner Loop Header: Depth=1
	global_load_dwordx4 v[6:9], v[4:5], off offset:-8
	s_add_i32 s1, s1, -4
	s_cmp_lg_u32 s1, 0
	s_waitcnt vmcnt(0)
	v_pk_mul_f32 v[6:7], v[0:1], v[6:7]
	v_pk_mul_f32 v[8:9], v[0:1], v[8:9]
	global_store_dwordx4 v[4:5], v[6:9], off offset:-8
	v_lshl_add_u64 v[4:5], v[4:5], 0, 16
	s_cbranch_scc1 .LBB127_21
; %bb.22:
	s_cmp_lg_u32 s0, s4
	s_cselect_b64 s[2:3], -1, 0
	s_branch .LBB127_25
.LBB127_23:
	s_mov_b64 s[2:3], 0
                                        ; implicit-def: $sgpr0
	s_cbranch_execz .LBB127_25
; %bb.24:
	s_mov_b64 s[2:3], -1
	s_mov_b32 s0, 0
.LBB127_25:
	s_andn2_b64 vcc, exec, s[2:3]
	s_cbranch_vccnz .LBB127_28
; %bb.26:
	s_mov_b32 s1, 0
	v_lshl_add_u64 v[2:3], v[2:3], 0, s[0:1]
	s_sub_i32 s2, s4, s0
	v_lshl_add_u64 v[2:3], v[2:3], 2, s[16:17]
.LBB127_27:                             ; =>This Inner Loop Header: Depth=1
	global_load_dword v1, v[2:3], off
	s_add_i32 s2, s2, -1
	s_cmp_lg_u32 s2, 0
	s_waitcnt vmcnt(0)
	v_mul_f32_e32 v1, v0, v1
	global_store_dword v[2:3], v1, off
	v_lshl_add_u64 v[2:3], v[2:3], 0, 4
	s_cbranch_scc1 .LBB127_27
.LBB127_28:
	s_endpgm
	.section	.rodata,"a",@progbits
	.p2align	6, 0x0
	.amdhsa_kernel _ZN4vllm3moe22topkGatingSoftplusSqrtILi2ELi2ELi4ELi8ELi32ELb0ElfEEvPKT6_PKbPfiPT5_PiiiibdPKfPKS8_SE_
		.amdhsa_group_segment_fixed_size 0
		.amdhsa_private_segment_fixed_size 0
		.amdhsa_kernarg_size 96
		.amdhsa_user_sgpr_count 2
		.amdhsa_user_sgpr_dispatch_ptr 0
		.amdhsa_user_sgpr_queue_ptr 0
		.amdhsa_user_sgpr_kernarg_segment_ptr 1
		.amdhsa_user_sgpr_dispatch_id 0
		.amdhsa_user_sgpr_kernarg_preload_length 0
		.amdhsa_user_sgpr_kernarg_preload_offset 0
		.amdhsa_user_sgpr_private_segment_size 0
		.amdhsa_uses_dynamic_stack 0
		.amdhsa_enable_private_segment 0
		.amdhsa_system_sgpr_workgroup_id_x 1
		.amdhsa_system_sgpr_workgroup_id_y 0
		.amdhsa_system_sgpr_workgroup_id_z 0
		.amdhsa_system_sgpr_workgroup_info 0
		.amdhsa_system_vgpr_workitem_id 1
		.amdhsa_next_free_vgpr 14
		.amdhsa_next_free_sgpr 26
		.amdhsa_accum_offset 16
		.amdhsa_reserve_vcc 1
		.amdhsa_float_round_mode_32 0
		.amdhsa_float_round_mode_16_64 0
		.amdhsa_float_denorm_mode_32 3
		.amdhsa_float_denorm_mode_16_64 3
		.amdhsa_dx10_clamp 1
		.amdhsa_ieee_mode 1
		.amdhsa_fp16_overflow 0
		.amdhsa_tg_split 0
		.amdhsa_exception_fp_ieee_invalid_op 0
		.amdhsa_exception_fp_denorm_src 0
		.amdhsa_exception_fp_ieee_div_zero 0
		.amdhsa_exception_fp_ieee_overflow 0
		.amdhsa_exception_fp_ieee_underflow 0
		.amdhsa_exception_fp_ieee_inexact 0
		.amdhsa_exception_int_div_zero 0
	.end_amdhsa_kernel
	.section	.text._ZN4vllm3moe22topkGatingSoftplusSqrtILi2ELi2ELi4ELi8ELi32ELb0ElfEEvPKT6_PKbPfiPT5_PiiiibdPKfPKS8_SE_,"axG",@progbits,_ZN4vllm3moe22topkGatingSoftplusSqrtILi2ELi2ELi4ELi8ELi32ELb0ElfEEvPKT6_PKbPfiPT5_PiiiibdPKfPKS8_SE_,comdat
.Lfunc_end127:
	.size	_ZN4vllm3moe22topkGatingSoftplusSqrtILi2ELi2ELi4ELi8ELi32ELb0ElfEEvPKT6_PKbPfiPT5_PiiiibdPKfPKS8_SE_, .Lfunc_end127-_ZN4vllm3moe22topkGatingSoftplusSqrtILi2ELi2ELi4ELi8ELi32ELb0ElfEEvPKT6_PKbPfiPT5_PiiiibdPKfPKS8_SE_
                                        ; -- End function
	.section	.AMDGPU.csdata,"",@progbits
; Kernel info:
; codeLenInByte = 1384
; NumSgprs: 32
; NumVgprs: 14
; NumAgprs: 0
; TotalNumVgprs: 14
; ScratchSize: 0
; MemoryBound: 0
; FloatMode: 240
; IeeeMode: 1
; LDSByteSize: 0 bytes/workgroup (compile time only)
; SGPRBlocks: 3
; VGPRBlocks: 1
; NumSGPRsForWavesPerEU: 32
; NumVGPRsForWavesPerEU: 14
; AccumOffset: 16
; Occupancy: 8
; WaveLimiterHint : 0
; COMPUTE_PGM_RSRC2:SCRATCH_EN: 0
; COMPUTE_PGM_RSRC2:USER_SGPR: 2
; COMPUTE_PGM_RSRC2:TRAP_HANDLER: 0
; COMPUTE_PGM_RSRC2:TGID_X_EN: 1
; COMPUTE_PGM_RSRC2:TGID_Y_EN: 0
; COMPUTE_PGM_RSRC2:TGID_Z_EN: 0
; COMPUTE_PGM_RSRC2:TIDIG_COMP_CNT: 1
; COMPUTE_PGM_RSRC3_GFX90A:ACCUM_OFFSET: 3
; COMPUTE_PGM_RSRC3_GFX90A:TG_SPLIT: 0
	.section	.text._ZN4vllm3moe22topkGatingSoftplusSqrtILi4ELi4ELi4ELi16ELi64ELb1ElfEEvPKT6_PKbPfiPT5_PiiiibdPKfPKS8_SE_,"axG",@progbits,_ZN4vllm3moe22topkGatingSoftplusSqrtILi4ELi4ELi4ELi16ELi64ELb1ElfEEvPKT6_PKbPfiPT5_PiiiibdPKfPKS8_SE_,comdat
	.protected	_ZN4vllm3moe22topkGatingSoftplusSqrtILi4ELi4ELi4ELi16ELi64ELb1ElfEEvPKT6_PKbPfiPT5_PiiiibdPKfPKS8_SE_ ; -- Begin function _ZN4vllm3moe22topkGatingSoftplusSqrtILi4ELi4ELi4ELi16ELi64ELb1ElfEEvPKT6_PKbPfiPT5_PiiiibdPKfPKS8_SE_
	.globl	_ZN4vllm3moe22topkGatingSoftplusSqrtILi4ELi4ELi4ELi16ELi64ELb1ElfEEvPKT6_PKbPfiPT5_PiiiibdPKfPKS8_SE_
	.p2align	8
	.type	_ZN4vllm3moe22topkGatingSoftplusSqrtILi4ELi4ELi4ELi16ELi64ELb1ElfEEvPKT6_PKbPfiPT5_PiiiibdPKfPKS8_SE_,@function
_ZN4vllm3moe22topkGatingSoftplusSqrtILi4ELi4ELi4ELi16ELi64ELb1ElfEEvPKT6_PKbPfiPT5_PiiiibdPKfPKS8_SE_: ; @_ZN4vllm3moe22topkGatingSoftplusSqrtILi4ELi4ELi4ELi16ELi64ELb1ElfEEvPKT6_PKbPfiPT5_PiiiibdPKfPKS8_SE_
; %bb.0:
	s_load_dword s5, s[2:3], 0x18
	v_bfe_u32 v4, v0, 10, 10
	v_and_b32_e32 v1, 0x3ff, v0
	s_lshl_b32 s4, s4, 8
	v_lshlrev_b32_e32 v2, 6, v4
	v_add3_u32 v2, v2, v1, s4
	s_waitcnt lgkmcnt(0)
	v_cmp_gt_i32_e32 vcc, s5, v2
	s_and_saveexec_b64 s[4:5], vcc
	s_cbranch_execz .LBB128_56
; %bb.1:
	s_load_dwordx4 s[8:11], s[2:3], 0x50
	s_load_dwordx2 s[4:5], s[2:3], 0x0
	s_load_dword s12, s[2:3], 0x30
	v_lshlrev_b32_e32 v6, 2, v2
	v_ashrrev_i32_e32 v7, 31, v6
	s_waitcnt lgkmcnt(0)
	v_mov_b32_e32 v10, s8
	v_lshl_add_u64 v[6:7], v[6:7], 2, s[4:5]
	global_load_dwordx4 v[6:9], v[6:7], off
	v_mov_b32_e32 v11, s9
	v_ashrrev_i32_e32 v3, 31, v2
	v_lshl_add_u64 v[10:11], v[2:3], 3, v[10:11]
	global_load_dwordx2 v[10:11], v[10:11], off
	s_load_dwordx2 s[0:1], s[0:1], 0x4
	v_bfe_u32 v0, v0, 20, 10
	s_mov_b32 s6, 0x800000
	s_ashr_i32 s13, s12, 31
	v_mov_b32_e32 v3, 0x4f800000
	s_waitcnt lgkmcnt(0)
	s_lshr_b32 s0, s0, 16
	s_mul_i32 s0, s0, s1
	v_mul_lo_u32 v1, s0, v1
	v_mad_u32_u24 v1, v4, s1, v1
	v_add_lshl_u32 v12, v1, v0, 4
	s_mov_b32 s20, 0x3f317217
	s_mov_b32 s21, 0x7f800000
	v_mov_b32_e32 v16, 0x41b17218
	s_mov_b32 s17, 0x41a00000
	s_mov_b32 s22, 0xf800000
	v_mov_b32_e32 v17, 0x260
	v_cmp_lt_i64_e64 s[18:19], s[12:13], 1
	s_mov_b32 s16, 0
	v_mov_b32_e32 v13, 0
	v_cmp_gt_i64_e64 s[14:15], s[12:13], 0
	v_mul_lo_u32 v2, v2, s12
	s_waitcnt vmcnt(1)
	v_mul_f32_e32 v0, 0x3fb8aa3b, v6
	v_mul_f32_e32 v1, 0x3fb8aa3b, v7
	v_exp_f32_e32 v4, v0
	v_exp_f32_e32 v5, v1
	v_mul_f32_e32 v14, 0x3fb8aa3b, v8
	v_mul_f32_e32 v15, 0x3fb8aa3b, v9
	v_exp_f32_e32 v14, v14
	v_exp_f32_e32 v15, v15
	v_pk_add_f32 v[4:5], v[4:5], 1.0 op_sel_hi:[1,0]
	s_waitcnt vmcnt(0)
	v_mul_lo_u32 v11, v11, s12
	v_mul_lo_u32 v18, v10, s13
	v_mad_u64_u32 v[0:1], s[0:1], v10, s12, 0
	v_cmp_gt_f32_e32 vcc, s6, v5
	v_add3_u32 v1, v1, v18, v11
	v_pk_add_f32 v[10:11], v[14:15], 1.0 op_sel_hi:[1,0]
	v_cndmask_b32_e32 v14, 1.0, v3, vcc
	v_cmp_gt_f32_e64 s[0:1], s6, v4
	v_mul_f32_e32 v5, v5, v14
	v_log_f32_e32 v5, v5
	v_cndmask_b32_e64 v15, 1.0, v3, s[0:1]
	v_mul_f32_e32 v4, v4, v15
	v_log_f32_e32 v4, v4
	v_cmp_gt_f32_e64 s[4:5], s6, v11
	v_cmp_gt_f32_e64 s[6:7], s6, v10
	v_cndmask_b32_e32 v14, 0, v16, vcc
	v_cndmask_b32_e64 v18, 1.0, v3, s[4:5]
	v_cndmask_b32_e64 v3, 1.0, v3, s[6:7]
	v_mul_f32_e32 v3, v10, v3
	v_mul_f32_e32 v10, 0x3f317217, v5
	;; [unrolled: 1-line block ×4, first 2 shown]
	v_fma_f32 v10, v5, s20, -v10
	v_fma_f32 v18, v4, s20, -v18
	v_fmac_f32_e32 v10, 0x3377d1cf, v5
	v_fmac_f32_e32 v18, 0x3377d1cf, v4
	;; [unrolled: 1-line block ×3, first 2 shown]
	v_cmp_lt_f32_e64 vcc, |v5|, s21
	v_fmac_f32_e32 v18, 0x3f317217, v4
	v_cndmask_b32_e64 v15, 0, v16, s[0:1]
	v_cndmask_b32_e32 v5, v5, v10, vcc
	v_cmp_lt_f32_e64 vcc, |v4|, s21
	v_sub_f32_e32 v5, v5, v14
	v_log_f32_e32 v11, v11
	v_cndmask_b32_e32 v4, v4, v18, vcc
	v_sub_f32_e32 v4, v4, v15
	v_cmp_lt_f32_e32 vcc, s17, v6
	v_mul_f32_e32 v19, 0x3f317217, v11
	v_fma_f32 v19, v11, s20, -v19
	v_cndmask_b32_e32 v4, v4, v6, vcc
	v_cmp_lt_f32_e32 vcc, s17, v7
	v_cmp_gt_f32_e64 s[0:1], s22, v4
	v_log_f32_e32 v3, v3
	v_cndmask_b32_e32 v5, v5, v7, vcc
	v_mul_f32_e32 v6, 0x4f800000, v5
	v_cmp_gt_f32_e32 vcc, s22, v5
	v_mul_f32_e32 v7, 0x4f800000, v4
	v_cndmask_b32_e64 v4, v4, v7, s[0:1]
	v_cndmask_b32_e32 v5, v5, v6, vcc
	v_sqrt_f32_e32 v6, v5
	v_sqrt_f32_e32 v7, v4
	v_fmac_f32_e32 v19, 0x3377d1cf, v11
	v_fmac_f32_e32 v19, 0x3f317217, v11
	v_add_u32_e32 v10, -1, v6
	v_add_u32_e32 v15, -1, v7
	v_fma_f32 v20, -v10, v6, v5
	v_add_u32_e32 v14, 1, v6
	v_fma_f32 v22, -v15, v7, v4
	v_cmp_ge_f32_e64 s[8:9], 0, v20
	v_add_u32_e32 v18, 1, v7
	v_fma_f32 v21, -v14, v6, v5
	v_cndmask_b32_e64 v6, v6, v10, s[8:9]
	v_cmp_ge_f32_e64 s[8:9], 0, v22
	v_fma_f32 v23, -v18, v7, v4
	s_nop 0
	v_cndmask_b32_e64 v7, v7, v15, s[8:9]
	v_cmp_lt_f32_e64 s[8:9], 0, v21
	s_nop 1
	v_cndmask_b32_e64 v6, v6, v14, s[8:9]
	v_cmp_lt_f32_e64 s[8:9], 0, v23
	v_mul_f32_e32 v10, 0x37800000, v6
	v_cndmask_b32_e32 v6, v6, v10, vcc
	v_cndmask_b32_e64 v7, v7, v18, s[8:9]
	v_mul_f32_e32 v14, 0x37800000, v7
	v_cmp_class_f32_e32 vcc, v5, v17
	v_cndmask_b32_e64 v7, v7, v14, s[0:1]
	v_cmp_lt_f32_e64 s[0:1], s17, v8
	v_cndmask_b32_e32 v5, v6, v5, vcc
	v_cmp_class_f32_e32 vcc, v4, v17
	s_nop 1
	v_cndmask_b32_e32 v4, v7, v4, vcc
	v_cmp_lt_f32_e64 vcc, |v11|, s21
	v_cndmask_b32_e64 v7, 0, v16, s[4:5]
	s_nop 0
	v_cndmask_b32_e32 v6, v11, v19, vcc
	v_sub_f32_e32 v6, v6, v7
	v_mul_f32_e32 v7, 0x3f317217, v3
	v_fma_f32 v7, v3, s20, -v7
	v_fmac_f32_e32 v7, 0x3377d1cf, v3
	v_fmac_f32_e32 v7, 0x3f317217, v3
	v_cmp_lt_f32_e64 vcc, |v3|, s21
	s_nop 1
	v_cndmask_b32_e32 v3, v3, v7, vcc
	v_cmp_lt_f32_e32 vcc, s17, v9
	v_cndmask_b32_e64 v7, 0, v16, s[6:7]
	v_sub_f32_e32 v3, v3, v7
	v_cndmask_b32_e32 v6, v6, v9, vcc
	v_mul_f32_e32 v9, 0x4f800000, v6
	v_cmp_gt_f32_e32 vcc, s22, v6
	v_cndmask_b32_e64 v3, v3, v8, s[0:1]
	s_nop 0
	v_cndmask_b32_e32 v6, v6, v9, vcc
	v_sqrt_f32_e32 v9, v6
	s_nop 0
	v_add_u32_e32 v7, -1, v9
	v_fma_f32 v8, -v7, v9, v6
	v_cmp_ge_f32_e64 s[0:1], 0, v8
	v_add_u32_e32 v8, 1, v9
	s_nop 0
	v_cndmask_b32_e64 v7, v9, v7, s[0:1]
	v_fma_f32 v9, -v8, v9, v6
	v_cmp_lt_f32_e64 s[0:1], 0, v9
	v_mul_f32_e32 v9, 0x4f800000, v3
	s_nop 0
	v_cndmask_b32_e64 v7, v7, v8, s[0:1]
	v_cmp_gt_f32_e64 s[0:1], s22, v3
	v_mul_f32_e32 v8, 0x37800000, v7
	v_cndmask_b32_e32 v7, v7, v8, vcc
	v_cndmask_b32_e64 v3, v3, v9, s[0:1]
	v_sqrt_f32_e32 v9, v3
	v_cmp_class_f32_e32 vcc, v6, v17
	s_nop 1
	v_cndmask_b32_e32 v7, v7, v6, vcc
	v_add_u32_e32 v6, -1, v9
	v_fma_f32 v8, -v6, v9, v3
	v_cmp_ge_f32_e32 vcc, 0, v8
	v_add_u32_e32 v8, 1, v9
	s_nop 0
	v_cndmask_b32_e32 v6, v9, v6, vcc
	v_fma_f32 v9, -v8, v9, v3
	v_cmp_lt_f32_e32 vcc, 0, v9
	s_nop 1
	v_cndmask_b32_e32 v6, v6, v8, vcc
	v_mul_f32_e32 v8, 0x37800000, v6
	v_cndmask_b32_e64 v6, v6, v8, s[0:1]
	v_cmp_class_f32_e32 vcc, v3, v17
	s_nop 1
	v_cndmask_b32_e32 v6, v6, v3, vcc
	s_and_b64 vcc, exec, s[18:19]
	ds_write_b128 v12, v[4:7]
	s_cbranch_vccnz .LBB128_29
; %bb.2:
	s_load_dwordx2 s[0:1], s[2:3], 0x20
	s_cmp_lt_u32 s12, 4
	v_lshl_add_u64 v[4:5], v[0:1], 3, s[10:11]
	s_cbranch_scc1 .LBB128_21
; %bb.3:
	s_mov_b32 s5, 0
	s_and_b32 s16, s12, 0x7ffffffc
	v_ashrrev_i32_e32 v3, 31, v2
	v_mov_b32_e32 v13, 0
	s_mov_b32 s4, s5
	s_branch .LBB128_5
.LBB128_4:                              ;   in Loop: Header=BB128_5 Depth=1
	s_or_b64 exec, exec, s[6:7]
	s_add_i32 s4, s4, 4
	s_cmp_eq_u32 s4, s16
	s_cbranch_scc1 .LBB128_22
.LBB128_5:                              ; =>This Loop Header: Depth=1
                                        ;     Child Loop BB128_7 Depth 2
                                        ;     Child Loop BB128_11 Depth 2
                                        ;     Child Loop BB128_15 Depth 2
                                        ;     Child Loop BB128_19 Depth 2
	v_lshl_add_u64 v[6:7], s[4:5], 3, v[4:5]
	global_load_dwordx2 v[8:9], v[6:7], off
	v_add_u32_e32 v10, s4, v2
	v_ashrrev_i32_e32 v11, 31, v10
	s_mov_b64 s[6:7], 0
	s_waitcnt lgkmcnt(0)
	v_lshl_add_u64 v[10:11], v[10:11], 3, s[0:1]
	s_waitcnt vmcnt(0)
	v_min_u32_e32 v15, 3, v8
	v_ashrrev_i32_e32 v9, 31, v8
	v_lshl_add_u32 v14, v8, 2, v12
	v_add_u32_e32 v15, 1, v15
	v_mov_b32_e32 v16, v8
	s_branch .LBB128_7
.LBB128_6:                              ;   in Loop: Header=BB128_7 Depth=2
	s_or_b64 exec, exec, s[8:9]
	v_add_u32_e32 v15, -1, v15
	v_cmp_eq_u32_e32 vcc, 0, v15
	s_or_b64 s[6:7], vcc, s[6:7]
	v_add_u32_e32 v16, -1, v16
	s_andn2_b64 exec, exec, s[6:7]
	s_cbranch_execz .LBB128_9
.LBB128_7:                              ;   Parent Loop BB128_5 Depth=1
                                        ; =>  This Inner Loop Header: Depth=2
	v_cmp_eq_u32_e32 vcc, 0, v16
	s_and_saveexec_b64 s[8:9], vcc
	s_cbranch_execz .LBB128_6
; %bb.8:                                ;   in Loop: Header=BB128_7 Depth=2
	ds_read_b32 v17, v14
	global_store_dwordx2 v[10:11], v[8:9], off
	s_waitcnt lgkmcnt(0)
	v_add_f32_e32 v13, v13, v17
	s_branch .LBB128_6
.LBB128_9:                              ;   in Loop: Header=BB128_5 Depth=1
	s_or_b64 exec, exec, s[6:7]
	global_load_dwordx2 v[10:11], v[6:7], off offset:8
	s_ashr_i32 s9, s4, 31
	s_mov_b32 s8, s4
	v_lshl_add_u64 v[8:9], s[8:9], 0, v[2:3]
	s_mov_b64 s[6:7], 0
	v_lshl_add_u64 v[8:9], v[8:9], 3, s[0:1]
	s_waitcnt vmcnt(0)
	v_min_u32_e32 v15, 3, v10
	v_ashrrev_i32_e32 v11, 31, v10
	v_lshl_add_u32 v14, v10, 2, v12
	v_add_u32_e32 v15, 1, v15
	v_mov_b32_e32 v16, v10
	s_branch .LBB128_11
.LBB128_10:                             ;   in Loop: Header=BB128_11 Depth=2
	s_or_b64 exec, exec, s[8:9]
	v_add_u32_e32 v15, -1, v15
	v_cmp_eq_u32_e32 vcc, 0, v15
	s_or_b64 s[6:7], vcc, s[6:7]
	v_add_u32_e32 v16, -1, v16
	s_andn2_b64 exec, exec, s[6:7]
	s_cbranch_execz .LBB128_13
.LBB128_11:                             ;   Parent Loop BB128_5 Depth=1
                                        ; =>  This Inner Loop Header: Depth=2
	v_cmp_eq_u32_e32 vcc, 0, v16
	s_and_saveexec_b64 s[8:9], vcc
	s_cbranch_execz .LBB128_10
; %bb.12:                               ;   in Loop: Header=BB128_11 Depth=2
	ds_read_b32 v17, v14
	global_store_dwordx2 v[8:9], v[10:11], off offset:8
	s_waitcnt lgkmcnt(0)
	v_add_f32_e32 v13, v13, v17
	s_branch .LBB128_10
.LBB128_13:                             ;   in Loop: Header=BB128_5 Depth=1
	s_or_b64 exec, exec, s[6:7]
	global_load_dwordx2 v[10:11], v[6:7], off offset:16
	s_mov_b64 s[6:7], 0
	s_waitcnt vmcnt(0)
	v_min_u32_e32 v15, 3, v10
	v_ashrrev_i32_e32 v11, 31, v10
	v_lshl_add_u32 v14, v10, 2, v12
	v_add_u32_e32 v15, 1, v15
	v_mov_b32_e32 v16, v10
	s_branch .LBB128_15
.LBB128_14:                             ;   in Loop: Header=BB128_15 Depth=2
	s_or_b64 exec, exec, s[8:9]
	v_add_u32_e32 v15, -1, v15
	v_cmp_eq_u32_e32 vcc, 0, v15
	s_or_b64 s[6:7], vcc, s[6:7]
	v_add_u32_e32 v16, -1, v16
	s_andn2_b64 exec, exec, s[6:7]
	s_cbranch_execz .LBB128_17
.LBB128_15:                             ;   Parent Loop BB128_5 Depth=1
                                        ; =>  This Inner Loop Header: Depth=2
	v_cmp_eq_u32_e32 vcc, 0, v16
	s_and_saveexec_b64 s[8:9], vcc
	s_cbranch_execz .LBB128_14
; %bb.16:                               ;   in Loop: Header=BB128_15 Depth=2
	ds_read_b32 v17, v14
	global_store_dwordx2 v[8:9], v[10:11], off offset:16
	s_waitcnt lgkmcnt(0)
	v_add_f32_e32 v13, v13, v17
	s_branch .LBB128_14
.LBB128_17:                             ;   in Loop: Header=BB128_5 Depth=1
	s_or_b64 exec, exec, s[6:7]
	global_load_dwordx2 v[6:7], v[6:7], off offset:24
	s_mov_b64 s[6:7], 0
	s_waitcnt vmcnt(0)
	v_min_u32_e32 v11, 3, v6
	v_ashrrev_i32_e32 v7, 31, v6
	v_lshl_add_u32 v10, v6, 2, v12
	v_add_u32_e32 v11, 1, v11
	v_mov_b32_e32 v14, v6
	s_branch .LBB128_19
.LBB128_18:                             ;   in Loop: Header=BB128_19 Depth=2
	s_or_b64 exec, exec, s[8:9]
	v_add_u32_e32 v11, -1, v11
	v_cmp_eq_u32_e32 vcc, 0, v11
	s_or_b64 s[6:7], vcc, s[6:7]
	v_add_u32_e32 v14, -1, v14
	s_andn2_b64 exec, exec, s[6:7]
	s_cbranch_execz .LBB128_4
.LBB128_19:                             ;   Parent Loop BB128_5 Depth=1
                                        ; =>  This Inner Loop Header: Depth=2
	v_cmp_eq_u32_e32 vcc, 0, v14
	s_and_saveexec_b64 s[8:9], vcc
	s_cbranch_execz .LBB128_18
; %bb.20:                               ;   in Loop: Header=BB128_19 Depth=2
	ds_read_b32 v15, v10
	global_store_dwordx2 v[8:9], v[6:7], off offset:24
	s_waitcnt lgkmcnt(0)
	v_add_f32_e32 v13, v13, v15
	s_branch .LBB128_18
.LBB128_21:
	v_mov_b32_e32 v13, 0
.LBB128_22:
	s_and_b32 s8, s12, 3
	s_cmp_eq_u32 s8, 0
	s_mov_b32 s17, 0
	s_cbranch_scc1 .LBB128_29
; %bb.23:
	s_mov_b32 s9, s17
	s_branch .LBB128_25
.LBB128_24:                             ;   in Loop: Header=BB128_25 Depth=1
	s_or_b64 exec, exec, s[4:5]
	s_add_i32 s16, s16, 1
	s_add_i32 s9, s9, 1
	s_cmp_lg_u32 s9, s8
	s_cbranch_scc0 .LBB128_29
.LBB128_25:                             ; =>This Loop Header: Depth=1
                                        ;     Child Loop BB128_27 Depth 2
	v_lshl_add_u64 v[6:7], s[16:17], 3, v[4:5]
	global_load_dwordx2 v[6:7], v[6:7], off
	v_add_u32_e32 v8, s16, v2
	v_ashrrev_i32_e32 v9, 31, v8
	s_mov_b64 s[4:5], 0
	s_waitcnt lgkmcnt(0)
	v_lshl_add_u64 v[8:9], v[8:9], 3, s[0:1]
	s_waitcnt vmcnt(0)
	v_min_u32_e32 v10, 3, v6
	v_ashrrev_i32_e32 v7, 31, v6
	v_lshl_add_u32 v3, v6, 2, v12
	v_add_u32_e32 v10, 1, v10
	v_mov_b32_e32 v11, v6
	s_branch .LBB128_27
.LBB128_26:                             ;   in Loop: Header=BB128_27 Depth=2
	s_or_b64 exec, exec, s[6:7]
	v_add_u32_e32 v10, -1, v10
	v_cmp_eq_u32_e32 vcc, 0, v10
	s_or_b64 s[4:5], vcc, s[4:5]
	v_add_u32_e32 v11, -1, v11
	s_andn2_b64 exec, exec, s[4:5]
	s_cbranch_execz .LBB128_24
.LBB128_27:                             ;   Parent Loop BB128_25 Depth=1
                                        ; =>  This Inner Loop Header: Depth=2
	v_cmp_eq_u32_e32 vcc, 0, v11
	s_and_saveexec_b64 s[6:7], vcc
	s_cbranch_execz .LBB128_26
; %bb.28:                               ;   in Loop: Header=BB128_27 Depth=2
	ds_read_b32 v14, v3
	global_store_dwordx2 v[8:9], v[6:7], off
	s_waitcnt lgkmcnt(0)
	v_add_f32_e32 v13, v13, v14
	s_branch .LBB128_26
.LBB128_29:
	s_load_dword s4, s[2:3], 0x3c
	s_waitcnt lgkmcnt(0)
	s_load_dwordx2 s[0:1], s[2:3], 0x40
	s_bitcmp1_b32 s4, 0
	s_cselect_b64 s[4:5], -1, 0
	s_waitcnt lgkmcnt(0)
	v_cvt_f32_f64_e32 v8, s[0:1]
	s_and_b64 vcc, exec, s[4:5]
	s_cbranch_vccz .LBB128_31
; %bb.30:
	v_cmp_lt_f32_e32 vcc, 0, v13
	s_nop 1
	v_cndmask_b32_e32 v3, 1.0, v13, vcc
	v_div_scale_f32 v4, s[0:1], v3, v3, v8
	v_rcp_f32_e32 v5, v4
	s_nop 0
	v_fma_f32 v6, -v4, v5, 1.0
	v_fmac_f32_e32 v5, v6, v5
	v_div_scale_f32 v6, vcc, v8, v3, v8
	v_mul_f32_e32 v7, v6, v5
	v_fma_f32 v9, -v4, v7, v6
	v_fmac_f32_e32 v7, v9, v5
	v_fma_f32 v4, -v4, v7, v6
	v_div_fmas_f32 v4, v4, v5, v7
	v_div_fixup_f32 v8, v4, v3, v8
.LBB128_31:
	s_andn2_b64 vcc, exec, s[14:15]
	s_cbranch_vccnz .LBB128_56
; %bb.32:
	s_load_dwordx2 s[0:1], s[2:3], 0x10
	s_cmp_lt_u32 s12, 8
	s_mov_b32 s2, 0
	s_cbranch_scc1 .LBB128_51
; %bb.33:
	v_ashrrev_i32_e32 v3, 31, v2
	s_waitcnt lgkmcnt(0)
	v_lshl_add_u64 v[4:5], v[2:3], 2, s[0:1]
	v_lshl_add_u64 v[6:7], v[0:1], 3, s[10:11]
	s_and_b32 s2, s12, 0x7ffffff8
	v_lshl_add_u64 v[4:5], v[4:5], 0, 28
	v_lshl_add_u64 v[6:7], v[6:7], 0, 56
	s_mov_b32 s3, 0
	s_branch .LBB128_35
.LBB128_34:                             ;   in Loop: Header=BB128_35 Depth=1
	s_or_b64 exec, exec, s[4:5]
	s_add_i32 s3, s3, 8
	v_lshl_add_u64 v[4:5], v[4:5], 0, 32
	s_cmp_eq_u32 s2, s3
	v_lshl_add_u64 v[6:7], v[6:7], 0, 64
	s_cbranch_scc1 .LBB128_51
.LBB128_35:                             ; =>This Inner Loop Header: Depth=1
	global_load_dword v3, v[6:7], off offset:-56
	s_waitcnt vmcnt(0)
	v_cmp_gt_u32_e32 vcc, 4, v3
	s_and_saveexec_b64 s[4:5], vcc
	s_cbranch_execz .LBB128_37
; %bb.36:                               ;   in Loop: Header=BB128_35 Depth=1
	v_lshl_add_u32 v3, v3, 2, v12
	ds_read_b32 v3, v3
	v_add_u32_e32 v10, s3, v2
	v_ashrrev_i32_e32 v11, 31, v10
	v_lshl_add_u64 v[10:11], v[10:11], 2, s[0:1]
	s_waitcnt lgkmcnt(0)
	v_mul_f32_e32 v3, v8, v3
	global_store_dword v[10:11], v3, off
.LBB128_37:                             ;   in Loop: Header=BB128_35 Depth=1
	s_or_b64 exec, exec, s[4:5]
	global_load_dword v3, v[6:7], off offset:-48
	s_waitcnt vmcnt(0)
	v_cmp_gt_u32_e32 vcc, 4, v3
	s_and_saveexec_b64 s[4:5], vcc
	s_cbranch_execz .LBB128_39
; %bb.38:                               ;   in Loop: Header=BB128_35 Depth=1
	v_lshl_add_u32 v3, v3, 2, v12
	ds_read_b32 v3, v3
	s_waitcnt lgkmcnt(0)
	v_mul_f32_e32 v3, v8, v3
	global_store_dword v[4:5], v3, off offset:-24
.LBB128_39:                             ;   in Loop: Header=BB128_35 Depth=1
	s_or_b64 exec, exec, s[4:5]
	global_load_dword v3, v[6:7], off offset:-40
	s_waitcnt vmcnt(0)
	v_cmp_gt_u32_e32 vcc, 4, v3
	s_and_saveexec_b64 s[4:5], vcc
	s_cbranch_execz .LBB128_41
; %bb.40:                               ;   in Loop: Header=BB128_35 Depth=1
	v_lshl_add_u32 v3, v3, 2, v12
	ds_read_b32 v3, v3
	s_waitcnt lgkmcnt(0)
	v_mul_f32_e32 v3, v8, v3
	global_store_dword v[4:5], v3, off offset:-20
.LBB128_41:                             ;   in Loop: Header=BB128_35 Depth=1
	;; [unrolled: 13-line block ×6, first 2 shown]
	s_or_b64 exec, exec, s[4:5]
	global_load_dword v3, v[6:7], off
	s_waitcnt vmcnt(0)
	v_cmp_gt_u32_e32 vcc, 4, v3
	s_and_saveexec_b64 s[4:5], vcc
	s_cbranch_execz .LBB128_34
; %bb.50:                               ;   in Loop: Header=BB128_35 Depth=1
	v_lshl_add_u32 v3, v3, 2, v12
	ds_read_b32 v3, v3
	s_waitcnt lgkmcnt(0)
	v_mul_f32_e32 v3, v8, v3
	global_store_dword v[4:5], v3, off
	s_branch .LBB128_34
.LBB128_51:
	s_and_b32 s4, s12, 7
	s_cmp_eq_u32 s4, 0
	s_mov_b32 s3, 0
	s_cbranch_scc1 .LBB128_56
; %bb.52:
	v_add_u32_e32 v2, s2, v2
	s_lshl_b64 s[2:3], s[2:3], 3
	s_add_u32 s2, s10, s2
	s_addc_u32 s3, s11, s3
	v_lshl_add_u64 v[0:1], v[0:1], 3, s[2:3]
	s_branch .LBB128_54
.LBB128_53:                             ;   in Loop: Header=BB128_54 Depth=1
	s_or_b64 exec, exec, s[2:3]
	s_add_i32 s4, s4, -1
	v_add_u32_e32 v2, 1, v2
	s_cmp_eq_u32 s4, 0
	v_lshl_add_u64 v[0:1], v[0:1], 0, 8
	s_cbranch_scc1 .LBB128_56
.LBB128_54:                             ; =>This Inner Loop Header: Depth=1
	global_load_dword v3, v[0:1], off
	s_waitcnt vmcnt(0)
	v_cmp_gt_u32_e32 vcc, 4, v3
	s_and_saveexec_b64 s[2:3], vcc
	s_cbranch_execz .LBB128_53
; %bb.55:                               ;   in Loop: Header=BB128_54 Depth=1
	v_lshl_add_u32 v3, v3, 2, v12
	ds_read_b32 v4, v3
	v_ashrrev_i32_e32 v3, 31, v2
	s_waitcnt lgkmcnt(0)
	v_mul_f32_e32 v6, v8, v4
	v_lshl_add_u64 v[4:5], v[2:3], 2, s[0:1]
	global_store_dword v[4:5], v6, off
	s_branch .LBB128_53
.LBB128_56:
	s_endpgm
	.section	.rodata,"a",@progbits
	.p2align	6, 0x0
	.amdhsa_kernel _ZN4vllm3moe22topkGatingSoftplusSqrtILi4ELi4ELi4ELi16ELi64ELb1ElfEEvPKT6_PKbPfiPT5_PiiiibdPKfPKS8_SE_
		.amdhsa_group_segment_fixed_size 4096
		.amdhsa_private_segment_fixed_size 0
		.amdhsa_kernarg_size 96
		.amdhsa_user_sgpr_count 4
		.amdhsa_user_sgpr_dispatch_ptr 1
		.amdhsa_user_sgpr_queue_ptr 0
		.amdhsa_user_sgpr_kernarg_segment_ptr 1
		.amdhsa_user_sgpr_dispatch_id 0
		.amdhsa_user_sgpr_kernarg_preload_length 0
		.amdhsa_user_sgpr_kernarg_preload_offset 0
		.amdhsa_user_sgpr_private_segment_size 0
		.amdhsa_uses_dynamic_stack 0
		.amdhsa_enable_private_segment 0
		.amdhsa_system_sgpr_workgroup_id_x 1
		.amdhsa_system_sgpr_workgroup_id_y 0
		.amdhsa_system_sgpr_workgroup_id_z 0
		.amdhsa_system_sgpr_workgroup_info 0
		.amdhsa_system_vgpr_workitem_id 2
		.amdhsa_next_free_vgpr 24
		.amdhsa_next_free_sgpr 23
		.amdhsa_accum_offset 24
		.amdhsa_reserve_vcc 1
		.amdhsa_float_round_mode_32 0
		.amdhsa_float_round_mode_16_64 0
		.amdhsa_float_denorm_mode_32 3
		.amdhsa_float_denorm_mode_16_64 3
		.amdhsa_dx10_clamp 1
		.amdhsa_ieee_mode 1
		.amdhsa_fp16_overflow 0
		.amdhsa_tg_split 0
		.amdhsa_exception_fp_ieee_invalid_op 0
		.amdhsa_exception_fp_denorm_src 0
		.amdhsa_exception_fp_ieee_div_zero 0
		.amdhsa_exception_fp_ieee_overflow 0
		.amdhsa_exception_fp_ieee_underflow 0
		.amdhsa_exception_fp_ieee_inexact 0
		.amdhsa_exception_int_div_zero 0
	.end_amdhsa_kernel
	.section	.text._ZN4vllm3moe22topkGatingSoftplusSqrtILi4ELi4ELi4ELi16ELi64ELb1ElfEEvPKT6_PKbPfiPT5_PiiiibdPKfPKS8_SE_,"axG",@progbits,_ZN4vllm3moe22topkGatingSoftplusSqrtILi4ELi4ELi4ELi16ELi64ELb1ElfEEvPKT6_PKbPfiPT5_PiiiibdPKfPKS8_SE_,comdat
.Lfunc_end128:
	.size	_ZN4vllm3moe22topkGatingSoftplusSqrtILi4ELi4ELi4ELi16ELi64ELb1ElfEEvPKT6_PKbPfiPT5_PiiiibdPKfPKS8_SE_, .Lfunc_end128-_ZN4vllm3moe22topkGatingSoftplusSqrtILi4ELi4ELi4ELi16ELi64ELb1ElfEEvPKT6_PKbPfiPT5_PiiiibdPKfPKS8_SE_
                                        ; -- End function
	.section	.AMDGPU.csdata,"",@progbits
; Kernel info:
; codeLenInByte = 2860
; NumSgprs: 29
; NumVgprs: 24
; NumAgprs: 0
; TotalNumVgprs: 24
; ScratchSize: 0
; MemoryBound: 0
; FloatMode: 240
; IeeeMode: 1
; LDSByteSize: 4096 bytes/workgroup (compile time only)
; SGPRBlocks: 3
; VGPRBlocks: 2
; NumSGPRsForWavesPerEU: 29
; NumVGPRsForWavesPerEU: 24
; AccumOffset: 24
; Occupancy: 8
; WaveLimiterHint : 1
; COMPUTE_PGM_RSRC2:SCRATCH_EN: 0
; COMPUTE_PGM_RSRC2:USER_SGPR: 4
; COMPUTE_PGM_RSRC2:TRAP_HANDLER: 0
; COMPUTE_PGM_RSRC2:TGID_X_EN: 1
; COMPUTE_PGM_RSRC2:TGID_Y_EN: 0
; COMPUTE_PGM_RSRC2:TGID_Z_EN: 0
; COMPUTE_PGM_RSRC2:TIDIG_COMP_CNT: 2
; COMPUTE_PGM_RSRC3_GFX90A:ACCUM_OFFSET: 5
; COMPUTE_PGM_RSRC3_GFX90A:TG_SPLIT: 0
	.section	.text._ZN4vllm3moe22topkGatingSoftplusSqrtILi4ELi4ELi4ELi16ELi64ELb0ElfEEvPKT6_PKbPfiPT5_PiiiibdPKfPKS8_SE_,"axG",@progbits,_ZN4vllm3moe22topkGatingSoftplusSqrtILi4ELi4ELi4ELi16ELi64ELb0ElfEEvPKT6_PKbPfiPT5_PiiiibdPKfPKS8_SE_,comdat
	.protected	_ZN4vllm3moe22topkGatingSoftplusSqrtILi4ELi4ELi4ELi16ELi64ELb0ElfEEvPKT6_PKbPfiPT5_PiiiibdPKfPKS8_SE_ ; -- Begin function _ZN4vllm3moe22topkGatingSoftplusSqrtILi4ELi4ELi4ELi16ELi64ELb0ElfEEvPKT6_PKbPfiPT5_PiiiibdPKfPKS8_SE_
	.globl	_ZN4vllm3moe22topkGatingSoftplusSqrtILi4ELi4ELi4ELi16ELi64ELb0ElfEEvPKT6_PKbPfiPT5_PiiiibdPKfPKS8_SE_
	.p2align	8
	.type	_ZN4vllm3moe22topkGatingSoftplusSqrtILi4ELi4ELi4ELi16ELi64ELb0ElfEEvPKT6_PKbPfiPT5_PiiiibdPKfPKS8_SE_,@function
_ZN4vllm3moe22topkGatingSoftplusSqrtILi4ELi4ELi4ELi16ELi64ELb0ElfEEvPKT6_PKbPfiPT5_PiiiibdPKfPKS8_SE_: ; @_ZN4vllm3moe22topkGatingSoftplusSqrtILi4ELi4ELi4ELi16ELi64ELb0ElfEEvPKT6_PKbPfiPT5_PiiiibdPKfPKS8_SE_
; %bb.0:
	s_load_dword s24, s[2:3], 0x18
	v_bfe_u32 v4, v0, 10, 10
	v_and_b32_e32 v1, 0x3ff, v0
	s_lshl_b32 s4, s4, 8
	v_lshlrev_b32_e32 v2, 6, v4
	v_add3_u32 v2, v2, v1, s4
	s_waitcnt lgkmcnt(0)
	v_cmp_gt_i32_e32 vcc, s24, v2
	s_and_saveexec_b64 s[4:5], vcc
	s_cbranch_execz .LBB129_32
; %bb.1:
	s_load_dwordx4 s[4:7], s[2:3], 0x0
	s_load_dwordx2 s[20:21], s[2:3], 0x10
	s_waitcnt lgkmcnt(0)
	s_cmp_eq_u64 s[6:7], 0
	s_cbranch_scc1 .LBB129_3
; %bb.2:
	v_ashrrev_i32_e32 v3, 31, v2
	v_lshl_add_u64 v[6:7], s[6:7], 0, v[2:3]
	global_load_ubyte v3, v[6:7], off
	s_waitcnt vmcnt(0)
	v_and_b32_e32 v3, 1, v3
	v_cmp_eq_u32_e32 vcc, 1, v3
	s_xor_b64 s[6:7], vcc, -1
	s_orn2_b64 s[22:23], s[6:7], exec
	s_branch .LBB129_4
.LBB129_3:
	s_mov_b64 s[22:23], -1
.LBB129_4:
	v_lshlrev_b32_e32 v8, 2, v2
	v_mov_b32_e32 v6, s4
	v_mov_b32_e32 v7, s5
	v_ashrrev_i32_e32 v9, 31, v8
	v_lshl_add_u64 v[6:7], v[8:9], 2, v[6:7]
	global_load_dwordx4 v[6:9], v[6:7], off
	s_load_dwordx2 s[0:1], s[0:1], 0x4
	v_bfe_u32 v0, v0, 20, 10
	s_mov_b32 s15, 0x800000
	v_mov_b32_e32 v3, 0x4f800000
	s_mov_b32 s13, 0x3f317217
	s_waitcnt lgkmcnt(0)
	s_lshr_b32 s0, s0, 16
	s_mul_i32 s0, s0, s1
	v_mul_lo_u32 v1, s0, v1
	v_mad_u32_u24 v1, v4, s1, v1
	v_add_lshl_u32 v1, v1, v0, 4
	s_mov_b32 s14, 0x7f800000
	v_mov_b32_e32 v4, 0x41b17218
	s_mov_b32 s12, 0x41a00000
	s_mov_b32 s16, 0xf800000
	s_load_dwordx4 s[8:11], s[2:3], 0x40
	s_waitcnt lgkmcnt(0)
	s_cmp_lg_u64 s[10:11], 0
	s_cselect_b64 s[6:7], -1, 0
	s_and_b64 s[0:1], exec, s[6:7]
	s_waitcnt vmcnt(0)
	ds_write_b128 v1, v[6:9]
	ds_read_b32 v5, v1
	s_waitcnt lgkmcnt(0)
	v_mul_f32_e32 v0, 0x3fb8aa3b, v5
	v_exp_f32_e32 v0, v0
	s_nop 0
	v_add_f32_e32 v0, 1.0, v0
	v_cmp_gt_f32_e32 vcc, s15, v0
	s_nop 1
	v_cndmask_b32_e32 v6, 1.0, v3, vcc
	v_mul_f32_e32 v0, v0, v6
	v_log_f32_e32 v6, v0
	v_cndmask_b32_e32 v7, 0, v4, vcc
	v_mov_b32_e32 v0, 0x260
	v_mul_f32_e32 v8, 0x3f317217, v6
	v_fma_f32 v8, v6, s13, -v8
	v_fmac_f32_e32 v8, 0x3377d1cf, v6
	v_fmac_f32_e32 v8, 0x3f317217, v6
	v_cmp_lt_f32_e64 vcc, |v6|, s14
	s_nop 1
	v_cndmask_b32_e32 v6, v6, v8, vcc
	v_sub_f32_e32 v6, v6, v7
	v_cmp_lt_f32_e32 vcc, s12, v5
	s_nop 1
	v_cndmask_b32_e32 v5, v6, v5, vcc
	v_mul_f32_e32 v6, 0x4f800000, v5
	v_cmp_gt_f32_e32 vcc, s16, v5
	s_nop 1
	v_cndmask_b32_e32 v5, v5, v6, vcc
	v_sqrt_f32_e32 v6, v5
	s_nop 0
	v_add_u32_e32 v7, -1, v6
	v_add_u32_e32 v8, 1, v6
	v_fma_f32 v9, -v7, v6, v5
	v_fma_f32 v10, -v8, v6, v5
	v_cmp_ge_f32_e64 s[4:5], 0, v9
	s_nop 1
	v_cndmask_b32_e64 v6, v6, v7, s[4:5]
	v_cmp_lt_f32_e64 s[4:5], 0, v10
	s_nop 1
	v_cndmask_b32_e64 v6, v6, v8, s[4:5]
	v_mul_f32_e32 v7, 0x37800000, v6
	v_cndmask_b32_e32 v6, v6, v7, vcc
	v_cmp_class_f32_e32 vcc, v5, v0
	s_nop 1
	v_cndmask_b32_e32 v5, v6, v5, vcc
	s_mov_b64 vcc, s[0:1]
	s_cbranch_vccz .LBB129_6
; %bb.5:
	s_load_dword s0, s[10:11], 0x0
	s_waitcnt lgkmcnt(0)
	v_add_f32_e32 v5, s0, v5
.LBB129_6:
	ds_read_b32 v6, v1 offset:4
	ds_write_b32 v1, v5
	s_waitcnt lgkmcnt(1)
	v_mul_f32_e32 v7, 0x3fb8aa3b, v6
	v_exp_f32_e32 v7, v7
	s_nop 0
	v_add_f32_e32 v7, 1.0, v7
	v_cmp_gt_f32_e32 vcc, s15, v7
	s_nop 1
	v_cndmask_b32_e32 v3, 1.0, v3, vcc
	v_mul_f32_e32 v3, v7, v3
	v_log_f32_e32 v3, v3
	v_cndmask_b32_e32 v4, 0, v4, vcc
	v_mul_f32_e32 v5, 0x3f317217, v3
	v_fma_f32 v5, v3, s13, -v5
	v_fmac_f32_e32 v5, 0x3377d1cf, v3
	v_fmac_f32_e32 v5, 0x3f317217, v3
	v_cmp_lt_f32_e64 vcc, |v3|, s14
	s_nop 1
	v_cndmask_b32_e32 v3, v3, v5, vcc
	v_sub_f32_e32 v3, v3, v4
	v_cmp_lt_f32_e32 vcc, s12, v6
	v_cndmask_b32_e64 v5, 0, 1, s[6:7]
	v_cmp_ne_u32_e64 s[0:1], 1, v5
	v_cndmask_b32_e32 v3, v3, v6, vcc
	v_mul_f32_e32 v4, 0x4f800000, v3
	v_cmp_gt_f32_e64 s[4:5], s16, v3
	s_andn2_b64 vcc, exec, s[6:7]
	s_nop 0
	v_cndmask_b32_e64 v3, v3, v4, s[4:5]
	v_sqrt_f32_e32 v4, v3
	s_nop 0
	v_add_u32_e32 v5, -1, v4
	v_add_u32_e32 v6, 1, v4
	v_fma_f32 v7, -v5, v4, v3
	v_fma_f32 v8, -v6, v4, v3
	v_cmp_ge_f32_e64 s[6:7], 0, v7
	s_nop 1
	v_cndmask_b32_e64 v4, v4, v5, s[6:7]
	v_cmp_lt_f32_e64 s[6:7], 0, v8
	s_nop 1
	v_cndmask_b32_e64 v4, v4, v6, s[6:7]
	v_mul_f32_e32 v5, 0x37800000, v4
	v_cndmask_b32_e64 v4, v4, v5, s[4:5]
	v_cmp_class_f32_e64 s[4:5], v3, v0
	s_nop 1
	v_cndmask_b32_e64 v0, v4, v3, s[4:5]
	s_cbranch_vccnz .LBB129_8
; %bb.7:
	s_load_dword s4, s[10:11], 0x4
	s_waitcnt lgkmcnt(0)
	v_add_f32_e32 v0, s4, v0
.LBB129_8:
	ds_read_b32 v5, v1 offset:8
	s_mov_b32 s12, 0x800000
	s_mov_b32 s7, 0x3f317217
	s_mov_b32 s13, 0x7f800000
	s_mov_b32 s6, 0x41a00000
	s_waitcnt lgkmcnt(0)
	v_mul_f32_e32 v3, 0x3fb8aa3b, v5
	v_exp_f32_e32 v4, v3
	v_mov_b32_e32 v3, 0x4f800000
	s_mov_b32 s14, 0xf800000
	ds_write_b32 v1, v0 offset:4
	v_add_f32_e32 v4, 1.0, v4
	v_cmp_gt_f32_e32 vcc, s12, v4
	s_nop 1
	v_cndmask_b32_e32 v6, 1.0, v3, vcc
	v_mul_f32_e32 v4, v4, v6
	v_log_f32_e32 v6, v4
	v_mov_b32_e32 v4, 0x41b17218
	v_cndmask_b32_e32 v7, 0, v4, vcc
	v_mul_f32_e32 v8, 0x3f317217, v6
	v_fma_f32 v8, v6, s7, -v8
	v_fmac_f32_e32 v8, 0x3377d1cf, v6
	v_fmac_f32_e32 v8, 0x3f317217, v6
	v_cmp_lt_f32_e64 vcc, |v6|, s13
	s_nop 1
	v_cndmask_b32_e32 v6, v6, v8, vcc
	v_sub_f32_e32 v6, v6, v7
	v_cmp_lt_f32_e32 vcc, s6, v5
	s_nop 1
	v_cndmask_b32_e32 v5, v6, v5, vcc
	v_mul_f32_e32 v6, 0x4f800000, v5
	v_cmp_gt_f32_e32 vcc, s14, v5
	s_nop 1
	v_cndmask_b32_e32 v5, v5, v6, vcc
	v_sqrt_f32_e32 v6, v5
	s_nop 0
	v_add_u32_e32 v0, -1, v6
	v_fma_f32 v7, -v0, v6, v5
	v_cmp_ge_f32_e64 s[4:5], 0, v7
	v_add_u32_e32 v7, 1, v6
	s_nop 0
	v_cndmask_b32_e64 v0, v6, v0, s[4:5]
	v_fma_f32 v6, -v7, v6, v5
	v_cmp_lt_f32_e64 s[4:5], 0, v6
	s_nop 1
	v_cndmask_b32_e64 v0, v0, v7, s[4:5]
	v_mul_f32_e32 v6, 0x37800000, v0
	v_cndmask_b32_e32 v6, v0, v6, vcc
	v_mov_b32_e32 v0, 0x260
	v_cmp_class_f32_e64 s[4:5], v5, v0
	s_and_b64 vcc, exec, s[0:1]
	s_nop 0
	v_cndmask_b32_e64 v5, v6, v5, s[4:5]
	s_cbranch_vccnz .LBB129_10
; %bb.9:
	s_load_dword s4, s[10:11], 0x8
	s_waitcnt lgkmcnt(0)
	v_add_f32_e32 v5, s4, v5
.LBB129_10:
	ds_read_b32 v6, v1 offset:12
	ds_write_b32 v1, v5 offset:8
	s_waitcnt lgkmcnt(1)
	v_mul_f32_e32 v7, 0x3fb8aa3b, v6
	v_exp_f32_e32 v7, v7
	s_nop 0
	v_add_f32_e32 v7, 1.0, v7
	v_cmp_gt_f32_e32 vcc, s12, v7
	s_nop 1
	v_cndmask_b32_e32 v3, 1.0, v3, vcc
	v_mul_f32_e32 v3, v7, v3
	v_log_f32_e32 v3, v3
	v_cndmask_b32_e32 v4, 0, v4, vcc
	v_mul_f32_e32 v7, 0x3f317217, v3
	v_fma_f32 v7, v3, s7, -v7
	v_fmac_f32_e32 v7, 0x3377d1cf, v3
	v_fmac_f32_e32 v7, 0x3f317217, v3
	v_cmp_lt_f32_e64 vcc, |v3|, s13
	s_nop 1
	v_cndmask_b32_e32 v3, v3, v7, vcc
	v_sub_f32_e32 v3, v3, v4
	v_cmp_lt_f32_e32 vcc, s6, v6
	s_nop 1
	v_cndmask_b32_e32 v3, v3, v6, vcc
	v_mul_f32_e32 v4, 0x4f800000, v3
	v_cmp_gt_f32_e64 s[4:5], s14, v3
	s_and_b64 vcc, exec, s[0:1]
	s_nop 0
	v_cndmask_b32_e64 v3, v3, v4, s[4:5]
	v_sqrt_f32_e32 v4, v3
	s_nop 0
	v_add_u32_e32 v5, -1, v4
	v_add_u32_e32 v6, 1, v4
	v_fma_f32 v7, -v5, v4, v3
	v_fma_f32 v8, -v6, v4, v3
	v_cmp_ge_f32_e64 s[6:7], 0, v7
	s_nop 1
	v_cndmask_b32_e64 v4, v4, v5, s[6:7]
	v_cmp_lt_f32_e64 s[6:7], 0, v8
	s_nop 1
	v_cndmask_b32_e64 v4, v4, v6, s[6:7]
	v_mul_f32_e32 v5, 0x37800000, v4
	v_cndmask_b32_e64 v4, v4, v5, s[4:5]
	v_cmp_class_f32_e64 s[4:5], v3, v0
	s_nop 1
	v_cndmask_b32_e64 v0, v4, v3, s[4:5]
	s_cbranch_vccnz .LBB129_12
; %bb.11:
	s_load_dword s4, s[10:11], 0xc
	s_waitcnt lgkmcnt(0)
	v_add_f32_e32 v0, s4, v0
.LBB129_12:
	s_load_dwordx4 s[12:15], s[2:3], 0x30
	ds_write_b32 v1, v0 offset:12
	s_mov_b32 s25, 0
	s_waitcnt lgkmcnt(0)
	s_bitcmp1_b32 s15, 0
	s_cselect_b64 s[4:5], -1, 0
	s_cmp_gt_i32 s12, 0
	s_cselect_b64 s[6:7], -1, 0
	s_and_b64 vcc, exec, s[6:7]
	v_mul_lo_u32 v0, v2, s12
	s_cbranch_vccz .LBB129_19
; %bb.13:
	s_load_dwordx4 s[16:19], s[2:3], 0x20
	v_mov_b32_e32 v3, 0
	v_mov_b32_e32 v4, 0xc61c4000
	s_branch .LBB129_15
.LBB129_14:                             ;   in Loop: Header=BB129_15 Depth=1
	v_add_f32_e32 v5, v3, v6
	v_cndmask_b32_e64 v3, v3, v5, s[4:5]
	s_cmp_lg_u32 s12, s25
	v_add_u32_e32 v2, s24, v2
	s_cbranch_scc0 .LBB129_20
.LBB129_15:                             ; =>This Inner Loop Header: Depth=1
	ds_read_b128 v[6:9], v1
	s_waitcnt lgkmcnt(0)
	v_cmp_gt_f32_e32 vcc, v7, v6
	s_nop 1
	v_cndmask_b32_e32 v6, v6, v7, vcc
	v_cndmask_b32_e64 v5, 0, 1, vcc
	v_cmp_gt_f32_e32 vcc, v8, v6
	s_nop 1
	v_cndmask_b32_e32 v6, v6, v8, vcc
	v_cndmask_b32_e64 v5, v5, 2, vcc
	v_cmp_gt_f32_e64 s[2:3], v9, v6
	s_and_b64 vcc, exec, s[0:1]
	s_nop 0
	v_cndmask_b32_e64 v5, v5, 3, s[2:3]
	v_cndmask_b32_e64 v6, v6, v9, s[2:3]
	s_cbranch_vccnz .LBB129_17
; %bb.16:                               ;   in Loop: Header=BB129_15 Depth=1
	v_lshlrev_b32_e32 v7, 2, v5
	global_load_dword v7, v7, s[10:11]
	s_waitcnt vmcnt(0)
	v_sub_f32_e32 v6, v6, v7
.LBB129_17:                             ;   in Loop: Header=BB129_15 Depth=1
	v_add_u32_e32 v8, s25, v0
	v_ashrrev_i32_e32 v9, 31, v8
	v_cmp_le_i32_e32 vcc, s13, v5
	v_cmp_gt_i32_e64 s[2:3], s14, v5
	v_lshlrev_b64 v[10:11], 2, v[8:9]
	s_and_b64 s[2:3], vcc, s[2:3]
	v_lshl_add_u64 v[12:13], s[20:21], 0, v[10:11]
	v_subrev_u32_e32 v7, s13, v5
	global_store_dword v[12:13], v6, off
	v_ashrrev_i32_e32 v12, 31, v7
	s_and_b64 vcc, s[22:23], s[2:3]
	v_cndmask_b32_e32 v13, 0, v12, vcc
	v_cndmask_b32_e32 v12, 4, v7, vcc
	v_lshl_add_u64 v[8:9], v[8:9], 3, s[16:17]
	s_add_i32 s25, s25, 1
	global_store_dwordx2 v[8:9], v[12:13], off
	v_lshl_add_u64 v[8:9], s[18:19], 0, v[10:11]
	s_cmp_ge_i32 s25, s12
	global_store_dword v[8:9], v2, off
	s_cbranch_scc1 .LBB129_14
; %bb.18:                               ;   in Loop: Header=BB129_15 Depth=1
	v_lshl_add_u32 v5, v5, 2, v1
	ds_write_b32 v5, v4
	s_branch .LBB129_14
.LBB129_19:
	v_mov_b32_e32 v3, 0
.LBB129_20:
	s_andn2_b64 vcc, exec, s[4:5]
	v_cvt_f32_f64_e32 v2, s[8:9]
	s_cbranch_vccnz .LBB129_22
; %bb.21:
	v_cmp_lt_f32_e32 vcc, 0, v3
	s_nop 1
	v_cndmask_b32_e32 v1, 1.0, v3, vcc
	v_div_scale_f32 v3, s[0:1], v1, v1, v2
	v_rcp_f32_e32 v4, v3
	s_nop 0
	v_fma_f32 v5, -v3, v4, 1.0
	v_fmac_f32_e32 v4, v5, v4
	v_div_scale_f32 v5, vcc, v2, v1, v2
	v_mul_f32_e32 v6, v5, v4
	v_fma_f32 v7, -v3, v6, v5
	v_fmac_f32_e32 v6, v7, v4
	v_fma_f32 v3, -v3, v6, v5
	v_div_fmas_f32 v3, v3, v4, v6
	v_div_fixup_f32 v2, v3, v1, v2
.LBB129_22:
	s_andn2_b64 vcc, exec, s[6:7]
	s_cbranch_vccnz .LBB129_32
; %bb.23:
	s_cmp_gt_u32 s12, 3
	v_ashrrev_i32_e32 v1, 31, v0
	s_cbranch_scc0 .LBB129_27
; %bb.24:
	s_and_b32 s0, s12, 0x7ffffffc
	v_lshl_add_u64 v[4:5], v[0:1], 2, s[20:21]
	v_mov_b32_e32 v3, v2
	v_lshl_add_u64 v[4:5], v[4:5], 0, 8
	s_mov_b32 s1, s0
.LBB129_25:                             ; =>This Inner Loop Header: Depth=1
	global_load_dwordx4 v[6:9], v[4:5], off offset:-8
	s_add_i32 s1, s1, -4
	s_cmp_lg_u32 s1, 0
	s_waitcnt vmcnt(0)
	v_pk_mul_f32 v[6:7], v[2:3], v[6:7]
	v_pk_mul_f32 v[8:9], v[2:3], v[8:9]
	global_store_dwordx4 v[4:5], v[6:9], off offset:-8
	v_lshl_add_u64 v[4:5], v[4:5], 0, 16
	s_cbranch_scc1 .LBB129_25
; %bb.26:
	s_cmp_lg_u32 s0, s12
	s_cselect_b64 s[2:3], -1, 0
	s_branch .LBB129_29
.LBB129_27:
	s_mov_b64 s[2:3], 0
                                        ; implicit-def: $sgpr0
	s_cbranch_execz .LBB129_29
; %bb.28:
	s_mov_b64 s[2:3], -1
	s_mov_b32 s0, 0
.LBB129_29:
	s_andn2_b64 vcc, exec, s[2:3]
	s_cbranch_vccnz .LBB129_32
; %bb.30:
	s_mov_b32 s1, 0
	v_lshl_add_u64 v[0:1], v[0:1], 0, s[0:1]
	s_sub_i32 s2, s12, s0
	v_lshl_add_u64 v[0:1], v[0:1], 2, s[20:21]
.LBB129_31:                             ; =>This Inner Loop Header: Depth=1
	global_load_dword v3, v[0:1], off
	s_add_i32 s2, s2, -1
	s_cmp_lg_u32 s2, 0
	s_waitcnt vmcnt(0)
	v_mul_f32_e32 v3, v2, v3
	global_store_dword v[0:1], v3, off
	v_lshl_add_u64 v[0:1], v[0:1], 0, 4
	s_cbranch_scc1 .LBB129_31
.LBB129_32:
	s_endpgm
	.section	.rodata,"a",@progbits
	.p2align	6, 0x0
	.amdhsa_kernel _ZN4vllm3moe22topkGatingSoftplusSqrtILi4ELi4ELi4ELi16ELi64ELb0ElfEEvPKT6_PKbPfiPT5_PiiiibdPKfPKS8_SE_
		.amdhsa_group_segment_fixed_size 4096
		.amdhsa_private_segment_fixed_size 0
		.amdhsa_kernarg_size 96
		.amdhsa_user_sgpr_count 4
		.amdhsa_user_sgpr_dispatch_ptr 1
		.amdhsa_user_sgpr_queue_ptr 0
		.amdhsa_user_sgpr_kernarg_segment_ptr 1
		.amdhsa_user_sgpr_dispatch_id 0
		.amdhsa_user_sgpr_kernarg_preload_length 0
		.amdhsa_user_sgpr_kernarg_preload_offset 0
		.amdhsa_user_sgpr_private_segment_size 0
		.amdhsa_uses_dynamic_stack 0
		.amdhsa_enable_private_segment 0
		.amdhsa_system_sgpr_workgroup_id_x 1
		.amdhsa_system_sgpr_workgroup_id_y 0
		.amdhsa_system_sgpr_workgroup_id_z 0
		.amdhsa_system_sgpr_workgroup_info 0
		.amdhsa_system_vgpr_workitem_id 2
		.amdhsa_next_free_vgpr 14
		.amdhsa_next_free_sgpr 26
		.amdhsa_accum_offset 16
		.amdhsa_reserve_vcc 1
		.amdhsa_float_round_mode_32 0
		.amdhsa_float_round_mode_16_64 0
		.amdhsa_float_denorm_mode_32 3
		.amdhsa_float_denorm_mode_16_64 3
		.amdhsa_dx10_clamp 1
		.amdhsa_ieee_mode 1
		.amdhsa_fp16_overflow 0
		.amdhsa_tg_split 0
		.amdhsa_exception_fp_ieee_invalid_op 0
		.amdhsa_exception_fp_denorm_src 0
		.amdhsa_exception_fp_ieee_div_zero 0
		.amdhsa_exception_fp_ieee_overflow 0
		.amdhsa_exception_fp_ieee_underflow 0
		.amdhsa_exception_fp_ieee_inexact 0
		.amdhsa_exception_int_div_zero 0
	.end_amdhsa_kernel
	.section	.text._ZN4vllm3moe22topkGatingSoftplusSqrtILi4ELi4ELi4ELi16ELi64ELb0ElfEEvPKT6_PKbPfiPT5_PiiiibdPKfPKS8_SE_,"axG",@progbits,_ZN4vllm3moe22topkGatingSoftplusSqrtILi4ELi4ELi4ELi16ELi64ELb0ElfEEvPKT6_PKbPfiPT5_PiiiibdPKfPKS8_SE_,comdat
.Lfunc_end129:
	.size	_ZN4vllm3moe22topkGatingSoftplusSqrtILi4ELi4ELi4ELi16ELi64ELb0ElfEEvPKT6_PKbPfiPT5_PiiiibdPKfPKS8_SE_, .Lfunc_end129-_ZN4vllm3moe22topkGatingSoftplusSqrtILi4ELi4ELi4ELi16ELi64ELb0ElfEEvPKT6_PKbPfiPT5_PiiiibdPKfPKS8_SE_
                                        ; -- End function
	.section	.AMDGPU.csdata,"",@progbits
; Kernel info:
; codeLenInByte = 2164
; NumSgprs: 32
; NumVgprs: 14
; NumAgprs: 0
; TotalNumVgprs: 14
; ScratchSize: 0
; MemoryBound: 0
; FloatMode: 240
; IeeeMode: 1
; LDSByteSize: 4096 bytes/workgroup (compile time only)
; SGPRBlocks: 3
; VGPRBlocks: 1
; NumSGPRsForWavesPerEU: 32
; NumVGPRsForWavesPerEU: 14
; AccumOffset: 16
; Occupancy: 8
; WaveLimiterHint : 0
; COMPUTE_PGM_RSRC2:SCRATCH_EN: 0
; COMPUTE_PGM_RSRC2:USER_SGPR: 4
; COMPUTE_PGM_RSRC2:TRAP_HANDLER: 0
; COMPUTE_PGM_RSRC2:TGID_X_EN: 1
; COMPUTE_PGM_RSRC2:TGID_Y_EN: 0
; COMPUTE_PGM_RSRC2:TGID_Z_EN: 0
; COMPUTE_PGM_RSRC2:TIDIG_COMP_CNT: 2
; COMPUTE_PGM_RSRC3_GFX90A:ACCUM_OFFSET: 3
; COMPUTE_PGM_RSRC3_GFX90A:TG_SPLIT: 0
	.section	.text._ZN4vllm3moe22topkGatingSoftplusSqrtILi4ELi4ELi4ELi16ELi32ELb1ElfEEvPKT6_PKbPfiPT5_PiiiibdPKfPKS8_SE_,"axG",@progbits,_ZN4vllm3moe22topkGatingSoftplusSqrtILi4ELi4ELi4ELi16ELi32ELb1ElfEEvPKT6_PKbPfiPT5_PiiiibdPKfPKS8_SE_,comdat
	.protected	_ZN4vllm3moe22topkGatingSoftplusSqrtILi4ELi4ELi4ELi16ELi32ELb1ElfEEvPKT6_PKbPfiPT5_PiiiibdPKfPKS8_SE_ ; -- Begin function _ZN4vllm3moe22topkGatingSoftplusSqrtILi4ELi4ELi4ELi16ELi32ELb1ElfEEvPKT6_PKbPfiPT5_PiiiibdPKfPKS8_SE_
	.globl	_ZN4vllm3moe22topkGatingSoftplusSqrtILi4ELi4ELi4ELi16ELi32ELb1ElfEEvPKT6_PKbPfiPT5_PiiiibdPKfPKS8_SE_
	.p2align	8
	.type	_ZN4vllm3moe22topkGatingSoftplusSqrtILi4ELi4ELi4ELi16ELi32ELb1ElfEEvPKT6_PKbPfiPT5_PiiiibdPKfPKS8_SE_,@function
_ZN4vllm3moe22topkGatingSoftplusSqrtILi4ELi4ELi4ELi16ELi32ELb1ElfEEvPKT6_PKbPfiPT5_PiiiibdPKfPKS8_SE_: ; @_ZN4vllm3moe22topkGatingSoftplusSqrtILi4ELi4ELi4ELi16ELi32ELb1ElfEEvPKT6_PKbPfiPT5_PiiiibdPKfPKS8_SE_
; %bb.0:
	s_load_dword s5, s[2:3], 0x18
	v_bfe_u32 v4, v0, 10, 10
	v_and_b32_e32 v1, 0x3ff, v0
	s_lshl_b32 s4, s4, 7
	v_lshlrev_b32_e32 v2, 5, v4
	v_add3_u32 v2, v2, v1, s4
	s_waitcnt lgkmcnt(0)
	v_cmp_gt_i32_e32 vcc, s5, v2
	s_and_saveexec_b64 s[4:5], vcc
	s_cbranch_execz .LBB130_56
; %bb.1:
	s_load_dwordx4 s[8:11], s[2:3], 0x50
	s_load_dwordx2 s[4:5], s[2:3], 0x0
	s_load_dword s12, s[2:3], 0x30
	v_lshlrev_b32_e32 v6, 2, v2
	v_ashrrev_i32_e32 v7, 31, v6
	s_waitcnt lgkmcnt(0)
	v_mov_b32_e32 v10, s8
	v_lshl_add_u64 v[6:7], v[6:7], 2, s[4:5]
	global_load_dwordx4 v[6:9], v[6:7], off
	v_mov_b32_e32 v11, s9
	v_ashrrev_i32_e32 v3, 31, v2
	v_lshl_add_u64 v[10:11], v[2:3], 3, v[10:11]
	global_load_dwordx2 v[10:11], v[10:11], off
	s_load_dwordx2 s[0:1], s[0:1], 0x4
	v_bfe_u32 v0, v0, 20, 10
	s_mov_b32 s6, 0x800000
	s_ashr_i32 s13, s12, 31
	v_mov_b32_e32 v3, 0x4f800000
	s_waitcnt lgkmcnt(0)
	s_lshr_b32 s0, s0, 16
	v_mul_u32_u24_e32 v4, s1, v4
	s_mul_i32 s0, s0, s1
	v_mad_u32_u24 v1, s0, v1, v4
	v_add_lshl_u32 v12, v1, v0, 4
	s_mov_b32 s20, 0x3f317217
	s_mov_b32 s21, 0x7f800000
	v_mov_b32_e32 v16, 0x41b17218
	s_mov_b32 s17, 0x41a00000
	s_mov_b32 s22, 0xf800000
	v_mov_b32_e32 v17, 0x260
	v_cmp_lt_i64_e64 s[18:19], s[12:13], 1
	s_mov_b32 s16, 0
	v_mov_b32_e32 v13, 0
	v_cmp_gt_i64_e64 s[14:15], s[12:13], 0
	v_mul_lo_u32 v2, v2, s12
	s_waitcnt vmcnt(1)
	v_mul_f32_e32 v0, 0x3fb8aa3b, v6
	v_mul_f32_e32 v1, 0x3fb8aa3b, v7
	v_exp_f32_e32 v4, v0
	v_exp_f32_e32 v5, v1
	v_mul_f32_e32 v14, 0x3fb8aa3b, v8
	v_mul_f32_e32 v15, 0x3fb8aa3b, v9
	v_exp_f32_e32 v14, v14
	v_exp_f32_e32 v15, v15
	v_pk_add_f32 v[4:5], v[4:5], 1.0 op_sel_hi:[1,0]
	s_waitcnt vmcnt(0)
	v_mul_lo_u32 v11, v11, s12
	v_mul_lo_u32 v18, v10, s13
	v_mad_u64_u32 v[0:1], s[0:1], v10, s12, 0
	v_cmp_gt_f32_e32 vcc, s6, v5
	v_add3_u32 v1, v1, v18, v11
	v_pk_add_f32 v[10:11], v[14:15], 1.0 op_sel_hi:[1,0]
	v_cndmask_b32_e32 v14, 1.0, v3, vcc
	v_cmp_gt_f32_e64 s[0:1], s6, v4
	v_mul_f32_e32 v5, v5, v14
	v_log_f32_e32 v5, v5
	v_cndmask_b32_e64 v15, 1.0, v3, s[0:1]
	v_mul_f32_e32 v4, v4, v15
	v_log_f32_e32 v4, v4
	v_cmp_gt_f32_e64 s[4:5], s6, v11
	v_cmp_gt_f32_e64 s[6:7], s6, v10
	v_cndmask_b32_e32 v14, 0, v16, vcc
	v_cndmask_b32_e64 v18, 1.0, v3, s[4:5]
	v_cndmask_b32_e64 v3, 1.0, v3, s[6:7]
	v_mul_f32_e32 v3, v10, v3
	v_mul_f32_e32 v10, 0x3f317217, v5
	;; [unrolled: 1-line block ×4, first 2 shown]
	v_fma_f32 v10, v5, s20, -v10
	v_fma_f32 v18, v4, s20, -v18
	v_fmac_f32_e32 v10, 0x3377d1cf, v5
	v_fmac_f32_e32 v18, 0x3377d1cf, v4
	;; [unrolled: 1-line block ×3, first 2 shown]
	v_cmp_lt_f32_e64 vcc, |v5|, s21
	v_fmac_f32_e32 v18, 0x3f317217, v4
	v_cndmask_b32_e64 v15, 0, v16, s[0:1]
	v_cndmask_b32_e32 v5, v5, v10, vcc
	v_cmp_lt_f32_e64 vcc, |v4|, s21
	v_sub_f32_e32 v5, v5, v14
	v_log_f32_e32 v11, v11
	v_cndmask_b32_e32 v4, v4, v18, vcc
	v_sub_f32_e32 v4, v4, v15
	v_cmp_lt_f32_e32 vcc, s17, v6
	v_mul_f32_e32 v19, 0x3f317217, v11
	v_fma_f32 v19, v11, s20, -v19
	v_cndmask_b32_e32 v4, v4, v6, vcc
	v_cmp_lt_f32_e32 vcc, s17, v7
	v_cmp_gt_f32_e64 s[0:1], s22, v4
	v_log_f32_e32 v3, v3
	v_cndmask_b32_e32 v5, v5, v7, vcc
	v_mul_f32_e32 v6, 0x4f800000, v5
	v_cmp_gt_f32_e32 vcc, s22, v5
	v_mul_f32_e32 v7, 0x4f800000, v4
	v_cndmask_b32_e64 v4, v4, v7, s[0:1]
	v_cndmask_b32_e32 v5, v5, v6, vcc
	v_sqrt_f32_e32 v6, v5
	v_sqrt_f32_e32 v7, v4
	v_fmac_f32_e32 v19, 0x3377d1cf, v11
	v_fmac_f32_e32 v19, 0x3f317217, v11
	v_add_u32_e32 v10, -1, v6
	v_add_u32_e32 v15, -1, v7
	v_fma_f32 v20, -v10, v6, v5
	v_add_u32_e32 v14, 1, v6
	v_fma_f32 v22, -v15, v7, v4
	v_cmp_ge_f32_e64 s[8:9], 0, v20
	v_add_u32_e32 v18, 1, v7
	v_fma_f32 v21, -v14, v6, v5
	v_cndmask_b32_e64 v6, v6, v10, s[8:9]
	v_cmp_ge_f32_e64 s[8:9], 0, v22
	v_fma_f32 v23, -v18, v7, v4
	s_nop 0
	v_cndmask_b32_e64 v7, v7, v15, s[8:9]
	v_cmp_lt_f32_e64 s[8:9], 0, v21
	s_nop 1
	v_cndmask_b32_e64 v6, v6, v14, s[8:9]
	v_cmp_lt_f32_e64 s[8:9], 0, v23
	v_mul_f32_e32 v10, 0x37800000, v6
	v_cndmask_b32_e32 v6, v6, v10, vcc
	v_cndmask_b32_e64 v7, v7, v18, s[8:9]
	v_mul_f32_e32 v14, 0x37800000, v7
	v_cmp_class_f32_e32 vcc, v5, v17
	v_cndmask_b32_e64 v7, v7, v14, s[0:1]
	v_cmp_lt_f32_e64 s[0:1], s17, v8
	v_cndmask_b32_e32 v5, v6, v5, vcc
	v_cmp_class_f32_e32 vcc, v4, v17
	s_nop 1
	v_cndmask_b32_e32 v4, v7, v4, vcc
	v_cmp_lt_f32_e64 vcc, |v11|, s21
	v_cndmask_b32_e64 v7, 0, v16, s[4:5]
	s_nop 0
	v_cndmask_b32_e32 v6, v11, v19, vcc
	v_sub_f32_e32 v6, v6, v7
	v_mul_f32_e32 v7, 0x3f317217, v3
	v_fma_f32 v7, v3, s20, -v7
	v_fmac_f32_e32 v7, 0x3377d1cf, v3
	v_fmac_f32_e32 v7, 0x3f317217, v3
	v_cmp_lt_f32_e64 vcc, |v3|, s21
	s_nop 1
	v_cndmask_b32_e32 v3, v3, v7, vcc
	v_cmp_lt_f32_e32 vcc, s17, v9
	v_cndmask_b32_e64 v7, 0, v16, s[6:7]
	v_sub_f32_e32 v3, v3, v7
	v_cndmask_b32_e32 v6, v6, v9, vcc
	v_mul_f32_e32 v9, 0x4f800000, v6
	v_cmp_gt_f32_e32 vcc, s22, v6
	v_cndmask_b32_e64 v3, v3, v8, s[0:1]
	s_nop 0
	v_cndmask_b32_e32 v6, v6, v9, vcc
	v_sqrt_f32_e32 v9, v6
	s_nop 0
	v_add_u32_e32 v7, -1, v9
	v_fma_f32 v8, -v7, v9, v6
	v_cmp_ge_f32_e64 s[0:1], 0, v8
	v_add_u32_e32 v8, 1, v9
	s_nop 0
	v_cndmask_b32_e64 v7, v9, v7, s[0:1]
	v_fma_f32 v9, -v8, v9, v6
	v_cmp_lt_f32_e64 s[0:1], 0, v9
	v_mul_f32_e32 v9, 0x4f800000, v3
	s_nop 0
	v_cndmask_b32_e64 v7, v7, v8, s[0:1]
	v_cmp_gt_f32_e64 s[0:1], s22, v3
	v_mul_f32_e32 v8, 0x37800000, v7
	v_cndmask_b32_e32 v7, v7, v8, vcc
	v_cndmask_b32_e64 v3, v3, v9, s[0:1]
	v_sqrt_f32_e32 v9, v3
	v_cmp_class_f32_e32 vcc, v6, v17
	s_nop 1
	v_cndmask_b32_e32 v7, v7, v6, vcc
	v_add_u32_e32 v6, -1, v9
	v_fma_f32 v8, -v6, v9, v3
	v_cmp_ge_f32_e32 vcc, 0, v8
	v_add_u32_e32 v8, 1, v9
	s_nop 0
	v_cndmask_b32_e32 v6, v9, v6, vcc
	v_fma_f32 v9, -v8, v9, v3
	v_cmp_lt_f32_e32 vcc, 0, v9
	s_nop 1
	v_cndmask_b32_e32 v6, v6, v8, vcc
	v_mul_f32_e32 v8, 0x37800000, v6
	v_cndmask_b32_e64 v6, v6, v8, s[0:1]
	v_cmp_class_f32_e32 vcc, v3, v17
	s_nop 1
	v_cndmask_b32_e32 v6, v6, v3, vcc
	s_and_b64 vcc, exec, s[18:19]
	ds_write_b128 v12, v[4:7]
	s_cbranch_vccnz .LBB130_29
; %bb.2:
	s_load_dwordx2 s[0:1], s[2:3], 0x20
	s_cmp_lt_u32 s12, 4
	v_lshl_add_u64 v[4:5], v[0:1], 3, s[10:11]
	s_cbranch_scc1 .LBB130_21
; %bb.3:
	s_mov_b32 s5, 0
	s_and_b32 s16, s12, 0x7ffffffc
	v_ashrrev_i32_e32 v3, 31, v2
	v_mov_b32_e32 v13, 0
	s_mov_b32 s4, s5
	s_branch .LBB130_5
.LBB130_4:                              ;   in Loop: Header=BB130_5 Depth=1
	s_or_b64 exec, exec, s[6:7]
	s_add_i32 s4, s4, 4
	s_cmp_eq_u32 s4, s16
	s_cbranch_scc1 .LBB130_22
.LBB130_5:                              ; =>This Loop Header: Depth=1
                                        ;     Child Loop BB130_7 Depth 2
                                        ;     Child Loop BB130_11 Depth 2
                                        ;     Child Loop BB130_15 Depth 2
                                        ;     Child Loop BB130_19 Depth 2
	v_lshl_add_u64 v[6:7], s[4:5], 3, v[4:5]
	global_load_dwordx2 v[8:9], v[6:7], off
	v_add_u32_e32 v10, s4, v2
	v_ashrrev_i32_e32 v11, 31, v10
	s_mov_b64 s[6:7], 0
	s_waitcnt lgkmcnt(0)
	v_lshl_add_u64 v[10:11], v[10:11], 3, s[0:1]
	s_waitcnt vmcnt(0)
	v_min_u32_e32 v15, 3, v8
	v_ashrrev_i32_e32 v9, 31, v8
	v_lshl_add_u32 v14, v8, 2, v12
	v_add_u32_e32 v15, 1, v15
	v_mov_b32_e32 v16, v8
	s_branch .LBB130_7
.LBB130_6:                              ;   in Loop: Header=BB130_7 Depth=2
	s_or_b64 exec, exec, s[8:9]
	v_add_u32_e32 v15, -1, v15
	v_cmp_eq_u32_e32 vcc, 0, v15
	s_or_b64 s[6:7], vcc, s[6:7]
	v_add_u32_e32 v16, -1, v16
	s_andn2_b64 exec, exec, s[6:7]
	s_cbranch_execz .LBB130_9
.LBB130_7:                              ;   Parent Loop BB130_5 Depth=1
                                        ; =>  This Inner Loop Header: Depth=2
	v_cmp_eq_u32_e32 vcc, 0, v16
	s_and_saveexec_b64 s[8:9], vcc
	s_cbranch_execz .LBB130_6
; %bb.8:                                ;   in Loop: Header=BB130_7 Depth=2
	ds_read_b32 v17, v14
	global_store_dwordx2 v[10:11], v[8:9], off
	s_waitcnt lgkmcnt(0)
	v_add_f32_e32 v13, v13, v17
	s_branch .LBB130_6
.LBB130_9:                              ;   in Loop: Header=BB130_5 Depth=1
	s_or_b64 exec, exec, s[6:7]
	global_load_dwordx2 v[10:11], v[6:7], off offset:8
	s_ashr_i32 s9, s4, 31
	s_mov_b32 s8, s4
	v_lshl_add_u64 v[8:9], s[8:9], 0, v[2:3]
	s_mov_b64 s[6:7], 0
	v_lshl_add_u64 v[8:9], v[8:9], 3, s[0:1]
	s_waitcnt vmcnt(0)
	v_min_u32_e32 v15, 3, v10
	v_ashrrev_i32_e32 v11, 31, v10
	v_lshl_add_u32 v14, v10, 2, v12
	v_add_u32_e32 v15, 1, v15
	v_mov_b32_e32 v16, v10
	s_branch .LBB130_11
.LBB130_10:                             ;   in Loop: Header=BB130_11 Depth=2
	s_or_b64 exec, exec, s[8:9]
	v_add_u32_e32 v15, -1, v15
	v_cmp_eq_u32_e32 vcc, 0, v15
	s_or_b64 s[6:7], vcc, s[6:7]
	v_add_u32_e32 v16, -1, v16
	s_andn2_b64 exec, exec, s[6:7]
	s_cbranch_execz .LBB130_13
.LBB130_11:                             ;   Parent Loop BB130_5 Depth=1
                                        ; =>  This Inner Loop Header: Depth=2
	v_cmp_eq_u32_e32 vcc, 0, v16
	s_and_saveexec_b64 s[8:9], vcc
	s_cbranch_execz .LBB130_10
; %bb.12:                               ;   in Loop: Header=BB130_11 Depth=2
	ds_read_b32 v17, v14
	global_store_dwordx2 v[8:9], v[10:11], off offset:8
	s_waitcnt lgkmcnt(0)
	v_add_f32_e32 v13, v13, v17
	s_branch .LBB130_10
.LBB130_13:                             ;   in Loop: Header=BB130_5 Depth=1
	s_or_b64 exec, exec, s[6:7]
	global_load_dwordx2 v[10:11], v[6:7], off offset:16
	s_mov_b64 s[6:7], 0
	s_waitcnt vmcnt(0)
	v_min_u32_e32 v15, 3, v10
	v_ashrrev_i32_e32 v11, 31, v10
	v_lshl_add_u32 v14, v10, 2, v12
	v_add_u32_e32 v15, 1, v15
	v_mov_b32_e32 v16, v10
	s_branch .LBB130_15
.LBB130_14:                             ;   in Loop: Header=BB130_15 Depth=2
	s_or_b64 exec, exec, s[8:9]
	v_add_u32_e32 v15, -1, v15
	v_cmp_eq_u32_e32 vcc, 0, v15
	s_or_b64 s[6:7], vcc, s[6:7]
	v_add_u32_e32 v16, -1, v16
	s_andn2_b64 exec, exec, s[6:7]
	s_cbranch_execz .LBB130_17
.LBB130_15:                             ;   Parent Loop BB130_5 Depth=1
                                        ; =>  This Inner Loop Header: Depth=2
	v_cmp_eq_u32_e32 vcc, 0, v16
	s_and_saveexec_b64 s[8:9], vcc
	s_cbranch_execz .LBB130_14
; %bb.16:                               ;   in Loop: Header=BB130_15 Depth=2
	ds_read_b32 v17, v14
	global_store_dwordx2 v[8:9], v[10:11], off offset:16
	s_waitcnt lgkmcnt(0)
	v_add_f32_e32 v13, v13, v17
	s_branch .LBB130_14
.LBB130_17:                             ;   in Loop: Header=BB130_5 Depth=1
	s_or_b64 exec, exec, s[6:7]
	global_load_dwordx2 v[6:7], v[6:7], off offset:24
	s_mov_b64 s[6:7], 0
	s_waitcnt vmcnt(0)
	v_min_u32_e32 v11, 3, v6
	v_ashrrev_i32_e32 v7, 31, v6
	v_lshl_add_u32 v10, v6, 2, v12
	v_add_u32_e32 v11, 1, v11
	v_mov_b32_e32 v14, v6
	s_branch .LBB130_19
.LBB130_18:                             ;   in Loop: Header=BB130_19 Depth=2
	s_or_b64 exec, exec, s[8:9]
	v_add_u32_e32 v11, -1, v11
	v_cmp_eq_u32_e32 vcc, 0, v11
	s_or_b64 s[6:7], vcc, s[6:7]
	v_add_u32_e32 v14, -1, v14
	s_andn2_b64 exec, exec, s[6:7]
	s_cbranch_execz .LBB130_4
.LBB130_19:                             ;   Parent Loop BB130_5 Depth=1
                                        ; =>  This Inner Loop Header: Depth=2
	v_cmp_eq_u32_e32 vcc, 0, v14
	s_and_saveexec_b64 s[8:9], vcc
	s_cbranch_execz .LBB130_18
; %bb.20:                               ;   in Loop: Header=BB130_19 Depth=2
	ds_read_b32 v15, v10
	global_store_dwordx2 v[8:9], v[6:7], off offset:24
	s_waitcnt lgkmcnt(0)
	v_add_f32_e32 v13, v13, v15
	s_branch .LBB130_18
.LBB130_21:
	v_mov_b32_e32 v13, 0
.LBB130_22:
	s_and_b32 s8, s12, 3
	s_cmp_eq_u32 s8, 0
	s_mov_b32 s17, 0
	s_cbranch_scc1 .LBB130_29
; %bb.23:
	s_mov_b32 s9, s17
	s_branch .LBB130_25
.LBB130_24:                             ;   in Loop: Header=BB130_25 Depth=1
	s_or_b64 exec, exec, s[4:5]
	s_add_i32 s16, s16, 1
	s_add_i32 s9, s9, 1
	s_cmp_lg_u32 s9, s8
	s_cbranch_scc0 .LBB130_29
.LBB130_25:                             ; =>This Loop Header: Depth=1
                                        ;     Child Loop BB130_27 Depth 2
	v_lshl_add_u64 v[6:7], s[16:17], 3, v[4:5]
	global_load_dwordx2 v[6:7], v[6:7], off
	v_add_u32_e32 v8, s16, v2
	v_ashrrev_i32_e32 v9, 31, v8
	s_mov_b64 s[4:5], 0
	s_waitcnt lgkmcnt(0)
	v_lshl_add_u64 v[8:9], v[8:9], 3, s[0:1]
	s_waitcnt vmcnt(0)
	v_min_u32_e32 v10, 3, v6
	v_ashrrev_i32_e32 v7, 31, v6
	v_lshl_add_u32 v3, v6, 2, v12
	v_add_u32_e32 v10, 1, v10
	v_mov_b32_e32 v11, v6
	s_branch .LBB130_27
.LBB130_26:                             ;   in Loop: Header=BB130_27 Depth=2
	s_or_b64 exec, exec, s[6:7]
	v_add_u32_e32 v10, -1, v10
	v_cmp_eq_u32_e32 vcc, 0, v10
	s_or_b64 s[4:5], vcc, s[4:5]
	v_add_u32_e32 v11, -1, v11
	s_andn2_b64 exec, exec, s[4:5]
	s_cbranch_execz .LBB130_24
.LBB130_27:                             ;   Parent Loop BB130_25 Depth=1
                                        ; =>  This Inner Loop Header: Depth=2
	v_cmp_eq_u32_e32 vcc, 0, v11
	s_and_saveexec_b64 s[6:7], vcc
	s_cbranch_execz .LBB130_26
; %bb.28:                               ;   in Loop: Header=BB130_27 Depth=2
	ds_read_b32 v14, v3
	global_store_dwordx2 v[8:9], v[6:7], off
	s_waitcnt lgkmcnt(0)
	v_add_f32_e32 v13, v13, v14
	s_branch .LBB130_26
.LBB130_29:
	s_load_dword s4, s[2:3], 0x3c
	s_waitcnt lgkmcnt(0)
	s_load_dwordx2 s[0:1], s[2:3], 0x40
	s_bitcmp1_b32 s4, 0
	s_cselect_b64 s[4:5], -1, 0
	s_waitcnt lgkmcnt(0)
	v_cvt_f32_f64_e32 v8, s[0:1]
	s_and_b64 vcc, exec, s[4:5]
	s_cbranch_vccz .LBB130_31
; %bb.30:
	v_cmp_lt_f32_e32 vcc, 0, v13
	s_nop 1
	v_cndmask_b32_e32 v3, 1.0, v13, vcc
	v_div_scale_f32 v4, s[0:1], v3, v3, v8
	v_rcp_f32_e32 v5, v4
	s_nop 0
	v_fma_f32 v6, -v4, v5, 1.0
	v_fmac_f32_e32 v5, v6, v5
	v_div_scale_f32 v6, vcc, v8, v3, v8
	v_mul_f32_e32 v7, v6, v5
	v_fma_f32 v9, -v4, v7, v6
	v_fmac_f32_e32 v7, v9, v5
	v_fma_f32 v4, -v4, v7, v6
	v_div_fmas_f32 v4, v4, v5, v7
	v_div_fixup_f32 v8, v4, v3, v8
.LBB130_31:
	s_andn2_b64 vcc, exec, s[14:15]
	s_cbranch_vccnz .LBB130_56
; %bb.32:
	s_load_dwordx2 s[0:1], s[2:3], 0x10
	s_cmp_lt_u32 s12, 8
	s_mov_b32 s2, 0
	s_cbranch_scc1 .LBB130_51
; %bb.33:
	v_ashrrev_i32_e32 v3, 31, v2
	s_waitcnt lgkmcnt(0)
	v_lshl_add_u64 v[4:5], v[2:3], 2, s[0:1]
	v_lshl_add_u64 v[6:7], v[0:1], 3, s[10:11]
	s_and_b32 s2, s12, 0x7ffffff8
	v_lshl_add_u64 v[4:5], v[4:5], 0, 28
	v_lshl_add_u64 v[6:7], v[6:7], 0, 56
	s_mov_b32 s3, 0
	s_branch .LBB130_35
.LBB130_34:                             ;   in Loop: Header=BB130_35 Depth=1
	s_or_b64 exec, exec, s[4:5]
	s_add_i32 s3, s3, 8
	v_lshl_add_u64 v[4:5], v[4:5], 0, 32
	s_cmp_eq_u32 s2, s3
	v_lshl_add_u64 v[6:7], v[6:7], 0, 64
	s_cbranch_scc1 .LBB130_51
.LBB130_35:                             ; =>This Inner Loop Header: Depth=1
	global_load_dword v3, v[6:7], off offset:-56
	s_waitcnt vmcnt(0)
	v_cmp_gt_u32_e32 vcc, 4, v3
	s_and_saveexec_b64 s[4:5], vcc
	s_cbranch_execz .LBB130_37
; %bb.36:                               ;   in Loop: Header=BB130_35 Depth=1
	v_lshl_add_u32 v3, v3, 2, v12
	ds_read_b32 v3, v3
	v_add_u32_e32 v10, s3, v2
	v_ashrrev_i32_e32 v11, 31, v10
	v_lshl_add_u64 v[10:11], v[10:11], 2, s[0:1]
	s_waitcnt lgkmcnt(0)
	v_mul_f32_e32 v3, v8, v3
	global_store_dword v[10:11], v3, off
.LBB130_37:                             ;   in Loop: Header=BB130_35 Depth=1
	s_or_b64 exec, exec, s[4:5]
	global_load_dword v3, v[6:7], off offset:-48
	s_waitcnt vmcnt(0)
	v_cmp_gt_u32_e32 vcc, 4, v3
	s_and_saveexec_b64 s[4:5], vcc
	s_cbranch_execz .LBB130_39
; %bb.38:                               ;   in Loop: Header=BB130_35 Depth=1
	v_lshl_add_u32 v3, v3, 2, v12
	ds_read_b32 v3, v3
	s_waitcnt lgkmcnt(0)
	v_mul_f32_e32 v3, v8, v3
	global_store_dword v[4:5], v3, off offset:-24
.LBB130_39:                             ;   in Loop: Header=BB130_35 Depth=1
	s_or_b64 exec, exec, s[4:5]
	global_load_dword v3, v[6:7], off offset:-40
	s_waitcnt vmcnt(0)
	v_cmp_gt_u32_e32 vcc, 4, v3
	s_and_saveexec_b64 s[4:5], vcc
	s_cbranch_execz .LBB130_41
; %bb.40:                               ;   in Loop: Header=BB130_35 Depth=1
	v_lshl_add_u32 v3, v3, 2, v12
	ds_read_b32 v3, v3
	s_waitcnt lgkmcnt(0)
	v_mul_f32_e32 v3, v8, v3
	global_store_dword v[4:5], v3, off offset:-20
.LBB130_41:                             ;   in Loop: Header=BB130_35 Depth=1
	;; [unrolled: 13-line block ×6, first 2 shown]
	s_or_b64 exec, exec, s[4:5]
	global_load_dword v3, v[6:7], off
	s_waitcnt vmcnt(0)
	v_cmp_gt_u32_e32 vcc, 4, v3
	s_and_saveexec_b64 s[4:5], vcc
	s_cbranch_execz .LBB130_34
; %bb.50:                               ;   in Loop: Header=BB130_35 Depth=1
	v_lshl_add_u32 v3, v3, 2, v12
	ds_read_b32 v3, v3
	s_waitcnt lgkmcnt(0)
	v_mul_f32_e32 v3, v8, v3
	global_store_dword v[4:5], v3, off
	s_branch .LBB130_34
.LBB130_51:
	s_and_b32 s4, s12, 7
	s_cmp_eq_u32 s4, 0
	s_mov_b32 s3, 0
	s_cbranch_scc1 .LBB130_56
; %bb.52:
	v_add_u32_e32 v2, s2, v2
	s_lshl_b64 s[2:3], s[2:3], 3
	s_add_u32 s2, s10, s2
	s_addc_u32 s3, s11, s3
	v_lshl_add_u64 v[0:1], v[0:1], 3, s[2:3]
	s_branch .LBB130_54
.LBB130_53:                             ;   in Loop: Header=BB130_54 Depth=1
	s_or_b64 exec, exec, s[2:3]
	s_add_i32 s4, s4, -1
	v_add_u32_e32 v2, 1, v2
	s_cmp_eq_u32 s4, 0
	v_lshl_add_u64 v[0:1], v[0:1], 0, 8
	s_cbranch_scc1 .LBB130_56
.LBB130_54:                             ; =>This Inner Loop Header: Depth=1
	global_load_dword v3, v[0:1], off
	s_waitcnt vmcnt(0)
	v_cmp_gt_u32_e32 vcc, 4, v3
	s_and_saveexec_b64 s[2:3], vcc
	s_cbranch_execz .LBB130_53
; %bb.55:                               ;   in Loop: Header=BB130_54 Depth=1
	v_lshl_add_u32 v3, v3, 2, v12
	ds_read_b32 v4, v3
	v_ashrrev_i32_e32 v3, 31, v2
	s_waitcnt lgkmcnt(0)
	v_mul_f32_e32 v6, v8, v4
	v_lshl_add_u64 v[4:5], v[2:3], 2, s[0:1]
	global_store_dword v[4:5], v6, off
	s_branch .LBB130_53
.LBB130_56:
	s_endpgm
	.section	.rodata,"a",@progbits
	.p2align	6, 0x0
	.amdhsa_kernel _ZN4vllm3moe22topkGatingSoftplusSqrtILi4ELi4ELi4ELi16ELi32ELb1ElfEEvPKT6_PKbPfiPT5_PiiiibdPKfPKS8_SE_
		.amdhsa_group_segment_fixed_size 2048
		.amdhsa_private_segment_fixed_size 0
		.amdhsa_kernarg_size 96
		.amdhsa_user_sgpr_count 4
		.amdhsa_user_sgpr_dispatch_ptr 1
		.amdhsa_user_sgpr_queue_ptr 0
		.amdhsa_user_sgpr_kernarg_segment_ptr 1
		.amdhsa_user_sgpr_dispatch_id 0
		.amdhsa_user_sgpr_kernarg_preload_length 0
		.amdhsa_user_sgpr_kernarg_preload_offset 0
		.amdhsa_user_sgpr_private_segment_size 0
		.amdhsa_uses_dynamic_stack 0
		.amdhsa_enable_private_segment 0
		.amdhsa_system_sgpr_workgroup_id_x 1
		.amdhsa_system_sgpr_workgroup_id_y 0
		.amdhsa_system_sgpr_workgroup_id_z 0
		.amdhsa_system_sgpr_workgroup_info 0
		.amdhsa_system_vgpr_workitem_id 2
		.amdhsa_next_free_vgpr 24
		.amdhsa_next_free_sgpr 23
		.amdhsa_accum_offset 24
		.amdhsa_reserve_vcc 1
		.amdhsa_float_round_mode_32 0
		.amdhsa_float_round_mode_16_64 0
		.amdhsa_float_denorm_mode_32 3
		.amdhsa_float_denorm_mode_16_64 3
		.amdhsa_dx10_clamp 1
		.amdhsa_ieee_mode 1
		.amdhsa_fp16_overflow 0
		.amdhsa_tg_split 0
		.amdhsa_exception_fp_ieee_invalid_op 0
		.amdhsa_exception_fp_denorm_src 0
		.amdhsa_exception_fp_ieee_div_zero 0
		.amdhsa_exception_fp_ieee_overflow 0
		.amdhsa_exception_fp_ieee_underflow 0
		.amdhsa_exception_fp_ieee_inexact 0
		.amdhsa_exception_int_div_zero 0
	.end_amdhsa_kernel
	.section	.text._ZN4vllm3moe22topkGatingSoftplusSqrtILi4ELi4ELi4ELi16ELi32ELb1ElfEEvPKT6_PKbPfiPT5_PiiiibdPKfPKS8_SE_,"axG",@progbits,_ZN4vllm3moe22topkGatingSoftplusSqrtILi4ELi4ELi4ELi16ELi32ELb1ElfEEvPKT6_PKbPfiPT5_PiiiibdPKfPKS8_SE_,comdat
.Lfunc_end130:
	.size	_ZN4vllm3moe22topkGatingSoftplusSqrtILi4ELi4ELi4ELi16ELi32ELb1ElfEEvPKT6_PKbPfiPT5_PiiiibdPKfPKS8_SE_, .Lfunc_end130-_ZN4vllm3moe22topkGatingSoftplusSqrtILi4ELi4ELi4ELi16ELi32ELb1ElfEEvPKT6_PKbPfiPT5_PiiiibdPKfPKS8_SE_
                                        ; -- End function
	.section	.AMDGPU.csdata,"",@progbits
; Kernel info:
; codeLenInByte = 2856
; NumSgprs: 29
; NumVgprs: 24
; NumAgprs: 0
; TotalNumVgprs: 24
; ScratchSize: 0
; MemoryBound: 0
; FloatMode: 240
; IeeeMode: 1
; LDSByteSize: 2048 bytes/workgroup (compile time only)
; SGPRBlocks: 3
; VGPRBlocks: 2
; NumSGPRsForWavesPerEU: 29
; NumVGPRsForWavesPerEU: 24
; AccumOffset: 24
; Occupancy: 8
; WaveLimiterHint : 1
; COMPUTE_PGM_RSRC2:SCRATCH_EN: 0
; COMPUTE_PGM_RSRC2:USER_SGPR: 4
; COMPUTE_PGM_RSRC2:TRAP_HANDLER: 0
; COMPUTE_PGM_RSRC2:TGID_X_EN: 1
; COMPUTE_PGM_RSRC2:TGID_Y_EN: 0
; COMPUTE_PGM_RSRC2:TGID_Z_EN: 0
; COMPUTE_PGM_RSRC2:TIDIG_COMP_CNT: 2
; COMPUTE_PGM_RSRC3_GFX90A:ACCUM_OFFSET: 5
; COMPUTE_PGM_RSRC3_GFX90A:TG_SPLIT: 0
	.section	.text._ZN4vllm3moe22topkGatingSoftplusSqrtILi4ELi4ELi4ELi16ELi32ELb0ElfEEvPKT6_PKbPfiPT5_PiiiibdPKfPKS8_SE_,"axG",@progbits,_ZN4vllm3moe22topkGatingSoftplusSqrtILi4ELi4ELi4ELi16ELi32ELb0ElfEEvPKT6_PKbPfiPT5_PiiiibdPKfPKS8_SE_,comdat
	.protected	_ZN4vllm3moe22topkGatingSoftplusSqrtILi4ELi4ELi4ELi16ELi32ELb0ElfEEvPKT6_PKbPfiPT5_PiiiibdPKfPKS8_SE_ ; -- Begin function _ZN4vllm3moe22topkGatingSoftplusSqrtILi4ELi4ELi4ELi16ELi32ELb0ElfEEvPKT6_PKbPfiPT5_PiiiibdPKfPKS8_SE_
	.globl	_ZN4vllm3moe22topkGatingSoftplusSqrtILi4ELi4ELi4ELi16ELi32ELb0ElfEEvPKT6_PKbPfiPT5_PiiiibdPKfPKS8_SE_
	.p2align	8
	.type	_ZN4vllm3moe22topkGatingSoftplusSqrtILi4ELi4ELi4ELi16ELi32ELb0ElfEEvPKT6_PKbPfiPT5_PiiiibdPKfPKS8_SE_,@function
_ZN4vllm3moe22topkGatingSoftplusSqrtILi4ELi4ELi4ELi16ELi32ELb0ElfEEvPKT6_PKbPfiPT5_PiiiibdPKfPKS8_SE_: ; @_ZN4vllm3moe22topkGatingSoftplusSqrtILi4ELi4ELi4ELi16ELi32ELb0ElfEEvPKT6_PKbPfiPT5_PiiiibdPKfPKS8_SE_
; %bb.0:
	s_load_dword s24, s[2:3], 0x18
	v_bfe_u32 v4, v0, 10, 10
	v_and_b32_e32 v1, 0x3ff, v0
	s_lshl_b32 s4, s4, 7
	v_lshlrev_b32_e32 v2, 5, v4
	v_add3_u32 v2, v2, v1, s4
	s_waitcnt lgkmcnt(0)
	v_cmp_gt_i32_e32 vcc, s24, v2
	s_and_saveexec_b64 s[4:5], vcc
	s_cbranch_execz .LBB131_32
; %bb.1:
	s_load_dwordx4 s[4:7], s[2:3], 0x0
	s_load_dwordx2 s[20:21], s[2:3], 0x10
	s_waitcnt lgkmcnt(0)
	s_cmp_eq_u64 s[6:7], 0
	s_cbranch_scc1 .LBB131_3
; %bb.2:
	v_ashrrev_i32_e32 v3, 31, v2
	v_lshl_add_u64 v[6:7], s[6:7], 0, v[2:3]
	global_load_ubyte v3, v[6:7], off
	s_waitcnt vmcnt(0)
	v_and_b32_e32 v3, 1, v3
	v_cmp_eq_u32_e32 vcc, 1, v3
	s_xor_b64 s[6:7], vcc, -1
	s_orn2_b64 s[22:23], s[6:7], exec
	s_branch .LBB131_4
.LBB131_3:
	s_mov_b64 s[22:23], -1
.LBB131_4:
	v_lshlrev_b32_e32 v8, 2, v2
	v_mov_b32_e32 v6, s4
	v_mov_b32_e32 v7, s5
	v_ashrrev_i32_e32 v9, 31, v8
	v_lshl_add_u64 v[6:7], v[8:9], 2, v[6:7]
	global_load_dwordx4 v[6:9], v[6:7], off
	s_load_dwordx2 s[0:1], s[0:1], 0x4
	v_bfe_u32 v0, v0, 20, 10
	s_mov_b32 s15, 0x800000
	s_mov_b32 s13, 0x3f317217
	s_mov_b32 s14, 0x7f800000
	s_waitcnt lgkmcnt(0)
	s_lshr_b32 s0, s0, 16
	v_mul_u32_u24_e32 v3, s1, v4
	s_mul_i32 s0, s0, s1
	v_mad_u32_u24 v1, s0, v1, v3
	v_add_lshl_u32 v1, v1, v0, 4
	v_mov_b32_e32 v3, 0x4f800000
	v_mov_b32_e32 v4, 0x41b17218
	s_mov_b32 s12, 0x41a00000
	s_mov_b32 s16, 0xf800000
	s_load_dwordx4 s[8:11], s[2:3], 0x40
	s_waitcnt lgkmcnt(0)
	s_cmp_lg_u64 s[10:11], 0
	s_cselect_b64 s[6:7], -1, 0
	s_and_b64 s[0:1], exec, s[6:7]
	s_waitcnt vmcnt(0)
	ds_write_b128 v1, v[6:9]
	ds_read_b32 v5, v1
	s_waitcnt lgkmcnt(0)
	v_mul_f32_e32 v0, 0x3fb8aa3b, v5
	v_exp_f32_e32 v0, v0
	s_nop 0
	v_add_f32_e32 v0, 1.0, v0
	v_cmp_gt_f32_e32 vcc, s15, v0
	s_nop 1
	v_cndmask_b32_e32 v6, 1.0, v3, vcc
	v_mul_f32_e32 v0, v0, v6
	v_log_f32_e32 v6, v0
	v_cndmask_b32_e32 v7, 0, v4, vcc
	v_mov_b32_e32 v0, 0x260
	v_mul_f32_e32 v8, 0x3f317217, v6
	v_fma_f32 v8, v6, s13, -v8
	v_fmac_f32_e32 v8, 0x3377d1cf, v6
	v_fmac_f32_e32 v8, 0x3f317217, v6
	v_cmp_lt_f32_e64 vcc, |v6|, s14
	s_nop 1
	v_cndmask_b32_e32 v6, v6, v8, vcc
	v_sub_f32_e32 v6, v6, v7
	v_cmp_lt_f32_e32 vcc, s12, v5
	s_nop 1
	v_cndmask_b32_e32 v5, v6, v5, vcc
	v_mul_f32_e32 v6, 0x4f800000, v5
	v_cmp_gt_f32_e32 vcc, s16, v5
	s_nop 1
	v_cndmask_b32_e32 v5, v5, v6, vcc
	v_sqrt_f32_e32 v6, v5
	s_nop 0
	v_add_u32_e32 v7, -1, v6
	v_add_u32_e32 v8, 1, v6
	v_fma_f32 v9, -v7, v6, v5
	v_fma_f32 v10, -v8, v6, v5
	v_cmp_ge_f32_e64 s[4:5], 0, v9
	s_nop 1
	v_cndmask_b32_e64 v6, v6, v7, s[4:5]
	v_cmp_lt_f32_e64 s[4:5], 0, v10
	s_nop 1
	v_cndmask_b32_e64 v6, v6, v8, s[4:5]
	v_mul_f32_e32 v7, 0x37800000, v6
	v_cndmask_b32_e32 v6, v6, v7, vcc
	v_cmp_class_f32_e32 vcc, v5, v0
	s_nop 1
	v_cndmask_b32_e32 v5, v6, v5, vcc
	s_mov_b64 vcc, s[0:1]
	s_cbranch_vccz .LBB131_6
; %bb.5:
	s_load_dword s0, s[10:11], 0x0
	s_waitcnt lgkmcnt(0)
	v_add_f32_e32 v5, s0, v5
.LBB131_6:
	ds_read_b32 v6, v1 offset:4
	ds_write_b32 v1, v5
	s_waitcnt lgkmcnt(1)
	v_mul_f32_e32 v7, 0x3fb8aa3b, v6
	v_exp_f32_e32 v7, v7
	s_nop 0
	v_add_f32_e32 v7, 1.0, v7
	v_cmp_gt_f32_e32 vcc, s15, v7
	s_nop 1
	v_cndmask_b32_e32 v3, 1.0, v3, vcc
	v_mul_f32_e32 v3, v7, v3
	v_log_f32_e32 v3, v3
	v_cndmask_b32_e32 v4, 0, v4, vcc
	v_mul_f32_e32 v5, 0x3f317217, v3
	v_fma_f32 v5, v3, s13, -v5
	v_fmac_f32_e32 v5, 0x3377d1cf, v3
	v_fmac_f32_e32 v5, 0x3f317217, v3
	v_cmp_lt_f32_e64 vcc, |v3|, s14
	s_nop 1
	v_cndmask_b32_e32 v3, v3, v5, vcc
	v_sub_f32_e32 v3, v3, v4
	v_cmp_lt_f32_e32 vcc, s12, v6
	v_cndmask_b32_e64 v5, 0, 1, s[6:7]
	v_cmp_ne_u32_e64 s[0:1], 1, v5
	v_cndmask_b32_e32 v3, v3, v6, vcc
	v_mul_f32_e32 v4, 0x4f800000, v3
	v_cmp_gt_f32_e64 s[4:5], s16, v3
	s_andn2_b64 vcc, exec, s[6:7]
	s_nop 0
	v_cndmask_b32_e64 v3, v3, v4, s[4:5]
	v_sqrt_f32_e32 v4, v3
	s_nop 0
	v_add_u32_e32 v5, -1, v4
	v_add_u32_e32 v6, 1, v4
	v_fma_f32 v7, -v5, v4, v3
	v_fma_f32 v8, -v6, v4, v3
	v_cmp_ge_f32_e64 s[6:7], 0, v7
	s_nop 1
	v_cndmask_b32_e64 v4, v4, v5, s[6:7]
	v_cmp_lt_f32_e64 s[6:7], 0, v8
	s_nop 1
	v_cndmask_b32_e64 v4, v4, v6, s[6:7]
	v_mul_f32_e32 v5, 0x37800000, v4
	v_cndmask_b32_e64 v4, v4, v5, s[4:5]
	v_cmp_class_f32_e64 s[4:5], v3, v0
	s_nop 1
	v_cndmask_b32_e64 v0, v4, v3, s[4:5]
	s_cbranch_vccnz .LBB131_8
; %bb.7:
	s_load_dword s4, s[10:11], 0x4
	s_waitcnt lgkmcnt(0)
	v_add_f32_e32 v0, s4, v0
.LBB131_8:
	ds_read_b32 v5, v1 offset:8
	s_mov_b32 s12, 0x800000
	s_mov_b32 s7, 0x3f317217
	;; [unrolled: 1-line block ×4, first 2 shown]
	s_waitcnt lgkmcnt(0)
	v_mul_f32_e32 v3, 0x3fb8aa3b, v5
	v_exp_f32_e32 v4, v3
	v_mov_b32_e32 v3, 0x4f800000
	s_mov_b32 s14, 0xf800000
	ds_write_b32 v1, v0 offset:4
	v_add_f32_e32 v4, 1.0, v4
	v_cmp_gt_f32_e32 vcc, s12, v4
	s_nop 1
	v_cndmask_b32_e32 v6, 1.0, v3, vcc
	v_mul_f32_e32 v4, v4, v6
	v_log_f32_e32 v6, v4
	v_mov_b32_e32 v4, 0x41b17218
	v_cndmask_b32_e32 v7, 0, v4, vcc
	v_mul_f32_e32 v8, 0x3f317217, v6
	v_fma_f32 v8, v6, s7, -v8
	v_fmac_f32_e32 v8, 0x3377d1cf, v6
	v_fmac_f32_e32 v8, 0x3f317217, v6
	v_cmp_lt_f32_e64 vcc, |v6|, s13
	s_nop 1
	v_cndmask_b32_e32 v6, v6, v8, vcc
	v_sub_f32_e32 v6, v6, v7
	v_cmp_lt_f32_e32 vcc, s6, v5
	s_nop 1
	v_cndmask_b32_e32 v5, v6, v5, vcc
	v_mul_f32_e32 v6, 0x4f800000, v5
	v_cmp_gt_f32_e32 vcc, s14, v5
	s_nop 1
	v_cndmask_b32_e32 v5, v5, v6, vcc
	v_sqrt_f32_e32 v6, v5
	s_nop 0
	v_add_u32_e32 v0, -1, v6
	v_fma_f32 v7, -v0, v6, v5
	v_cmp_ge_f32_e64 s[4:5], 0, v7
	v_add_u32_e32 v7, 1, v6
	s_nop 0
	v_cndmask_b32_e64 v0, v6, v0, s[4:5]
	v_fma_f32 v6, -v7, v6, v5
	v_cmp_lt_f32_e64 s[4:5], 0, v6
	s_nop 1
	v_cndmask_b32_e64 v0, v0, v7, s[4:5]
	v_mul_f32_e32 v6, 0x37800000, v0
	v_cndmask_b32_e32 v6, v0, v6, vcc
	v_mov_b32_e32 v0, 0x260
	v_cmp_class_f32_e64 s[4:5], v5, v0
	s_and_b64 vcc, exec, s[0:1]
	s_nop 0
	v_cndmask_b32_e64 v5, v6, v5, s[4:5]
	s_cbranch_vccnz .LBB131_10
; %bb.9:
	s_load_dword s4, s[10:11], 0x8
	s_waitcnt lgkmcnt(0)
	v_add_f32_e32 v5, s4, v5
.LBB131_10:
	ds_read_b32 v6, v1 offset:12
	ds_write_b32 v1, v5 offset:8
	s_waitcnt lgkmcnt(1)
	v_mul_f32_e32 v7, 0x3fb8aa3b, v6
	v_exp_f32_e32 v7, v7
	s_nop 0
	v_add_f32_e32 v7, 1.0, v7
	v_cmp_gt_f32_e32 vcc, s12, v7
	s_nop 1
	v_cndmask_b32_e32 v3, 1.0, v3, vcc
	v_mul_f32_e32 v3, v7, v3
	v_log_f32_e32 v3, v3
	v_cndmask_b32_e32 v4, 0, v4, vcc
	v_mul_f32_e32 v7, 0x3f317217, v3
	v_fma_f32 v7, v3, s7, -v7
	v_fmac_f32_e32 v7, 0x3377d1cf, v3
	v_fmac_f32_e32 v7, 0x3f317217, v3
	v_cmp_lt_f32_e64 vcc, |v3|, s13
	s_nop 1
	v_cndmask_b32_e32 v3, v3, v7, vcc
	v_sub_f32_e32 v3, v3, v4
	v_cmp_lt_f32_e32 vcc, s6, v6
	s_nop 1
	v_cndmask_b32_e32 v3, v3, v6, vcc
	v_mul_f32_e32 v4, 0x4f800000, v3
	v_cmp_gt_f32_e64 s[4:5], s14, v3
	s_and_b64 vcc, exec, s[0:1]
	s_nop 0
	v_cndmask_b32_e64 v3, v3, v4, s[4:5]
	v_sqrt_f32_e32 v4, v3
	s_nop 0
	v_add_u32_e32 v5, -1, v4
	v_add_u32_e32 v6, 1, v4
	v_fma_f32 v7, -v5, v4, v3
	v_fma_f32 v8, -v6, v4, v3
	v_cmp_ge_f32_e64 s[6:7], 0, v7
	s_nop 1
	v_cndmask_b32_e64 v4, v4, v5, s[6:7]
	v_cmp_lt_f32_e64 s[6:7], 0, v8
	s_nop 1
	v_cndmask_b32_e64 v4, v4, v6, s[6:7]
	v_mul_f32_e32 v5, 0x37800000, v4
	v_cndmask_b32_e64 v4, v4, v5, s[4:5]
	v_cmp_class_f32_e64 s[4:5], v3, v0
	s_nop 1
	v_cndmask_b32_e64 v0, v4, v3, s[4:5]
	s_cbranch_vccnz .LBB131_12
; %bb.11:
	s_load_dword s4, s[10:11], 0xc
	s_waitcnt lgkmcnt(0)
	v_add_f32_e32 v0, s4, v0
.LBB131_12:
	s_load_dwordx4 s[12:15], s[2:3], 0x30
	ds_write_b32 v1, v0 offset:12
	s_mov_b32 s25, 0
	s_waitcnt lgkmcnt(0)
	s_bitcmp1_b32 s15, 0
	s_cselect_b64 s[4:5], -1, 0
	s_cmp_gt_i32 s12, 0
	s_cselect_b64 s[6:7], -1, 0
	s_and_b64 vcc, exec, s[6:7]
	v_mul_lo_u32 v0, v2, s12
	s_cbranch_vccz .LBB131_19
; %bb.13:
	s_load_dwordx4 s[16:19], s[2:3], 0x20
	v_mov_b32_e32 v3, 0
	v_mov_b32_e32 v4, 0xc61c4000
	s_branch .LBB131_15
.LBB131_14:                             ;   in Loop: Header=BB131_15 Depth=1
	v_add_f32_e32 v5, v3, v6
	v_cndmask_b32_e64 v3, v3, v5, s[4:5]
	s_cmp_lg_u32 s12, s25
	v_add_u32_e32 v2, s24, v2
	s_cbranch_scc0 .LBB131_20
.LBB131_15:                             ; =>This Inner Loop Header: Depth=1
	ds_read_b128 v[6:9], v1
	s_waitcnt lgkmcnt(0)
	v_cmp_gt_f32_e32 vcc, v7, v6
	s_nop 1
	v_cndmask_b32_e32 v6, v6, v7, vcc
	v_cndmask_b32_e64 v5, 0, 1, vcc
	v_cmp_gt_f32_e32 vcc, v8, v6
	s_nop 1
	v_cndmask_b32_e32 v6, v6, v8, vcc
	v_cndmask_b32_e64 v5, v5, 2, vcc
	v_cmp_gt_f32_e64 s[2:3], v9, v6
	s_and_b64 vcc, exec, s[0:1]
	s_nop 0
	v_cndmask_b32_e64 v5, v5, 3, s[2:3]
	v_cndmask_b32_e64 v6, v6, v9, s[2:3]
	s_cbranch_vccnz .LBB131_17
; %bb.16:                               ;   in Loop: Header=BB131_15 Depth=1
	v_lshlrev_b32_e32 v7, 2, v5
	global_load_dword v7, v7, s[10:11]
	s_waitcnt vmcnt(0)
	v_sub_f32_e32 v6, v6, v7
.LBB131_17:                             ;   in Loop: Header=BB131_15 Depth=1
	v_add_u32_e32 v8, s25, v0
	v_ashrrev_i32_e32 v9, 31, v8
	v_cmp_le_i32_e32 vcc, s13, v5
	v_cmp_gt_i32_e64 s[2:3], s14, v5
	v_lshlrev_b64 v[10:11], 2, v[8:9]
	s_and_b64 s[2:3], vcc, s[2:3]
	v_lshl_add_u64 v[12:13], s[20:21], 0, v[10:11]
	v_subrev_u32_e32 v7, s13, v5
	global_store_dword v[12:13], v6, off
	v_ashrrev_i32_e32 v12, 31, v7
	s_and_b64 vcc, s[22:23], s[2:3]
	v_cndmask_b32_e32 v13, 0, v12, vcc
	v_cndmask_b32_e32 v12, 4, v7, vcc
	v_lshl_add_u64 v[8:9], v[8:9], 3, s[16:17]
	s_add_i32 s25, s25, 1
	global_store_dwordx2 v[8:9], v[12:13], off
	v_lshl_add_u64 v[8:9], s[18:19], 0, v[10:11]
	s_cmp_ge_i32 s25, s12
	global_store_dword v[8:9], v2, off
	s_cbranch_scc1 .LBB131_14
; %bb.18:                               ;   in Loop: Header=BB131_15 Depth=1
	v_lshl_add_u32 v5, v5, 2, v1
	ds_write_b32 v5, v4
	s_branch .LBB131_14
.LBB131_19:
	v_mov_b32_e32 v3, 0
.LBB131_20:
	s_andn2_b64 vcc, exec, s[4:5]
	v_cvt_f32_f64_e32 v2, s[8:9]
	s_cbranch_vccnz .LBB131_22
; %bb.21:
	v_cmp_lt_f32_e32 vcc, 0, v3
	s_nop 1
	v_cndmask_b32_e32 v1, 1.0, v3, vcc
	v_div_scale_f32 v3, s[0:1], v1, v1, v2
	v_rcp_f32_e32 v4, v3
	s_nop 0
	v_fma_f32 v5, -v3, v4, 1.0
	v_fmac_f32_e32 v4, v5, v4
	v_div_scale_f32 v5, vcc, v2, v1, v2
	v_mul_f32_e32 v6, v5, v4
	v_fma_f32 v7, -v3, v6, v5
	v_fmac_f32_e32 v6, v7, v4
	v_fma_f32 v3, -v3, v6, v5
	v_div_fmas_f32 v3, v3, v4, v6
	v_div_fixup_f32 v2, v3, v1, v2
.LBB131_22:
	s_andn2_b64 vcc, exec, s[6:7]
	s_cbranch_vccnz .LBB131_32
; %bb.23:
	s_cmp_gt_u32 s12, 3
	v_ashrrev_i32_e32 v1, 31, v0
	s_cbranch_scc0 .LBB131_27
; %bb.24:
	s_and_b32 s0, s12, 0x7ffffffc
	v_lshl_add_u64 v[4:5], v[0:1], 2, s[20:21]
	v_mov_b32_e32 v3, v2
	v_lshl_add_u64 v[4:5], v[4:5], 0, 8
	s_mov_b32 s1, s0
.LBB131_25:                             ; =>This Inner Loop Header: Depth=1
	global_load_dwordx4 v[6:9], v[4:5], off offset:-8
	s_add_i32 s1, s1, -4
	s_cmp_lg_u32 s1, 0
	s_waitcnt vmcnt(0)
	v_pk_mul_f32 v[6:7], v[2:3], v[6:7]
	v_pk_mul_f32 v[8:9], v[2:3], v[8:9]
	global_store_dwordx4 v[4:5], v[6:9], off offset:-8
	v_lshl_add_u64 v[4:5], v[4:5], 0, 16
	s_cbranch_scc1 .LBB131_25
; %bb.26:
	s_cmp_lg_u32 s0, s12
	s_cselect_b64 s[2:3], -1, 0
	s_branch .LBB131_29
.LBB131_27:
	s_mov_b64 s[2:3], 0
                                        ; implicit-def: $sgpr0
	s_cbranch_execz .LBB131_29
; %bb.28:
	s_mov_b64 s[2:3], -1
	s_mov_b32 s0, 0
.LBB131_29:
	s_andn2_b64 vcc, exec, s[2:3]
	s_cbranch_vccnz .LBB131_32
; %bb.30:
	s_mov_b32 s1, 0
	v_lshl_add_u64 v[0:1], v[0:1], 0, s[0:1]
	s_sub_i32 s2, s12, s0
	v_lshl_add_u64 v[0:1], v[0:1], 2, s[20:21]
.LBB131_31:                             ; =>This Inner Loop Header: Depth=1
	global_load_dword v3, v[0:1], off
	s_add_i32 s2, s2, -1
	s_cmp_lg_u32 s2, 0
	s_waitcnt vmcnt(0)
	v_mul_f32_e32 v3, v2, v3
	global_store_dword v[0:1], v3, off
	v_lshl_add_u64 v[0:1], v[0:1], 0, 4
	s_cbranch_scc1 .LBB131_31
.LBB131_32:
	s_endpgm
	.section	.rodata,"a",@progbits
	.p2align	6, 0x0
	.amdhsa_kernel _ZN4vllm3moe22topkGatingSoftplusSqrtILi4ELi4ELi4ELi16ELi32ELb0ElfEEvPKT6_PKbPfiPT5_PiiiibdPKfPKS8_SE_
		.amdhsa_group_segment_fixed_size 2048
		.amdhsa_private_segment_fixed_size 0
		.amdhsa_kernarg_size 96
		.amdhsa_user_sgpr_count 4
		.amdhsa_user_sgpr_dispatch_ptr 1
		.amdhsa_user_sgpr_queue_ptr 0
		.amdhsa_user_sgpr_kernarg_segment_ptr 1
		.amdhsa_user_sgpr_dispatch_id 0
		.amdhsa_user_sgpr_kernarg_preload_length 0
		.amdhsa_user_sgpr_kernarg_preload_offset 0
		.amdhsa_user_sgpr_private_segment_size 0
		.amdhsa_uses_dynamic_stack 0
		.amdhsa_enable_private_segment 0
		.amdhsa_system_sgpr_workgroup_id_x 1
		.amdhsa_system_sgpr_workgroup_id_y 0
		.amdhsa_system_sgpr_workgroup_id_z 0
		.amdhsa_system_sgpr_workgroup_info 0
		.amdhsa_system_vgpr_workitem_id 2
		.amdhsa_next_free_vgpr 14
		.amdhsa_next_free_sgpr 26
		.amdhsa_accum_offset 16
		.amdhsa_reserve_vcc 1
		.amdhsa_float_round_mode_32 0
		.amdhsa_float_round_mode_16_64 0
		.amdhsa_float_denorm_mode_32 3
		.amdhsa_float_denorm_mode_16_64 3
		.amdhsa_dx10_clamp 1
		.amdhsa_ieee_mode 1
		.amdhsa_fp16_overflow 0
		.amdhsa_tg_split 0
		.amdhsa_exception_fp_ieee_invalid_op 0
		.amdhsa_exception_fp_denorm_src 0
		.amdhsa_exception_fp_ieee_div_zero 0
		.amdhsa_exception_fp_ieee_overflow 0
		.amdhsa_exception_fp_ieee_underflow 0
		.amdhsa_exception_fp_ieee_inexact 0
		.amdhsa_exception_int_div_zero 0
	.end_amdhsa_kernel
	.section	.text._ZN4vllm3moe22topkGatingSoftplusSqrtILi4ELi4ELi4ELi16ELi32ELb0ElfEEvPKT6_PKbPfiPT5_PiiiibdPKfPKS8_SE_,"axG",@progbits,_ZN4vllm3moe22topkGatingSoftplusSqrtILi4ELi4ELi4ELi16ELi32ELb0ElfEEvPKT6_PKbPfiPT5_PiiiibdPKfPKS8_SE_,comdat
.Lfunc_end131:
	.size	_ZN4vllm3moe22topkGatingSoftplusSqrtILi4ELi4ELi4ELi16ELi32ELb0ElfEEvPKT6_PKbPfiPT5_PiiiibdPKfPKS8_SE_, .Lfunc_end131-_ZN4vllm3moe22topkGatingSoftplusSqrtILi4ELi4ELi4ELi16ELi32ELb0ElfEEvPKT6_PKbPfiPT5_PiiiibdPKfPKS8_SE_
                                        ; -- End function
	.section	.AMDGPU.csdata,"",@progbits
; Kernel info:
; codeLenInByte = 2160
; NumSgprs: 32
; NumVgprs: 14
; NumAgprs: 0
; TotalNumVgprs: 14
; ScratchSize: 0
; MemoryBound: 0
; FloatMode: 240
; IeeeMode: 1
; LDSByteSize: 2048 bytes/workgroup (compile time only)
; SGPRBlocks: 3
; VGPRBlocks: 1
; NumSGPRsForWavesPerEU: 32
; NumVGPRsForWavesPerEU: 14
; AccumOffset: 16
; Occupancy: 8
; WaveLimiterHint : 0
; COMPUTE_PGM_RSRC2:SCRATCH_EN: 0
; COMPUTE_PGM_RSRC2:USER_SGPR: 4
; COMPUTE_PGM_RSRC2:TRAP_HANDLER: 0
; COMPUTE_PGM_RSRC2:TGID_X_EN: 1
; COMPUTE_PGM_RSRC2:TGID_Y_EN: 0
; COMPUTE_PGM_RSRC2:TGID_Z_EN: 0
; COMPUTE_PGM_RSRC2:TIDIG_COMP_CNT: 2
; COMPUTE_PGM_RSRC3_GFX90A:ACCUM_OFFSET: 3
; COMPUTE_PGM_RSRC3_GFX90A:TG_SPLIT: 0
	.section	.text._ZN4vllm3moe22topkGatingSoftplusSqrtILi4ELi8ELi4ELi16ELi64ELb1ElfEEvPKT6_PKbPfiPT5_PiiiibdPKfPKS8_SE_,"axG",@progbits,_ZN4vllm3moe22topkGatingSoftplusSqrtILi4ELi8ELi4ELi16ELi64ELb1ElfEEvPKT6_PKbPfiPT5_PiiiibdPKfPKS8_SE_,comdat
	.protected	_ZN4vllm3moe22topkGatingSoftplusSqrtILi4ELi8ELi4ELi16ELi64ELb1ElfEEvPKT6_PKbPfiPT5_PiiiibdPKfPKS8_SE_ ; -- Begin function _ZN4vllm3moe22topkGatingSoftplusSqrtILi4ELi8ELi4ELi16ELi64ELb1ElfEEvPKT6_PKbPfiPT5_PiiiibdPKfPKS8_SE_
	.globl	_ZN4vllm3moe22topkGatingSoftplusSqrtILi4ELi8ELi4ELi16ELi64ELb1ElfEEvPKT6_PKbPfiPT5_PiiiibdPKfPKS8_SE_
	.p2align	8
	.type	_ZN4vllm3moe22topkGatingSoftplusSqrtILi4ELi8ELi4ELi16ELi64ELb1ElfEEvPKT6_PKbPfiPT5_PiiiibdPKfPKS8_SE_,@function
_ZN4vllm3moe22topkGatingSoftplusSqrtILi4ELi8ELi4ELi16ELi64ELb1ElfEEvPKT6_PKbPfiPT5_PiiiibdPKfPKS8_SE_: ; @_ZN4vllm3moe22topkGatingSoftplusSqrtILi4ELi8ELi4ELi16ELi64ELb1ElfEEvPKT6_PKbPfiPT5_PiiiibdPKfPKS8_SE_
; %bb.0:
	s_load_dword s3, s[0:1], 0x18
	v_bfe_u32 v1, v0, 10, 10
	v_and_b32_e32 v8, 0x3ff, v0
	s_lshl_b32 s2, s2, 7
	v_lshlrev_b32_e32 v1, 5, v1
	v_lshrrev_b32_e32 v0, 1, v8
	v_add3_u32 v2, s2, v1, v0
	s_waitcnt lgkmcnt(0)
	v_cmp_gt_i32_e32 vcc, s3, v2
	s_and_saveexec_b64 s[2:3], vcc
	s_cbranch_execz .LBB132_79
; %bb.1:
	s_load_dwordx4 s[8:11], s[0:1], 0x50
	s_load_dwordx2 s[2:3], s[0:1], 0x0
	s_load_dword s12, s[0:1], 0x30
	v_lshlrev_b32_e32 v0, 3, v2
	v_lshlrev_b32_e32 v3, 2, v8
	v_ashrrev_i32_e32 v1, 31, v0
	v_and_b32_e32 v14, 4, v3
	s_waitcnt lgkmcnt(0)
	v_lshl_add_u64 v[0:1], v[0:1], 2, s[2:3]
	v_lshlrev_b32_e32 v4, 2, v14
	v_mov_b32_e32 v5, 0
	v_lshl_add_u64 v[0:1], v[0:1], 0, v[4:5]
	global_load_dwordx4 v[10:13], v[0:1], off
	v_mov_b32_e32 v6, s8
	v_mov_b32_e32 v7, s9
	v_ashrrev_i32_e32 v3, 31, v2
	v_lshl_add_u64 v[6:7], v[2:3], 3, v[6:7]
	global_load_dwordx2 v[6:7], v[6:7], off
	s_ashr_i32 s13, s12, 31
	s_mov_b32 s6, 0x800000
	v_mov_b32_e32 v3, 0x4f800000
	s_mov_b32 s18, 0x3f317217
	s_mov_b32 s19, 0x7f800000
	v_mov_b32_e32 v4, 0x41b17218
	s_mov_b32 s15, 0x41a00000
	s_mov_b32 s20, 0xf800000
	v_mov_b32_e32 v9, 0x260
	v_cmp_lt_i64_e64 s[16:17], s[12:13], 1
	s_mov_b32 s14, 0
	v_cmp_gt_i64_e64 s[8:9], s[12:13], 0
	v_mul_lo_u32 v2, v2, s12
	s_waitcnt vmcnt(1)
	v_mul_f32_e32 v0, 0x3fb8aa3b, v10
	v_mul_f32_e32 v1, 0x3fb8aa3b, v11
	v_exp_f32_e32 v16, v0
	v_exp_f32_e32 v17, v1
	v_mul_f32_e32 v18, 0x3fb8aa3b, v12
	v_mul_f32_e32 v19, 0x3fb8aa3b, v13
	s_waitcnt vmcnt(0)
	v_mul_lo_u32 v7, v7, s12
	v_mul_lo_u32 v15, v6, s13
	v_exp_f32_e32 v18, v18
	v_exp_f32_e32 v19, v19
	v_mad_u64_u32 v[0:1], s[2:3], v6, s12, 0
	v_add3_u32 v1, v1, v15, v7
	v_pk_add_f32 v[6:7], v[16:17], 1.0 op_sel_hi:[1,0]
	v_pk_add_f32 v[16:17], v[18:19], 1.0 op_sel_hi:[1,0]
	v_cmp_gt_f32_e32 vcc, s6, v7
	v_cmp_gt_f32_e64 s[2:3], s6, v6
	v_cmp_gt_f32_e64 s[4:5], s6, v17
	v_cndmask_b32_e32 v15, 1.0, v3, vcc
	v_cndmask_b32_e64 v18, 1.0, v3, s[2:3]
	v_mul_f32_e32 v7, v7, v15
	v_mul_f32_e32 v6, v6, v18
	v_log_f32_e32 v7, v7
	v_log_f32_e32 v6, v6
	v_cndmask_b32_e64 v19, 1.0, v3, s[4:5]
	v_cmp_gt_f32_e64 s[6:7], s6, v16
	v_mul_f32_e32 v17, v17, v19
	v_mul_f32_e32 v20, 0x3f317217, v6
	v_cndmask_b32_e64 v3, 1.0, v3, s[6:7]
	v_mul_f32_e32 v3, v16, v3
	v_log_f32_e32 v16, v17
	v_mul_f32_e32 v17, 0x3f317217, v7
	v_fma_f32 v17, v7, s18, -v17
	v_fma_f32 v20, v6, s18, -v20
	v_fmac_f32_e32 v17, 0x3377d1cf, v7
	v_cndmask_b32_e32 v15, 0, v4, vcc
	v_fmac_f32_e32 v20, 0x3377d1cf, v6
	v_fmac_f32_e32 v17, 0x3f317217, v7
	v_cmp_lt_f32_e64 vcc, |v7|, s19
	v_fmac_f32_e32 v20, 0x3f317217, v6
	v_cndmask_b32_e64 v18, 0, v4, s[2:3]
	v_cndmask_b32_e32 v7, v7, v17, vcc
	v_cmp_lt_f32_e64 vcc, |v6|, s19
	v_sub_f32_e32 v7, v7, v15
	v_mul_f32_e32 v21, 0x3f317217, v16
	v_cndmask_b32_e32 v6, v6, v20, vcc
	v_sub_f32_e32 v6, v6, v18
	v_cmp_lt_f32_e32 vcc, s15, v10
	v_fma_f32 v21, v16, s18, -v21
	v_fmac_f32_e32 v21, 0x3377d1cf, v16
	v_cndmask_b32_e32 v6, v6, v10, vcc
	v_cmp_lt_f32_e32 vcc, s15, v11
	v_cmp_gt_f32_e64 s[2:3], s20, v6
	v_cndmask_b32_e64 v19, 0, v4, s[4:5]
	v_cndmask_b32_e32 v7, v7, v11, vcc
	v_mul_f32_e32 v10, 0x4f800000, v7
	v_cmp_gt_f32_e32 vcc, s20, v7
	v_mul_f32_e32 v11, 0x4f800000, v6
	v_cndmask_b32_e64 v6, v6, v11, s[2:3]
	v_cndmask_b32_e32 v7, v7, v10, vcc
	v_sqrt_f32_e32 v10, v7
	v_sqrt_f32_e32 v11, v6
	v_fmac_f32_e32 v21, 0x3f317217, v16
	v_cmp_lt_f32_e64 s[4:5], |v16|, s19
	v_add_u32_e32 v17, 1, v10
	v_add_u32_e32 v18, -1, v11
	v_cndmask_b32_e64 v15, v16, v21, s[4:5]
	v_add_u32_e32 v16, -1, v10
	v_fma_f32 v21, -v16, v10, v7
	v_fma_f32 v23, -v18, v11, v6
	v_cmp_ge_f32_e64 s[4:5], 0, v21
	v_add_u32_e32 v20, 1, v11
	v_fma_f32 v22, -v17, v10, v7
	v_cndmask_b32_e64 v10, v10, v16, s[4:5]
	v_cmp_ge_f32_e64 s[4:5], 0, v23
	v_log_f32_e32 v3, v3
	v_fma_f32 v24, -v20, v11, v6
	v_cndmask_b32_e64 v11, v11, v18, s[4:5]
	v_cmp_lt_f32_e64 s[4:5], 0, v22
	v_cndmask_b32_e64 v4, 0, v4, s[6:7]
	s_nop 0
	v_cndmask_b32_e64 v10, v10, v17, s[4:5]
	v_cmp_lt_f32_e64 s[4:5], 0, v24
	v_mul_f32_e32 v16, 0x37800000, v10
	v_cndmask_b32_e32 v10, v10, v16, vcc
	v_cndmask_b32_e64 v11, v11, v20, s[4:5]
	v_mul_f32_e32 v17, 0x37800000, v11
	v_cmp_class_f32_e32 vcc, v7, v9
	v_cndmask_b32_e64 v16, v11, v17, s[2:3]
	v_cmp_lt_f32_e64 s[2:3], s15, v12
	v_cndmask_b32_e32 v11, v10, v7, vcc
	v_mul_f32_e32 v7, 0x3f317217, v3
	v_fma_f32 v7, v3, s18, -v7
	v_cmp_class_f32_e32 vcc, v6, v9
	v_fmac_f32_e32 v7, 0x3377d1cf, v3
	v_fmac_f32_e32 v7, 0x3f317217, v3
	v_cndmask_b32_e32 v10, v16, v6, vcc
	v_cmp_lt_f32_e64 vcc, |v3|, s19
	v_sub_f32_e32 v6, v15, v19
	s_nop 0
	v_cndmask_b32_e32 v3, v3, v7, vcc
	v_cmp_lt_f32_e32 vcc, s15, v13
	v_sub_f32_e32 v3, v3, v4
	v_cndmask_b32_e64 v3, v3, v12, s[2:3]
	v_cndmask_b32_e32 v6, v6, v13, vcc
	v_mul_f32_e32 v7, 0x4f800000, v6
	v_cmp_gt_f32_e32 vcc, s20, v6
	s_nop 1
	v_cndmask_b32_e32 v6, v6, v7, vcc
	v_sqrt_f32_e32 v7, v6
	s_nop 0
	v_add_u32_e32 v4, -1, v7
	v_fma_f32 v12, -v4, v7, v6
	v_cmp_ge_f32_e64 s[2:3], 0, v12
	v_add_u32_e32 v12, 1, v7
	s_nop 0
	v_cndmask_b32_e64 v4, v7, v4, s[2:3]
	v_fma_f32 v7, -v12, v7, v6
	v_cmp_lt_f32_e64 s[2:3], 0, v7
	s_nop 1
	v_cndmask_b32_e64 v4, v4, v12, s[2:3]
	v_mul_f32_e32 v12, 0x4f800000, v3
	v_cmp_gt_f32_e64 s[2:3], s20, v3
	v_mul_f32_e32 v7, 0x37800000, v4
	v_cndmask_b32_e32 v4, v4, v7, vcc
	v_cndmask_b32_e64 v3, v3, v12, s[2:3]
	v_sqrt_f32_e32 v12, v3
	v_cmp_class_f32_e32 vcc, v6, v9
	s_nop 1
	v_cndmask_b32_e32 v13, v4, v6, vcc
	v_add_u32_e32 v4, -1, v12
	v_fma_f32 v6, -v4, v12, v3
	v_cmp_ge_f32_e32 vcc, 0, v6
	v_add_u32_e32 v6, 1, v12
	v_fma_f32 v7, -v6, v12, v3
	v_cndmask_b32_e32 v4, v12, v4, vcc
	v_cmp_lt_f32_e32 vcc, 0, v7
	s_nop 1
	v_cndmask_b32_e32 v4, v4, v6, vcc
	v_mul_f32_e32 v6, 0x37800000, v4
	v_cndmask_b32_e64 v4, v4, v6, s[2:3]
	v_cmp_class_f32_e32 vcc, v3, v9
	s_nop 1
	v_cndmask_b32_e32 v12, v4, v3, vcc
	s_and_b64 vcc, exec, s[16:17]
	scratch_store_dwordx4 off, v[10:13], off
	s_cbranch_vccnz .LBB132_28
; %bb.2:
	s_load_dwordx2 s[4:5], s[0:1], 0x20
	v_lshl_add_u64 v[6:7], v[0:1], 3, s[10:11]
	s_cmp_lt_u32 s12, 4
	v_and_b32_e32 v4, 1, v8
	s_cbranch_scc1 .LBB132_21
; %bb.3:
	v_lshlrev_b32_e32 v5, 2, v4
	s_mov_b32 s7, 0
	s_and_b32 s14, s12, 0x7ffffffc
	v_ashrrev_i32_e32 v3, 31, v2
	v_sub_u32_e32 v15, 0, v5
	v_mov_b32_e32 v5, 0
	s_mov_b32 s6, s7
	s_branch .LBB132_5
.LBB132_4:                              ;   in Loop: Header=BB132_5 Depth=1
	s_or_b64 exec, exec, s[16:17]
	s_add_i32 s6, s6, 4
	s_cmp_eq_u32 s6, s14
	s_cbranch_scc1 .LBB132_21
.LBB132_5:                              ; =>This Loop Header: Depth=1
                                        ;     Child Loop BB132_7 Depth 2
                                        ;     Child Loop BB132_11 Depth 2
	;; [unrolled: 1-line block ×4, first 2 shown]
	v_lshl_add_u64 v[8:9], s[6:7], 3, v[6:7]
	global_load_dwordx2 v[10:11], v[8:9], off
	v_add_u32_e32 v12, s6, v2
	v_ashrrev_i32_e32 v13, 31, v12
	v_mov_b32_e32 v16, 0
	s_mov_b64 s[16:17], 0
	s_waitcnt lgkmcnt(0)
	v_lshl_add_u64 v[12:13], v[12:13], 3, s[4:5]
	s_mov_b32 s13, 0
	s_waitcnt vmcnt(0)
	v_ashrrev_i32_e32 v11, 31, v10
	v_add_u32_e32 v17, v15, v10
	s_branch .LBB132_7
.LBB132_6:                              ;   in Loop: Header=BB132_7 Depth=2
	s_or_b64 exec, exec, s[18:19]
	s_add_i32 s15, s13, 1
	s_cmp_gt_u32 s13, 2
	s_cselect_b64 s[2:3], -1, 0
	s_xor_b64 s[18:19], vcc, -1
	s_or_b64 s[2:3], s[18:19], s[2:3]
	s_and_b64 s[2:3], exec, s[2:3]
	v_add_u32_e32 v16, 4, v16
	s_or_b64 s[16:17], s[2:3], s[16:17]
	s_mov_b32 s13, s15
	s_andn2_b64 exec, exec, s[16:17]
	s_cbranch_execz .LBB132_9
.LBB132_7:                              ;   Parent Loop BB132_5 Depth=1
                                        ; =>  This Inner Loop Header: Depth=2
	v_cmp_ne_u32_e32 vcc, s13, v17
	v_cmp_eq_u32_e64 s[2:3], s13, v17
	s_and_saveexec_b64 s[18:19], s[2:3]
	s_cbranch_execz .LBB132_6
; %bb.8:                                ;   in Loop: Header=BB132_7 Depth=2
	scratch_load_dword v18, v16, off
	s_waitcnt vmcnt(0)
	v_add_f32_e32 v5, v5, v18
	global_store_dwordx2 v[12:13], v[10:11], off
	s_branch .LBB132_6
.LBB132_9:                              ;   in Loop: Header=BB132_5 Depth=1
	s_or_b64 exec, exec, s[16:17]
	global_load_dwordx2 v[12:13], v[8:9], off offset:8
	s_ashr_i32 s3, s6, 31
	s_mov_b32 s2, s6
	v_lshl_add_u64 v[10:11], s[2:3], 0, v[2:3]
	v_mov_b32_e32 v16, 0
	s_mov_b32 s13, 0
	v_lshl_add_u64 v[10:11], v[10:11], 3, s[4:5]
	s_mov_b64 s[16:17], 0
	s_waitcnt vmcnt(0)
	v_ashrrev_i32_e32 v13, 31, v12
	v_add_u32_e32 v17, v15, v12
	s_branch .LBB132_11
.LBB132_10:                             ;   in Loop: Header=BB132_11 Depth=2
	s_or_b64 exec, exec, s[18:19]
	s_add_i32 s15, s13, 1
	s_cmp_gt_u32 s13, 2
	s_cselect_b64 s[2:3], -1, 0
	s_xor_b64 s[18:19], vcc, -1
	s_or_b64 s[2:3], s[18:19], s[2:3]
	s_and_b64 s[2:3], exec, s[2:3]
	v_add_u32_e32 v16, 4, v16
	s_or_b64 s[16:17], s[2:3], s[16:17]
	s_mov_b32 s13, s15
	s_andn2_b64 exec, exec, s[16:17]
	s_cbranch_execz .LBB132_13
.LBB132_11:                             ;   Parent Loop BB132_5 Depth=1
                                        ; =>  This Inner Loop Header: Depth=2
	v_cmp_ne_u32_e32 vcc, s13, v17
	v_cmp_eq_u32_e64 s[2:3], s13, v17
	s_and_saveexec_b64 s[18:19], s[2:3]
	s_cbranch_execz .LBB132_10
; %bb.12:                               ;   in Loop: Header=BB132_11 Depth=2
	scratch_load_dword v18, v16, off
	s_waitcnt vmcnt(0)
	v_add_f32_e32 v5, v5, v18
	global_store_dwordx2 v[10:11], v[12:13], off offset:8
	s_branch .LBB132_10
.LBB132_13:                             ;   in Loop: Header=BB132_5 Depth=1
	s_or_b64 exec, exec, s[16:17]
	global_load_dwordx2 v[12:13], v[8:9], off offset:16
	v_mov_b32_e32 v16, 0
	s_mov_b32 s13, 0
	s_mov_b64 s[16:17], 0
	s_waitcnt vmcnt(0)
	v_ashrrev_i32_e32 v13, 31, v12
	v_add_u32_e32 v17, v15, v12
	s_branch .LBB132_15
.LBB132_14:                             ;   in Loop: Header=BB132_15 Depth=2
	s_or_b64 exec, exec, s[18:19]
	s_add_i32 s15, s13, 1
	s_cmp_gt_u32 s13, 2
	s_cselect_b64 s[2:3], -1, 0
	s_xor_b64 s[18:19], vcc, -1
	s_or_b64 s[2:3], s[18:19], s[2:3]
	s_and_b64 s[2:3], exec, s[2:3]
	v_add_u32_e32 v16, 4, v16
	s_or_b64 s[16:17], s[2:3], s[16:17]
	s_mov_b32 s13, s15
	s_andn2_b64 exec, exec, s[16:17]
	s_cbranch_execz .LBB132_17
.LBB132_15:                             ;   Parent Loop BB132_5 Depth=1
                                        ; =>  This Inner Loop Header: Depth=2
	v_cmp_ne_u32_e32 vcc, s13, v17
	v_cmp_eq_u32_e64 s[2:3], s13, v17
	s_and_saveexec_b64 s[18:19], s[2:3]
	s_cbranch_execz .LBB132_14
; %bb.16:                               ;   in Loop: Header=BB132_15 Depth=2
	scratch_load_dword v18, v16, off
	s_waitcnt vmcnt(0)
	v_add_f32_e32 v5, v5, v18
	global_store_dwordx2 v[10:11], v[12:13], off offset:16
	s_branch .LBB132_14
.LBB132_17:                             ;   in Loop: Header=BB132_5 Depth=1
	s_or_b64 exec, exec, s[16:17]
	global_load_dwordx2 v[8:9], v[8:9], off offset:24
	v_mov_b32_e32 v12, 0
	s_mov_b32 s13, 0
	s_mov_b64 s[16:17], 0
	s_waitcnt vmcnt(0)
	v_ashrrev_i32_e32 v9, 31, v8
	v_add_u32_e32 v13, v15, v8
	s_branch .LBB132_19
.LBB132_18:                             ;   in Loop: Header=BB132_19 Depth=2
	s_or_b64 exec, exec, s[18:19]
	s_add_i32 s15, s13, 1
	s_cmp_gt_u32 s13, 2
	s_cselect_b64 s[2:3], -1, 0
	s_xor_b64 s[18:19], vcc, -1
	s_or_b64 s[2:3], s[18:19], s[2:3]
	s_and_b64 s[2:3], exec, s[2:3]
	v_add_u32_e32 v12, 4, v12
	s_or_b64 s[16:17], s[2:3], s[16:17]
	s_mov_b32 s13, s15
	s_andn2_b64 exec, exec, s[16:17]
	s_cbranch_execz .LBB132_4
.LBB132_19:                             ;   Parent Loop BB132_5 Depth=1
                                        ; =>  This Inner Loop Header: Depth=2
	v_cmp_ne_u32_e32 vcc, s13, v13
	v_cmp_eq_u32_e64 s[2:3], s13, v13
	s_and_saveexec_b64 s[18:19], s[2:3]
	s_cbranch_execz .LBB132_18
; %bb.20:                               ;   in Loop: Header=BB132_19 Depth=2
	scratch_load_dword v16, v12, off
	s_waitcnt vmcnt(0)
	v_add_f32_e32 v5, v5, v16
	global_store_dwordx2 v[10:11], v[8:9], off offset:24
	s_branch .LBB132_18
.LBB132_21:
	s_and_b32 s13, s12, 3
	s_cmp_eq_u32 s13, 0
	s_mov_b32 s15, 0
	s_cbranch_scc1 .LBB132_28
; %bb.22:
	v_lshlrev_b32_e32 v3, 2, v4
	v_sub_u32_e32 v3, 0, v3
	s_mov_b32 s18, s15
	s_branch .LBB132_24
.LBB132_23:                             ;   in Loop: Header=BB132_24 Depth=1
	s_or_b64 exec, exec, s[6:7]
	s_add_i32 s14, s14, 1
	s_add_i32 s18, s18, 1
	s_cmp_lg_u32 s18, s13
	s_cbranch_scc0 .LBB132_28
.LBB132_24:                             ; =>This Loop Header: Depth=1
                                        ;     Child Loop BB132_26 Depth 2
	v_lshl_add_u64 v[8:9], s[14:15], 3, v[6:7]
	global_load_dwordx2 v[8:9], v[8:9], off
	v_add_u32_e32 v10, s14, v2
	v_ashrrev_i32_e32 v11, 31, v10
	v_mov_b32_e32 v4, 0
	s_mov_b32 s19, 0
	s_waitcnt lgkmcnt(0)
	v_lshl_add_u64 v[10:11], v[10:11], 3, s[4:5]
	s_mov_b64 s[6:7], 0
	s_waitcnt vmcnt(0)
	v_ashrrev_i32_e32 v9, 31, v8
	v_add_u32_e32 v12, v3, v8
	s_branch .LBB132_26
.LBB132_25:                             ;   in Loop: Header=BB132_26 Depth=2
	s_or_b64 exec, exec, s[16:17]
	s_add_i32 s20, s19, 1
	s_cmp_gt_u32 s19, 2
	s_cselect_b64 s[2:3], -1, 0
	s_xor_b64 s[16:17], vcc, -1
	s_or_b64 s[2:3], s[16:17], s[2:3]
	s_and_b64 s[2:3], exec, s[2:3]
	v_add_u32_e32 v4, 4, v4
	s_or_b64 s[6:7], s[2:3], s[6:7]
	s_mov_b32 s19, s20
	s_andn2_b64 exec, exec, s[6:7]
	s_cbranch_execz .LBB132_23
.LBB132_26:                             ;   Parent Loop BB132_24 Depth=1
                                        ; =>  This Inner Loop Header: Depth=2
	v_cmp_ne_u32_e32 vcc, s19, v12
	v_cmp_eq_u32_e64 s[2:3], s19, v12
	s_and_saveexec_b64 s[16:17], s[2:3]
	s_cbranch_execz .LBB132_25
; %bb.27:                               ;   in Loop: Header=BB132_26 Depth=2
	scratch_load_dword v13, v4, off
	s_waitcnt vmcnt(0)
	v_add_f32_e32 v5, v5, v13
	global_store_dwordx2 v[10:11], v[8:9], off
	s_branch .LBB132_25
.LBB132_28:
	s_waitcnt lgkmcnt(0)
	s_load_dword s4, s[0:1], 0x3c
	s_waitcnt lgkmcnt(0)
	s_bitcmp1_b32 s4, 0
	s_cselect_b64 s[2:3], -1, 0
	s_bitcmp0_b32 s4, 0
	s_cbranch_scc0 .LBB132_31
; %bb.29:
	s_load_dwordx2 s[4:5], s[0:1], 0x40
	s_andn2_b64 vcc, exec, s[2:3]
	s_waitcnt lgkmcnt(0)
	v_cvt_f32_f64_e32 v8, s[4:5]
	s_cbranch_vccz .LBB132_32
.LBB132_30:
	s_andn2_b64 vcc, exec, s[8:9]
	s_cbranch_vccz .LBB132_33
	s_branch .LBB132_79
.LBB132_31:
	v_mbcnt_lo_u32_b32 v3, -1, 0
	v_mbcnt_hi_u32_b32 v3, -1, v3
	v_and_b32_e32 v6, 0x7e, v3
	v_xor_b32_e32 v4, 1, v3
	v_add_u32_e32 v6, 2, v6
	v_cmp_lt_i32_e32 vcc, v4, v6
	s_nop 1
	v_cndmask_b32_e32 v3, v3, v4, vcc
	v_lshlrev_b32_e32 v3, 2, v3
	ds_bpermute_b32 v3, v3, v5
	s_waitcnt lgkmcnt(0)
	v_add_f32_e32 v5, v5, v3
	s_load_dwordx2 s[4:5], s[0:1], 0x40
	s_andn2_b64 vcc, exec, s[2:3]
	s_waitcnt lgkmcnt(0)
	v_cvt_f32_f64_e32 v8, s[4:5]
	s_cbranch_vccnz .LBB132_30
.LBB132_32:
	v_cmp_lt_f32_e32 vcc, 0, v5
	s_nop 1
	v_cndmask_b32_e32 v3, 1.0, v5, vcc
	v_div_scale_f32 v4, s[2:3], v3, v3, v8
	v_rcp_f32_e32 v5, v4
	s_nop 0
	v_fma_f32 v6, -v4, v5, 1.0
	v_fmac_f32_e32 v5, v6, v5
	v_div_scale_f32 v6, vcc, v8, v3, v8
	v_mul_f32_e32 v7, v6, v5
	v_fma_f32 v9, -v4, v7, v6
	v_fmac_f32_e32 v7, v9, v5
	v_fma_f32 v4, -v4, v7, v6
	v_div_fmas_f32 v4, v4, v5, v7
	v_div_fixup_f32 v8, v4, v3, v8
	s_andn2_b64 vcc, exec, s[8:9]
	s_cbranch_vccnz .LBB132_79
.LBB132_33:
	s_load_dwordx2 s[4:5], s[0:1], 0x10
	v_mov_b32_e32 v3, 0
	v_or_b32_e32 v9, 4, v3
	v_or_b32_e32 v10, 8, v3
	;; [unrolled: 1-line block ×6, first 2 shown]
	s_cmp_lt_u32 s12, 4
	s_mov_b32 s6, 0
	s_cbranch_scc1 .LBB132_68
; %bb.34:
	v_ashrrev_i32_e32 v3, 31, v2
	s_waitcnt lgkmcnt(0)
	v_lshl_add_u64 v[4:5], v[2:3], 2, s[4:5]
	v_lshl_add_u64 v[6:7], v[0:1], 3, s[10:11]
	s_and_b32 s6, s12, 0x7ffffffc
	v_lshl_add_u64 v[4:5], v[4:5], 0, 12
	v_lshl_add_u64 v[6:7], v[6:7], 0, 16
	s_mov_b32 s7, 0
	s_branch .LBB132_36
.LBB132_35:                             ;   in Loop: Header=BB132_36 Depth=1
	s_or_b64 exec, exec, s[2:3]
	s_add_i32 s7, s7, 4
	v_lshl_add_u64 v[4:5], v[4:5], 0, 16
	s_cmp_eq_u32 s6, s7
	v_lshl_add_u64 v[6:7], v[6:7], 0, 32
	s_cbranch_scc1 .LBB132_68
.LBB132_36:                             ; =>This Inner Loop Header: Depth=1
	global_load_dword v16, v[6:7], off offset:-16
	v_mov_b32_e32 v3, 0
	s_waitcnt vmcnt(0)
	v_cmp_eq_u32_e32 vcc, v14, v16
	v_cmp_ne_u32_e64 s[0:1], v14, v16
	s_and_saveexec_b64 s[8:9], s[0:1]
	s_cbranch_execz .LBB132_42
; %bb.37:                               ;   in Loop: Header=BB132_36 Depth=1
	v_cmp_eq_u32_e64 s[0:1], v12, v16
	v_cmp_ne_u32_e64 s[2:3], v12, v16
	v_mov_b32_e32 v3, v9
	s_and_saveexec_b64 s[14:15], s[2:3]
	s_cbranch_execz .LBB132_41
; %bb.38:                               ;   in Loop: Header=BB132_36 Depth=1
	v_cmp_eq_u32_e64 s[16:17], v13, v16
	v_cmp_ne_u32_e64 s[2:3], v13, v16
	v_mov_b32_e32 v3, v10
	s_and_saveexec_b64 s[18:19], s[2:3]
	s_xor_b64 s[18:19], exec, s[18:19]
; %bb.39:                               ;   in Loop: Header=BB132_36 Depth=1
	v_cmp_eq_u32_e64 s[2:3], v15, v16
	s_andn2_b64 s[16:17], s[16:17], exec
	s_and_b64 s[2:3], s[2:3], exec
	s_or_b64 s[16:17], s[16:17], s[2:3]
	v_mov_b32_e32 v3, v11
; %bb.40:                               ;   in Loop: Header=BB132_36 Depth=1
	s_or_b64 exec, exec, s[18:19]
	s_andn2_b64 s[0:1], s[0:1], exec
	s_and_b64 s[2:3], s[16:17], exec
	s_or_b64 s[0:1], s[0:1], s[2:3]
.LBB132_41:                             ;   in Loop: Header=BB132_36 Depth=1
	s_or_b64 exec, exec, s[14:15]
	s_andn2_b64 s[2:3], vcc, exec
	s_and_b64 s[0:1], s[0:1], exec
	s_or_b64 vcc, s[2:3], s[0:1]
.LBB132_42:                             ;   in Loop: Header=BB132_36 Depth=1
	s_or_b64 exec, exec, s[8:9]
	s_and_saveexec_b64 s[0:1], vcc
	s_cbranch_execz .LBB132_44
; %bb.43:                               ;   in Loop: Header=BB132_36 Depth=1
	scratch_load_dword v3, v3, off
	v_add_u32_e32 v16, s7, v2
	v_ashrrev_i32_e32 v17, 31, v16
	v_lshl_add_u64 v[16:17], v[16:17], 2, s[4:5]
	s_waitcnt vmcnt(0)
	v_mul_f32_e32 v3, v8, v3
	global_store_dword v[16:17], v3, off
.LBB132_44:                             ;   in Loop: Header=BB132_36 Depth=1
	s_or_b64 exec, exec, s[0:1]
	global_load_dword v16, v[6:7], off offset:-8
	v_mov_b32_e32 v3, 0
	s_waitcnt vmcnt(0)
	v_cmp_eq_u32_e64 s[0:1], v14, v16
	v_cmp_ne_u32_e32 vcc, v14, v16
	s_and_saveexec_b64 s[2:3], vcc
	s_cbranch_execz .LBB132_50
; %bb.45:                               ;   in Loop: Header=BB132_36 Depth=1
	v_cmp_eq_u32_e64 s[8:9], v12, v16
	v_cmp_ne_u32_e32 vcc, v12, v16
	v_mov_b32_e32 v3, v9
	s_and_saveexec_b64 s[14:15], vcc
	s_cbranch_execz .LBB132_49
; %bb.46:                               ;   in Loop: Header=BB132_36 Depth=1
	v_cmp_eq_u32_e64 s[16:17], v13, v16
	v_cmp_ne_u32_e32 vcc, v13, v16
	v_mov_b32_e32 v3, v10
	s_and_saveexec_b64 s[18:19], vcc
; %bb.47:                               ;   in Loop: Header=BB132_36 Depth=1
	v_cmp_eq_u32_e32 vcc, v15, v16
	s_andn2_b64 s[16:17], s[16:17], exec
	s_and_b64 s[20:21], vcc, exec
	s_or_b64 s[16:17], s[16:17], s[20:21]
	v_mov_b32_e32 v3, v11
; %bb.48:                               ;   in Loop: Header=BB132_36 Depth=1
	s_or_b64 exec, exec, s[18:19]
	s_andn2_b64 s[8:9], s[8:9], exec
	s_and_b64 s[16:17], s[16:17], exec
	s_or_b64 s[8:9], s[8:9], s[16:17]
.LBB132_49:                             ;   in Loop: Header=BB132_36 Depth=1
	s_or_b64 exec, exec, s[14:15]
	s_andn2_b64 s[0:1], s[0:1], exec
	s_and_b64 s[8:9], s[8:9], exec
	s_or_b64 s[0:1], s[0:1], s[8:9]
.LBB132_50:                             ;   in Loop: Header=BB132_36 Depth=1
	s_or_b64 exec, exec, s[2:3]
	s_and_saveexec_b64 s[2:3], s[0:1]
	s_cbranch_execz .LBB132_52
; %bb.51:                               ;   in Loop: Header=BB132_36 Depth=1
	scratch_load_dword v3, v3, off
	s_waitcnt vmcnt(0)
	v_mul_f32_e32 v3, v8, v3
	global_store_dword v[4:5], v3, off offset:-8
.LBB132_52:                             ;   in Loop: Header=BB132_36 Depth=1
	s_or_b64 exec, exec, s[2:3]
	global_load_dword v16, v[6:7], off
	v_mov_b32_e32 v3, 0
	s_waitcnt vmcnt(0)
	v_cmp_eq_u32_e64 s[0:1], v14, v16
	v_cmp_ne_u32_e32 vcc, v14, v16
	s_and_saveexec_b64 s[2:3], vcc
	s_cbranch_execz .LBB132_58
; %bb.53:                               ;   in Loop: Header=BB132_36 Depth=1
	v_cmp_eq_u32_e64 s[8:9], v12, v16
	v_cmp_ne_u32_e32 vcc, v12, v16
	v_mov_b32_e32 v3, v9
	s_and_saveexec_b64 s[14:15], vcc
	s_cbranch_execz .LBB132_57
; %bb.54:                               ;   in Loop: Header=BB132_36 Depth=1
	v_cmp_eq_u32_e64 s[16:17], v13, v16
	v_cmp_ne_u32_e32 vcc, v13, v16
	v_mov_b32_e32 v3, v10
	s_and_saveexec_b64 s[18:19], vcc
; %bb.55:                               ;   in Loop: Header=BB132_36 Depth=1
	v_cmp_eq_u32_e32 vcc, v15, v16
	s_andn2_b64 s[16:17], s[16:17], exec
	s_and_b64 s[20:21], vcc, exec
	s_or_b64 s[16:17], s[16:17], s[20:21]
	v_mov_b32_e32 v3, v11
; %bb.56:                               ;   in Loop: Header=BB132_36 Depth=1
	s_or_b64 exec, exec, s[18:19]
	s_andn2_b64 s[8:9], s[8:9], exec
	s_and_b64 s[16:17], s[16:17], exec
	s_or_b64 s[8:9], s[8:9], s[16:17]
.LBB132_57:                             ;   in Loop: Header=BB132_36 Depth=1
	s_or_b64 exec, exec, s[14:15]
	s_andn2_b64 s[0:1], s[0:1], exec
	s_and_b64 s[8:9], s[8:9], exec
	s_or_b64 s[0:1], s[0:1], s[8:9]
.LBB132_58:                             ;   in Loop: Header=BB132_36 Depth=1
	s_or_b64 exec, exec, s[2:3]
	s_and_saveexec_b64 s[2:3], s[0:1]
	s_cbranch_execz .LBB132_60
; %bb.59:                               ;   in Loop: Header=BB132_36 Depth=1
	scratch_load_dword v3, v3, off
	s_waitcnt vmcnt(0)
	v_mul_f32_e32 v3, v8, v3
	global_store_dword v[4:5], v3, off offset:-4
.LBB132_60:                             ;   in Loop: Header=BB132_36 Depth=1
	s_or_b64 exec, exec, s[2:3]
	global_load_dword v16, v[6:7], off offset:8
	v_mov_b32_e32 v3, 0
	s_waitcnt vmcnt(0)
	v_cmp_eq_u32_e64 s[0:1], v14, v16
	v_cmp_ne_u32_e32 vcc, v14, v16
	s_and_saveexec_b64 s[2:3], vcc
	s_cbranch_execz .LBB132_66
; %bb.61:                               ;   in Loop: Header=BB132_36 Depth=1
	v_cmp_eq_u32_e64 s[8:9], v12, v16
	v_cmp_ne_u32_e32 vcc, v12, v16
	v_mov_b32_e32 v3, v9
	s_and_saveexec_b64 s[14:15], vcc
	s_cbranch_execz .LBB132_65
; %bb.62:                               ;   in Loop: Header=BB132_36 Depth=1
	v_cmp_eq_u32_e64 s[16:17], v13, v16
	v_cmp_ne_u32_e32 vcc, v13, v16
	v_mov_b32_e32 v3, v10
	s_and_saveexec_b64 s[18:19], vcc
; %bb.63:                               ;   in Loop: Header=BB132_36 Depth=1
	v_cmp_eq_u32_e32 vcc, v15, v16
	s_andn2_b64 s[16:17], s[16:17], exec
	s_and_b64 s[20:21], vcc, exec
	s_or_b64 s[16:17], s[16:17], s[20:21]
	v_mov_b32_e32 v3, v11
; %bb.64:                               ;   in Loop: Header=BB132_36 Depth=1
	s_or_b64 exec, exec, s[18:19]
	s_andn2_b64 s[8:9], s[8:9], exec
	s_and_b64 s[16:17], s[16:17], exec
	s_or_b64 s[8:9], s[8:9], s[16:17]
.LBB132_65:                             ;   in Loop: Header=BB132_36 Depth=1
	s_or_b64 exec, exec, s[14:15]
	s_andn2_b64 s[0:1], s[0:1], exec
	s_and_b64 s[8:9], s[8:9], exec
	s_or_b64 s[0:1], s[0:1], s[8:9]
.LBB132_66:                             ;   in Loop: Header=BB132_36 Depth=1
	s_or_b64 exec, exec, s[2:3]
	s_and_saveexec_b64 s[2:3], s[0:1]
	s_cbranch_execz .LBB132_35
; %bb.67:                               ;   in Loop: Header=BB132_36 Depth=1
	scratch_load_dword v3, v3, off
	s_waitcnt vmcnt(0)
	v_mul_f32_e32 v3, v8, v3
	global_store_dword v[4:5], v3, off
	s_branch .LBB132_35
.LBB132_68:
	s_and_b32 s14, s12, 3
	s_cmp_eq_u32 s14, 0
	s_mov_b32 s7, 0
	s_cbranch_scc1 .LBB132_79
; %bb.69:
	s_lshl_b64 s[0:1], s[6:7], 3
	s_add_u32 s0, s10, s0
	s_addc_u32 s1, s11, s1
	v_add_u32_e32 v2, s6, v2
	v_lshl_add_u64 v[0:1], v[0:1], 3, s[0:1]
	s_branch .LBB132_71
.LBB132_70:                             ;   in Loop: Header=BB132_71 Depth=1
	s_or_b64 exec, exec, s[2:3]
	s_add_i32 s14, s14, -1
	v_add_u32_e32 v2, 1, v2
	s_cmp_lg_u32 s14, 0
	v_lshl_add_u64 v[0:1], v[0:1], 0, 8
	s_cbranch_scc0 .LBB132_79
.LBB132_71:                             ; =>This Inner Loop Header: Depth=1
	global_load_dword v4, v[0:1], off
	v_mov_b32_e32 v3, 0
	s_waitcnt vmcnt(0)
	v_cmp_eq_u32_e64 s[0:1], v14, v4
	v_cmp_ne_u32_e32 vcc, v14, v4
	s_and_saveexec_b64 s[2:3], vcc
	s_cbranch_execz .LBB132_77
; %bb.72:                               ;   in Loop: Header=BB132_71 Depth=1
	v_cmp_eq_u32_e64 s[6:7], v12, v4
	v_cmp_ne_u32_e32 vcc, v12, v4
	v_mov_b32_e32 v3, v9
	s_and_saveexec_b64 s[8:9], vcc
	s_cbranch_execz .LBB132_76
; %bb.73:                               ;   in Loop: Header=BB132_71 Depth=1
	v_cmp_eq_u32_e64 s[10:11], v13, v4
	v_cmp_ne_u32_e32 vcc, v13, v4
	v_mov_b32_e32 v3, v10
	s_and_saveexec_b64 s[12:13], vcc
; %bb.74:                               ;   in Loop: Header=BB132_71 Depth=1
	v_cmp_eq_u32_e32 vcc, v15, v4
	s_andn2_b64 s[10:11], s[10:11], exec
	s_and_b64 s[16:17], vcc, exec
	s_or_b64 s[10:11], s[10:11], s[16:17]
	v_mov_b32_e32 v3, v11
; %bb.75:                               ;   in Loop: Header=BB132_71 Depth=1
	s_or_b64 exec, exec, s[12:13]
	s_andn2_b64 s[6:7], s[6:7], exec
	s_and_b64 s[10:11], s[10:11], exec
	s_or_b64 s[6:7], s[6:7], s[10:11]
.LBB132_76:                             ;   in Loop: Header=BB132_71 Depth=1
	s_or_b64 exec, exec, s[8:9]
	s_andn2_b64 s[0:1], s[0:1], exec
	s_and_b64 s[6:7], s[6:7], exec
	s_or_b64 s[0:1], s[0:1], s[6:7]
.LBB132_77:                             ;   in Loop: Header=BB132_71 Depth=1
	s_or_b64 exec, exec, s[2:3]
	s_and_saveexec_b64 s[2:3], s[0:1]
	s_cbranch_execz .LBB132_70
; %bb.78:                               ;   in Loop: Header=BB132_71 Depth=1
	scratch_load_dword v4, v3, off
	v_ashrrev_i32_e32 v3, 31, v2
	s_waitcnt vmcnt(0)
	v_mul_f32_e32 v6, v8, v4
	s_waitcnt lgkmcnt(0)
	v_lshl_add_u64 v[4:5], v[2:3], 2, s[4:5]
	global_store_dword v[4:5], v6, off
	s_branch .LBB132_70
.LBB132_79:
	s_endpgm
	.section	.rodata,"a",@progbits
	.p2align	6, 0x0
	.amdhsa_kernel _ZN4vllm3moe22topkGatingSoftplusSqrtILi4ELi8ELi4ELi16ELi64ELb1ElfEEvPKT6_PKbPfiPT5_PiiiibdPKfPKS8_SE_
		.amdhsa_group_segment_fixed_size 0
		.amdhsa_private_segment_fixed_size 32
		.amdhsa_kernarg_size 96
		.amdhsa_user_sgpr_count 2
		.amdhsa_user_sgpr_dispatch_ptr 0
		.amdhsa_user_sgpr_queue_ptr 0
		.amdhsa_user_sgpr_kernarg_segment_ptr 1
		.amdhsa_user_sgpr_dispatch_id 0
		.amdhsa_user_sgpr_kernarg_preload_length 0
		.amdhsa_user_sgpr_kernarg_preload_offset 0
		.amdhsa_user_sgpr_private_segment_size 0
		.amdhsa_uses_dynamic_stack 0
		.amdhsa_enable_private_segment 1
		.amdhsa_system_sgpr_workgroup_id_x 1
		.amdhsa_system_sgpr_workgroup_id_y 0
		.amdhsa_system_sgpr_workgroup_id_z 0
		.amdhsa_system_sgpr_workgroup_info 0
		.amdhsa_system_vgpr_workitem_id 1
		.amdhsa_next_free_vgpr 25
		.amdhsa_next_free_sgpr 22
		.amdhsa_accum_offset 28
		.amdhsa_reserve_vcc 1
		.amdhsa_float_round_mode_32 0
		.amdhsa_float_round_mode_16_64 0
		.amdhsa_float_denorm_mode_32 3
		.amdhsa_float_denorm_mode_16_64 3
		.amdhsa_dx10_clamp 1
		.amdhsa_ieee_mode 1
		.amdhsa_fp16_overflow 0
		.amdhsa_tg_split 0
		.amdhsa_exception_fp_ieee_invalid_op 0
		.amdhsa_exception_fp_denorm_src 0
		.amdhsa_exception_fp_ieee_div_zero 0
		.amdhsa_exception_fp_ieee_overflow 0
		.amdhsa_exception_fp_ieee_underflow 0
		.amdhsa_exception_fp_ieee_inexact 0
		.amdhsa_exception_int_div_zero 0
	.end_amdhsa_kernel
	.section	.text._ZN4vllm3moe22topkGatingSoftplusSqrtILi4ELi8ELi4ELi16ELi64ELb1ElfEEvPKT6_PKbPfiPT5_PiiiibdPKfPKS8_SE_,"axG",@progbits,_ZN4vllm3moe22topkGatingSoftplusSqrtILi4ELi8ELi4ELi16ELi64ELb1ElfEEvPKT6_PKbPfiPT5_PiiiibdPKfPKS8_SE_,comdat
.Lfunc_end132:
	.size	_ZN4vllm3moe22topkGatingSoftplusSqrtILi4ELi8ELi4ELi16ELi64ELb1ElfEEvPKT6_PKbPfiPT5_PiiiibdPKfPKS8_SE_, .Lfunc_end132-_ZN4vllm3moe22topkGatingSoftplusSqrtILi4ELi8ELi4ELi16ELi64ELb1ElfEEvPKT6_PKbPfiPT5_PiiiibdPKfPKS8_SE_
                                        ; -- End function
	.section	.AMDGPU.csdata,"",@progbits
; Kernel info:
; codeLenInByte = 3416
; NumSgprs: 28
; NumVgprs: 25
; NumAgprs: 0
; TotalNumVgprs: 25
; ScratchSize: 32
; MemoryBound: 0
; FloatMode: 240
; IeeeMode: 1
; LDSByteSize: 0 bytes/workgroup (compile time only)
; SGPRBlocks: 3
; VGPRBlocks: 3
; NumSGPRsForWavesPerEU: 28
; NumVGPRsForWavesPerEU: 25
; AccumOffset: 28
; Occupancy: 8
; WaveLimiterHint : 1
; COMPUTE_PGM_RSRC2:SCRATCH_EN: 1
; COMPUTE_PGM_RSRC2:USER_SGPR: 2
; COMPUTE_PGM_RSRC2:TRAP_HANDLER: 0
; COMPUTE_PGM_RSRC2:TGID_X_EN: 1
; COMPUTE_PGM_RSRC2:TGID_Y_EN: 0
; COMPUTE_PGM_RSRC2:TGID_Z_EN: 0
; COMPUTE_PGM_RSRC2:TIDIG_COMP_CNT: 1
; COMPUTE_PGM_RSRC3_GFX90A:ACCUM_OFFSET: 6
; COMPUTE_PGM_RSRC3_GFX90A:TG_SPLIT: 0
	.section	.text._ZN4vllm3moe22topkGatingSoftplusSqrtILi4ELi8ELi4ELi16ELi64ELb0ElfEEvPKT6_PKbPfiPT5_PiiiibdPKfPKS8_SE_,"axG",@progbits,_ZN4vllm3moe22topkGatingSoftplusSqrtILi4ELi8ELi4ELi16ELi64ELb0ElfEEvPKT6_PKbPfiPT5_PiiiibdPKfPKS8_SE_,comdat
	.protected	_ZN4vllm3moe22topkGatingSoftplusSqrtILi4ELi8ELi4ELi16ELi64ELb0ElfEEvPKT6_PKbPfiPT5_PiiiibdPKfPKS8_SE_ ; -- Begin function _ZN4vllm3moe22topkGatingSoftplusSqrtILi4ELi8ELi4ELi16ELi64ELb0ElfEEvPKT6_PKbPfiPT5_PiiiibdPKfPKS8_SE_
	.globl	_ZN4vllm3moe22topkGatingSoftplusSqrtILi4ELi8ELi4ELi16ELi64ELb0ElfEEvPKT6_PKbPfiPT5_PiiiibdPKfPKS8_SE_
	.p2align	8
	.type	_ZN4vllm3moe22topkGatingSoftplusSqrtILi4ELi8ELi4ELi16ELi64ELb0ElfEEvPKT6_PKbPfiPT5_PiiiibdPKfPKS8_SE_,@function
_ZN4vllm3moe22topkGatingSoftplusSqrtILi4ELi8ELi4ELi16ELi64ELb0ElfEEvPKT6_PKbPfiPT5_PiiiibdPKfPKS8_SE_: ; @_ZN4vllm3moe22topkGatingSoftplusSqrtILi4ELi8ELi4ELi16ELi64ELb0ElfEEvPKT6_PKbPfiPT5_PiiiibdPKfPKS8_SE_
; %bb.0:
	s_load_dword s30, s[2:3], 0x18
	v_and_b32_e32 v1, 0x3ff, v0
	v_bfe_u32 v4, v0, 10, 10
	s_lshl_b32 s4, s4, 7
	v_lshlrev_b32_e32 v2, 5, v4
	v_lshrrev_b32_e32 v3, 1, v1
	v_add3_u32 v2, s4, v2, v3
	s_waitcnt lgkmcnt(0)
	v_cmp_gt_i32_e32 vcc, s30, v2
	s_and_saveexec_b64 s[4:5], vcc
	s_cbranch_execz .LBB133_39
; %bb.1:
	s_load_dwordx4 s[4:7], s[2:3], 0x0
	s_load_dwordx2 s[20:21], s[2:3], 0x10
	s_waitcnt lgkmcnt(0)
	s_cmp_eq_u64 s[6:7], 0
	s_cbranch_scc1 .LBB133_3
; %bb.2:
	v_ashrrev_i32_e32 v3, 31, v2
	v_lshl_add_u64 v[6:7], s[6:7], 0, v[2:3]
	global_load_ubyte v3, v[6:7], off
	s_waitcnt vmcnt(0)
	v_and_b32_e32 v3, 1, v3
	v_cmp_eq_u32_e32 vcc, 1, v3
	s_xor_b64 s[6:7], vcc, -1
	s_orn2_b64 s[22:23], s[6:7], exec
	s_branch .LBB133_4
.LBB133_3:
	s_mov_b64 s[22:23], -1
.LBB133_4:
	v_lshlrev_b32_e32 v8, 3, v2
	v_mov_b32_e32 v6, s4
	v_mov_b32_e32 v7, s5
	v_ashrrev_i32_e32 v9, 31, v8
	v_and_b32_e32 v3, 1, v1
	v_lshl_add_u64 v[6:7], v[8:9], 2, v[6:7]
	v_mov_b32_e32 v9, 0
	v_lshlrev_b32_e32 v8, 4, v3
	v_lshl_add_u64 v[6:7], v[6:7], 0, v[8:9]
	global_load_dwordx4 v[6:9], v[6:7], off
	s_load_dwordx2 s[4:5], s[0:1], 0x4
	s_load_dwordx4 s[8:11], s[2:3], 0x40
	v_bfe_u32 v0, v0, 20, 10
	s_mov_b32 s16, 0x800000
	s_mov_b32 s13, 0x3f317217
	s_waitcnt lgkmcnt(0)
	s_lshr_b32 s0, s4, 16
	s_mul_i32 s0, s0, s5
	v_mul_lo_u32 v1, s0, v1
	v_mad_u32_u24 v1, v4, s5, v1
	v_add_lshl_u32 v4, v1, v0, 4
	s_mov_b32 s14, 0x7f800000
	s_mov_b32 s12, 0x41a00000
	;; [unrolled: 1-line block ×3, first 2 shown]
	s_cmp_lg_u64 s[10:11], 0
	v_mov_b32_e32 v1, 0x260
	s_cselect_b64 s[6:7], -1, 0
	s_and_b64 s[0:1], exec, s[6:7]
	s_waitcnt vmcnt(0)
	ds_write_b128 v4, v[6:9]
	ds_read_b32 v8, v4
	v_mov_b32_e32 v6, 0x4f800000
	v_mov_b32_e32 v7, 0x41b17218
	s_waitcnt lgkmcnt(0)
	v_mul_f32_e32 v0, 0x3fb8aa3b, v8
	v_exp_f32_e32 v0, v0
	s_nop 0
	v_add_f32_e32 v0, 1.0, v0
	v_cmp_gt_f32_e32 vcc, s16, v0
	s_nop 1
	v_cndmask_b32_e32 v5, 1.0, v6, vcc
	v_mul_f32_e32 v0, v0, v5
	v_log_f32_e32 v9, v0
	v_cndmask_b32_e32 v10, 0, v7, vcc
	v_lshlrev_b32_e32 v5, 2, v3
	v_lshlrev_b32_e32 v0, 2, v5
	v_mul_f32_e32 v11, 0x3f317217, v9
	v_fma_f32 v11, v9, s13, -v11
	v_fmac_f32_e32 v11, 0x3377d1cf, v9
	v_fmac_f32_e32 v11, 0x3f317217, v9
	v_cmp_lt_f32_e64 vcc, |v9|, s14
	s_nop 1
	v_cndmask_b32_e32 v9, v9, v11, vcc
	v_sub_f32_e32 v9, v9, v10
	v_cmp_lt_f32_e32 vcc, s12, v8
	s_nop 1
	v_cndmask_b32_e32 v8, v9, v8, vcc
	v_mul_f32_e32 v9, 0x4f800000, v8
	v_cmp_gt_f32_e32 vcc, s15, v8
	s_nop 1
	v_cndmask_b32_e32 v8, v8, v9, vcc
	v_sqrt_f32_e32 v9, v8
	s_nop 0
	v_add_u32_e32 v10, -1, v9
	v_add_u32_e32 v11, 1, v9
	v_fma_f32 v12, -v10, v9, v8
	v_fma_f32 v13, -v11, v9, v8
	v_cmp_ge_f32_e64 s[4:5], 0, v12
	s_nop 1
	v_cndmask_b32_e64 v9, v9, v10, s[4:5]
	v_cmp_lt_f32_e64 s[4:5], 0, v13
	s_nop 1
	v_cndmask_b32_e64 v9, v9, v11, s[4:5]
	v_mul_f32_e32 v10, 0x37800000, v9
	v_cndmask_b32_e32 v9, v9, v10, vcc
	v_cmp_class_f32_e32 vcc, v8, v1
	s_nop 1
	v_cndmask_b32_e32 v8, v9, v8, vcc
	s_mov_b64 vcc, s[0:1]
	s_cbranch_vccz .LBB133_6
; %bb.5:
	global_load_dword v9, v0, s[10:11]
	s_waitcnt vmcnt(0)
	v_add_f32_e32 v8, v8, v9
.LBB133_6:
	ds_read_b32 v9, v4 offset:4
	ds_write_b32 v4, v8
	s_waitcnt lgkmcnt(1)
	v_mul_f32_e32 v10, 0x3fb8aa3b, v9
	v_exp_f32_e32 v10, v10
	s_nop 0
	v_add_f32_e32 v10, 1.0, v10
	v_cmp_gt_f32_e32 vcc, s16, v10
	s_nop 1
	v_cndmask_b32_e32 v6, 1.0, v6, vcc
	v_mul_f32_e32 v6, v10, v6
	v_log_f32_e32 v6, v6
	v_cndmask_b32_e32 v7, 0, v7, vcc
	v_mul_f32_e32 v8, 0x3f317217, v6
	v_fma_f32 v8, v6, s13, -v8
	v_fmac_f32_e32 v8, 0x3377d1cf, v6
	v_fmac_f32_e32 v8, 0x3f317217, v6
	v_cmp_lt_f32_e64 vcc, |v6|, s14
	s_nop 1
	v_cndmask_b32_e32 v6, v6, v8, vcc
	v_sub_f32_e32 v6, v6, v7
	v_cmp_lt_f32_e32 vcc, s12, v9
	v_cndmask_b32_e64 v8, 0, 1, s[6:7]
	v_cmp_ne_u32_e64 s[0:1], 1, v8
	v_cndmask_b32_e32 v6, v6, v9, vcc
	v_mul_f32_e32 v7, 0x4f800000, v6
	v_cmp_gt_f32_e64 s[4:5], s15, v6
	s_andn2_b64 vcc, exec, s[6:7]
	s_nop 0
	v_cndmask_b32_e64 v6, v6, v7, s[4:5]
	v_sqrt_f32_e32 v7, v6
	s_nop 0
	v_add_u32_e32 v8, -1, v7
	v_add_u32_e32 v9, 1, v7
	v_fma_f32 v10, -v8, v7, v6
	v_fma_f32 v11, -v9, v7, v6
	v_cmp_ge_f32_e64 s[6:7], 0, v10
	s_nop 1
	v_cndmask_b32_e64 v7, v7, v8, s[6:7]
	v_cmp_lt_f32_e64 s[6:7], 0, v11
	s_nop 1
	v_cndmask_b32_e64 v7, v7, v9, s[6:7]
	v_mul_f32_e32 v8, 0x37800000, v7
	v_cndmask_b32_e64 v7, v7, v8, s[4:5]
	v_cmp_class_f32_e64 s[4:5], v6, v1
	s_nop 1
	v_cndmask_b32_e64 v1, v7, v6, s[4:5]
	s_cbranch_vccnz .LBB133_8
; %bb.7:
	global_load_dword v6, v0, s[10:11] offset:4
	s_waitcnt vmcnt(0)
	v_add_f32_e32 v1, v1, v6
.LBB133_8:
	ds_read_b32 v8, v4 offset:8
	s_mov_b32 s12, 0x800000
	s_mov_b32 s7, 0x3f317217
	;; [unrolled: 1-line block ×4, first 2 shown]
	s_waitcnt lgkmcnt(0)
	v_mul_f32_e32 v6, 0x3fb8aa3b, v8
	v_exp_f32_e32 v7, v6
	v_mov_b32_e32 v6, 0x4f800000
	s_mov_b32 s14, 0xf800000
	ds_write_b32 v4, v1 offset:4
	v_add_f32_e32 v7, 1.0, v7
	v_cmp_gt_f32_e32 vcc, s12, v7
	s_nop 1
	v_cndmask_b32_e32 v9, 1.0, v6, vcc
	v_mul_f32_e32 v7, v7, v9
	v_log_f32_e32 v9, v7
	v_mov_b32_e32 v7, 0x41b17218
	v_cndmask_b32_e32 v10, 0, v7, vcc
	v_mul_f32_e32 v11, 0x3f317217, v9
	v_fma_f32 v11, v9, s7, -v11
	v_fmac_f32_e32 v11, 0x3377d1cf, v9
	v_fmac_f32_e32 v11, 0x3f317217, v9
	v_cmp_lt_f32_e64 vcc, |v9|, s13
	s_nop 1
	v_cndmask_b32_e32 v9, v9, v11, vcc
	v_sub_f32_e32 v9, v9, v10
	v_cmp_lt_f32_e32 vcc, s6, v8
	s_nop 1
	v_cndmask_b32_e32 v8, v9, v8, vcc
	v_mul_f32_e32 v9, 0x4f800000, v8
	v_cmp_gt_f32_e32 vcc, s14, v8
	s_nop 1
	v_cndmask_b32_e32 v8, v8, v9, vcc
	v_sqrt_f32_e32 v9, v8
	s_nop 0
	v_add_u32_e32 v1, -1, v9
	v_fma_f32 v10, -v1, v9, v8
	v_cmp_ge_f32_e64 s[4:5], 0, v10
	v_add_u32_e32 v10, 1, v9
	s_nop 0
	v_cndmask_b32_e64 v1, v9, v1, s[4:5]
	v_fma_f32 v9, -v10, v9, v8
	v_cmp_lt_f32_e64 s[4:5], 0, v9
	s_nop 1
	v_cndmask_b32_e64 v1, v1, v10, s[4:5]
	v_mul_f32_e32 v9, 0x37800000, v1
	v_cndmask_b32_e32 v9, v1, v9, vcc
	v_mov_b32_e32 v1, 0x260
	v_cmp_class_f32_e64 s[4:5], v8, v1
	s_and_b64 vcc, exec, s[0:1]
	s_nop 0
	v_cndmask_b32_e64 v8, v9, v8, s[4:5]
	s_cbranch_vccnz .LBB133_10
; %bb.9:
	global_load_dword v9, v0, s[10:11] offset:8
	s_waitcnt vmcnt(0)
	v_add_f32_e32 v8, v8, v9
.LBB133_10:
	ds_read_b32 v9, v4 offset:12
	ds_write_b32 v4, v8 offset:8
	s_waitcnt lgkmcnt(1)
	v_mul_f32_e32 v10, 0x3fb8aa3b, v9
	v_exp_f32_e32 v10, v10
	s_nop 0
	v_add_f32_e32 v10, 1.0, v10
	v_cmp_gt_f32_e32 vcc, s12, v10
	s_nop 1
	v_cndmask_b32_e32 v6, 1.0, v6, vcc
	v_mul_f32_e32 v6, v10, v6
	v_log_f32_e32 v6, v6
	v_cndmask_b32_e32 v7, 0, v7, vcc
	v_mul_f32_e32 v10, 0x3f317217, v6
	v_fma_f32 v10, v6, s7, -v10
	v_fmac_f32_e32 v10, 0x3377d1cf, v6
	v_fmac_f32_e32 v10, 0x3f317217, v6
	v_cmp_lt_f32_e64 vcc, |v6|, s13
	s_nop 1
	v_cndmask_b32_e32 v6, v6, v10, vcc
	v_sub_f32_e32 v6, v6, v7
	v_cmp_lt_f32_e32 vcc, s6, v9
	s_nop 1
	v_cndmask_b32_e32 v6, v6, v9, vcc
	v_mul_f32_e32 v7, 0x4f800000, v6
	v_cmp_gt_f32_e64 s[4:5], s14, v6
	s_and_b64 vcc, exec, s[0:1]
	s_nop 0
	v_cndmask_b32_e64 v6, v6, v7, s[4:5]
	v_sqrt_f32_e32 v7, v6
	s_nop 0
	v_add_u32_e32 v8, -1, v7
	v_add_u32_e32 v9, 1, v7
	v_fma_f32 v10, -v8, v7, v6
	v_fma_f32 v11, -v9, v7, v6
	v_cmp_ge_f32_e64 s[6:7], 0, v10
	s_nop 1
	v_cndmask_b32_e64 v7, v7, v8, s[6:7]
	v_cmp_lt_f32_e64 s[6:7], 0, v11
	s_nop 1
	v_cndmask_b32_e64 v7, v7, v9, s[6:7]
	v_mul_f32_e32 v8, 0x37800000, v7
	v_cndmask_b32_e64 v7, v7, v8, s[4:5]
	v_cmp_class_f32_e64 s[4:5], v6, v1
	s_nop 1
	v_cndmask_b32_e64 v1, v7, v6, s[4:5]
	s_cbranch_vccnz .LBB133_12
; %bb.11:
	global_load_dword v0, v0, s[10:11] offset:12
	s_waitcnt vmcnt(0)
	v_add_f32_e32 v1, v1, v0
.LBB133_12:
	s_load_dwordx4 s[12:15], s[2:3], 0x30
	s_mov_b32 s31, 0
	v_cmp_eq_u32_e64 s[6:7], 0, v3
	ds_write_b32 v4, v1 offset:12
	s_waitcnt lgkmcnt(0)
	s_bitcmp1_b32 s15, 0
	s_cselect_b64 s[4:5], -1, 0
	s_cmp_gt_i32 s12, 0
	s_cselect_b64 s[24:25], -1, 0
	s_and_b64 vcc, exec, s[24:25]
	s_cbranch_vccz .LBB133_25
; %bb.13:
	v_mbcnt_lo_u32_b32 v0, -1, 0
	v_mbcnt_hi_u32_b32 v0, -1, v0
	s_load_dwordx4 s[16:19], s[2:3], 0x20
	v_and_b32_e32 v6, 0x7e, v0
	v_xor_b32_e32 v1, 1, v0
	v_add_u32_e32 v6, 2, v6
	v_cmp_lt_i32_e32 vcc, v1, v6
	v_mul_lo_u32 v8, v2, s12
	v_mov_b32_e32 v6, 0
	v_cndmask_b32_e32 v0, v0, v1, vcc
	v_lshlrev_b32_e32 v7, 2, v0
	v_mov_b32_e32 v9, 0xc61c4000
	v_mov_b32_e32 v10, v2
	s_branch .LBB133_15
.LBB133_14:                             ;   in Loop: Header=BB133_15 Depth=1
	s_or_b64 exec, exec, s[2:3]
	s_cmp_eq_u32 s12, s31
	v_add_u32_e32 v10, s30, v10
	s_cbranch_scc1 .LBB133_26
.LBB133_15:                             ; =>This Inner Loop Header: Depth=1
	ds_read_b128 v[12:15], v4
	s_waitcnt lgkmcnt(0)
	v_cmp_gt_f32_e32 vcc, v13, v12
	s_nop 1
	v_cndmask_b32_e32 v1, v12, v13, vcc
	v_cndmask_b32_e64 v0, 0, 1, vcc
	v_cmp_gt_f32_e32 vcc, v14, v1
	s_nop 1
	v_cndmask_b32_e32 v1, v1, v14, vcc
	v_cndmask_b32_e64 v0, v0, 2, vcc
	v_cmp_gt_f32_e32 vcc, v15, v1
	s_nop 1
	v_cndmask_b32_e64 v0, v0, 3, vcc
	v_cndmask_b32_e32 v11, v1, v15, vcc
	ds_bpermute_b32 v1, v7, v11
	v_or_b32_e32 v0, v5, v0
	ds_bpermute_b32 v12, v7, v0
	s_waitcnt lgkmcnt(1)
	v_cmp_lt_f32_e64 s[26:27], v11, v1
	v_cmp_nlt_f32_e32 vcc, v11, v1
	s_and_saveexec_b64 s[28:29], vcc
	s_cbranch_execnz .LBB133_18
; %bb.16:                               ;   in Loop: Header=BB133_15 Depth=1
	s_or_b64 exec, exec, s[28:29]
	s_and_saveexec_b64 s[2:3], s[26:27]
	s_cbranch_execnz .LBB133_19
.LBB133_17:                             ;   in Loop: Header=BB133_15 Depth=1
	s_or_b64 exec, exec, s[2:3]
	s_and_saveexec_b64 s[26:27], s[6:7]
	s_cbranch_execnz .LBB133_20
	s_branch .LBB133_23
.LBB133_18:                             ;   in Loop: Header=BB133_15 Depth=1
	v_cmp_eq_f32_e32 vcc, v11, v1
	s_waitcnt lgkmcnt(0)
	v_cmp_lt_i32_e64 s[2:3], v12, v0
	s_and_b64 s[2:3], vcc, s[2:3]
	s_andn2_b64 s[26:27], s[26:27], exec
	s_and_b64 s[2:3], s[2:3], exec
	s_or_b64 s[26:27], s[26:27], s[2:3]
	s_or_b64 exec, exec, s[28:29]
	s_and_saveexec_b64 s[2:3], s[26:27]
	s_cbranch_execz .LBB133_17
.LBB133_19:                             ;   in Loop: Header=BB133_15 Depth=1
	s_waitcnt lgkmcnt(0)
	v_mov_b32_e32 v0, v12
	v_mov_b32_e32 v11, v1
	s_or_b64 exec, exec, s[2:3]
	s_and_saveexec_b64 s[26:27], s[6:7]
	s_cbranch_execz .LBB133_23
.LBB133_20:                             ;   in Loop: Header=BB133_15 Depth=1
	s_and_b64 vcc, exec, s[0:1]
	s_cbranch_vccnz .LBB133_22
; %bb.21:                               ;   in Loop: Header=BB133_15 Depth=1
	v_ashrrev_i32_e32 v1, 31, v0
	s_waitcnt lgkmcnt(0)
	v_lshl_add_u64 v[12:13], v[0:1], 2, s[10:11]
	global_load_dword v1, v[12:13], off
	s_waitcnt vmcnt(0)
	v_sub_f32_e32 v11, v11, v1
.LBB133_22:                             ;   in Loop: Header=BB133_15 Depth=1
	s_waitcnt lgkmcnt(0)
	v_add_u32_e32 v12, s31, v8
	v_ashrrev_i32_e32 v13, 31, v12
	v_cmp_le_i32_e32 vcc, s13, v0
	v_cmp_gt_i32_e64 s[2:3], s14, v0
	v_lshlrev_b64 v[14:15], 2, v[12:13]
	s_and_b64 s[2:3], vcc, s[2:3]
	v_lshl_add_u64 v[16:17], s[20:21], 0, v[14:15]
	v_subrev_u32_e32 v1, s13, v0
	global_store_dword v[16:17], v11, off
	v_ashrrev_i32_e32 v16, 31, v1
	s_and_b64 vcc, s[22:23], s[2:3]
	v_cndmask_b32_e32 v17, 0, v16, vcc
	v_cndmask_b32_e32 v16, 8, v1, vcc
	v_lshl_add_u64 v[12:13], v[12:13], 3, s[16:17]
	v_add_f32_e32 v1, v6, v11
	global_store_dwordx2 v[12:13], v[16:17], off
	v_lshl_add_u64 v[12:13], s[18:19], 0, v[14:15]
	v_cndmask_b32_e64 v6, v6, v1, s[4:5]
	global_store_dword v[12:13], v10, off
.LBB133_23:                             ;   in Loop: Header=BB133_15 Depth=1
	s_or_b64 exec, exec, s[26:27]
	v_ashrrev_i32_e32 v1, 31, v0
	v_lshrrev_b32_e32 v11, 30, v1
	s_waitcnt lgkmcnt(0)
	v_add_u32_e32 v12, v0, v11
	v_ashrrev_i32_e32 v11, 2, v12
	v_lshrrev_b32_e32 v12, 31, v12
	v_add_u32_e32 v12, v11, v12
	s_add_i32 s31, s31, 1
	v_and_b32_e32 v12, -2, v12
	s_cmp_lt_i32 s31, s12
	v_sub_u32_e32 v12, v11, v12
	s_cselect_b64 s[2:3], -1, 0
	v_cmp_eq_u32_e32 vcc, v3, v12
	s_and_b64 s[26:27], s[2:3], vcc
	s_and_saveexec_b64 s[2:3], s[26:27]
	s_cbranch_execz .LBB133_14
; %bb.24:                               ;   in Loop: Header=BB133_15 Depth=1
	v_lshrrev_b32_e32 v1, 29, v1
	v_add_u32_e32 v1, v0, v1
	v_lshlrev_b32_e32 v11, 2, v11
	v_lshrrev_b32_e32 v1, 1, v1
	v_sub_u32_e32 v0, v0, v11
	v_and_b32_e32 v1, 0x7ffffffc, v1
	v_add_u32_e32 v0, v1, v0
	v_lshl_add_u32 v0, v0, 2, v4
	ds_write_b32 v0, v9
	s_branch .LBB133_14
.LBB133_25:
	v_mov_b32_e32 v6, 0
.LBB133_26:
	v_cmp_eq_u32_e32 vcc, 0, v3
	s_and_b64 exec, exec, vcc
	s_cbranch_execz .LBB133_39
; %bb.27:
	s_andn2_b64 vcc, exec, s[4:5]
	v_cvt_f32_f64_e32 v0, s[8:9]
	s_cbranch_vccnz .LBB133_29
; %bb.28:
	v_cmp_lt_f32_e32 vcc, 0, v6
	s_nop 1
	v_cndmask_b32_e32 v1, 1.0, v6, vcc
	v_div_scale_f32 v3, s[0:1], v1, v1, v0
	v_rcp_f32_e32 v4, v3
	s_nop 0
	v_fma_f32 v5, -v3, v4, 1.0
	v_fmac_f32_e32 v4, v5, v4
	v_div_scale_f32 v5, vcc, v0, v1, v0
	v_mul_f32_e32 v6, v5, v4
	v_fma_f32 v7, -v3, v6, v5
	v_fmac_f32_e32 v6, v7, v4
	v_fma_f32 v3, -v3, v6, v5
	v_div_fmas_f32 v3, v3, v4, v6
	v_div_fixup_f32 v0, v3, v1, v0
.LBB133_29:
	s_andn2_b64 vcc, exec, s[24:25]
	s_cbranch_vccnz .LBB133_39
; %bb.30:
	v_mul_lo_u32 v2, v2, s12
	s_cmp_gt_u32 s12, 3
	v_ashrrev_i32_e32 v3, 31, v2
	s_cbranch_scc0 .LBB133_34
; %bb.31:
	s_and_b32 s0, s12, 0x7ffffffc
	v_lshl_add_u64 v[4:5], v[2:3], 2, s[20:21]
	v_mov_b32_e32 v1, v0
	v_lshl_add_u64 v[4:5], v[4:5], 0, 8
	s_mov_b32 s1, s0
.LBB133_32:                             ; =>This Inner Loop Header: Depth=1
	global_load_dwordx4 v[6:9], v[4:5], off offset:-8
	s_add_i32 s1, s1, -4
	s_cmp_lg_u32 s1, 0
	s_waitcnt vmcnt(0)
	v_pk_mul_f32 v[6:7], v[0:1], v[6:7]
	v_pk_mul_f32 v[8:9], v[0:1], v[8:9]
	global_store_dwordx4 v[4:5], v[6:9], off offset:-8
	v_lshl_add_u64 v[4:5], v[4:5], 0, 16
	s_cbranch_scc1 .LBB133_32
; %bb.33:
	s_cmp_lg_u32 s0, s12
	s_cselect_b64 s[2:3], -1, 0
	s_branch .LBB133_36
.LBB133_34:
	s_mov_b64 s[2:3], 0
                                        ; implicit-def: $sgpr0
	s_cbranch_execz .LBB133_36
; %bb.35:
	s_mov_b64 s[2:3], -1
	s_mov_b32 s0, 0
.LBB133_36:
	s_andn2_b64 vcc, exec, s[2:3]
	s_cbranch_vccnz .LBB133_39
; %bb.37:
	s_mov_b32 s1, 0
	v_lshl_add_u64 v[2:3], v[2:3], 0, s[0:1]
	s_sub_i32 s2, s12, s0
	v_lshl_add_u64 v[2:3], v[2:3], 2, s[20:21]
.LBB133_38:                             ; =>This Inner Loop Header: Depth=1
	global_load_dword v1, v[2:3], off
	s_add_i32 s2, s2, -1
	s_cmp_lg_u32 s2, 0
	s_waitcnt vmcnt(0)
	v_mul_f32_e32 v1, v0, v1
	global_store_dword v[2:3], v1, off
	v_lshl_add_u64 v[2:3], v[2:3], 0, 4
	s_cbranch_scc1 .LBB133_38
.LBB133_39:
	s_endpgm
	.section	.rodata,"a",@progbits
	.p2align	6, 0x0
	.amdhsa_kernel _ZN4vllm3moe22topkGatingSoftplusSqrtILi4ELi8ELi4ELi16ELi64ELb0ElfEEvPKT6_PKbPfiPT5_PiiiibdPKfPKS8_SE_
		.amdhsa_group_segment_fixed_size 4096
		.amdhsa_private_segment_fixed_size 0
		.amdhsa_kernarg_size 96
		.amdhsa_user_sgpr_count 4
		.amdhsa_user_sgpr_dispatch_ptr 1
		.amdhsa_user_sgpr_queue_ptr 0
		.amdhsa_user_sgpr_kernarg_segment_ptr 1
		.amdhsa_user_sgpr_dispatch_id 0
		.amdhsa_user_sgpr_kernarg_preload_length 0
		.amdhsa_user_sgpr_kernarg_preload_offset 0
		.amdhsa_user_sgpr_private_segment_size 0
		.amdhsa_uses_dynamic_stack 0
		.amdhsa_enable_private_segment 0
		.amdhsa_system_sgpr_workgroup_id_x 1
		.amdhsa_system_sgpr_workgroup_id_y 0
		.amdhsa_system_sgpr_workgroup_id_z 0
		.amdhsa_system_sgpr_workgroup_info 0
		.amdhsa_system_vgpr_workitem_id 2
		.amdhsa_next_free_vgpr 18
		.amdhsa_next_free_sgpr 32
		.amdhsa_accum_offset 20
		.amdhsa_reserve_vcc 1
		.amdhsa_float_round_mode_32 0
		.amdhsa_float_round_mode_16_64 0
		.amdhsa_float_denorm_mode_32 3
		.amdhsa_float_denorm_mode_16_64 3
		.amdhsa_dx10_clamp 1
		.amdhsa_ieee_mode 1
		.amdhsa_fp16_overflow 0
		.amdhsa_tg_split 0
		.amdhsa_exception_fp_ieee_invalid_op 0
		.amdhsa_exception_fp_denorm_src 0
		.amdhsa_exception_fp_ieee_div_zero 0
		.amdhsa_exception_fp_ieee_overflow 0
		.amdhsa_exception_fp_ieee_underflow 0
		.amdhsa_exception_fp_ieee_inexact 0
		.amdhsa_exception_int_div_zero 0
	.end_amdhsa_kernel
	.section	.text._ZN4vllm3moe22topkGatingSoftplusSqrtILi4ELi8ELi4ELi16ELi64ELb0ElfEEvPKT6_PKbPfiPT5_PiiiibdPKfPKS8_SE_,"axG",@progbits,_ZN4vllm3moe22topkGatingSoftplusSqrtILi4ELi8ELi4ELi16ELi64ELb0ElfEEvPKT6_PKbPfiPT5_PiiiibdPKfPKS8_SE_,comdat
.Lfunc_end133:
	.size	_ZN4vllm3moe22topkGatingSoftplusSqrtILi4ELi8ELi4ELi16ELi64ELb0ElfEEvPKT6_PKbPfiPT5_PiiiibdPKfPKS8_SE_, .Lfunc_end133-_ZN4vllm3moe22topkGatingSoftplusSqrtILi4ELi8ELi4ELi16ELi64ELb0ElfEEvPKT6_PKbPfiPT5_PiiiibdPKfPKS8_SE_
                                        ; -- End function
	.section	.AMDGPU.csdata,"",@progbits
; Kernel info:
; codeLenInByte = 2508
; NumSgprs: 38
; NumVgprs: 18
; NumAgprs: 0
; TotalNumVgprs: 18
; ScratchSize: 0
; MemoryBound: 0
; FloatMode: 240
; IeeeMode: 1
; LDSByteSize: 4096 bytes/workgroup (compile time only)
; SGPRBlocks: 4
; VGPRBlocks: 2
; NumSGPRsForWavesPerEU: 38
; NumVGPRsForWavesPerEU: 18
; AccumOffset: 20
; Occupancy: 8
; WaveLimiterHint : 0
; COMPUTE_PGM_RSRC2:SCRATCH_EN: 0
; COMPUTE_PGM_RSRC2:USER_SGPR: 4
; COMPUTE_PGM_RSRC2:TRAP_HANDLER: 0
; COMPUTE_PGM_RSRC2:TGID_X_EN: 1
; COMPUTE_PGM_RSRC2:TGID_Y_EN: 0
; COMPUTE_PGM_RSRC2:TGID_Z_EN: 0
; COMPUTE_PGM_RSRC2:TIDIG_COMP_CNT: 2
; COMPUTE_PGM_RSRC3_GFX90A:ACCUM_OFFSET: 4
; COMPUTE_PGM_RSRC3_GFX90A:TG_SPLIT: 0
	.section	.text._ZN4vllm3moe22topkGatingSoftplusSqrtILi4ELi8ELi4ELi16ELi32ELb1ElfEEvPKT6_PKbPfiPT5_PiiiibdPKfPKS8_SE_,"axG",@progbits,_ZN4vllm3moe22topkGatingSoftplusSqrtILi4ELi8ELi4ELi16ELi32ELb1ElfEEvPKT6_PKbPfiPT5_PiiiibdPKfPKS8_SE_,comdat
	.protected	_ZN4vllm3moe22topkGatingSoftplusSqrtILi4ELi8ELi4ELi16ELi32ELb1ElfEEvPKT6_PKbPfiPT5_PiiiibdPKfPKS8_SE_ ; -- Begin function _ZN4vllm3moe22topkGatingSoftplusSqrtILi4ELi8ELi4ELi16ELi32ELb1ElfEEvPKT6_PKbPfiPT5_PiiiibdPKfPKS8_SE_
	.globl	_ZN4vllm3moe22topkGatingSoftplusSqrtILi4ELi8ELi4ELi16ELi32ELb1ElfEEvPKT6_PKbPfiPT5_PiiiibdPKfPKS8_SE_
	.p2align	8
	.type	_ZN4vllm3moe22topkGatingSoftplusSqrtILi4ELi8ELi4ELi16ELi32ELb1ElfEEvPKT6_PKbPfiPT5_PiiiibdPKfPKS8_SE_,@function
_ZN4vllm3moe22topkGatingSoftplusSqrtILi4ELi8ELi4ELi16ELi32ELb1ElfEEvPKT6_PKbPfiPT5_PiiiibdPKfPKS8_SE_: ; @_ZN4vllm3moe22topkGatingSoftplusSqrtILi4ELi8ELi4ELi16ELi32ELb1ElfEEvPKT6_PKbPfiPT5_PiiiibdPKfPKS8_SE_
; %bb.0:
	s_load_dword s3, s[0:1], 0x18
	v_bfe_u32 v1, v0, 10, 10
	v_and_b32_e32 v8, 0x3ff, v0
	s_lshl_b32 s2, s2, 6
	v_lshlrev_b32_e32 v1, 4, v1
	v_lshrrev_b32_e32 v0, 1, v8
	v_add3_u32 v2, s2, v1, v0
	s_waitcnt lgkmcnt(0)
	v_cmp_gt_i32_e32 vcc, s3, v2
	s_and_saveexec_b64 s[2:3], vcc
	s_cbranch_execz .LBB134_79
; %bb.1:
	s_load_dwordx4 s[8:11], s[0:1], 0x50
	s_load_dwordx2 s[2:3], s[0:1], 0x0
	s_load_dword s12, s[0:1], 0x30
	v_lshlrev_b32_e32 v0, 3, v2
	v_lshlrev_b32_e32 v3, 2, v8
	v_ashrrev_i32_e32 v1, 31, v0
	v_and_b32_e32 v14, 4, v3
	s_waitcnt lgkmcnt(0)
	v_lshl_add_u64 v[0:1], v[0:1], 2, s[2:3]
	v_lshlrev_b32_e32 v4, 2, v14
	v_mov_b32_e32 v5, 0
	v_lshl_add_u64 v[0:1], v[0:1], 0, v[4:5]
	global_load_dwordx4 v[10:13], v[0:1], off
	v_mov_b32_e32 v6, s8
	v_mov_b32_e32 v7, s9
	v_ashrrev_i32_e32 v3, 31, v2
	v_lshl_add_u64 v[6:7], v[2:3], 3, v[6:7]
	global_load_dwordx2 v[6:7], v[6:7], off
	s_ashr_i32 s13, s12, 31
	s_mov_b32 s6, 0x800000
	v_mov_b32_e32 v3, 0x4f800000
	s_mov_b32 s18, 0x3f317217
	s_mov_b32 s19, 0x7f800000
	v_mov_b32_e32 v4, 0x41b17218
	s_mov_b32 s15, 0x41a00000
	s_mov_b32 s20, 0xf800000
	v_mov_b32_e32 v9, 0x260
	v_cmp_lt_i64_e64 s[16:17], s[12:13], 1
	s_mov_b32 s14, 0
	v_cmp_gt_i64_e64 s[8:9], s[12:13], 0
	v_mul_lo_u32 v2, v2, s12
	s_waitcnt vmcnt(1)
	v_mul_f32_e32 v0, 0x3fb8aa3b, v10
	v_mul_f32_e32 v1, 0x3fb8aa3b, v11
	v_exp_f32_e32 v16, v0
	v_exp_f32_e32 v17, v1
	v_mul_f32_e32 v18, 0x3fb8aa3b, v12
	v_mul_f32_e32 v19, 0x3fb8aa3b, v13
	s_waitcnt vmcnt(0)
	v_mul_lo_u32 v7, v7, s12
	v_mul_lo_u32 v15, v6, s13
	v_exp_f32_e32 v18, v18
	v_exp_f32_e32 v19, v19
	v_mad_u64_u32 v[0:1], s[2:3], v6, s12, 0
	v_add3_u32 v1, v1, v15, v7
	v_pk_add_f32 v[6:7], v[16:17], 1.0 op_sel_hi:[1,0]
	v_pk_add_f32 v[16:17], v[18:19], 1.0 op_sel_hi:[1,0]
	v_cmp_gt_f32_e32 vcc, s6, v7
	v_cmp_gt_f32_e64 s[2:3], s6, v6
	v_cmp_gt_f32_e64 s[4:5], s6, v17
	v_cndmask_b32_e32 v15, 1.0, v3, vcc
	v_cndmask_b32_e64 v18, 1.0, v3, s[2:3]
	v_mul_f32_e32 v7, v7, v15
	v_mul_f32_e32 v6, v6, v18
	v_log_f32_e32 v7, v7
	v_log_f32_e32 v6, v6
	v_cndmask_b32_e64 v19, 1.0, v3, s[4:5]
	v_cmp_gt_f32_e64 s[6:7], s6, v16
	v_mul_f32_e32 v17, v17, v19
	v_mul_f32_e32 v20, 0x3f317217, v6
	v_cndmask_b32_e64 v3, 1.0, v3, s[6:7]
	v_mul_f32_e32 v3, v16, v3
	v_log_f32_e32 v16, v17
	v_mul_f32_e32 v17, 0x3f317217, v7
	v_fma_f32 v17, v7, s18, -v17
	v_fma_f32 v20, v6, s18, -v20
	v_fmac_f32_e32 v17, 0x3377d1cf, v7
	v_cndmask_b32_e32 v15, 0, v4, vcc
	v_fmac_f32_e32 v20, 0x3377d1cf, v6
	v_fmac_f32_e32 v17, 0x3f317217, v7
	v_cmp_lt_f32_e64 vcc, |v7|, s19
	v_fmac_f32_e32 v20, 0x3f317217, v6
	v_cndmask_b32_e64 v18, 0, v4, s[2:3]
	v_cndmask_b32_e32 v7, v7, v17, vcc
	v_cmp_lt_f32_e64 vcc, |v6|, s19
	v_sub_f32_e32 v7, v7, v15
	v_mul_f32_e32 v21, 0x3f317217, v16
	v_cndmask_b32_e32 v6, v6, v20, vcc
	v_sub_f32_e32 v6, v6, v18
	v_cmp_lt_f32_e32 vcc, s15, v10
	v_fma_f32 v21, v16, s18, -v21
	v_fmac_f32_e32 v21, 0x3377d1cf, v16
	v_cndmask_b32_e32 v6, v6, v10, vcc
	v_cmp_lt_f32_e32 vcc, s15, v11
	v_cmp_gt_f32_e64 s[2:3], s20, v6
	v_cndmask_b32_e64 v19, 0, v4, s[4:5]
	v_cndmask_b32_e32 v7, v7, v11, vcc
	v_mul_f32_e32 v10, 0x4f800000, v7
	v_cmp_gt_f32_e32 vcc, s20, v7
	v_mul_f32_e32 v11, 0x4f800000, v6
	v_cndmask_b32_e64 v6, v6, v11, s[2:3]
	v_cndmask_b32_e32 v7, v7, v10, vcc
	v_sqrt_f32_e32 v10, v7
	v_sqrt_f32_e32 v11, v6
	v_fmac_f32_e32 v21, 0x3f317217, v16
	v_cmp_lt_f32_e64 s[4:5], |v16|, s19
	v_add_u32_e32 v17, 1, v10
	v_add_u32_e32 v18, -1, v11
	v_cndmask_b32_e64 v15, v16, v21, s[4:5]
	v_add_u32_e32 v16, -1, v10
	v_fma_f32 v21, -v16, v10, v7
	v_fma_f32 v23, -v18, v11, v6
	v_cmp_ge_f32_e64 s[4:5], 0, v21
	v_add_u32_e32 v20, 1, v11
	v_fma_f32 v22, -v17, v10, v7
	v_cndmask_b32_e64 v10, v10, v16, s[4:5]
	v_cmp_ge_f32_e64 s[4:5], 0, v23
	v_log_f32_e32 v3, v3
	v_fma_f32 v24, -v20, v11, v6
	v_cndmask_b32_e64 v11, v11, v18, s[4:5]
	v_cmp_lt_f32_e64 s[4:5], 0, v22
	v_cndmask_b32_e64 v4, 0, v4, s[6:7]
	s_nop 0
	v_cndmask_b32_e64 v10, v10, v17, s[4:5]
	v_cmp_lt_f32_e64 s[4:5], 0, v24
	v_mul_f32_e32 v16, 0x37800000, v10
	v_cndmask_b32_e32 v10, v10, v16, vcc
	v_cndmask_b32_e64 v11, v11, v20, s[4:5]
	v_mul_f32_e32 v17, 0x37800000, v11
	v_cmp_class_f32_e32 vcc, v7, v9
	v_cndmask_b32_e64 v16, v11, v17, s[2:3]
	v_cmp_lt_f32_e64 s[2:3], s15, v12
	v_cndmask_b32_e32 v11, v10, v7, vcc
	v_mul_f32_e32 v7, 0x3f317217, v3
	v_fma_f32 v7, v3, s18, -v7
	v_cmp_class_f32_e32 vcc, v6, v9
	v_fmac_f32_e32 v7, 0x3377d1cf, v3
	v_fmac_f32_e32 v7, 0x3f317217, v3
	v_cndmask_b32_e32 v10, v16, v6, vcc
	v_cmp_lt_f32_e64 vcc, |v3|, s19
	v_sub_f32_e32 v6, v15, v19
	s_nop 0
	v_cndmask_b32_e32 v3, v3, v7, vcc
	v_cmp_lt_f32_e32 vcc, s15, v13
	v_sub_f32_e32 v3, v3, v4
	v_cndmask_b32_e64 v3, v3, v12, s[2:3]
	v_cndmask_b32_e32 v6, v6, v13, vcc
	v_mul_f32_e32 v7, 0x4f800000, v6
	v_cmp_gt_f32_e32 vcc, s20, v6
	s_nop 1
	v_cndmask_b32_e32 v6, v6, v7, vcc
	v_sqrt_f32_e32 v7, v6
	s_nop 0
	v_add_u32_e32 v4, -1, v7
	v_fma_f32 v12, -v4, v7, v6
	v_cmp_ge_f32_e64 s[2:3], 0, v12
	v_add_u32_e32 v12, 1, v7
	s_nop 0
	v_cndmask_b32_e64 v4, v7, v4, s[2:3]
	v_fma_f32 v7, -v12, v7, v6
	v_cmp_lt_f32_e64 s[2:3], 0, v7
	s_nop 1
	v_cndmask_b32_e64 v4, v4, v12, s[2:3]
	v_mul_f32_e32 v12, 0x4f800000, v3
	v_cmp_gt_f32_e64 s[2:3], s20, v3
	v_mul_f32_e32 v7, 0x37800000, v4
	v_cndmask_b32_e32 v4, v4, v7, vcc
	v_cndmask_b32_e64 v3, v3, v12, s[2:3]
	v_sqrt_f32_e32 v12, v3
	v_cmp_class_f32_e32 vcc, v6, v9
	s_nop 1
	v_cndmask_b32_e32 v13, v4, v6, vcc
	v_add_u32_e32 v4, -1, v12
	v_fma_f32 v6, -v4, v12, v3
	v_cmp_ge_f32_e32 vcc, 0, v6
	v_add_u32_e32 v6, 1, v12
	v_fma_f32 v7, -v6, v12, v3
	v_cndmask_b32_e32 v4, v12, v4, vcc
	v_cmp_lt_f32_e32 vcc, 0, v7
	s_nop 1
	v_cndmask_b32_e32 v4, v4, v6, vcc
	v_mul_f32_e32 v6, 0x37800000, v4
	v_cndmask_b32_e64 v4, v4, v6, s[2:3]
	v_cmp_class_f32_e32 vcc, v3, v9
	s_nop 1
	v_cndmask_b32_e32 v12, v4, v3, vcc
	s_and_b64 vcc, exec, s[16:17]
	scratch_store_dwordx4 off, v[10:13], off
	s_cbranch_vccnz .LBB134_28
; %bb.2:
	s_load_dwordx2 s[4:5], s[0:1], 0x20
	v_lshl_add_u64 v[6:7], v[0:1], 3, s[10:11]
	s_cmp_lt_u32 s12, 4
	v_and_b32_e32 v4, 1, v8
	s_cbranch_scc1 .LBB134_21
; %bb.3:
	v_lshlrev_b32_e32 v5, 2, v4
	s_mov_b32 s7, 0
	s_and_b32 s14, s12, 0x7ffffffc
	v_ashrrev_i32_e32 v3, 31, v2
	v_sub_u32_e32 v15, 0, v5
	v_mov_b32_e32 v5, 0
	s_mov_b32 s6, s7
	s_branch .LBB134_5
.LBB134_4:                              ;   in Loop: Header=BB134_5 Depth=1
	s_or_b64 exec, exec, s[16:17]
	s_add_i32 s6, s6, 4
	s_cmp_eq_u32 s6, s14
	s_cbranch_scc1 .LBB134_21
.LBB134_5:                              ; =>This Loop Header: Depth=1
                                        ;     Child Loop BB134_7 Depth 2
                                        ;     Child Loop BB134_11 Depth 2
	;; [unrolled: 1-line block ×4, first 2 shown]
	v_lshl_add_u64 v[8:9], s[6:7], 3, v[6:7]
	global_load_dwordx2 v[10:11], v[8:9], off
	v_add_u32_e32 v12, s6, v2
	v_ashrrev_i32_e32 v13, 31, v12
	v_mov_b32_e32 v16, 0
	s_mov_b64 s[16:17], 0
	s_waitcnt lgkmcnt(0)
	v_lshl_add_u64 v[12:13], v[12:13], 3, s[4:5]
	s_mov_b32 s13, 0
	s_waitcnt vmcnt(0)
	v_ashrrev_i32_e32 v11, 31, v10
	v_add_u32_e32 v17, v15, v10
	s_branch .LBB134_7
.LBB134_6:                              ;   in Loop: Header=BB134_7 Depth=2
	s_or_b64 exec, exec, s[18:19]
	s_add_i32 s15, s13, 1
	s_cmp_gt_u32 s13, 2
	s_cselect_b64 s[2:3], -1, 0
	s_xor_b64 s[18:19], vcc, -1
	s_or_b64 s[2:3], s[18:19], s[2:3]
	s_and_b64 s[2:3], exec, s[2:3]
	v_add_u32_e32 v16, 4, v16
	s_or_b64 s[16:17], s[2:3], s[16:17]
	s_mov_b32 s13, s15
	s_andn2_b64 exec, exec, s[16:17]
	s_cbranch_execz .LBB134_9
.LBB134_7:                              ;   Parent Loop BB134_5 Depth=1
                                        ; =>  This Inner Loop Header: Depth=2
	v_cmp_ne_u32_e32 vcc, s13, v17
	v_cmp_eq_u32_e64 s[2:3], s13, v17
	s_and_saveexec_b64 s[18:19], s[2:3]
	s_cbranch_execz .LBB134_6
; %bb.8:                                ;   in Loop: Header=BB134_7 Depth=2
	scratch_load_dword v18, v16, off
	s_waitcnt vmcnt(0)
	v_add_f32_e32 v5, v5, v18
	global_store_dwordx2 v[12:13], v[10:11], off
	s_branch .LBB134_6
.LBB134_9:                              ;   in Loop: Header=BB134_5 Depth=1
	s_or_b64 exec, exec, s[16:17]
	global_load_dwordx2 v[12:13], v[8:9], off offset:8
	s_ashr_i32 s3, s6, 31
	s_mov_b32 s2, s6
	v_lshl_add_u64 v[10:11], s[2:3], 0, v[2:3]
	v_mov_b32_e32 v16, 0
	s_mov_b32 s13, 0
	v_lshl_add_u64 v[10:11], v[10:11], 3, s[4:5]
	s_mov_b64 s[16:17], 0
	s_waitcnt vmcnt(0)
	v_ashrrev_i32_e32 v13, 31, v12
	v_add_u32_e32 v17, v15, v12
	s_branch .LBB134_11
.LBB134_10:                             ;   in Loop: Header=BB134_11 Depth=2
	s_or_b64 exec, exec, s[18:19]
	s_add_i32 s15, s13, 1
	s_cmp_gt_u32 s13, 2
	s_cselect_b64 s[2:3], -1, 0
	s_xor_b64 s[18:19], vcc, -1
	s_or_b64 s[2:3], s[18:19], s[2:3]
	s_and_b64 s[2:3], exec, s[2:3]
	v_add_u32_e32 v16, 4, v16
	s_or_b64 s[16:17], s[2:3], s[16:17]
	s_mov_b32 s13, s15
	s_andn2_b64 exec, exec, s[16:17]
	s_cbranch_execz .LBB134_13
.LBB134_11:                             ;   Parent Loop BB134_5 Depth=1
                                        ; =>  This Inner Loop Header: Depth=2
	v_cmp_ne_u32_e32 vcc, s13, v17
	v_cmp_eq_u32_e64 s[2:3], s13, v17
	s_and_saveexec_b64 s[18:19], s[2:3]
	s_cbranch_execz .LBB134_10
; %bb.12:                               ;   in Loop: Header=BB134_11 Depth=2
	scratch_load_dword v18, v16, off
	s_waitcnt vmcnt(0)
	v_add_f32_e32 v5, v5, v18
	global_store_dwordx2 v[10:11], v[12:13], off offset:8
	s_branch .LBB134_10
.LBB134_13:                             ;   in Loop: Header=BB134_5 Depth=1
	s_or_b64 exec, exec, s[16:17]
	global_load_dwordx2 v[12:13], v[8:9], off offset:16
	v_mov_b32_e32 v16, 0
	s_mov_b32 s13, 0
	s_mov_b64 s[16:17], 0
	s_waitcnt vmcnt(0)
	v_ashrrev_i32_e32 v13, 31, v12
	v_add_u32_e32 v17, v15, v12
	s_branch .LBB134_15
.LBB134_14:                             ;   in Loop: Header=BB134_15 Depth=2
	s_or_b64 exec, exec, s[18:19]
	s_add_i32 s15, s13, 1
	s_cmp_gt_u32 s13, 2
	s_cselect_b64 s[2:3], -1, 0
	s_xor_b64 s[18:19], vcc, -1
	s_or_b64 s[2:3], s[18:19], s[2:3]
	s_and_b64 s[2:3], exec, s[2:3]
	v_add_u32_e32 v16, 4, v16
	s_or_b64 s[16:17], s[2:3], s[16:17]
	s_mov_b32 s13, s15
	s_andn2_b64 exec, exec, s[16:17]
	s_cbranch_execz .LBB134_17
.LBB134_15:                             ;   Parent Loop BB134_5 Depth=1
                                        ; =>  This Inner Loop Header: Depth=2
	v_cmp_ne_u32_e32 vcc, s13, v17
	v_cmp_eq_u32_e64 s[2:3], s13, v17
	s_and_saveexec_b64 s[18:19], s[2:3]
	s_cbranch_execz .LBB134_14
; %bb.16:                               ;   in Loop: Header=BB134_15 Depth=2
	scratch_load_dword v18, v16, off
	s_waitcnt vmcnt(0)
	v_add_f32_e32 v5, v5, v18
	global_store_dwordx2 v[10:11], v[12:13], off offset:16
	s_branch .LBB134_14
.LBB134_17:                             ;   in Loop: Header=BB134_5 Depth=1
	s_or_b64 exec, exec, s[16:17]
	global_load_dwordx2 v[8:9], v[8:9], off offset:24
	v_mov_b32_e32 v12, 0
	s_mov_b32 s13, 0
	s_mov_b64 s[16:17], 0
	s_waitcnt vmcnt(0)
	v_ashrrev_i32_e32 v9, 31, v8
	v_add_u32_e32 v13, v15, v8
	s_branch .LBB134_19
.LBB134_18:                             ;   in Loop: Header=BB134_19 Depth=2
	s_or_b64 exec, exec, s[18:19]
	s_add_i32 s15, s13, 1
	s_cmp_gt_u32 s13, 2
	s_cselect_b64 s[2:3], -1, 0
	s_xor_b64 s[18:19], vcc, -1
	s_or_b64 s[2:3], s[18:19], s[2:3]
	s_and_b64 s[2:3], exec, s[2:3]
	v_add_u32_e32 v12, 4, v12
	s_or_b64 s[16:17], s[2:3], s[16:17]
	s_mov_b32 s13, s15
	s_andn2_b64 exec, exec, s[16:17]
	s_cbranch_execz .LBB134_4
.LBB134_19:                             ;   Parent Loop BB134_5 Depth=1
                                        ; =>  This Inner Loop Header: Depth=2
	v_cmp_ne_u32_e32 vcc, s13, v13
	v_cmp_eq_u32_e64 s[2:3], s13, v13
	s_and_saveexec_b64 s[18:19], s[2:3]
	s_cbranch_execz .LBB134_18
; %bb.20:                               ;   in Loop: Header=BB134_19 Depth=2
	scratch_load_dword v16, v12, off
	s_waitcnt vmcnt(0)
	v_add_f32_e32 v5, v5, v16
	global_store_dwordx2 v[10:11], v[8:9], off offset:24
	s_branch .LBB134_18
.LBB134_21:
	s_and_b32 s13, s12, 3
	s_cmp_eq_u32 s13, 0
	s_mov_b32 s15, 0
	s_cbranch_scc1 .LBB134_28
; %bb.22:
	v_lshlrev_b32_e32 v3, 2, v4
	v_sub_u32_e32 v3, 0, v3
	s_mov_b32 s18, s15
	s_branch .LBB134_24
.LBB134_23:                             ;   in Loop: Header=BB134_24 Depth=1
	s_or_b64 exec, exec, s[6:7]
	s_add_i32 s14, s14, 1
	s_add_i32 s18, s18, 1
	s_cmp_lg_u32 s18, s13
	s_cbranch_scc0 .LBB134_28
.LBB134_24:                             ; =>This Loop Header: Depth=1
                                        ;     Child Loop BB134_26 Depth 2
	v_lshl_add_u64 v[8:9], s[14:15], 3, v[6:7]
	global_load_dwordx2 v[8:9], v[8:9], off
	v_add_u32_e32 v10, s14, v2
	v_ashrrev_i32_e32 v11, 31, v10
	v_mov_b32_e32 v4, 0
	s_mov_b32 s19, 0
	s_waitcnt lgkmcnt(0)
	v_lshl_add_u64 v[10:11], v[10:11], 3, s[4:5]
	s_mov_b64 s[6:7], 0
	s_waitcnt vmcnt(0)
	v_ashrrev_i32_e32 v9, 31, v8
	v_add_u32_e32 v12, v3, v8
	s_branch .LBB134_26
.LBB134_25:                             ;   in Loop: Header=BB134_26 Depth=2
	s_or_b64 exec, exec, s[16:17]
	s_add_i32 s20, s19, 1
	s_cmp_gt_u32 s19, 2
	s_cselect_b64 s[2:3], -1, 0
	s_xor_b64 s[16:17], vcc, -1
	s_or_b64 s[2:3], s[16:17], s[2:3]
	s_and_b64 s[2:3], exec, s[2:3]
	v_add_u32_e32 v4, 4, v4
	s_or_b64 s[6:7], s[2:3], s[6:7]
	s_mov_b32 s19, s20
	s_andn2_b64 exec, exec, s[6:7]
	s_cbranch_execz .LBB134_23
.LBB134_26:                             ;   Parent Loop BB134_24 Depth=1
                                        ; =>  This Inner Loop Header: Depth=2
	v_cmp_ne_u32_e32 vcc, s19, v12
	v_cmp_eq_u32_e64 s[2:3], s19, v12
	s_and_saveexec_b64 s[16:17], s[2:3]
	s_cbranch_execz .LBB134_25
; %bb.27:                               ;   in Loop: Header=BB134_26 Depth=2
	scratch_load_dword v13, v4, off
	s_waitcnt vmcnt(0)
	v_add_f32_e32 v5, v5, v13
	global_store_dwordx2 v[10:11], v[8:9], off
	s_branch .LBB134_25
.LBB134_28:
	s_waitcnt lgkmcnt(0)
	s_load_dword s4, s[0:1], 0x3c
	s_waitcnt lgkmcnt(0)
	s_bitcmp1_b32 s4, 0
	s_cselect_b64 s[2:3], -1, 0
	s_bitcmp0_b32 s4, 0
	s_cbranch_scc0 .LBB134_31
; %bb.29:
	s_load_dwordx2 s[4:5], s[0:1], 0x40
	s_andn2_b64 vcc, exec, s[2:3]
	s_waitcnt lgkmcnt(0)
	v_cvt_f32_f64_e32 v8, s[4:5]
	s_cbranch_vccz .LBB134_32
.LBB134_30:
	s_andn2_b64 vcc, exec, s[8:9]
	s_cbranch_vccz .LBB134_33
	s_branch .LBB134_79
.LBB134_31:
	v_mbcnt_lo_u32_b32 v3, -1, 0
	v_mbcnt_hi_u32_b32 v3, -1, v3
	v_and_b32_e32 v6, 0x7e, v3
	v_xor_b32_e32 v4, 1, v3
	v_add_u32_e32 v6, 2, v6
	v_cmp_lt_i32_e32 vcc, v4, v6
	s_nop 1
	v_cndmask_b32_e32 v3, v3, v4, vcc
	v_lshlrev_b32_e32 v3, 2, v3
	ds_bpermute_b32 v3, v3, v5
	s_waitcnt lgkmcnt(0)
	v_add_f32_e32 v5, v5, v3
	s_load_dwordx2 s[4:5], s[0:1], 0x40
	s_andn2_b64 vcc, exec, s[2:3]
	s_waitcnt lgkmcnt(0)
	v_cvt_f32_f64_e32 v8, s[4:5]
	s_cbranch_vccnz .LBB134_30
.LBB134_32:
	v_cmp_lt_f32_e32 vcc, 0, v5
	s_nop 1
	v_cndmask_b32_e32 v3, 1.0, v5, vcc
	v_div_scale_f32 v4, s[2:3], v3, v3, v8
	v_rcp_f32_e32 v5, v4
	s_nop 0
	v_fma_f32 v6, -v4, v5, 1.0
	v_fmac_f32_e32 v5, v6, v5
	v_div_scale_f32 v6, vcc, v8, v3, v8
	v_mul_f32_e32 v7, v6, v5
	v_fma_f32 v9, -v4, v7, v6
	v_fmac_f32_e32 v7, v9, v5
	v_fma_f32 v4, -v4, v7, v6
	v_div_fmas_f32 v4, v4, v5, v7
	v_div_fixup_f32 v8, v4, v3, v8
	s_andn2_b64 vcc, exec, s[8:9]
	s_cbranch_vccnz .LBB134_79
.LBB134_33:
	s_load_dwordx2 s[4:5], s[0:1], 0x10
	v_mov_b32_e32 v3, 0
	v_or_b32_e32 v9, 4, v3
	v_or_b32_e32 v10, 8, v3
	;; [unrolled: 1-line block ×6, first 2 shown]
	s_cmp_lt_u32 s12, 4
	s_mov_b32 s6, 0
	s_cbranch_scc1 .LBB134_68
; %bb.34:
	v_ashrrev_i32_e32 v3, 31, v2
	s_waitcnt lgkmcnt(0)
	v_lshl_add_u64 v[4:5], v[2:3], 2, s[4:5]
	v_lshl_add_u64 v[6:7], v[0:1], 3, s[10:11]
	s_and_b32 s6, s12, 0x7ffffffc
	v_lshl_add_u64 v[4:5], v[4:5], 0, 12
	v_lshl_add_u64 v[6:7], v[6:7], 0, 16
	s_mov_b32 s7, 0
	s_branch .LBB134_36
.LBB134_35:                             ;   in Loop: Header=BB134_36 Depth=1
	s_or_b64 exec, exec, s[2:3]
	s_add_i32 s7, s7, 4
	v_lshl_add_u64 v[4:5], v[4:5], 0, 16
	s_cmp_eq_u32 s6, s7
	v_lshl_add_u64 v[6:7], v[6:7], 0, 32
	s_cbranch_scc1 .LBB134_68
.LBB134_36:                             ; =>This Inner Loop Header: Depth=1
	global_load_dword v16, v[6:7], off offset:-16
	v_mov_b32_e32 v3, 0
	s_waitcnt vmcnt(0)
	v_cmp_eq_u32_e32 vcc, v14, v16
	v_cmp_ne_u32_e64 s[0:1], v14, v16
	s_and_saveexec_b64 s[8:9], s[0:1]
	s_cbranch_execz .LBB134_42
; %bb.37:                               ;   in Loop: Header=BB134_36 Depth=1
	v_cmp_eq_u32_e64 s[0:1], v12, v16
	v_cmp_ne_u32_e64 s[2:3], v12, v16
	v_mov_b32_e32 v3, v9
	s_and_saveexec_b64 s[14:15], s[2:3]
	s_cbranch_execz .LBB134_41
; %bb.38:                               ;   in Loop: Header=BB134_36 Depth=1
	v_cmp_eq_u32_e64 s[16:17], v13, v16
	v_cmp_ne_u32_e64 s[2:3], v13, v16
	v_mov_b32_e32 v3, v10
	s_and_saveexec_b64 s[18:19], s[2:3]
	s_xor_b64 s[18:19], exec, s[18:19]
; %bb.39:                               ;   in Loop: Header=BB134_36 Depth=1
	v_cmp_eq_u32_e64 s[2:3], v15, v16
	s_andn2_b64 s[16:17], s[16:17], exec
	s_and_b64 s[2:3], s[2:3], exec
	s_or_b64 s[16:17], s[16:17], s[2:3]
	v_mov_b32_e32 v3, v11
; %bb.40:                               ;   in Loop: Header=BB134_36 Depth=1
	s_or_b64 exec, exec, s[18:19]
	s_andn2_b64 s[0:1], s[0:1], exec
	s_and_b64 s[2:3], s[16:17], exec
	s_or_b64 s[0:1], s[0:1], s[2:3]
.LBB134_41:                             ;   in Loop: Header=BB134_36 Depth=1
	s_or_b64 exec, exec, s[14:15]
	s_andn2_b64 s[2:3], vcc, exec
	s_and_b64 s[0:1], s[0:1], exec
	s_or_b64 vcc, s[2:3], s[0:1]
.LBB134_42:                             ;   in Loop: Header=BB134_36 Depth=1
	s_or_b64 exec, exec, s[8:9]
	s_and_saveexec_b64 s[0:1], vcc
	s_cbranch_execz .LBB134_44
; %bb.43:                               ;   in Loop: Header=BB134_36 Depth=1
	scratch_load_dword v3, v3, off
	v_add_u32_e32 v16, s7, v2
	v_ashrrev_i32_e32 v17, 31, v16
	v_lshl_add_u64 v[16:17], v[16:17], 2, s[4:5]
	s_waitcnt vmcnt(0)
	v_mul_f32_e32 v3, v8, v3
	global_store_dword v[16:17], v3, off
.LBB134_44:                             ;   in Loop: Header=BB134_36 Depth=1
	s_or_b64 exec, exec, s[0:1]
	global_load_dword v16, v[6:7], off offset:-8
	v_mov_b32_e32 v3, 0
	s_waitcnt vmcnt(0)
	v_cmp_eq_u32_e64 s[0:1], v14, v16
	v_cmp_ne_u32_e32 vcc, v14, v16
	s_and_saveexec_b64 s[2:3], vcc
	s_cbranch_execz .LBB134_50
; %bb.45:                               ;   in Loop: Header=BB134_36 Depth=1
	v_cmp_eq_u32_e64 s[8:9], v12, v16
	v_cmp_ne_u32_e32 vcc, v12, v16
	v_mov_b32_e32 v3, v9
	s_and_saveexec_b64 s[14:15], vcc
	s_cbranch_execz .LBB134_49
; %bb.46:                               ;   in Loop: Header=BB134_36 Depth=1
	v_cmp_eq_u32_e64 s[16:17], v13, v16
	v_cmp_ne_u32_e32 vcc, v13, v16
	v_mov_b32_e32 v3, v10
	s_and_saveexec_b64 s[18:19], vcc
; %bb.47:                               ;   in Loop: Header=BB134_36 Depth=1
	v_cmp_eq_u32_e32 vcc, v15, v16
	s_andn2_b64 s[16:17], s[16:17], exec
	s_and_b64 s[20:21], vcc, exec
	s_or_b64 s[16:17], s[16:17], s[20:21]
	v_mov_b32_e32 v3, v11
; %bb.48:                               ;   in Loop: Header=BB134_36 Depth=1
	s_or_b64 exec, exec, s[18:19]
	s_andn2_b64 s[8:9], s[8:9], exec
	s_and_b64 s[16:17], s[16:17], exec
	s_or_b64 s[8:9], s[8:9], s[16:17]
.LBB134_49:                             ;   in Loop: Header=BB134_36 Depth=1
	s_or_b64 exec, exec, s[14:15]
	s_andn2_b64 s[0:1], s[0:1], exec
	s_and_b64 s[8:9], s[8:9], exec
	s_or_b64 s[0:1], s[0:1], s[8:9]
.LBB134_50:                             ;   in Loop: Header=BB134_36 Depth=1
	s_or_b64 exec, exec, s[2:3]
	s_and_saveexec_b64 s[2:3], s[0:1]
	s_cbranch_execz .LBB134_52
; %bb.51:                               ;   in Loop: Header=BB134_36 Depth=1
	scratch_load_dword v3, v3, off
	s_waitcnt vmcnt(0)
	v_mul_f32_e32 v3, v8, v3
	global_store_dword v[4:5], v3, off offset:-8
.LBB134_52:                             ;   in Loop: Header=BB134_36 Depth=1
	s_or_b64 exec, exec, s[2:3]
	global_load_dword v16, v[6:7], off
	v_mov_b32_e32 v3, 0
	s_waitcnt vmcnt(0)
	v_cmp_eq_u32_e64 s[0:1], v14, v16
	v_cmp_ne_u32_e32 vcc, v14, v16
	s_and_saveexec_b64 s[2:3], vcc
	s_cbranch_execz .LBB134_58
; %bb.53:                               ;   in Loop: Header=BB134_36 Depth=1
	v_cmp_eq_u32_e64 s[8:9], v12, v16
	v_cmp_ne_u32_e32 vcc, v12, v16
	v_mov_b32_e32 v3, v9
	s_and_saveexec_b64 s[14:15], vcc
	s_cbranch_execz .LBB134_57
; %bb.54:                               ;   in Loop: Header=BB134_36 Depth=1
	v_cmp_eq_u32_e64 s[16:17], v13, v16
	v_cmp_ne_u32_e32 vcc, v13, v16
	v_mov_b32_e32 v3, v10
	s_and_saveexec_b64 s[18:19], vcc
; %bb.55:                               ;   in Loop: Header=BB134_36 Depth=1
	v_cmp_eq_u32_e32 vcc, v15, v16
	s_andn2_b64 s[16:17], s[16:17], exec
	s_and_b64 s[20:21], vcc, exec
	s_or_b64 s[16:17], s[16:17], s[20:21]
	v_mov_b32_e32 v3, v11
; %bb.56:                               ;   in Loop: Header=BB134_36 Depth=1
	s_or_b64 exec, exec, s[18:19]
	s_andn2_b64 s[8:9], s[8:9], exec
	s_and_b64 s[16:17], s[16:17], exec
	s_or_b64 s[8:9], s[8:9], s[16:17]
.LBB134_57:                             ;   in Loop: Header=BB134_36 Depth=1
	s_or_b64 exec, exec, s[14:15]
	s_andn2_b64 s[0:1], s[0:1], exec
	s_and_b64 s[8:9], s[8:9], exec
	s_or_b64 s[0:1], s[0:1], s[8:9]
.LBB134_58:                             ;   in Loop: Header=BB134_36 Depth=1
	s_or_b64 exec, exec, s[2:3]
	s_and_saveexec_b64 s[2:3], s[0:1]
	s_cbranch_execz .LBB134_60
; %bb.59:                               ;   in Loop: Header=BB134_36 Depth=1
	scratch_load_dword v3, v3, off
	s_waitcnt vmcnt(0)
	v_mul_f32_e32 v3, v8, v3
	global_store_dword v[4:5], v3, off offset:-4
.LBB134_60:                             ;   in Loop: Header=BB134_36 Depth=1
	s_or_b64 exec, exec, s[2:3]
	global_load_dword v16, v[6:7], off offset:8
	v_mov_b32_e32 v3, 0
	s_waitcnt vmcnt(0)
	v_cmp_eq_u32_e64 s[0:1], v14, v16
	v_cmp_ne_u32_e32 vcc, v14, v16
	s_and_saveexec_b64 s[2:3], vcc
	s_cbranch_execz .LBB134_66
; %bb.61:                               ;   in Loop: Header=BB134_36 Depth=1
	v_cmp_eq_u32_e64 s[8:9], v12, v16
	v_cmp_ne_u32_e32 vcc, v12, v16
	v_mov_b32_e32 v3, v9
	s_and_saveexec_b64 s[14:15], vcc
	s_cbranch_execz .LBB134_65
; %bb.62:                               ;   in Loop: Header=BB134_36 Depth=1
	v_cmp_eq_u32_e64 s[16:17], v13, v16
	v_cmp_ne_u32_e32 vcc, v13, v16
	v_mov_b32_e32 v3, v10
	s_and_saveexec_b64 s[18:19], vcc
; %bb.63:                               ;   in Loop: Header=BB134_36 Depth=1
	v_cmp_eq_u32_e32 vcc, v15, v16
	s_andn2_b64 s[16:17], s[16:17], exec
	s_and_b64 s[20:21], vcc, exec
	s_or_b64 s[16:17], s[16:17], s[20:21]
	v_mov_b32_e32 v3, v11
; %bb.64:                               ;   in Loop: Header=BB134_36 Depth=1
	s_or_b64 exec, exec, s[18:19]
	s_andn2_b64 s[8:9], s[8:9], exec
	s_and_b64 s[16:17], s[16:17], exec
	s_or_b64 s[8:9], s[8:9], s[16:17]
.LBB134_65:                             ;   in Loop: Header=BB134_36 Depth=1
	s_or_b64 exec, exec, s[14:15]
	s_andn2_b64 s[0:1], s[0:1], exec
	s_and_b64 s[8:9], s[8:9], exec
	s_or_b64 s[0:1], s[0:1], s[8:9]
.LBB134_66:                             ;   in Loop: Header=BB134_36 Depth=1
	s_or_b64 exec, exec, s[2:3]
	s_and_saveexec_b64 s[2:3], s[0:1]
	s_cbranch_execz .LBB134_35
; %bb.67:                               ;   in Loop: Header=BB134_36 Depth=1
	scratch_load_dword v3, v3, off
	s_waitcnt vmcnt(0)
	v_mul_f32_e32 v3, v8, v3
	global_store_dword v[4:5], v3, off
	s_branch .LBB134_35
.LBB134_68:
	s_and_b32 s14, s12, 3
	s_cmp_eq_u32 s14, 0
	s_mov_b32 s7, 0
	s_cbranch_scc1 .LBB134_79
; %bb.69:
	s_lshl_b64 s[0:1], s[6:7], 3
	s_add_u32 s0, s10, s0
	s_addc_u32 s1, s11, s1
	v_add_u32_e32 v2, s6, v2
	v_lshl_add_u64 v[0:1], v[0:1], 3, s[0:1]
	s_branch .LBB134_71
.LBB134_70:                             ;   in Loop: Header=BB134_71 Depth=1
	s_or_b64 exec, exec, s[2:3]
	s_add_i32 s14, s14, -1
	v_add_u32_e32 v2, 1, v2
	s_cmp_lg_u32 s14, 0
	v_lshl_add_u64 v[0:1], v[0:1], 0, 8
	s_cbranch_scc0 .LBB134_79
.LBB134_71:                             ; =>This Inner Loop Header: Depth=1
	global_load_dword v4, v[0:1], off
	v_mov_b32_e32 v3, 0
	s_waitcnt vmcnt(0)
	v_cmp_eq_u32_e64 s[0:1], v14, v4
	v_cmp_ne_u32_e32 vcc, v14, v4
	s_and_saveexec_b64 s[2:3], vcc
	s_cbranch_execz .LBB134_77
; %bb.72:                               ;   in Loop: Header=BB134_71 Depth=1
	v_cmp_eq_u32_e64 s[6:7], v12, v4
	v_cmp_ne_u32_e32 vcc, v12, v4
	v_mov_b32_e32 v3, v9
	s_and_saveexec_b64 s[8:9], vcc
	s_cbranch_execz .LBB134_76
; %bb.73:                               ;   in Loop: Header=BB134_71 Depth=1
	v_cmp_eq_u32_e64 s[10:11], v13, v4
	v_cmp_ne_u32_e32 vcc, v13, v4
	v_mov_b32_e32 v3, v10
	s_and_saveexec_b64 s[12:13], vcc
; %bb.74:                               ;   in Loop: Header=BB134_71 Depth=1
	v_cmp_eq_u32_e32 vcc, v15, v4
	s_andn2_b64 s[10:11], s[10:11], exec
	s_and_b64 s[16:17], vcc, exec
	s_or_b64 s[10:11], s[10:11], s[16:17]
	v_mov_b32_e32 v3, v11
; %bb.75:                               ;   in Loop: Header=BB134_71 Depth=1
	s_or_b64 exec, exec, s[12:13]
	s_andn2_b64 s[6:7], s[6:7], exec
	s_and_b64 s[10:11], s[10:11], exec
	s_or_b64 s[6:7], s[6:7], s[10:11]
.LBB134_76:                             ;   in Loop: Header=BB134_71 Depth=1
	s_or_b64 exec, exec, s[8:9]
	s_andn2_b64 s[0:1], s[0:1], exec
	s_and_b64 s[6:7], s[6:7], exec
	s_or_b64 s[0:1], s[0:1], s[6:7]
.LBB134_77:                             ;   in Loop: Header=BB134_71 Depth=1
	s_or_b64 exec, exec, s[2:3]
	s_and_saveexec_b64 s[2:3], s[0:1]
	s_cbranch_execz .LBB134_70
; %bb.78:                               ;   in Loop: Header=BB134_71 Depth=1
	scratch_load_dword v4, v3, off
	v_ashrrev_i32_e32 v3, 31, v2
	s_waitcnt vmcnt(0)
	v_mul_f32_e32 v6, v8, v4
	s_waitcnt lgkmcnt(0)
	v_lshl_add_u64 v[4:5], v[2:3], 2, s[4:5]
	global_store_dword v[4:5], v6, off
	s_branch .LBB134_70
.LBB134_79:
	s_endpgm
	.section	.rodata,"a",@progbits
	.p2align	6, 0x0
	.amdhsa_kernel _ZN4vllm3moe22topkGatingSoftplusSqrtILi4ELi8ELi4ELi16ELi32ELb1ElfEEvPKT6_PKbPfiPT5_PiiiibdPKfPKS8_SE_
		.amdhsa_group_segment_fixed_size 0
		.amdhsa_private_segment_fixed_size 32
		.amdhsa_kernarg_size 96
		.amdhsa_user_sgpr_count 2
		.amdhsa_user_sgpr_dispatch_ptr 0
		.amdhsa_user_sgpr_queue_ptr 0
		.amdhsa_user_sgpr_kernarg_segment_ptr 1
		.amdhsa_user_sgpr_dispatch_id 0
		.amdhsa_user_sgpr_kernarg_preload_length 0
		.amdhsa_user_sgpr_kernarg_preload_offset 0
		.amdhsa_user_sgpr_private_segment_size 0
		.amdhsa_uses_dynamic_stack 0
		.amdhsa_enable_private_segment 1
		.amdhsa_system_sgpr_workgroup_id_x 1
		.amdhsa_system_sgpr_workgroup_id_y 0
		.amdhsa_system_sgpr_workgroup_id_z 0
		.amdhsa_system_sgpr_workgroup_info 0
		.amdhsa_system_vgpr_workitem_id 1
		.amdhsa_next_free_vgpr 25
		.amdhsa_next_free_sgpr 22
		.amdhsa_accum_offset 28
		.amdhsa_reserve_vcc 1
		.amdhsa_float_round_mode_32 0
		.amdhsa_float_round_mode_16_64 0
		.amdhsa_float_denorm_mode_32 3
		.amdhsa_float_denorm_mode_16_64 3
		.amdhsa_dx10_clamp 1
		.amdhsa_ieee_mode 1
		.amdhsa_fp16_overflow 0
		.amdhsa_tg_split 0
		.amdhsa_exception_fp_ieee_invalid_op 0
		.amdhsa_exception_fp_denorm_src 0
		.amdhsa_exception_fp_ieee_div_zero 0
		.amdhsa_exception_fp_ieee_overflow 0
		.amdhsa_exception_fp_ieee_underflow 0
		.amdhsa_exception_fp_ieee_inexact 0
		.amdhsa_exception_int_div_zero 0
	.end_amdhsa_kernel
	.section	.text._ZN4vllm3moe22topkGatingSoftplusSqrtILi4ELi8ELi4ELi16ELi32ELb1ElfEEvPKT6_PKbPfiPT5_PiiiibdPKfPKS8_SE_,"axG",@progbits,_ZN4vllm3moe22topkGatingSoftplusSqrtILi4ELi8ELi4ELi16ELi32ELb1ElfEEvPKT6_PKbPfiPT5_PiiiibdPKfPKS8_SE_,comdat
.Lfunc_end134:
	.size	_ZN4vllm3moe22topkGatingSoftplusSqrtILi4ELi8ELi4ELi16ELi32ELb1ElfEEvPKT6_PKbPfiPT5_PiiiibdPKfPKS8_SE_, .Lfunc_end134-_ZN4vllm3moe22topkGatingSoftplusSqrtILi4ELi8ELi4ELi16ELi32ELb1ElfEEvPKT6_PKbPfiPT5_PiiiibdPKfPKS8_SE_
                                        ; -- End function
	.section	.AMDGPU.csdata,"",@progbits
; Kernel info:
; codeLenInByte = 3416
; NumSgprs: 28
; NumVgprs: 25
; NumAgprs: 0
; TotalNumVgprs: 25
; ScratchSize: 32
; MemoryBound: 0
; FloatMode: 240
; IeeeMode: 1
; LDSByteSize: 0 bytes/workgroup (compile time only)
; SGPRBlocks: 3
; VGPRBlocks: 3
; NumSGPRsForWavesPerEU: 28
; NumVGPRsForWavesPerEU: 25
; AccumOffset: 28
; Occupancy: 8
; WaveLimiterHint : 1
; COMPUTE_PGM_RSRC2:SCRATCH_EN: 1
; COMPUTE_PGM_RSRC2:USER_SGPR: 2
; COMPUTE_PGM_RSRC2:TRAP_HANDLER: 0
; COMPUTE_PGM_RSRC2:TGID_X_EN: 1
; COMPUTE_PGM_RSRC2:TGID_Y_EN: 0
; COMPUTE_PGM_RSRC2:TGID_Z_EN: 0
; COMPUTE_PGM_RSRC2:TIDIG_COMP_CNT: 1
; COMPUTE_PGM_RSRC3_GFX90A:ACCUM_OFFSET: 6
; COMPUTE_PGM_RSRC3_GFX90A:TG_SPLIT: 0
	.section	.text._ZN4vllm3moe22topkGatingSoftplusSqrtILi4ELi8ELi4ELi16ELi32ELb0ElfEEvPKT6_PKbPfiPT5_PiiiibdPKfPKS8_SE_,"axG",@progbits,_ZN4vllm3moe22topkGatingSoftplusSqrtILi4ELi8ELi4ELi16ELi32ELb0ElfEEvPKT6_PKbPfiPT5_PiiiibdPKfPKS8_SE_,comdat
	.protected	_ZN4vllm3moe22topkGatingSoftplusSqrtILi4ELi8ELi4ELi16ELi32ELb0ElfEEvPKT6_PKbPfiPT5_PiiiibdPKfPKS8_SE_ ; -- Begin function _ZN4vllm3moe22topkGatingSoftplusSqrtILi4ELi8ELi4ELi16ELi32ELb0ElfEEvPKT6_PKbPfiPT5_PiiiibdPKfPKS8_SE_
	.globl	_ZN4vllm3moe22topkGatingSoftplusSqrtILi4ELi8ELi4ELi16ELi32ELb0ElfEEvPKT6_PKbPfiPT5_PiiiibdPKfPKS8_SE_
	.p2align	8
	.type	_ZN4vllm3moe22topkGatingSoftplusSqrtILi4ELi8ELi4ELi16ELi32ELb0ElfEEvPKT6_PKbPfiPT5_PiiiibdPKfPKS8_SE_,@function
_ZN4vllm3moe22topkGatingSoftplusSqrtILi4ELi8ELi4ELi16ELi32ELb0ElfEEvPKT6_PKbPfiPT5_PiiiibdPKfPKS8_SE_: ; @_ZN4vllm3moe22topkGatingSoftplusSqrtILi4ELi8ELi4ELi16ELi32ELb0ElfEEvPKT6_PKbPfiPT5_PiiiibdPKfPKS8_SE_
; %bb.0:
	s_load_dword s30, s[2:3], 0x18
	v_and_b32_e32 v1, 0x3ff, v0
	v_bfe_u32 v4, v0, 10, 10
	s_lshl_b32 s4, s4, 6
	v_lshlrev_b32_e32 v2, 4, v4
	v_lshrrev_b32_e32 v3, 1, v1
	v_add3_u32 v2, s4, v2, v3
	s_waitcnt lgkmcnt(0)
	v_cmp_gt_i32_e32 vcc, s30, v2
	s_and_saveexec_b64 s[4:5], vcc
	s_cbranch_execz .LBB135_39
; %bb.1:
	s_load_dwordx4 s[4:7], s[2:3], 0x0
	s_load_dwordx2 s[20:21], s[2:3], 0x10
	s_waitcnt lgkmcnt(0)
	s_cmp_eq_u64 s[6:7], 0
	s_cbranch_scc1 .LBB135_3
; %bb.2:
	v_ashrrev_i32_e32 v3, 31, v2
	v_lshl_add_u64 v[6:7], s[6:7], 0, v[2:3]
	global_load_ubyte v3, v[6:7], off
	s_waitcnt vmcnt(0)
	v_and_b32_e32 v3, 1, v3
	v_cmp_eq_u32_e32 vcc, 1, v3
	s_xor_b64 s[6:7], vcc, -1
	s_orn2_b64 s[22:23], s[6:7], exec
	s_branch .LBB135_4
.LBB135_3:
	s_mov_b64 s[22:23], -1
.LBB135_4:
	v_lshlrev_b32_e32 v8, 3, v2
	v_mov_b32_e32 v6, s4
	v_mov_b32_e32 v7, s5
	v_ashrrev_i32_e32 v9, 31, v8
	v_and_b32_e32 v3, 1, v1
	v_lshl_add_u64 v[6:7], v[8:9], 2, v[6:7]
	v_mov_b32_e32 v9, 0
	v_lshlrev_b32_e32 v8, 4, v3
	v_lshl_add_u64 v[6:7], v[6:7], 0, v[8:9]
	global_load_dwordx4 v[6:9], v[6:7], off
	s_load_dwordx2 s[4:5], s[0:1], 0x4
	s_load_dwordx4 s[8:11], s[2:3], 0x40
	v_bfe_u32 v0, v0, 20, 10
	s_mov_b32 s16, 0x800000
	s_mov_b32 s13, 0x3f317217
	s_waitcnt lgkmcnt(0)
	s_lshr_b32 s0, s4, 16
	v_mul_u32_u24_e32 v4, s5, v4
	s_mul_i32 s0, s0, s5
	v_mad_u32_u24 v1, s0, v1, v4
	v_add_lshl_u32 v4, v1, v0, 4
	s_mov_b32 s14, 0x7f800000
	s_mov_b32 s12, 0x41a00000
	;; [unrolled: 1-line block ×3, first 2 shown]
	s_cmp_lg_u64 s[10:11], 0
	v_mov_b32_e32 v1, 0x260
	s_cselect_b64 s[6:7], -1, 0
	s_and_b64 s[0:1], exec, s[6:7]
	s_waitcnt vmcnt(0)
	ds_write_b128 v4, v[6:9]
	ds_read_b32 v8, v4
	v_mov_b32_e32 v6, 0x4f800000
	v_mov_b32_e32 v7, 0x41b17218
	s_waitcnt lgkmcnt(0)
	v_mul_f32_e32 v0, 0x3fb8aa3b, v8
	v_exp_f32_e32 v0, v0
	s_nop 0
	v_add_f32_e32 v0, 1.0, v0
	v_cmp_gt_f32_e32 vcc, s16, v0
	s_nop 1
	v_cndmask_b32_e32 v5, 1.0, v6, vcc
	v_mul_f32_e32 v0, v0, v5
	v_log_f32_e32 v9, v0
	v_cndmask_b32_e32 v10, 0, v7, vcc
	v_lshlrev_b32_e32 v5, 2, v3
	v_lshlrev_b32_e32 v0, 2, v5
	v_mul_f32_e32 v11, 0x3f317217, v9
	v_fma_f32 v11, v9, s13, -v11
	v_fmac_f32_e32 v11, 0x3377d1cf, v9
	v_fmac_f32_e32 v11, 0x3f317217, v9
	v_cmp_lt_f32_e64 vcc, |v9|, s14
	s_nop 1
	v_cndmask_b32_e32 v9, v9, v11, vcc
	v_sub_f32_e32 v9, v9, v10
	v_cmp_lt_f32_e32 vcc, s12, v8
	s_nop 1
	v_cndmask_b32_e32 v8, v9, v8, vcc
	v_mul_f32_e32 v9, 0x4f800000, v8
	v_cmp_gt_f32_e32 vcc, s15, v8
	s_nop 1
	v_cndmask_b32_e32 v8, v8, v9, vcc
	v_sqrt_f32_e32 v9, v8
	s_nop 0
	v_add_u32_e32 v10, -1, v9
	v_add_u32_e32 v11, 1, v9
	v_fma_f32 v12, -v10, v9, v8
	v_fma_f32 v13, -v11, v9, v8
	v_cmp_ge_f32_e64 s[4:5], 0, v12
	s_nop 1
	v_cndmask_b32_e64 v9, v9, v10, s[4:5]
	v_cmp_lt_f32_e64 s[4:5], 0, v13
	s_nop 1
	v_cndmask_b32_e64 v9, v9, v11, s[4:5]
	v_mul_f32_e32 v10, 0x37800000, v9
	v_cndmask_b32_e32 v9, v9, v10, vcc
	v_cmp_class_f32_e32 vcc, v8, v1
	s_nop 1
	v_cndmask_b32_e32 v8, v9, v8, vcc
	s_mov_b64 vcc, s[0:1]
	s_cbranch_vccz .LBB135_6
; %bb.5:
	global_load_dword v9, v0, s[10:11]
	s_waitcnt vmcnt(0)
	v_add_f32_e32 v8, v8, v9
.LBB135_6:
	ds_read_b32 v9, v4 offset:4
	ds_write_b32 v4, v8
	s_waitcnt lgkmcnt(1)
	v_mul_f32_e32 v10, 0x3fb8aa3b, v9
	v_exp_f32_e32 v10, v10
	s_nop 0
	v_add_f32_e32 v10, 1.0, v10
	v_cmp_gt_f32_e32 vcc, s16, v10
	s_nop 1
	v_cndmask_b32_e32 v6, 1.0, v6, vcc
	v_mul_f32_e32 v6, v10, v6
	v_log_f32_e32 v6, v6
	v_cndmask_b32_e32 v7, 0, v7, vcc
	v_mul_f32_e32 v8, 0x3f317217, v6
	v_fma_f32 v8, v6, s13, -v8
	v_fmac_f32_e32 v8, 0x3377d1cf, v6
	v_fmac_f32_e32 v8, 0x3f317217, v6
	v_cmp_lt_f32_e64 vcc, |v6|, s14
	s_nop 1
	v_cndmask_b32_e32 v6, v6, v8, vcc
	v_sub_f32_e32 v6, v6, v7
	v_cmp_lt_f32_e32 vcc, s12, v9
	v_cndmask_b32_e64 v8, 0, 1, s[6:7]
	v_cmp_ne_u32_e64 s[0:1], 1, v8
	v_cndmask_b32_e32 v6, v6, v9, vcc
	v_mul_f32_e32 v7, 0x4f800000, v6
	v_cmp_gt_f32_e64 s[4:5], s15, v6
	s_andn2_b64 vcc, exec, s[6:7]
	s_nop 0
	v_cndmask_b32_e64 v6, v6, v7, s[4:5]
	v_sqrt_f32_e32 v7, v6
	s_nop 0
	v_add_u32_e32 v8, -1, v7
	v_add_u32_e32 v9, 1, v7
	v_fma_f32 v10, -v8, v7, v6
	v_fma_f32 v11, -v9, v7, v6
	v_cmp_ge_f32_e64 s[6:7], 0, v10
	s_nop 1
	v_cndmask_b32_e64 v7, v7, v8, s[6:7]
	v_cmp_lt_f32_e64 s[6:7], 0, v11
	s_nop 1
	v_cndmask_b32_e64 v7, v7, v9, s[6:7]
	v_mul_f32_e32 v8, 0x37800000, v7
	v_cndmask_b32_e64 v7, v7, v8, s[4:5]
	v_cmp_class_f32_e64 s[4:5], v6, v1
	s_nop 1
	v_cndmask_b32_e64 v1, v7, v6, s[4:5]
	s_cbranch_vccnz .LBB135_8
; %bb.7:
	global_load_dword v6, v0, s[10:11] offset:4
	s_waitcnt vmcnt(0)
	v_add_f32_e32 v1, v1, v6
.LBB135_8:
	ds_read_b32 v8, v4 offset:8
	s_mov_b32 s12, 0x800000
	s_mov_b32 s7, 0x3f317217
	;; [unrolled: 1-line block ×4, first 2 shown]
	s_waitcnt lgkmcnt(0)
	v_mul_f32_e32 v6, 0x3fb8aa3b, v8
	v_exp_f32_e32 v7, v6
	v_mov_b32_e32 v6, 0x4f800000
	s_mov_b32 s14, 0xf800000
	ds_write_b32 v4, v1 offset:4
	v_add_f32_e32 v7, 1.0, v7
	v_cmp_gt_f32_e32 vcc, s12, v7
	s_nop 1
	v_cndmask_b32_e32 v9, 1.0, v6, vcc
	v_mul_f32_e32 v7, v7, v9
	v_log_f32_e32 v9, v7
	v_mov_b32_e32 v7, 0x41b17218
	v_cndmask_b32_e32 v10, 0, v7, vcc
	v_mul_f32_e32 v11, 0x3f317217, v9
	v_fma_f32 v11, v9, s7, -v11
	v_fmac_f32_e32 v11, 0x3377d1cf, v9
	v_fmac_f32_e32 v11, 0x3f317217, v9
	v_cmp_lt_f32_e64 vcc, |v9|, s13
	s_nop 1
	v_cndmask_b32_e32 v9, v9, v11, vcc
	v_sub_f32_e32 v9, v9, v10
	v_cmp_lt_f32_e32 vcc, s6, v8
	s_nop 1
	v_cndmask_b32_e32 v8, v9, v8, vcc
	v_mul_f32_e32 v9, 0x4f800000, v8
	v_cmp_gt_f32_e32 vcc, s14, v8
	s_nop 1
	v_cndmask_b32_e32 v8, v8, v9, vcc
	v_sqrt_f32_e32 v9, v8
	s_nop 0
	v_add_u32_e32 v1, -1, v9
	v_fma_f32 v10, -v1, v9, v8
	v_cmp_ge_f32_e64 s[4:5], 0, v10
	v_add_u32_e32 v10, 1, v9
	s_nop 0
	v_cndmask_b32_e64 v1, v9, v1, s[4:5]
	v_fma_f32 v9, -v10, v9, v8
	v_cmp_lt_f32_e64 s[4:5], 0, v9
	s_nop 1
	v_cndmask_b32_e64 v1, v1, v10, s[4:5]
	v_mul_f32_e32 v9, 0x37800000, v1
	v_cndmask_b32_e32 v9, v1, v9, vcc
	v_mov_b32_e32 v1, 0x260
	v_cmp_class_f32_e64 s[4:5], v8, v1
	s_and_b64 vcc, exec, s[0:1]
	s_nop 0
	v_cndmask_b32_e64 v8, v9, v8, s[4:5]
	s_cbranch_vccnz .LBB135_10
; %bb.9:
	global_load_dword v9, v0, s[10:11] offset:8
	s_waitcnt vmcnt(0)
	v_add_f32_e32 v8, v8, v9
.LBB135_10:
	ds_read_b32 v9, v4 offset:12
	ds_write_b32 v4, v8 offset:8
	s_waitcnt lgkmcnt(1)
	v_mul_f32_e32 v10, 0x3fb8aa3b, v9
	v_exp_f32_e32 v10, v10
	s_nop 0
	v_add_f32_e32 v10, 1.0, v10
	v_cmp_gt_f32_e32 vcc, s12, v10
	s_nop 1
	v_cndmask_b32_e32 v6, 1.0, v6, vcc
	v_mul_f32_e32 v6, v10, v6
	v_log_f32_e32 v6, v6
	v_cndmask_b32_e32 v7, 0, v7, vcc
	v_mul_f32_e32 v10, 0x3f317217, v6
	v_fma_f32 v10, v6, s7, -v10
	v_fmac_f32_e32 v10, 0x3377d1cf, v6
	v_fmac_f32_e32 v10, 0x3f317217, v6
	v_cmp_lt_f32_e64 vcc, |v6|, s13
	s_nop 1
	v_cndmask_b32_e32 v6, v6, v10, vcc
	v_sub_f32_e32 v6, v6, v7
	v_cmp_lt_f32_e32 vcc, s6, v9
	s_nop 1
	v_cndmask_b32_e32 v6, v6, v9, vcc
	v_mul_f32_e32 v7, 0x4f800000, v6
	v_cmp_gt_f32_e64 s[4:5], s14, v6
	s_and_b64 vcc, exec, s[0:1]
	s_nop 0
	v_cndmask_b32_e64 v6, v6, v7, s[4:5]
	v_sqrt_f32_e32 v7, v6
	s_nop 0
	v_add_u32_e32 v8, -1, v7
	v_add_u32_e32 v9, 1, v7
	v_fma_f32 v10, -v8, v7, v6
	v_fma_f32 v11, -v9, v7, v6
	v_cmp_ge_f32_e64 s[6:7], 0, v10
	s_nop 1
	v_cndmask_b32_e64 v7, v7, v8, s[6:7]
	v_cmp_lt_f32_e64 s[6:7], 0, v11
	s_nop 1
	v_cndmask_b32_e64 v7, v7, v9, s[6:7]
	v_mul_f32_e32 v8, 0x37800000, v7
	v_cndmask_b32_e64 v7, v7, v8, s[4:5]
	v_cmp_class_f32_e64 s[4:5], v6, v1
	s_nop 1
	v_cndmask_b32_e64 v1, v7, v6, s[4:5]
	s_cbranch_vccnz .LBB135_12
; %bb.11:
	global_load_dword v0, v0, s[10:11] offset:12
	s_waitcnt vmcnt(0)
	v_add_f32_e32 v1, v1, v0
.LBB135_12:
	s_load_dwordx4 s[12:15], s[2:3], 0x30
	s_mov_b32 s31, 0
	v_cmp_eq_u32_e64 s[6:7], 0, v3
	ds_write_b32 v4, v1 offset:12
	s_waitcnt lgkmcnt(0)
	s_bitcmp1_b32 s15, 0
	s_cselect_b64 s[4:5], -1, 0
	s_cmp_gt_i32 s12, 0
	s_cselect_b64 s[24:25], -1, 0
	s_and_b64 vcc, exec, s[24:25]
	s_cbranch_vccz .LBB135_25
; %bb.13:
	v_mbcnt_lo_u32_b32 v0, -1, 0
	v_mbcnt_hi_u32_b32 v0, -1, v0
	s_load_dwordx4 s[16:19], s[2:3], 0x20
	v_and_b32_e32 v6, 0x7e, v0
	v_xor_b32_e32 v1, 1, v0
	v_add_u32_e32 v6, 2, v6
	v_cmp_lt_i32_e32 vcc, v1, v6
	v_mul_lo_u32 v8, v2, s12
	v_mov_b32_e32 v6, 0
	v_cndmask_b32_e32 v0, v0, v1, vcc
	v_lshlrev_b32_e32 v7, 2, v0
	v_mov_b32_e32 v9, 0xc61c4000
	v_mov_b32_e32 v10, v2
	s_branch .LBB135_15
.LBB135_14:                             ;   in Loop: Header=BB135_15 Depth=1
	s_or_b64 exec, exec, s[2:3]
	s_cmp_eq_u32 s12, s31
	v_add_u32_e32 v10, s30, v10
	s_cbranch_scc1 .LBB135_26
.LBB135_15:                             ; =>This Inner Loop Header: Depth=1
	ds_read_b128 v[12:15], v4
	s_waitcnt lgkmcnt(0)
	v_cmp_gt_f32_e32 vcc, v13, v12
	s_nop 1
	v_cndmask_b32_e32 v1, v12, v13, vcc
	v_cndmask_b32_e64 v0, 0, 1, vcc
	v_cmp_gt_f32_e32 vcc, v14, v1
	s_nop 1
	v_cndmask_b32_e32 v1, v1, v14, vcc
	v_cndmask_b32_e64 v0, v0, 2, vcc
	v_cmp_gt_f32_e32 vcc, v15, v1
	s_nop 1
	v_cndmask_b32_e64 v0, v0, 3, vcc
	v_cndmask_b32_e32 v11, v1, v15, vcc
	ds_bpermute_b32 v1, v7, v11
	v_or_b32_e32 v0, v5, v0
	ds_bpermute_b32 v12, v7, v0
	s_waitcnt lgkmcnt(1)
	v_cmp_lt_f32_e64 s[26:27], v11, v1
	v_cmp_nlt_f32_e32 vcc, v11, v1
	s_and_saveexec_b64 s[28:29], vcc
	s_cbranch_execnz .LBB135_18
; %bb.16:                               ;   in Loop: Header=BB135_15 Depth=1
	s_or_b64 exec, exec, s[28:29]
	s_and_saveexec_b64 s[2:3], s[26:27]
	s_cbranch_execnz .LBB135_19
.LBB135_17:                             ;   in Loop: Header=BB135_15 Depth=1
	s_or_b64 exec, exec, s[2:3]
	s_and_saveexec_b64 s[26:27], s[6:7]
	s_cbranch_execnz .LBB135_20
	s_branch .LBB135_23
.LBB135_18:                             ;   in Loop: Header=BB135_15 Depth=1
	v_cmp_eq_f32_e32 vcc, v11, v1
	s_waitcnt lgkmcnt(0)
	v_cmp_lt_i32_e64 s[2:3], v12, v0
	s_and_b64 s[2:3], vcc, s[2:3]
	s_andn2_b64 s[26:27], s[26:27], exec
	s_and_b64 s[2:3], s[2:3], exec
	s_or_b64 s[26:27], s[26:27], s[2:3]
	s_or_b64 exec, exec, s[28:29]
	s_and_saveexec_b64 s[2:3], s[26:27]
	s_cbranch_execz .LBB135_17
.LBB135_19:                             ;   in Loop: Header=BB135_15 Depth=1
	s_waitcnt lgkmcnt(0)
	v_mov_b32_e32 v0, v12
	v_mov_b32_e32 v11, v1
	s_or_b64 exec, exec, s[2:3]
	s_and_saveexec_b64 s[26:27], s[6:7]
	s_cbranch_execz .LBB135_23
.LBB135_20:                             ;   in Loop: Header=BB135_15 Depth=1
	s_and_b64 vcc, exec, s[0:1]
	s_cbranch_vccnz .LBB135_22
; %bb.21:                               ;   in Loop: Header=BB135_15 Depth=1
	v_ashrrev_i32_e32 v1, 31, v0
	s_waitcnt lgkmcnt(0)
	v_lshl_add_u64 v[12:13], v[0:1], 2, s[10:11]
	global_load_dword v1, v[12:13], off
	s_waitcnt vmcnt(0)
	v_sub_f32_e32 v11, v11, v1
.LBB135_22:                             ;   in Loop: Header=BB135_15 Depth=1
	s_waitcnt lgkmcnt(0)
	v_add_u32_e32 v12, s31, v8
	v_ashrrev_i32_e32 v13, 31, v12
	v_cmp_le_i32_e32 vcc, s13, v0
	v_cmp_gt_i32_e64 s[2:3], s14, v0
	v_lshlrev_b64 v[14:15], 2, v[12:13]
	s_and_b64 s[2:3], vcc, s[2:3]
	v_lshl_add_u64 v[16:17], s[20:21], 0, v[14:15]
	v_subrev_u32_e32 v1, s13, v0
	global_store_dword v[16:17], v11, off
	v_ashrrev_i32_e32 v16, 31, v1
	s_and_b64 vcc, s[22:23], s[2:3]
	v_cndmask_b32_e32 v17, 0, v16, vcc
	v_cndmask_b32_e32 v16, 8, v1, vcc
	v_lshl_add_u64 v[12:13], v[12:13], 3, s[16:17]
	v_add_f32_e32 v1, v6, v11
	global_store_dwordx2 v[12:13], v[16:17], off
	v_lshl_add_u64 v[12:13], s[18:19], 0, v[14:15]
	v_cndmask_b32_e64 v6, v6, v1, s[4:5]
	global_store_dword v[12:13], v10, off
.LBB135_23:                             ;   in Loop: Header=BB135_15 Depth=1
	s_or_b64 exec, exec, s[26:27]
	v_ashrrev_i32_e32 v1, 31, v0
	v_lshrrev_b32_e32 v11, 30, v1
	s_waitcnt lgkmcnt(0)
	v_add_u32_e32 v12, v0, v11
	v_ashrrev_i32_e32 v11, 2, v12
	v_lshrrev_b32_e32 v12, 31, v12
	v_add_u32_e32 v12, v11, v12
	s_add_i32 s31, s31, 1
	v_and_b32_e32 v12, -2, v12
	s_cmp_lt_i32 s31, s12
	v_sub_u32_e32 v12, v11, v12
	s_cselect_b64 s[2:3], -1, 0
	v_cmp_eq_u32_e32 vcc, v3, v12
	s_and_b64 s[26:27], s[2:3], vcc
	s_and_saveexec_b64 s[2:3], s[26:27]
	s_cbranch_execz .LBB135_14
; %bb.24:                               ;   in Loop: Header=BB135_15 Depth=1
	v_lshrrev_b32_e32 v1, 29, v1
	v_add_u32_e32 v1, v0, v1
	v_lshlrev_b32_e32 v11, 2, v11
	v_lshrrev_b32_e32 v1, 1, v1
	v_sub_u32_e32 v0, v0, v11
	v_and_b32_e32 v1, 0x7ffffffc, v1
	v_add_u32_e32 v0, v1, v0
	v_lshl_add_u32 v0, v0, 2, v4
	ds_write_b32 v0, v9
	s_branch .LBB135_14
.LBB135_25:
	v_mov_b32_e32 v6, 0
.LBB135_26:
	v_cmp_eq_u32_e32 vcc, 0, v3
	s_and_b64 exec, exec, vcc
	s_cbranch_execz .LBB135_39
; %bb.27:
	s_andn2_b64 vcc, exec, s[4:5]
	v_cvt_f32_f64_e32 v0, s[8:9]
	s_cbranch_vccnz .LBB135_29
; %bb.28:
	v_cmp_lt_f32_e32 vcc, 0, v6
	s_nop 1
	v_cndmask_b32_e32 v1, 1.0, v6, vcc
	v_div_scale_f32 v3, s[0:1], v1, v1, v0
	v_rcp_f32_e32 v4, v3
	s_nop 0
	v_fma_f32 v5, -v3, v4, 1.0
	v_fmac_f32_e32 v4, v5, v4
	v_div_scale_f32 v5, vcc, v0, v1, v0
	v_mul_f32_e32 v6, v5, v4
	v_fma_f32 v7, -v3, v6, v5
	v_fmac_f32_e32 v6, v7, v4
	v_fma_f32 v3, -v3, v6, v5
	v_div_fmas_f32 v3, v3, v4, v6
	v_div_fixup_f32 v0, v3, v1, v0
.LBB135_29:
	s_andn2_b64 vcc, exec, s[24:25]
	s_cbranch_vccnz .LBB135_39
; %bb.30:
	v_mul_lo_u32 v2, v2, s12
	s_cmp_gt_u32 s12, 3
	v_ashrrev_i32_e32 v3, 31, v2
	s_cbranch_scc0 .LBB135_34
; %bb.31:
	s_and_b32 s0, s12, 0x7ffffffc
	v_lshl_add_u64 v[4:5], v[2:3], 2, s[20:21]
	v_mov_b32_e32 v1, v0
	v_lshl_add_u64 v[4:5], v[4:5], 0, 8
	s_mov_b32 s1, s0
.LBB135_32:                             ; =>This Inner Loop Header: Depth=1
	global_load_dwordx4 v[6:9], v[4:5], off offset:-8
	s_add_i32 s1, s1, -4
	s_cmp_lg_u32 s1, 0
	s_waitcnt vmcnt(0)
	v_pk_mul_f32 v[6:7], v[0:1], v[6:7]
	v_pk_mul_f32 v[8:9], v[0:1], v[8:9]
	global_store_dwordx4 v[4:5], v[6:9], off offset:-8
	v_lshl_add_u64 v[4:5], v[4:5], 0, 16
	s_cbranch_scc1 .LBB135_32
; %bb.33:
	s_cmp_lg_u32 s0, s12
	s_cselect_b64 s[2:3], -1, 0
	s_branch .LBB135_36
.LBB135_34:
	s_mov_b64 s[2:3], 0
                                        ; implicit-def: $sgpr0
	s_cbranch_execz .LBB135_36
; %bb.35:
	s_mov_b64 s[2:3], -1
	s_mov_b32 s0, 0
.LBB135_36:
	s_andn2_b64 vcc, exec, s[2:3]
	s_cbranch_vccnz .LBB135_39
; %bb.37:
	s_mov_b32 s1, 0
	v_lshl_add_u64 v[2:3], v[2:3], 0, s[0:1]
	s_sub_i32 s2, s12, s0
	v_lshl_add_u64 v[2:3], v[2:3], 2, s[20:21]
.LBB135_38:                             ; =>This Inner Loop Header: Depth=1
	global_load_dword v1, v[2:3], off
	s_add_i32 s2, s2, -1
	s_cmp_lg_u32 s2, 0
	s_waitcnt vmcnt(0)
	v_mul_f32_e32 v1, v0, v1
	global_store_dword v[2:3], v1, off
	v_lshl_add_u64 v[2:3], v[2:3], 0, 4
	s_cbranch_scc1 .LBB135_38
.LBB135_39:
	s_endpgm
	.section	.rodata,"a",@progbits
	.p2align	6, 0x0
	.amdhsa_kernel _ZN4vllm3moe22topkGatingSoftplusSqrtILi4ELi8ELi4ELi16ELi32ELb0ElfEEvPKT6_PKbPfiPT5_PiiiibdPKfPKS8_SE_
		.amdhsa_group_segment_fixed_size 2048
		.amdhsa_private_segment_fixed_size 0
		.amdhsa_kernarg_size 96
		.amdhsa_user_sgpr_count 4
		.amdhsa_user_sgpr_dispatch_ptr 1
		.amdhsa_user_sgpr_queue_ptr 0
		.amdhsa_user_sgpr_kernarg_segment_ptr 1
		.amdhsa_user_sgpr_dispatch_id 0
		.amdhsa_user_sgpr_kernarg_preload_length 0
		.amdhsa_user_sgpr_kernarg_preload_offset 0
		.amdhsa_user_sgpr_private_segment_size 0
		.amdhsa_uses_dynamic_stack 0
		.amdhsa_enable_private_segment 0
		.amdhsa_system_sgpr_workgroup_id_x 1
		.amdhsa_system_sgpr_workgroup_id_y 0
		.amdhsa_system_sgpr_workgroup_id_z 0
		.amdhsa_system_sgpr_workgroup_info 0
		.amdhsa_system_vgpr_workitem_id 2
		.amdhsa_next_free_vgpr 18
		.amdhsa_next_free_sgpr 32
		.amdhsa_accum_offset 20
		.amdhsa_reserve_vcc 1
		.amdhsa_float_round_mode_32 0
		.amdhsa_float_round_mode_16_64 0
		.amdhsa_float_denorm_mode_32 3
		.amdhsa_float_denorm_mode_16_64 3
		.amdhsa_dx10_clamp 1
		.amdhsa_ieee_mode 1
		.amdhsa_fp16_overflow 0
		.amdhsa_tg_split 0
		.amdhsa_exception_fp_ieee_invalid_op 0
		.amdhsa_exception_fp_denorm_src 0
		.amdhsa_exception_fp_ieee_div_zero 0
		.amdhsa_exception_fp_ieee_overflow 0
		.amdhsa_exception_fp_ieee_underflow 0
		.amdhsa_exception_fp_ieee_inexact 0
		.amdhsa_exception_int_div_zero 0
	.end_amdhsa_kernel
	.section	.text._ZN4vllm3moe22topkGatingSoftplusSqrtILi4ELi8ELi4ELi16ELi32ELb0ElfEEvPKT6_PKbPfiPT5_PiiiibdPKfPKS8_SE_,"axG",@progbits,_ZN4vllm3moe22topkGatingSoftplusSqrtILi4ELi8ELi4ELi16ELi32ELb0ElfEEvPKT6_PKbPfiPT5_PiiiibdPKfPKS8_SE_,comdat
.Lfunc_end135:
	.size	_ZN4vllm3moe22topkGatingSoftplusSqrtILi4ELi8ELi4ELi16ELi32ELb0ElfEEvPKT6_PKbPfiPT5_PiiiibdPKfPKS8_SE_, .Lfunc_end135-_ZN4vllm3moe22topkGatingSoftplusSqrtILi4ELi8ELi4ELi16ELi32ELb0ElfEEvPKT6_PKbPfiPT5_PiiiibdPKfPKS8_SE_
                                        ; -- End function
	.section	.AMDGPU.csdata,"",@progbits
; Kernel info:
; codeLenInByte = 2504
; NumSgprs: 38
; NumVgprs: 18
; NumAgprs: 0
; TotalNumVgprs: 18
; ScratchSize: 0
; MemoryBound: 0
; FloatMode: 240
; IeeeMode: 1
; LDSByteSize: 2048 bytes/workgroup (compile time only)
; SGPRBlocks: 4
; VGPRBlocks: 2
; NumSGPRsForWavesPerEU: 38
; NumVGPRsForWavesPerEU: 18
; AccumOffset: 20
; Occupancy: 8
; WaveLimiterHint : 0
; COMPUTE_PGM_RSRC2:SCRATCH_EN: 0
; COMPUTE_PGM_RSRC2:USER_SGPR: 4
; COMPUTE_PGM_RSRC2:TRAP_HANDLER: 0
; COMPUTE_PGM_RSRC2:TGID_X_EN: 1
; COMPUTE_PGM_RSRC2:TGID_Y_EN: 0
; COMPUTE_PGM_RSRC2:TGID_Z_EN: 0
; COMPUTE_PGM_RSRC2:TIDIG_COMP_CNT: 2
; COMPUTE_PGM_RSRC3_GFX90A:ACCUM_OFFSET: 4
; COMPUTE_PGM_RSRC3_GFX90A:TG_SPLIT: 0
	.section	.text._ZN4vllm3moe22topkGatingSoftplusSqrtILi4ELi16ELi4ELi16ELi64ELb1ElfEEvPKT6_PKbPfiPT5_PiiiibdPKfPKS8_SE_,"axG",@progbits,_ZN4vllm3moe22topkGatingSoftplusSqrtILi4ELi16ELi4ELi16ELi64ELb1ElfEEvPKT6_PKbPfiPT5_PiiiibdPKfPKS8_SE_,comdat
	.protected	_ZN4vllm3moe22topkGatingSoftplusSqrtILi4ELi16ELi4ELi16ELi64ELb1ElfEEvPKT6_PKbPfiPT5_PiiiibdPKfPKS8_SE_ ; -- Begin function _ZN4vllm3moe22topkGatingSoftplusSqrtILi4ELi16ELi4ELi16ELi64ELb1ElfEEvPKT6_PKbPfiPT5_PiiiibdPKfPKS8_SE_
	.globl	_ZN4vllm3moe22topkGatingSoftplusSqrtILi4ELi16ELi4ELi16ELi64ELb1ElfEEvPKT6_PKbPfiPT5_PiiiibdPKfPKS8_SE_
	.p2align	8
	.type	_ZN4vllm3moe22topkGatingSoftplusSqrtILi4ELi16ELi4ELi16ELi64ELb1ElfEEvPKT6_PKbPfiPT5_PiiiibdPKfPKS8_SE_,@function
_ZN4vllm3moe22topkGatingSoftplusSqrtILi4ELi16ELi4ELi16ELi64ELb1ElfEEvPKT6_PKbPfiPT5_PiiiibdPKfPKS8_SE_: ; @_ZN4vllm3moe22topkGatingSoftplusSqrtILi4ELi16ELi4ELi16ELi64ELb1ElfEEvPKT6_PKbPfiPT5_PiiiibdPKfPKS8_SE_
; %bb.0:
	s_load_dword s3, s[0:1], 0x18
	v_bfe_u32 v1, v0, 10, 10
	v_and_b32_e32 v8, 0x3ff, v0
	s_lshl_b32 s2, s2, 6
	v_lshlrev_b32_e32 v1, 4, v1
	v_lshrrev_b32_e32 v0, 2, v8
	v_add3_u32 v2, s2, v1, v0
	s_waitcnt lgkmcnt(0)
	v_cmp_gt_i32_e32 vcc, s3, v2
	s_and_saveexec_b64 s[2:3], vcc
	s_cbranch_execz .LBB136_79
; %bb.1:
	s_load_dwordx4 s[8:11], s[0:1], 0x50
	s_load_dwordx2 s[2:3], s[0:1], 0x0
	s_load_dword s12, s[0:1], 0x30
	v_lshlrev_b32_e32 v0, 4, v2
	v_lshlrev_b32_e32 v3, 2, v8
	v_ashrrev_i32_e32 v1, 31, v0
	v_and_b32_e32 v14, 12, v3
	s_waitcnt lgkmcnt(0)
	v_lshl_add_u64 v[0:1], v[0:1], 2, s[2:3]
	v_lshlrev_b32_e32 v4, 2, v14
	v_mov_b32_e32 v5, 0
	v_lshl_add_u64 v[0:1], v[0:1], 0, v[4:5]
	global_load_dwordx4 v[10:13], v[0:1], off
	v_mov_b32_e32 v6, s8
	v_mov_b32_e32 v7, s9
	v_ashrrev_i32_e32 v3, 31, v2
	v_lshl_add_u64 v[6:7], v[2:3], 3, v[6:7]
	global_load_dwordx2 v[6:7], v[6:7], off
	s_ashr_i32 s13, s12, 31
	s_mov_b32 s6, 0x800000
	v_mov_b32_e32 v3, 0x4f800000
	s_mov_b32 s18, 0x3f317217
	s_mov_b32 s19, 0x7f800000
	v_mov_b32_e32 v4, 0x41b17218
	s_mov_b32 s15, 0x41a00000
	s_mov_b32 s20, 0xf800000
	v_mov_b32_e32 v9, 0x260
	v_cmp_lt_i64_e64 s[16:17], s[12:13], 1
	s_mov_b32 s14, 0
	v_cmp_gt_i64_e64 s[8:9], s[12:13], 0
	v_mul_lo_u32 v2, v2, s12
	s_waitcnt vmcnt(1)
	v_mul_f32_e32 v0, 0x3fb8aa3b, v10
	v_mul_f32_e32 v1, 0x3fb8aa3b, v11
	v_exp_f32_e32 v16, v0
	v_exp_f32_e32 v17, v1
	v_mul_f32_e32 v18, 0x3fb8aa3b, v12
	v_mul_f32_e32 v19, 0x3fb8aa3b, v13
	s_waitcnt vmcnt(0)
	v_mul_lo_u32 v7, v7, s12
	v_mul_lo_u32 v15, v6, s13
	v_exp_f32_e32 v18, v18
	v_exp_f32_e32 v19, v19
	v_mad_u64_u32 v[0:1], s[2:3], v6, s12, 0
	v_add3_u32 v1, v1, v15, v7
	v_pk_add_f32 v[6:7], v[16:17], 1.0 op_sel_hi:[1,0]
	v_pk_add_f32 v[16:17], v[18:19], 1.0 op_sel_hi:[1,0]
	v_cmp_gt_f32_e32 vcc, s6, v7
	v_cmp_gt_f32_e64 s[2:3], s6, v6
	v_cmp_gt_f32_e64 s[4:5], s6, v17
	v_cndmask_b32_e32 v15, 1.0, v3, vcc
	v_cndmask_b32_e64 v18, 1.0, v3, s[2:3]
	v_mul_f32_e32 v7, v7, v15
	v_mul_f32_e32 v6, v6, v18
	v_log_f32_e32 v7, v7
	v_log_f32_e32 v6, v6
	v_cndmask_b32_e64 v19, 1.0, v3, s[4:5]
	v_cmp_gt_f32_e64 s[6:7], s6, v16
	v_mul_f32_e32 v17, v17, v19
	v_mul_f32_e32 v20, 0x3f317217, v6
	v_cndmask_b32_e64 v3, 1.0, v3, s[6:7]
	v_mul_f32_e32 v3, v16, v3
	v_log_f32_e32 v16, v17
	v_mul_f32_e32 v17, 0x3f317217, v7
	v_fma_f32 v17, v7, s18, -v17
	v_fma_f32 v20, v6, s18, -v20
	v_fmac_f32_e32 v17, 0x3377d1cf, v7
	v_cndmask_b32_e32 v15, 0, v4, vcc
	v_fmac_f32_e32 v20, 0x3377d1cf, v6
	v_fmac_f32_e32 v17, 0x3f317217, v7
	v_cmp_lt_f32_e64 vcc, |v7|, s19
	v_fmac_f32_e32 v20, 0x3f317217, v6
	v_cndmask_b32_e64 v18, 0, v4, s[2:3]
	v_cndmask_b32_e32 v7, v7, v17, vcc
	v_cmp_lt_f32_e64 vcc, |v6|, s19
	v_sub_f32_e32 v7, v7, v15
	v_mul_f32_e32 v21, 0x3f317217, v16
	v_cndmask_b32_e32 v6, v6, v20, vcc
	v_sub_f32_e32 v6, v6, v18
	v_cmp_lt_f32_e32 vcc, s15, v10
	v_fma_f32 v21, v16, s18, -v21
	v_fmac_f32_e32 v21, 0x3377d1cf, v16
	v_cndmask_b32_e32 v6, v6, v10, vcc
	v_cmp_lt_f32_e32 vcc, s15, v11
	v_cmp_gt_f32_e64 s[2:3], s20, v6
	v_cndmask_b32_e64 v19, 0, v4, s[4:5]
	v_cndmask_b32_e32 v7, v7, v11, vcc
	v_mul_f32_e32 v10, 0x4f800000, v7
	v_cmp_gt_f32_e32 vcc, s20, v7
	v_mul_f32_e32 v11, 0x4f800000, v6
	v_cndmask_b32_e64 v6, v6, v11, s[2:3]
	v_cndmask_b32_e32 v7, v7, v10, vcc
	v_sqrt_f32_e32 v10, v7
	v_sqrt_f32_e32 v11, v6
	v_fmac_f32_e32 v21, 0x3f317217, v16
	v_cmp_lt_f32_e64 s[4:5], |v16|, s19
	v_add_u32_e32 v17, 1, v10
	v_add_u32_e32 v18, -1, v11
	v_cndmask_b32_e64 v15, v16, v21, s[4:5]
	v_add_u32_e32 v16, -1, v10
	v_fma_f32 v21, -v16, v10, v7
	v_fma_f32 v23, -v18, v11, v6
	v_cmp_ge_f32_e64 s[4:5], 0, v21
	v_add_u32_e32 v20, 1, v11
	v_fma_f32 v22, -v17, v10, v7
	v_cndmask_b32_e64 v10, v10, v16, s[4:5]
	v_cmp_ge_f32_e64 s[4:5], 0, v23
	v_log_f32_e32 v3, v3
	v_fma_f32 v24, -v20, v11, v6
	v_cndmask_b32_e64 v11, v11, v18, s[4:5]
	v_cmp_lt_f32_e64 s[4:5], 0, v22
	v_cndmask_b32_e64 v4, 0, v4, s[6:7]
	s_nop 0
	v_cndmask_b32_e64 v10, v10, v17, s[4:5]
	v_cmp_lt_f32_e64 s[4:5], 0, v24
	v_mul_f32_e32 v16, 0x37800000, v10
	v_cndmask_b32_e32 v10, v10, v16, vcc
	v_cndmask_b32_e64 v11, v11, v20, s[4:5]
	v_mul_f32_e32 v17, 0x37800000, v11
	v_cmp_class_f32_e32 vcc, v7, v9
	v_cndmask_b32_e64 v16, v11, v17, s[2:3]
	v_cmp_lt_f32_e64 s[2:3], s15, v12
	v_cndmask_b32_e32 v11, v10, v7, vcc
	v_mul_f32_e32 v7, 0x3f317217, v3
	v_fma_f32 v7, v3, s18, -v7
	v_cmp_class_f32_e32 vcc, v6, v9
	v_fmac_f32_e32 v7, 0x3377d1cf, v3
	v_fmac_f32_e32 v7, 0x3f317217, v3
	v_cndmask_b32_e32 v10, v16, v6, vcc
	v_cmp_lt_f32_e64 vcc, |v3|, s19
	v_sub_f32_e32 v6, v15, v19
	s_nop 0
	v_cndmask_b32_e32 v3, v3, v7, vcc
	v_cmp_lt_f32_e32 vcc, s15, v13
	v_sub_f32_e32 v3, v3, v4
	v_cndmask_b32_e64 v3, v3, v12, s[2:3]
	v_cndmask_b32_e32 v6, v6, v13, vcc
	v_mul_f32_e32 v7, 0x4f800000, v6
	v_cmp_gt_f32_e32 vcc, s20, v6
	s_nop 1
	v_cndmask_b32_e32 v6, v6, v7, vcc
	v_sqrt_f32_e32 v7, v6
	s_nop 0
	v_add_u32_e32 v4, -1, v7
	v_fma_f32 v12, -v4, v7, v6
	v_cmp_ge_f32_e64 s[2:3], 0, v12
	v_add_u32_e32 v12, 1, v7
	s_nop 0
	v_cndmask_b32_e64 v4, v7, v4, s[2:3]
	v_fma_f32 v7, -v12, v7, v6
	v_cmp_lt_f32_e64 s[2:3], 0, v7
	s_nop 1
	v_cndmask_b32_e64 v4, v4, v12, s[2:3]
	v_mul_f32_e32 v12, 0x4f800000, v3
	v_cmp_gt_f32_e64 s[2:3], s20, v3
	v_mul_f32_e32 v7, 0x37800000, v4
	v_cndmask_b32_e32 v4, v4, v7, vcc
	v_cndmask_b32_e64 v3, v3, v12, s[2:3]
	v_sqrt_f32_e32 v12, v3
	v_cmp_class_f32_e32 vcc, v6, v9
	s_nop 1
	v_cndmask_b32_e32 v13, v4, v6, vcc
	v_add_u32_e32 v4, -1, v12
	v_fma_f32 v6, -v4, v12, v3
	v_cmp_ge_f32_e32 vcc, 0, v6
	v_add_u32_e32 v6, 1, v12
	v_fma_f32 v7, -v6, v12, v3
	v_cndmask_b32_e32 v4, v12, v4, vcc
	v_cmp_lt_f32_e32 vcc, 0, v7
	s_nop 1
	v_cndmask_b32_e32 v4, v4, v6, vcc
	v_mul_f32_e32 v6, 0x37800000, v4
	v_cndmask_b32_e64 v4, v4, v6, s[2:3]
	v_cmp_class_f32_e32 vcc, v3, v9
	s_nop 1
	v_cndmask_b32_e32 v12, v4, v3, vcc
	s_and_b64 vcc, exec, s[16:17]
	scratch_store_dwordx4 off, v[10:13], off
	s_cbranch_vccnz .LBB136_28
; %bb.2:
	s_load_dwordx2 s[4:5], s[0:1], 0x20
	v_lshl_add_u64 v[6:7], v[0:1], 3, s[10:11]
	s_cmp_lt_u32 s12, 4
	v_and_b32_e32 v4, 3, v8
	s_cbranch_scc1 .LBB136_21
; %bb.3:
	v_lshlrev_b32_e32 v5, 2, v4
	s_mov_b32 s7, 0
	s_and_b32 s14, s12, 0x7ffffffc
	v_ashrrev_i32_e32 v3, 31, v2
	v_sub_u32_e32 v15, 0, v5
	v_mov_b32_e32 v5, 0
	s_mov_b32 s6, s7
	s_branch .LBB136_5
.LBB136_4:                              ;   in Loop: Header=BB136_5 Depth=1
	s_or_b64 exec, exec, s[16:17]
	s_add_i32 s6, s6, 4
	s_cmp_eq_u32 s6, s14
	s_cbranch_scc1 .LBB136_21
.LBB136_5:                              ; =>This Loop Header: Depth=1
                                        ;     Child Loop BB136_7 Depth 2
                                        ;     Child Loop BB136_11 Depth 2
	;; [unrolled: 1-line block ×4, first 2 shown]
	v_lshl_add_u64 v[8:9], s[6:7], 3, v[6:7]
	global_load_dwordx2 v[10:11], v[8:9], off
	v_add_u32_e32 v12, s6, v2
	v_ashrrev_i32_e32 v13, 31, v12
	v_mov_b32_e32 v16, 0
	s_mov_b64 s[16:17], 0
	s_waitcnt lgkmcnt(0)
	v_lshl_add_u64 v[12:13], v[12:13], 3, s[4:5]
	s_mov_b32 s13, 0
	s_waitcnt vmcnt(0)
	v_ashrrev_i32_e32 v11, 31, v10
	v_add_u32_e32 v17, v15, v10
	s_branch .LBB136_7
.LBB136_6:                              ;   in Loop: Header=BB136_7 Depth=2
	s_or_b64 exec, exec, s[18:19]
	s_add_i32 s15, s13, 1
	s_cmp_gt_u32 s13, 2
	s_cselect_b64 s[2:3], -1, 0
	s_xor_b64 s[18:19], vcc, -1
	s_or_b64 s[2:3], s[18:19], s[2:3]
	s_and_b64 s[2:3], exec, s[2:3]
	v_add_u32_e32 v16, 4, v16
	s_or_b64 s[16:17], s[2:3], s[16:17]
	s_mov_b32 s13, s15
	s_andn2_b64 exec, exec, s[16:17]
	s_cbranch_execz .LBB136_9
.LBB136_7:                              ;   Parent Loop BB136_5 Depth=1
                                        ; =>  This Inner Loop Header: Depth=2
	v_cmp_ne_u32_e32 vcc, s13, v17
	v_cmp_eq_u32_e64 s[2:3], s13, v17
	s_and_saveexec_b64 s[18:19], s[2:3]
	s_cbranch_execz .LBB136_6
; %bb.8:                                ;   in Loop: Header=BB136_7 Depth=2
	scratch_load_dword v18, v16, off
	s_waitcnt vmcnt(0)
	v_add_f32_e32 v5, v5, v18
	global_store_dwordx2 v[12:13], v[10:11], off
	s_branch .LBB136_6
.LBB136_9:                              ;   in Loop: Header=BB136_5 Depth=1
	s_or_b64 exec, exec, s[16:17]
	global_load_dwordx2 v[12:13], v[8:9], off offset:8
	s_ashr_i32 s3, s6, 31
	s_mov_b32 s2, s6
	v_lshl_add_u64 v[10:11], s[2:3], 0, v[2:3]
	v_mov_b32_e32 v16, 0
	s_mov_b32 s13, 0
	v_lshl_add_u64 v[10:11], v[10:11], 3, s[4:5]
	s_mov_b64 s[16:17], 0
	s_waitcnt vmcnt(0)
	v_ashrrev_i32_e32 v13, 31, v12
	v_add_u32_e32 v17, v15, v12
	s_branch .LBB136_11
.LBB136_10:                             ;   in Loop: Header=BB136_11 Depth=2
	s_or_b64 exec, exec, s[18:19]
	s_add_i32 s15, s13, 1
	s_cmp_gt_u32 s13, 2
	s_cselect_b64 s[2:3], -1, 0
	s_xor_b64 s[18:19], vcc, -1
	s_or_b64 s[2:3], s[18:19], s[2:3]
	s_and_b64 s[2:3], exec, s[2:3]
	v_add_u32_e32 v16, 4, v16
	s_or_b64 s[16:17], s[2:3], s[16:17]
	s_mov_b32 s13, s15
	s_andn2_b64 exec, exec, s[16:17]
	s_cbranch_execz .LBB136_13
.LBB136_11:                             ;   Parent Loop BB136_5 Depth=1
                                        ; =>  This Inner Loop Header: Depth=2
	v_cmp_ne_u32_e32 vcc, s13, v17
	v_cmp_eq_u32_e64 s[2:3], s13, v17
	s_and_saveexec_b64 s[18:19], s[2:3]
	s_cbranch_execz .LBB136_10
; %bb.12:                               ;   in Loop: Header=BB136_11 Depth=2
	scratch_load_dword v18, v16, off
	s_waitcnt vmcnt(0)
	v_add_f32_e32 v5, v5, v18
	global_store_dwordx2 v[10:11], v[12:13], off offset:8
	s_branch .LBB136_10
.LBB136_13:                             ;   in Loop: Header=BB136_5 Depth=1
	s_or_b64 exec, exec, s[16:17]
	global_load_dwordx2 v[12:13], v[8:9], off offset:16
	v_mov_b32_e32 v16, 0
	s_mov_b32 s13, 0
	s_mov_b64 s[16:17], 0
	s_waitcnt vmcnt(0)
	v_ashrrev_i32_e32 v13, 31, v12
	v_add_u32_e32 v17, v15, v12
	s_branch .LBB136_15
.LBB136_14:                             ;   in Loop: Header=BB136_15 Depth=2
	s_or_b64 exec, exec, s[18:19]
	s_add_i32 s15, s13, 1
	s_cmp_gt_u32 s13, 2
	s_cselect_b64 s[2:3], -1, 0
	s_xor_b64 s[18:19], vcc, -1
	s_or_b64 s[2:3], s[18:19], s[2:3]
	s_and_b64 s[2:3], exec, s[2:3]
	v_add_u32_e32 v16, 4, v16
	s_or_b64 s[16:17], s[2:3], s[16:17]
	s_mov_b32 s13, s15
	s_andn2_b64 exec, exec, s[16:17]
	s_cbranch_execz .LBB136_17
.LBB136_15:                             ;   Parent Loop BB136_5 Depth=1
                                        ; =>  This Inner Loop Header: Depth=2
	v_cmp_ne_u32_e32 vcc, s13, v17
	v_cmp_eq_u32_e64 s[2:3], s13, v17
	s_and_saveexec_b64 s[18:19], s[2:3]
	s_cbranch_execz .LBB136_14
; %bb.16:                               ;   in Loop: Header=BB136_15 Depth=2
	scratch_load_dword v18, v16, off
	s_waitcnt vmcnt(0)
	v_add_f32_e32 v5, v5, v18
	global_store_dwordx2 v[10:11], v[12:13], off offset:16
	s_branch .LBB136_14
.LBB136_17:                             ;   in Loop: Header=BB136_5 Depth=1
	s_or_b64 exec, exec, s[16:17]
	global_load_dwordx2 v[8:9], v[8:9], off offset:24
	v_mov_b32_e32 v12, 0
	s_mov_b32 s13, 0
	s_mov_b64 s[16:17], 0
	s_waitcnt vmcnt(0)
	v_ashrrev_i32_e32 v9, 31, v8
	v_add_u32_e32 v13, v15, v8
	s_branch .LBB136_19
.LBB136_18:                             ;   in Loop: Header=BB136_19 Depth=2
	s_or_b64 exec, exec, s[18:19]
	s_add_i32 s15, s13, 1
	s_cmp_gt_u32 s13, 2
	s_cselect_b64 s[2:3], -1, 0
	s_xor_b64 s[18:19], vcc, -1
	s_or_b64 s[2:3], s[18:19], s[2:3]
	s_and_b64 s[2:3], exec, s[2:3]
	v_add_u32_e32 v12, 4, v12
	s_or_b64 s[16:17], s[2:3], s[16:17]
	s_mov_b32 s13, s15
	s_andn2_b64 exec, exec, s[16:17]
	s_cbranch_execz .LBB136_4
.LBB136_19:                             ;   Parent Loop BB136_5 Depth=1
                                        ; =>  This Inner Loop Header: Depth=2
	v_cmp_ne_u32_e32 vcc, s13, v13
	v_cmp_eq_u32_e64 s[2:3], s13, v13
	s_and_saveexec_b64 s[18:19], s[2:3]
	s_cbranch_execz .LBB136_18
; %bb.20:                               ;   in Loop: Header=BB136_19 Depth=2
	scratch_load_dword v16, v12, off
	s_waitcnt vmcnt(0)
	v_add_f32_e32 v5, v5, v16
	global_store_dwordx2 v[10:11], v[8:9], off offset:24
	s_branch .LBB136_18
.LBB136_21:
	s_and_b32 s13, s12, 3
	s_cmp_eq_u32 s13, 0
	s_mov_b32 s15, 0
	s_cbranch_scc1 .LBB136_28
; %bb.22:
	v_lshlrev_b32_e32 v3, 2, v4
	v_sub_u32_e32 v3, 0, v3
	s_mov_b32 s18, s15
	s_branch .LBB136_24
.LBB136_23:                             ;   in Loop: Header=BB136_24 Depth=1
	s_or_b64 exec, exec, s[6:7]
	s_add_i32 s14, s14, 1
	s_add_i32 s18, s18, 1
	s_cmp_lg_u32 s18, s13
	s_cbranch_scc0 .LBB136_28
.LBB136_24:                             ; =>This Loop Header: Depth=1
                                        ;     Child Loop BB136_26 Depth 2
	v_lshl_add_u64 v[8:9], s[14:15], 3, v[6:7]
	global_load_dwordx2 v[8:9], v[8:9], off
	v_add_u32_e32 v10, s14, v2
	v_ashrrev_i32_e32 v11, 31, v10
	v_mov_b32_e32 v4, 0
	s_mov_b32 s19, 0
	s_waitcnt lgkmcnt(0)
	v_lshl_add_u64 v[10:11], v[10:11], 3, s[4:5]
	s_mov_b64 s[6:7], 0
	s_waitcnt vmcnt(0)
	v_ashrrev_i32_e32 v9, 31, v8
	v_add_u32_e32 v12, v3, v8
	s_branch .LBB136_26
.LBB136_25:                             ;   in Loop: Header=BB136_26 Depth=2
	s_or_b64 exec, exec, s[16:17]
	s_add_i32 s20, s19, 1
	s_cmp_gt_u32 s19, 2
	s_cselect_b64 s[2:3], -1, 0
	s_xor_b64 s[16:17], vcc, -1
	s_or_b64 s[2:3], s[16:17], s[2:3]
	s_and_b64 s[2:3], exec, s[2:3]
	v_add_u32_e32 v4, 4, v4
	s_or_b64 s[6:7], s[2:3], s[6:7]
	s_mov_b32 s19, s20
	s_andn2_b64 exec, exec, s[6:7]
	s_cbranch_execz .LBB136_23
.LBB136_26:                             ;   Parent Loop BB136_24 Depth=1
                                        ; =>  This Inner Loop Header: Depth=2
	v_cmp_ne_u32_e32 vcc, s19, v12
	v_cmp_eq_u32_e64 s[2:3], s19, v12
	s_and_saveexec_b64 s[16:17], s[2:3]
	s_cbranch_execz .LBB136_25
; %bb.27:                               ;   in Loop: Header=BB136_26 Depth=2
	scratch_load_dword v13, v4, off
	s_waitcnt vmcnt(0)
	v_add_f32_e32 v5, v5, v13
	global_store_dwordx2 v[10:11], v[8:9], off
	s_branch .LBB136_25
.LBB136_28:
	s_waitcnt lgkmcnt(0)
	s_load_dword s4, s[0:1], 0x3c
	s_waitcnt lgkmcnt(0)
	s_bitcmp1_b32 s4, 0
	s_cselect_b64 s[2:3], -1, 0
	s_bitcmp0_b32 s4, 0
	s_cbranch_scc0 .LBB136_31
; %bb.29:
	s_load_dwordx2 s[4:5], s[0:1], 0x40
	s_andn2_b64 vcc, exec, s[2:3]
	s_waitcnt lgkmcnt(0)
	v_cvt_f32_f64_e32 v8, s[4:5]
	s_cbranch_vccz .LBB136_32
.LBB136_30:
	s_andn2_b64 vcc, exec, s[8:9]
	s_cbranch_vccz .LBB136_33
	s_branch .LBB136_79
.LBB136_31:
	v_mbcnt_lo_u32_b32 v3, -1, 0
	v_mbcnt_hi_u32_b32 v3, -1, v3
	v_and_b32_e32 v4, 0x7c, v3
	v_add_u32_e32 v4, 4, v4
	v_xor_b32_e32 v6, 2, v3
	v_cmp_lt_i32_e32 vcc, v6, v4
	v_xor_b32_e32 v7, 1, v3
	s_nop 0
	v_cndmask_b32_e32 v6, v3, v6, vcc
	v_lshlrev_b32_e32 v6, 2, v6
	ds_bpermute_b32 v6, v6, v5
	v_cmp_lt_i32_e32 vcc, v7, v4
	s_waitcnt lgkmcnt(0)
	v_add_f32_e32 v5, v5, v6
	v_cndmask_b32_e32 v3, v3, v7, vcc
	v_lshlrev_b32_e32 v3, 2, v3
	ds_bpermute_b32 v3, v3, v5
	s_waitcnt lgkmcnt(0)
	v_add_f32_e32 v5, v5, v3
	s_load_dwordx2 s[4:5], s[0:1], 0x40
	s_andn2_b64 vcc, exec, s[2:3]
	s_waitcnt lgkmcnt(0)
	v_cvt_f32_f64_e32 v8, s[4:5]
	s_cbranch_vccnz .LBB136_30
.LBB136_32:
	v_cmp_lt_f32_e32 vcc, 0, v5
	s_nop 1
	v_cndmask_b32_e32 v3, 1.0, v5, vcc
	v_div_scale_f32 v4, s[2:3], v3, v3, v8
	v_rcp_f32_e32 v5, v4
	s_nop 0
	v_fma_f32 v6, -v4, v5, 1.0
	v_fmac_f32_e32 v5, v6, v5
	v_div_scale_f32 v6, vcc, v8, v3, v8
	v_mul_f32_e32 v7, v6, v5
	v_fma_f32 v9, -v4, v7, v6
	v_fmac_f32_e32 v7, v9, v5
	v_fma_f32 v4, -v4, v7, v6
	v_div_fmas_f32 v4, v4, v5, v7
	v_div_fixup_f32 v8, v4, v3, v8
	s_andn2_b64 vcc, exec, s[8:9]
	s_cbranch_vccnz .LBB136_79
.LBB136_33:
	s_load_dwordx2 s[4:5], s[0:1], 0x10
	v_mov_b32_e32 v3, 0
	v_or_b32_e32 v9, 4, v3
	v_or_b32_e32 v10, 8, v3
	;; [unrolled: 1-line block ×6, first 2 shown]
	s_cmp_lt_u32 s12, 4
	s_mov_b32 s6, 0
	s_cbranch_scc1 .LBB136_68
; %bb.34:
	v_ashrrev_i32_e32 v3, 31, v2
	s_waitcnt lgkmcnt(0)
	v_lshl_add_u64 v[4:5], v[2:3], 2, s[4:5]
	v_lshl_add_u64 v[6:7], v[0:1], 3, s[10:11]
	s_and_b32 s6, s12, 0x7ffffffc
	v_lshl_add_u64 v[4:5], v[4:5], 0, 12
	v_lshl_add_u64 v[6:7], v[6:7], 0, 16
	s_mov_b32 s7, 0
	s_branch .LBB136_36
.LBB136_35:                             ;   in Loop: Header=BB136_36 Depth=1
	s_or_b64 exec, exec, s[2:3]
	s_add_i32 s7, s7, 4
	v_lshl_add_u64 v[4:5], v[4:5], 0, 16
	s_cmp_eq_u32 s6, s7
	v_lshl_add_u64 v[6:7], v[6:7], 0, 32
	s_cbranch_scc1 .LBB136_68
.LBB136_36:                             ; =>This Inner Loop Header: Depth=1
	global_load_dword v16, v[6:7], off offset:-16
	v_mov_b32_e32 v3, 0
	s_waitcnt vmcnt(0)
	v_cmp_eq_u32_e32 vcc, v14, v16
	v_cmp_ne_u32_e64 s[0:1], v14, v16
	s_and_saveexec_b64 s[8:9], s[0:1]
	s_cbranch_execz .LBB136_42
; %bb.37:                               ;   in Loop: Header=BB136_36 Depth=1
	v_cmp_eq_u32_e64 s[0:1], v12, v16
	v_cmp_ne_u32_e64 s[2:3], v12, v16
	v_mov_b32_e32 v3, v9
	s_and_saveexec_b64 s[14:15], s[2:3]
	s_cbranch_execz .LBB136_41
; %bb.38:                               ;   in Loop: Header=BB136_36 Depth=1
	v_cmp_eq_u32_e64 s[16:17], v13, v16
	v_cmp_ne_u32_e64 s[2:3], v13, v16
	v_mov_b32_e32 v3, v10
	s_and_saveexec_b64 s[18:19], s[2:3]
	s_xor_b64 s[18:19], exec, s[18:19]
; %bb.39:                               ;   in Loop: Header=BB136_36 Depth=1
	v_cmp_eq_u32_e64 s[2:3], v15, v16
	s_andn2_b64 s[16:17], s[16:17], exec
	s_and_b64 s[2:3], s[2:3], exec
	s_or_b64 s[16:17], s[16:17], s[2:3]
	v_mov_b32_e32 v3, v11
; %bb.40:                               ;   in Loop: Header=BB136_36 Depth=1
	s_or_b64 exec, exec, s[18:19]
	s_andn2_b64 s[0:1], s[0:1], exec
	s_and_b64 s[2:3], s[16:17], exec
	s_or_b64 s[0:1], s[0:1], s[2:3]
.LBB136_41:                             ;   in Loop: Header=BB136_36 Depth=1
	s_or_b64 exec, exec, s[14:15]
	s_andn2_b64 s[2:3], vcc, exec
	s_and_b64 s[0:1], s[0:1], exec
	s_or_b64 vcc, s[2:3], s[0:1]
.LBB136_42:                             ;   in Loop: Header=BB136_36 Depth=1
	s_or_b64 exec, exec, s[8:9]
	s_and_saveexec_b64 s[0:1], vcc
	s_cbranch_execz .LBB136_44
; %bb.43:                               ;   in Loop: Header=BB136_36 Depth=1
	scratch_load_dword v3, v3, off
	v_add_u32_e32 v16, s7, v2
	v_ashrrev_i32_e32 v17, 31, v16
	v_lshl_add_u64 v[16:17], v[16:17], 2, s[4:5]
	s_waitcnt vmcnt(0)
	v_mul_f32_e32 v3, v8, v3
	global_store_dword v[16:17], v3, off
.LBB136_44:                             ;   in Loop: Header=BB136_36 Depth=1
	s_or_b64 exec, exec, s[0:1]
	global_load_dword v16, v[6:7], off offset:-8
	v_mov_b32_e32 v3, 0
	s_waitcnt vmcnt(0)
	v_cmp_eq_u32_e64 s[0:1], v14, v16
	v_cmp_ne_u32_e32 vcc, v14, v16
	s_and_saveexec_b64 s[2:3], vcc
	s_cbranch_execz .LBB136_50
; %bb.45:                               ;   in Loop: Header=BB136_36 Depth=1
	v_cmp_eq_u32_e64 s[8:9], v12, v16
	v_cmp_ne_u32_e32 vcc, v12, v16
	v_mov_b32_e32 v3, v9
	s_and_saveexec_b64 s[14:15], vcc
	s_cbranch_execz .LBB136_49
; %bb.46:                               ;   in Loop: Header=BB136_36 Depth=1
	v_cmp_eq_u32_e64 s[16:17], v13, v16
	v_cmp_ne_u32_e32 vcc, v13, v16
	v_mov_b32_e32 v3, v10
	s_and_saveexec_b64 s[18:19], vcc
; %bb.47:                               ;   in Loop: Header=BB136_36 Depth=1
	v_cmp_eq_u32_e32 vcc, v15, v16
	s_andn2_b64 s[16:17], s[16:17], exec
	s_and_b64 s[20:21], vcc, exec
	s_or_b64 s[16:17], s[16:17], s[20:21]
	v_mov_b32_e32 v3, v11
; %bb.48:                               ;   in Loop: Header=BB136_36 Depth=1
	s_or_b64 exec, exec, s[18:19]
	s_andn2_b64 s[8:9], s[8:9], exec
	s_and_b64 s[16:17], s[16:17], exec
	s_or_b64 s[8:9], s[8:9], s[16:17]
.LBB136_49:                             ;   in Loop: Header=BB136_36 Depth=1
	s_or_b64 exec, exec, s[14:15]
	s_andn2_b64 s[0:1], s[0:1], exec
	s_and_b64 s[8:9], s[8:9], exec
	s_or_b64 s[0:1], s[0:1], s[8:9]
.LBB136_50:                             ;   in Loop: Header=BB136_36 Depth=1
	s_or_b64 exec, exec, s[2:3]
	s_and_saveexec_b64 s[2:3], s[0:1]
	s_cbranch_execz .LBB136_52
; %bb.51:                               ;   in Loop: Header=BB136_36 Depth=1
	scratch_load_dword v3, v3, off
	s_waitcnt vmcnt(0)
	v_mul_f32_e32 v3, v8, v3
	global_store_dword v[4:5], v3, off offset:-8
.LBB136_52:                             ;   in Loop: Header=BB136_36 Depth=1
	s_or_b64 exec, exec, s[2:3]
	global_load_dword v16, v[6:7], off
	v_mov_b32_e32 v3, 0
	s_waitcnt vmcnt(0)
	v_cmp_eq_u32_e64 s[0:1], v14, v16
	v_cmp_ne_u32_e32 vcc, v14, v16
	s_and_saveexec_b64 s[2:3], vcc
	s_cbranch_execz .LBB136_58
; %bb.53:                               ;   in Loop: Header=BB136_36 Depth=1
	v_cmp_eq_u32_e64 s[8:9], v12, v16
	v_cmp_ne_u32_e32 vcc, v12, v16
	v_mov_b32_e32 v3, v9
	s_and_saveexec_b64 s[14:15], vcc
	s_cbranch_execz .LBB136_57
; %bb.54:                               ;   in Loop: Header=BB136_36 Depth=1
	v_cmp_eq_u32_e64 s[16:17], v13, v16
	v_cmp_ne_u32_e32 vcc, v13, v16
	v_mov_b32_e32 v3, v10
	s_and_saveexec_b64 s[18:19], vcc
; %bb.55:                               ;   in Loop: Header=BB136_36 Depth=1
	v_cmp_eq_u32_e32 vcc, v15, v16
	s_andn2_b64 s[16:17], s[16:17], exec
	s_and_b64 s[20:21], vcc, exec
	s_or_b64 s[16:17], s[16:17], s[20:21]
	v_mov_b32_e32 v3, v11
; %bb.56:                               ;   in Loop: Header=BB136_36 Depth=1
	s_or_b64 exec, exec, s[18:19]
	s_andn2_b64 s[8:9], s[8:9], exec
	s_and_b64 s[16:17], s[16:17], exec
	s_or_b64 s[8:9], s[8:9], s[16:17]
.LBB136_57:                             ;   in Loop: Header=BB136_36 Depth=1
	s_or_b64 exec, exec, s[14:15]
	s_andn2_b64 s[0:1], s[0:1], exec
	s_and_b64 s[8:9], s[8:9], exec
	s_or_b64 s[0:1], s[0:1], s[8:9]
.LBB136_58:                             ;   in Loop: Header=BB136_36 Depth=1
	s_or_b64 exec, exec, s[2:3]
	s_and_saveexec_b64 s[2:3], s[0:1]
	s_cbranch_execz .LBB136_60
; %bb.59:                               ;   in Loop: Header=BB136_36 Depth=1
	scratch_load_dword v3, v3, off
	s_waitcnt vmcnt(0)
	v_mul_f32_e32 v3, v8, v3
	global_store_dword v[4:5], v3, off offset:-4
.LBB136_60:                             ;   in Loop: Header=BB136_36 Depth=1
	s_or_b64 exec, exec, s[2:3]
	global_load_dword v16, v[6:7], off offset:8
	v_mov_b32_e32 v3, 0
	s_waitcnt vmcnt(0)
	v_cmp_eq_u32_e64 s[0:1], v14, v16
	v_cmp_ne_u32_e32 vcc, v14, v16
	s_and_saveexec_b64 s[2:3], vcc
	s_cbranch_execz .LBB136_66
; %bb.61:                               ;   in Loop: Header=BB136_36 Depth=1
	v_cmp_eq_u32_e64 s[8:9], v12, v16
	v_cmp_ne_u32_e32 vcc, v12, v16
	v_mov_b32_e32 v3, v9
	s_and_saveexec_b64 s[14:15], vcc
	s_cbranch_execz .LBB136_65
; %bb.62:                               ;   in Loop: Header=BB136_36 Depth=1
	v_cmp_eq_u32_e64 s[16:17], v13, v16
	v_cmp_ne_u32_e32 vcc, v13, v16
	v_mov_b32_e32 v3, v10
	s_and_saveexec_b64 s[18:19], vcc
; %bb.63:                               ;   in Loop: Header=BB136_36 Depth=1
	v_cmp_eq_u32_e32 vcc, v15, v16
	s_andn2_b64 s[16:17], s[16:17], exec
	s_and_b64 s[20:21], vcc, exec
	s_or_b64 s[16:17], s[16:17], s[20:21]
	v_mov_b32_e32 v3, v11
; %bb.64:                               ;   in Loop: Header=BB136_36 Depth=1
	s_or_b64 exec, exec, s[18:19]
	s_andn2_b64 s[8:9], s[8:9], exec
	s_and_b64 s[16:17], s[16:17], exec
	s_or_b64 s[8:9], s[8:9], s[16:17]
.LBB136_65:                             ;   in Loop: Header=BB136_36 Depth=1
	s_or_b64 exec, exec, s[14:15]
	s_andn2_b64 s[0:1], s[0:1], exec
	s_and_b64 s[8:9], s[8:9], exec
	s_or_b64 s[0:1], s[0:1], s[8:9]
.LBB136_66:                             ;   in Loop: Header=BB136_36 Depth=1
	s_or_b64 exec, exec, s[2:3]
	s_and_saveexec_b64 s[2:3], s[0:1]
	s_cbranch_execz .LBB136_35
; %bb.67:                               ;   in Loop: Header=BB136_36 Depth=1
	scratch_load_dword v3, v3, off
	s_waitcnt vmcnt(0)
	v_mul_f32_e32 v3, v8, v3
	global_store_dword v[4:5], v3, off
	s_branch .LBB136_35
.LBB136_68:
	s_and_b32 s14, s12, 3
	s_cmp_eq_u32 s14, 0
	s_mov_b32 s7, 0
	s_cbranch_scc1 .LBB136_79
; %bb.69:
	s_lshl_b64 s[0:1], s[6:7], 3
	s_add_u32 s0, s10, s0
	s_addc_u32 s1, s11, s1
	v_add_u32_e32 v2, s6, v2
	v_lshl_add_u64 v[0:1], v[0:1], 3, s[0:1]
	s_branch .LBB136_71
.LBB136_70:                             ;   in Loop: Header=BB136_71 Depth=1
	s_or_b64 exec, exec, s[2:3]
	s_add_i32 s14, s14, -1
	v_add_u32_e32 v2, 1, v2
	s_cmp_lg_u32 s14, 0
	v_lshl_add_u64 v[0:1], v[0:1], 0, 8
	s_cbranch_scc0 .LBB136_79
.LBB136_71:                             ; =>This Inner Loop Header: Depth=1
	global_load_dword v4, v[0:1], off
	v_mov_b32_e32 v3, 0
	s_waitcnt vmcnt(0)
	v_cmp_eq_u32_e64 s[0:1], v14, v4
	v_cmp_ne_u32_e32 vcc, v14, v4
	s_and_saveexec_b64 s[2:3], vcc
	s_cbranch_execz .LBB136_77
; %bb.72:                               ;   in Loop: Header=BB136_71 Depth=1
	v_cmp_eq_u32_e64 s[6:7], v12, v4
	v_cmp_ne_u32_e32 vcc, v12, v4
	v_mov_b32_e32 v3, v9
	s_and_saveexec_b64 s[8:9], vcc
	s_cbranch_execz .LBB136_76
; %bb.73:                               ;   in Loop: Header=BB136_71 Depth=1
	v_cmp_eq_u32_e64 s[10:11], v13, v4
	v_cmp_ne_u32_e32 vcc, v13, v4
	v_mov_b32_e32 v3, v10
	s_and_saveexec_b64 s[12:13], vcc
; %bb.74:                               ;   in Loop: Header=BB136_71 Depth=1
	v_cmp_eq_u32_e32 vcc, v15, v4
	s_andn2_b64 s[10:11], s[10:11], exec
	s_and_b64 s[16:17], vcc, exec
	s_or_b64 s[10:11], s[10:11], s[16:17]
	v_mov_b32_e32 v3, v11
; %bb.75:                               ;   in Loop: Header=BB136_71 Depth=1
	s_or_b64 exec, exec, s[12:13]
	s_andn2_b64 s[6:7], s[6:7], exec
	s_and_b64 s[10:11], s[10:11], exec
	s_or_b64 s[6:7], s[6:7], s[10:11]
.LBB136_76:                             ;   in Loop: Header=BB136_71 Depth=1
	s_or_b64 exec, exec, s[8:9]
	s_andn2_b64 s[0:1], s[0:1], exec
	s_and_b64 s[6:7], s[6:7], exec
	s_or_b64 s[0:1], s[0:1], s[6:7]
.LBB136_77:                             ;   in Loop: Header=BB136_71 Depth=1
	s_or_b64 exec, exec, s[2:3]
	s_and_saveexec_b64 s[2:3], s[0:1]
	s_cbranch_execz .LBB136_70
; %bb.78:                               ;   in Loop: Header=BB136_71 Depth=1
	scratch_load_dword v4, v3, off
	v_ashrrev_i32_e32 v3, 31, v2
	s_waitcnt vmcnt(0)
	v_mul_f32_e32 v6, v8, v4
	s_waitcnt lgkmcnt(0)
	v_lshl_add_u64 v[4:5], v[2:3], 2, s[4:5]
	global_store_dword v[4:5], v6, off
	s_branch .LBB136_70
.LBB136_79:
	s_endpgm
	.section	.rodata,"a",@progbits
	.p2align	6, 0x0
	.amdhsa_kernel _ZN4vllm3moe22topkGatingSoftplusSqrtILi4ELi16ELi4ELi16ELi64ELb1ElfEEvPKT6_PKbPfiPT5_PiiiibdPKfPKS8_SE_
		.amdhsa_group_segment_fixed_size 0
		.amdhsa_private_segment_fixed_size 32
		.amdhsa_kernarg_size 96
		.amdhsa_user_sgpr_count 2
		.amdhsa_user_sgpr_dispatch_ptr 0
		.amdhsa_user_sgpr_queue_ptr 0
		.amdhsa_user_sgpr_kernarg_segment_ptr 1
		.amdhsa_user_sgpr_dispatch_id 0
		.amdhsa_user_sgpr_kernarg_preload_length 0
		.amdhsa_user_sgpr_kernarg_preload_offset 0
		.amdhsa_user_sgpr_private_segment_size 0
		.amdhsa_uses_dynamic_stack 0
		.amdhsa_enable_private_segment 1
		.amdhsa_system_sgpr_workgroup_id_x 1
		.amdhsa_system_sgpr_workgroup_id_y 0
		.amdhsa_system_sgpr_workgroup_id_z 0
		.amdhsa_system_sgpr_workgroup_info 0
		.amdhsa_system_vgpr_workitem_id 1
		.amdhsa_next_free_vgpr 25
		.amdhsa_next_free_sgpr 22
		.amdhsa_accum_offset 28
		.amdhsa_reserve_vcc 1
		.amdhsa_float_round_mode_32 0
		.amdhsa_float_round_mode_16_64 0
		.amdhsa_float_denorm_mode_32 3
		.amdhsa_float_denorm_mode_16_64 3
		.amdhsa_dx10_clamp 1
		.amdhsa_ieee_mode 1
		.amdhsa_fp16_overflow 0
		.amdhsa_tg_split 0
		.amdhsa_exception_fp_ieee_invalid_op 0
		.amdhsa_exception_fp_denorm_src 0
		.amdhsa_exception_fp_ieee_div_zero 0
		.amdhsa_exception_fp_ieee_overflow 0
		.amdhsa_exception_fp_ieee_underflow 0
		.amdhsa_exception_fp_ieee_inexact 0
		.amdhsa_exception_int_div_zero 0
	.end_amdhsa_kernel
	.section	.text._ZN4vllm3moe22topkGatingSoftplusSqrtILi4ELi16ELi4ELi16ELi64ELb1ElfEEvPKT6_PKbPfiPT5_PiiiibdPKfPKS8_SE_,"axG",@progbits,_ZN4vllm3moe22topkGatingSoftplusSqrtILi4ELi16ELi4ELi16ELi64ELb1ElfEEvPKT6_PKbPfiPT5_PiiiibdPKfPKS8_SE_,comdat
.Lfunc_end136:
	.size	_ZN4vllm3moe22topkGatingSoftplusSqrtILi4ELi16ELi4ELi16ELi64ELb1ElfEEvPKT6_PKbPfiPT5_PiiiibdPKfPKS8_SE_, .Lfunc_end136-_ZN4vllm3moe22topkGatingSoftplusSqrtILi4ELi16ELi4ELi16ELi64ELb1ElfEEvPKT6_PKbPfiPT5_PiiiibdPKfPKS8_SE_
                                        ; -- End function
	.section	.AMDGPU.csdata,"",@progbits
; Kernel info:
; codeLenInByte = 3448
; NumSgprs: 28
; NumVgprs: 25
; NumAgprs: 0
; TotalNumVgprs: 25
; ScratchSize: 32
; MemoryBound: 0
; FloatMode: 240
; IeeeMode: 1
; LDSByteSize: 0 bytes/workgroup (compile time only)
; SGPRBlocks: 3
; VGPRBlocks: 3
; NumSGPRsForWavesPerEU: 28
; NumVGPRsForWavesPerEU: 25
; AccumOffset: 28
; Occupancy: 8
; WaveLimiterHint : 1
; COMPUTE_PGM_RSRC2:SCRATCH_EN: 1
; COMPUTE_PGM_RSRC2:USER_SGPR: 2
; COMPUTE_PGM_RSRC2:TRAP_HANDLER: 0
; COMPUTE_PGM_RSRC2:TGID_X_EN: 1
; COMPUTE_PGM_RSRC2:TGID_Y_EN: 0
; COMPUTE_PGM_RSRC2:TGID_Z_EN: 0
; COMPUTE_PGM_RSRC2:TIDIG_COMP_CNT: 1
; COMPUTE_PGM_RSRC3_GFX90A:ACCUM_OFFSET: 6
; COMPUTE_PGM_RSRC3_GFX90A:TG_SPLIT: 0
	.section	.text._ZN4vllm3moe22topkGatingSoftplusSqrtILi4ELi16ELi4ELi16ELi64ELb0ElfEEvPKT6_PKbPfiPT5_PiiiibdPKfPKS8_SE_,"axG",@progbits,_ZN4vllm3moe22topkGatingSoftplusSqrtILi4ELi16ELi4ELi16ELi64ELb0ElfEEvPKT6_PKbPfiPT5_PiiiibdPKfPKS8_SE_,comdat
	.protected	_ZN4vllm3moe22topkGatingSoftplusSqrtILi4ELi16ELi4ELi16ELi64ELb0ElfEEvPKT6_PKbPfiPT5_PiiiibdPKfPKS8_SE_ ; -- Begin function _ZN4vllm3moe22topkGatingSoftplusSqrtILi4ELi16ELi4ELi16ELi64ELb0ElfEEvPKT6_PKbPfiPT5_PiiiibdPKfPKS8_SE_
	.globl	_ZN4vllm3moe22topkGatingSoftplusSqrtILi4ELi16ELi4ELi16ELi64ELb0ElfEEvPKT6_PKbPfiPT5_PiiiibdPKfPKS8_SE_
	.p2align	8
	.type	_ZN4vllm3moe22topkGatingSoftplusSqrtILi4ELi16ELi4ELi16ELi64ELb0ElfEEvPKT6_PKbPfiPT5_PiiiibdPKfPKS8_SE_,@function
_ZN4vllm3moe22topkGatingSoftplusSqrtILi4ELi16ELi4ELi16ELi64ELb0ElfEEvPKT6_PKbPfiPT5_PiiiibdPKfPKS8_SE_: ; @_ZN4vllm3moe22topkGatingSoftplusSqrtILi4ELi16ELi4ELi16ELi64ELb0ElfEEvPKT6_PKbPfiPT5_PiiiibdPKfPKS8_SE_
; %bb.0:
	s_load_dword s30, s[2:3], 0x18
	v_and_b32_e32 v1, 0x3ff, v0
	v_bfe_u32 v4, v0, 10, 10
	s_lshl_b32 s4, s4, 6
	v_lshlrev_b32_e32 v2, 4, v4
	v_lshrrev_b32_e32 v3, 2, v1
	v_add3_u32 v2, s4, v2, v3
	s_waitcnt lgkmcnt(0)
	v_cmp_gt_i32_e32 vcc, s30, v2
	s_and_saveexec_b64 s[4:5], vcc
	s_cbranch_execz .LBB137_43
; %bb.1:
	s_load_dwordx4 s[4:7], s[2:3], 0x0
	s_load_dwordx2 s[20:21], s[2:3], 0x10
	s_waitcnt lgkmcnt(0)
	s_cmp_eq_u64 s[6:7], 0
	s_cbranch_scc1 .LBB137_3
; %bb.2:
	v_ashrrev_i32_e32 v3, 31, v2
	v_lshl_add_u64 v[6:7], s[6:7], 0, v[2:3]
	global_load_ubyte v3, v[6:7], off
	s_waitcnt vmcnt(0)
	v_and_b32_e32 v3, 1, v3
	v_cmp_eq_u32_e32 vcc, 1, v3
	s_xor_b64 s[6:7], vcc, -1
	s_orn2_b64 s[22:23], s[6:7], exec
	s_branch .LBB137_4
.LBB137_3:
	s_mov_b64 s[22:23], -1
.LBB137_4:
	v_lshlrev_b32_e32 v8, 4, v2
	v_mov_b32_e32 v6, s4
	v_mov_b32_e32 v7, s5
	v_ashrrev_i32_e32 v9, 31, v8
	v_and_b32_e32 v3, 3, v1
	v_lshl_add_u64 v[6:7], v[8:9], 2, v[6:7]
	v_mov_b32_e32 v9, 0
	v_lshlrev_b32_e32 v8, 4, v3
	v_lshl_add_u64 v[6:7], v[6:7], 0, v[8:9]
	global_load_dwordx4 v[6:9], v[6:7], off
	s_load_dwordx2 s[4:5], s[0:1], 0x4
	s_load_dwordx4 s[8:11], s[2:3], 0x40
	v_bfe_u32 v0, v0, 20, 10
	s_mov_b32 s16, 0x800000
	s_mov_b32 s13, 0x3f317217
	s_waitcnt lgkmcnt(0)
	s_lshr_b32 s0, s4, 16
	s_mul_i32 s0, s0, s5
	v_mul_lo_u32 v1, s0, v1
	v_mad_u32_u24 v1, v4, s5, v1
	v_add_lshl_u32 v4, v1, v0, 4
	s_mov_b32 s14, 0x7f800000
	s_mov_b32 s12, 0x41a00000
	;; [unrolled: 1-line block ×3, first 2 shown]
	s_cmp_lg_u64 s[10:11], 0
	v_mov_b32_e32 v1, 0x260
	s_cselect_b64 s[6:7], -1, 0
	s_and_b64 s[0:1], exec, s[6:7]
	s_waitcnt vmcnt(0)
	ds_write_b128 v4, v[6:9]
	ds_read_b32 v8, v4
	v_mov_b32_e32 v6, 0x4f800000
	v_mov_b32_e32 v7, 0x41b17218
	s_waitcnt lgkmcnt(0)
	v_mul_f32_e32 v0, 0x3fb8aa3b, v8
	v_exp_f32_e32 v0, v0
	s_nop 0
	v_add_f32_e32 v0, 1.0, v0
	v_cmp_gt_f32_e32 vcc, s16, v0
	s_nop 1
	v_cndmask_b32_e32 v5, 1.0, v6, vcc
	v_mul_f32_e32 v0, v0, v5
	v_log_f32_e32 v9, v0
	v_cndmask_b32_e32 v10, 0, v7, vcc
	v_lshlrev_b32_e32 v5, 2, v3
	v_lshlrev_b32_e32 v0, 2, v5
	v_mul_f32_e32 v11, 0x3f317217, v9
	v_fma_f32 v11, v9, s13, -v11
	v_fmac_f32_e32 v11, 0x3377d1cf, v9
	v_fmac_f32_e32 v11, 0x3f317217, v9
	v_cmp_lt_f32_e64 vcc, |v9|, s14
	s_nop 1
	v_cndmask_b32_e32 v9, v9, v11, vcc
	v_sub_f32_e32 v9, v9, v10
	v_cmp_lt_f32_e32 vcc, s12, v8
	s_nop 1
	v_cndmask_b32_e32 v8, v9, v8, vcc
	v_mul_f32_e32 v9, 0x4f800000, v8
	v_cmp_gt_f32_e32 vcc, s15, v8
	s_nop 1
	v_cndmask_b32_e32 v8, v8, v9, vcc
	v_sqrt_f32_e32 v9, v8
	s_nop 0
	v_add_u32_e32 v10, -1, v9
	v_add_u32_e32 v11, 1, v9
	v_fma_f32 v12, -v10, v9, v8
	v_fma_f32 v13, -v11, v9, v8
	v_cmp_ge_f32_e64 s[4:5], 0, v12
	s_nop 1
	v_cndmask_b32_e64 v9, v9, v10, s[4:5]
	v_cmp_lt_f32_e64 s[4:5], 0, v13
	s_nop 1
	v_cndmask_b32_e64 v9, v9, v11, s[4:5]
	v_mul_f32_e32 v10, 0x37800000, v9
	v_cndmask_b32_e32 v9, v9, v10, vcc
	v_cmp_class_f32_e32 vcc, v8, v1
	s_nop 1
	v_cndmask_b32_e32 v8, v9, v8, vcc
	s_mov_b64 vcc, s[0:1]
	s_cbranch_vccz .LBB137_6
; %bb.5:
	global_load_dword v9, v0, s[10:11]
	s_waitcnt vmcnt(0)
	v_add_f32_e32 v8, v8, v9
.LBB137_6:
	ds_read_b32 v9, v4 offset:4
	ds_write_b32 v4, v8
	s_waitcnt lgkmcnt(1)
	v_mul_f32_e32 v10, 0x3fb8aa3b, v9
	v_exp_f32_e32 v10, v10
	s_nop 0
	v_add_f32_e32 v10, 1.0, v10
	v_cmp_gt_f32_e32 vcc, s16, v10
	s_nop 1
	v_cndmask_b32_e32 v6, 1.0, v6, vcc
	v_mul_f32_e32 v6, v10, v6
	v_log_f32_e32 v6, v6
	v_cndmask_b32_e32 v7, 0, v7, vcc
	v_mul_f32_e32 v8, 0x3f317217, v6
	v_fma_f32 v8, v6, s13, -v8
	v_fmac_f32_e32 v8, 0x3377d1cf, v6
	v_fmac_f32_e32 v8, 0x3f317217, v6
	v_cmp_lt_f32_e64 vcc, |v6|, s14
	s_nop 1
	v_cndmask_b32_e32 v6, v6, v8, vcc
	v_sub_f32_e32 v6, v6, v7
	v_cmp_lt_f32_e32 vcc, s12, v9
	v_cndmask_b32_e64 v8, 0, 1, s[6:7]
	v_cmp_ne_u32_e64 s[0:1], 1, v8
	v_cndmask_b32_e32 v6, v6, v9, vcc
	v_mul_f32_e32 v7, 0x4f800000, v6
	v_cmp_gt_f32_e64 s[4:5], s15, v6
	s_andn2_b64 vcc, exec, s[6:7]
	s_nop 0
	v_cndmask_b32_e64 v6, v6, v7, s[4:5]
	v_sqrt_f32_e32 v7, v6
	s_nop 0
	v_add_u32_e32 v8, -1, v7
	v_add_u32_e32 v9, 1, v7
	v_fma_f32 v10, -v8, v7, v6
	v_fma_f32 v11, -v9, v7, v6
	v_cmp_ge_f32_e64 s[6:7], 0, v10
	s_nop 1
	v_cndmask_b32_e64 v7, v7, v8, s[6:7]
	v_cmp_lt_f32_e64 s[6:7], 0, v11
	s_nop 1
	v_cndmask_b32_e64 v7, v7, v9, s[6:7]
	v_mul_f32_e32 v8, 0x37800000, v7
	v_cndmask_b32_e64 v7, v7, v8, s[4:5]
	v_cmp_class_f32_e64 s[4:5], v6, v1
	s_nop 1
	v_cndmask_b32_e64 v1, v7, v6, s[4:5]
	s_cbranch_vccnz .LBB137_8
; %bb.7:
	global_load_dword v6, v0, s[10:11] offset:4
	s_waitcnt vmcnt(0)
	v_add_f32_e32 v1, v1, v6
.LBB137_8:
	ds_read_b32 v8, v4 offset:8
	s_mov_b32 s12, 0x800000
	s_mov_b32 s7, 0x3f317217
	;; [unrolled: 1-line block ×4, first 2 shown]
	s_waitcnt lgkmcnt(0)
	v_mul_f32_e32 v6, 0x3fb8aa3b, v8
	v_exp_f32_e32 v7, v6
	v_mov_b32_e32 v6, 0x4f800000
	s_mov_b32 s14, 0xf800000
	ds_write_b32 v4, v1 offset:4
	v_add_f32_e32 v7, 1.0, v7
	v_cmp_gt_f32_e32 vcc, s12, v7
	s_nop 1
	v_cndmask_b32_e32 v9, 1.0, v6, vcc
	v_mul_f32_e32 v7, v7, v9
	v_log_f32_e32 v9, v7
	v_mov_b32_e32 v7, 0x41b17218
	v_cndmask_b32_e32 v10, 0, v7, vcc
	v_mul_f32_e32 v11, 0x3f317217, v9
	v_fma_f32 v11, v9, s7, -v11
	v_fmac_f32_e32 v11, 0x3377d1cf, v9
	v_fmac_f32_e32 v11, 0x3f317217, v9
	v_cmp_lt_f32_e64 vcc, |v9|, s13
	s_nop 1
	v_cndmask_b32_e32 v9, v9, v11, vcc
	v_sub_f32_e32 v9, v9, v10
	v_cmp_lt_f32_e32 vcc, s6, v8
	s_nop 1
	v_cndmask_b32_e32 v8, v9, v8, vcc
	v_mul_f32_e32 v9, 0x4f800000, v8
	v_cmp_gt_f32_e32 vcc, s14, v8
	s_nop 1
	v_cndmask_b32_e32 v8, v8, v9, vcc
	v_sqrt_f32_e32 v9, v8
	s_nop 0
	v_add_u32_e32 v1, -1, v9
	v_fma_f32 v10, -v1, v9, v8
	v_cmp_ge_f32_e64 s[4:5], 0, v10
	v_add_u32_e32 v10, 1, v9
	s_nop 0
	v_cndmask_b32_e64 v1, v9, v1, s[4:5]
	v_fma_f32 v9, -v10, v9, v8
	v_cmp_lt_f32_e64 s[4:5], 0, v9
	s_nop 1
	v_cndmask_b32_e64 v1, v1, v10, s[4:5]
	v_mul_f32_e32 v9, 0x37800000, v1
	v_cndmask_b32_e32 v9, v1, v9, vcc
	v_mov_b32_e32 v1, 0x260
	v_cmp_class_f32_e64 s[4:5], v8, v1
	s_and_b64 vcc, exec, s[0:1]
	s_nop 0
	v_cndmask_b32_e64 v8, v9, v8, s[4:5]
	s_cbranch_vccnz .LBB137_10
; %bb.9:
	global_load_dword v9, v0, s[10:11] offset:8
	s_waitcnt vmcnt(0)
	v_add_f32_e32 v8, v8, v9
.LBB137_10:
	ds_read_b32 v9, v4 offset:12
	ds_write_b32 v4, v8 offset:8
	s_waitcnt lgkmcnt(1)
	v_mul_f32_e32 v10, 0x3fb8aa3b, v9
	v_exp_f32_e32 v10, v10
	s_nop 0
	v_add_f32_e32 v10, 1.0, v10
	v_cmp_gt_f32_e32 vcc, s12, v10
	s_nop 1
	v_cndmask_b32_e32 v6, 1.0, v6, vcc
	v_mul_f32_e32 v6, v10, v6
	v_log_f32_e32 v6, v6
	v_cndmask_b32_e32 v7, 0, v7, vcc
	v_mul_f32_e32 v10, 0x3f317217, v6
	v_fma_f32 v10, v6, s7, -v10
	v_fmac_f32_e32 v10, 0x3377d1cf, v6
	v_fmac_f32_e32 v10, 0x3f317217, v6
	v_cmp_lt_f32_e64 vcc, |v6|, s13
	s_nop 1
	v_cndmask_b32_e32 v6, v6, v10, vcc
	v_sub_f32_e32 v6, v6, v7
	v_cmp_lt_f32_e32 vcc, s6, v9
	s_nop 1
	v_cndmask_b32_e32 v6, v6, v9, vcc
	v_mul_f32_e32 v7, 0x4f800000, v6
	v_cmp_gt_f32_e64 s[4:5], s14, v6
	s_and_b64 vcc, exec, s[0:1]
	s_nop 0
	v_cndmask_b32_e64 v6, v6, v7, s[4:5]
	v_sqrt_f32_e32 v7, v6
	s_nop 0
	v_add_u32_e32 v8, -1, v7
	v_add_u32_e32 v9, 1, v7
	v_fma_f32 v10, -v8, v7, v6
	v_fma_f32 v11, -v9, v7, v6
	v_cmp_ge_f32_e64 s[6:7], 0, v10
	s_nop 1
	v_cndmask_b32_e64 v7, v7, v8, s[6:7]
	v_cmp_lt_f32_e64 s[6:7], 0, v11
	s_nop 1
	v_cndmask_b32_e64 v7, v7, v9, s[6:7]
	v_mul_f32_e32 v8, 0x37800000, v7
	v_cndmask_b32_e64 v7, v7, v8, s[4:5]
	v_cmp_class_f32_e64 s[4:5], v6, v1
	s_nop 1
	v_cndmask_b32_e64 v1, v7, v6, s[4:5]
	s_cbranch_vccnz .LBB137_12
; %bb.11:
	global_load_dword v0, v0, s[10:11] offset:12
	s_waitcnt vmcnt(0)
	v_add_f32_e32 v1, v1, v0
.LBB137_12:
	s_load_dwordx4 s[12:15], s[2:3], 0x30
	s_mov_b32 s31, 0
	v_cmp_eq_u32_e64 s[6:7], 0, v3
	ds_write_b32 v4, v1 offset:12
	s_waitcnt lgkmcnt(0)
	s_bitcmp1_b32 s15, 0
	s_cselect_b64 s[4:5], -1, 0
	s_cmp_gt_i32 s12, 0
	s_cselect_b64 s[24:25], -1, 0
	s_and_b64 vcc, exec, s[24:25]
	s_cbranch_vccz .LBB137_29
; %bb.13:
	v_mbcnt_lo_u32_b32 v0, -1, 0
	v_mbcnt_hi_u32_b32 v0, -1, v0
	v_and_b32_e32 v1, 0x7c, v0
	v_add_u32_e32 v1, 4, v1
	v_xor_b32_e32 v6, 2, v0
	v_cmp_lt_i32_e32 vcc, v6, v1
	s_load_dwordx4 s[16:19], s[2:3], 0x20
	v_mul_lo_u32 v7, v2, s12
	v_cndmask_b32_e32 v6, v0, v6, vcc
	v_lshlrev_b32_e32 v8, 2, v6
	v_xor_b32_e32 v6, 1, v0
	v_cmp_lt_i32_e32 vcc, v6, v1
	v_mov_b32_e32 v10, 0xc61c4000
	v_mov_b32_e32 v11, v2
	v_cndmask_b32_e32 v0, v0, v6, vcc
	v_lshlrev_b32_e32 v9, 2, v0
	v_mov_b32_e32 v6, 0
	s_branch .LBB137_15
.LBB137_14:                             ;   in Loop: Header=BB137_15 Depth=1
	s_or_b64 exec, exec, s[2:3]
	s_cmp_eq_u32 s12, s31
	v_add_u32_e32 v11, s30, v11
	s_cbranch_scc1 .LBB137_30
.LBB137_15:                             ; =>This Inner Loop Header: Depth=1
	ds_read_b128 v[12:15], v4
	s_waitcnt lgkmcnt(0)
	v_cmp_gt_f32_e32 vcc, v13, v12
	s_nop 1
	v_cndmask_b32_e32 v1, v12, v13, vcc
	v_cndmask_b32_e64 v0, 0, 1, vcc
	v_cmp_gt_f32_e32 vcc, v14, v1
	s_nop 1
	v_cndmask_b32_e32 v1, v1, v14, vcc
	v_cndmask_b32_e64 v0, v0, 2, vcc
	v_cmp_gt_f32_e32 vcc, v15, v1
	s_nop 1
	v_cndmask_b32_e64 v0, v0, 3, vcc
	v_cndmask_b32_e32 v12, v1, v15, vcc
	ds_bpermute_b32 v1, v8, v12
	v_or_b32_e32 v0, v5, v0
	ds_bpermute_b32 v13, v8, v0
	s_waitcnt lgkmcnt(1)
	v_cmp_lt_f32_e64 s[26:27], v12, v1
	v_cmp_nlt_f32_e32 vcc, v12, v1
	s_and_saveexec_b64 s[28:29], vcc
	s_cbranch_execz .LBB137_17
; %bb.16:                               ;   in Loop: Header=BB137_15 Depth=1
	v_cmp_eq_f32_e32 vcc, v12, v1
	s_waitcnt lgkmcnt(0)
	v_cmp_lt_i32_e64 s[2:3], v13, v0
	s_and_b64 s[2:3], vcc, s[2:3]
	s_andn2_b64 s[26:27], s[26:27], exec
	s_and_b64 s[2:3], s[2:3], exec
	s_or_b64 s[26:27], s[26:27], s[2:3]
.LBB137_17:                             ;   in Loop: Header=BB137_15 Depth=1
	s_or_b64 exec, exec, s[28:29]
	s_and_saveexec_b64 s[2:3], s[26:27]
	s_cbranch_execz .LBB137_19
; %bb.18:                               ;   in Loop: Header=BB137_15 Depth=1
	v_mov_b32_e32 v12, v1
	s_waitcnt lgkmcnt(0)
	v_mov_b32_e32 v0, v13
.LBB137_19:                             ;   in Loop: Header=BB137_15 Depth=1
	s_or_b64 exec, exec, s[2:3]
	ds_bpermute_b32 v1, v9, v12
	s_waitcnt lgkmcnt(1)
	ds_bpermute_b32 v13, v9, v0
	s_waitcnt lgkmcnt(1)
	v_cmp_lt_f32_e64 s[26:27], v12, v1
	v_cmp_nlt_f32_e32 vcc, v12, v1
	s_and_saveexec_b64 s[28:29], vcc
	s_cbranch_execnz .LBB137_22
; %bb.20:                               ;   in Loop: Header=BB137_15 Depth=1
	s_or_b64 exec, exec, s[28:29]
	s_and_saveexec_b64 s[2:3], s[26:27]
	s_cbranch_execnz .LBB137_23
.LBB137_21:                             ;   in Loop: Header=BB137_15 Depth=1
	s_or_b64 exec, exec, s[2:3]
	s_and_saveexec_b64 s[26:27], s[6:7]
	s_cbranch_execnz .LBB137_24
	s_branch .LBB137_27
.LBB137_22:                             ;   in Loop: Header=BB137_15 Depth=1
	v_cmp_eq_f32_e32 vcc, v12, v1
	s_waitcnt lgkmcnt(0)
	v_cmp_lt_i32_e64 s[2:3], v13, v0
	s_and_b64 s[2:3], vcc, s[2:3]
	s_andn2_b64 s[26:27], s[26:27], exec
	s_and_b64 s[2:3], s[2:3], exec
	s_or_b64 s[26:27], s[26:27], s[2:3]
	s_or_b64 exec, exec, s[28:29]
	s_and_saveexec_b64 s[2:3], s[26:27]
	s_cbranch_execz .LBB137_21
.LBB137_23:                             ;   in Loop: Header=BB137_15 Depth=1
	s_waitcnt lgkmcnt(0)
	v_mov_b32_e32 v0, v13
	v_mov_b32_e32 v12, v1
	s_or_b64 exec, exec, s[2:3]
	s_and_saveexec_b64 s[26:27], s[6:7]
	s_cbranch_execz .LBB137_27
.LBB137_24:                             ;   in Loop: Header=BB137_15 Depth=1
	s_and_b64 vcc, exec, s[0:1]
	s_cbranch_vccnz .LBB137_26
; %bb.25:                               ;   in Loop: Header=BB137_15 Depth=1
	v_ashrrev_i32_e32 v1, 31, v0
	v_lshl_add_u64 v[14:15], v[0:1], 2, s[10:11]
	global_load_dword v1, v[14:15], off
	s_waitcnt vmcnt(0)
	v_sub_f32_e32 v12, v12, v1
.LBB137_26:                             ;   in Loop: Header=BB137_15 Depth=1
	v_add_u32_e32 v14, s31, v7
	v_cmp_le_i32_e32 vcc, s13, v0
	v_cmp_gt_i32_e64 s[2:3], s14, v0
	v_ashrrev_i32_e32 v15, 31, v14
	s_and_b64 s[2:3], vcc, s[2:3]
	v_lshlrev_b64 v[16:17], 2, v[14:15]
	v_subrev_u32_e32 v1, s13, v0
	v_lshl_add_u64 v[18:19], s[20:21], 0, v[16:17]
	s_waitcnt lgkmcnt(0)
	v_ashrrev_i32_e32 v13, 31, v1
	s_and_b64 vcc, s[22:23], s[2:3]
	global_store_dword v[18:19], v12, off
	v_cndmask_b32_e32 v19, 0, v13, vcc
	v_cndmask_b32_e32 v18, 16, v1, vcc
	v_lshl_add_u64 v[14:15], v[14:15], 3, s[16:17]
	v_add_f32_e32 v1, v6, v12
	global_store_dwordx2 v[14:15], v[18:19], off
	v_lshl_add_u64 v[14:15], s[18:19], 0, v[16:17]
	v_cndmask_b32_e64 v6, v6, v1, s[4:5]
	global_store_dword v[14:15], v11, off
.LBB137_27:                             ;   in Loop: Header=BB137_15 Depth=1
	s_or_b64 exec, exec, s[26:27]
	v_ashrrev_i32_e32 v1, 31, v0
	v_lshrrev_b32_e32 v12, 30, v1
	v_add_u32_e32 v12, v0, v12
	v_ashrrev_i32_e32 v12, 2, v12
	s_waitcnt lgkmcnt(0)
	v_lshrrev_b32_e32 v13, 30, v12
	v_add_u32_e32 v13, v12, v13
	s_add_i32 s31, s31, 1
	v_and_b32_e32 v13, -4, v13
	s_cmp_lt_i32 s31, s12
	v_sub_u32_e32 v13, v12, v13
	s_cselect_b64 s[2:3], -1, 0
	v_cmp_eq_u32_e32 vcc, v3, v13
	s_and_b64 s[26:27], s[2:3], vcc
	s_and_saveexec_b64 s[2:3], s[26:27]
	s_cbranch_execz .LBB137_14
; %bb.28:                               ;   in Loop: Header=BB137_15 Depth=1
	v_lshrrev_b32_e32 v1, 28, v1
	v_add_u32_e32 v1, v0, v1
	v_lshlrev_b32_e32 v12, 2, v12
	v_lshrrev_b32_e32 v1, 2, v1
	v_sub_u32_e32 v0, v0, v12
	v_and_b32_e32 v1, 0x3ffffffc, v1
	v_add_u32_e32 v0, v1, v0
	v_lshl_add_u32 v0, v0, 2, v4
	ds_write_b32 v0, v10
	s_branch .LBB137_14
.LBB137_29:
	v_mov_b32_e32 v6, 0
.LBB137_30:
	v_cmp_eq_u32_e32 vcc, 0, v3
	s_and_b64 exec, exec, vcc
	s_cbranch_execz .LBB137_43
; %bb.31:
	s_andn2_b64 vcc, exec, s[4:5]
	v_cvt_f32_f64_e32 v0, s[8:9]
	s_cbranch_vccnz .LBB137_33
; %bb.32:
	v_cmp_lt_f32_e32 vcc, 0, v6
	s_nop 1
	v_cndmask_b32_e32 v1, 1.0, v6, vcc
	v_div_scale_f32 v3, s[0:1], v1, v1, v0
	v_rcp_f32_e32 v4, v3
	s_nop 0
	v_fma_f32 v5, -v3, v4, 1.0
	v_fmac_f32_e32 v4, v5, v4
	v_div_scale_f32 v5, vcc, v0, v1, v0
	v_mul_f32_e32 v6, v5, v4
	v_fma_f32 v7, -v3, v6, v5
	v_fmac_f32_e32 v6, v7, v4
	v_fma_f32 v3, -v3, v6, v5
	v_div_fmas_f32 v3, v3, v4, v6
	v_div_fixup_f32 v0, v3, v1, v0
.LBB137_33:
	s_andn2_b64 vcc, exec, s[24:25]
	s_cbranch_vccnz .LBB137_43
; %bb.34:
	v_mul_lo_u32 v2, v2, s12
	s_cmp_gt_u32 s12, 3
	v_ashrrev_i32_e32 v3, 31, v2
	s_cbranch_scc0 .LBB137_38
; %bb.35:
	s_and_b32 s0, s12, 0x7ffffffc
	v_lshl_add_u64 v[4:5], v[2:3], 2, s[20:21]
	v_mov_b32_e32 v1, v0
	v_lshl_add_u64 v[4:5], v[4:5], 0, 8
	s_mov_b32 s1, s0
.LBB137_36:                             ; =>This Inner Loop Header: Depth=1
	global_load_dwordx4 v[6:9], v[4:5], off offset:-8
	s_add_i32 s1, s1, -4
	s_cmp_lg_u32 s1, 0
	s_waitcnt vmcnt(0)
	v_pk_mul_f32 v[6:7], v[0:1], v[6:7]
	v_pk_mul_f32 v[8:9], v[0:1], v[8:9]
	global_store_dwordx4 v[4:5], v[6:9], off offset:-8
	v_lshl_add_u64 v[4:5], v[4:5], 0, 16
	s_cbranch_scc1 .LBB137_36
; %bb.37:
	s_cmp_lg_u32 s0, s12
	s_cselect_b64 s[2:3], -1, 0
	s_branch .LBB137_40
.LBB137_38:
	s_mov_b64 s[2:3], 0
                                        ; implicit-def: $sgpr0
	s_cbranch_execz .LBB137_40
; %bb.39:
	s_mov_b64 s[2:3], -1
	s_mov_b32 s0, 0
.LBB137_40:
	s_andn2_b64 vcc, exec, s[2:3]
	s_cbranch_vccnz .LBB137_43
; %bb.41:
	s_mov_b32 s1, 0
	v_lshl_add_u64 v[2:3], v[2:3], 0, s[0:1]
	s_sub_i32 s2, s12, s0
	v_lshl_add_u64 v[2:3], v[2:3], 2, s[20:21]
.LBB137_42:                             ; =>This Inner Loop Header: Depth=1
	global_load_dword v1, v[2:3], off
	s_add_i32 s2, s2, -1
	s_cmp_lg_u32 s2, 0
	s_waitcnt vmcnt(0)
	v_mul_f32_e32 v1, v0, v1
	global_store_dword v[2:3], v1, off
	v_lshl_add_u64 v[2:3], v[2:3], 0, 4
	s_cbranch_scc1 .LBB137_42
.LBB137_43:
	s_endpgm
	.section	.rodata,"a",@progbits
	.p2align	6, 0x0
	.amdhsa_kernel _ZN4vllm3moe22topkGatingSoftplusSqrtILi4ELi16ELi4ELi16ELi64ELb0ElfEEvPKT6_PKbPfiPT5_PiiiibdPKfPKS8_SE_
		.amdhsa_group_segment_fixed_size 4096
		.amdhsa_private_segment_fixed_size 0
		.amdhsa_kernarg_size 96
		.amdhsa_user_sgpr_count 4
		.amdhsa_user_sgpr_dispatch_ptr 1
		.amdhsa_user_sgpr_queue_ptr 0
		.amdhsa_user_sgpr_kernarg_segment_ptr 1
		.amdhsa_user_sgpr_dispatch_id 0
		.amdhsa_user_sgpr_kernarg_preload_length 0
		.amdhsa_user_sgpr_kernarg_preload_offset 0
		.amdhsa_user_sgpr_private_segment_size 0
		.amdhsa_uses_dynamic_stack 0
		.amdhsa_enable_private_segment 0
		.amdhsa_system_sgpr_workgroup_id_x 1
		.amdhsa_system_sgpr_workgroup_id_y 0
		.amdhsa_system_sgpr_workgroup_id_z 0
		.amdhsa_system_sgpr_workgroup_info 0
		.amdhsa_system_vgpr_workitem_id 2
		.amdhsa_next_free_vgpr 20
		.amdhsa_next_free_sgpr 32
		.amdhsa_accum_offset 20
		.amdhsa_reserve_vcc 1
		.amdhsa_float_round_mode_32 0
		.amdhsa_float_round_mode_16_64 0
		.amdhsa_float_denorm_mode_32 3
		.amdhsa_float_denorm_mode_16_64 3
		.amdhsa_dx10_clamp 1
		.amdhsa_ieee_mode 1
		.amdhsa_fp16_overflow 0
		.amdhsa_tg_split 0
		.amdhsa_exception_fp_ieee_invalid_op 0
		.amdhsa_exception_fp_denorm_src 0
		.amdhsa_exception_fp_ieee_div_zero 0
		.amdhsa_exception_fp_ieee_overflow 0
		.amdhsa_exception_fp_ieee_underflow 0
		.amdhsa_exception_fp_ieee_inexact 0
		.amdhsa_exception_int_div_zero 0
	.end_amdhsa_kernel
	.section	.text._ZN4vllm3moe22topkGatingSoftplusSqrtILi4ELi16ELi4ELi16ELi64ELb0ElfEEvPKT6_PKbPfiPT5_PiiiibdPKfPKS8_SE_,"axG",@progbits,_ZN4vllm3moe22topkGatingSoftplusSqrtILi4ELi16ELi4ELi16ELi64ELb0ElfEEvPKT6_PKbPfiPT5_PiiiibdPKfPKS8_SE_,comdat
.Lfunc_end137:
	.size	_ZN4vllm3moe22topkGatingSoftplusSqrtILi4ELi16ELi4ELi16ELi64ELb0ElfEEvPKT6_PKbPfiPT5_PiiiibdPKfPKS8_SE_, .Lfunc_end137-_ZN4vllm3moe22topkGatingSoftplusSqrtILi4ELi16ELi4ELi16ELi64ELb0ElfEEvPKT6_PKbPfiPT5_PiiiibdPKfPKS8_SE_
                                        ; -- End function
	.section	.AMDGPU.csdata,"",@progbits
; Kernel info:
; codeLenInByte = 2624
; NumSgprs: 38
; NumVgprs: 20
; NumAgprs: 0
; TotalNumVgprs: 20
; ScratchSize: 0
; MemoryBound: 0
; FloatMode: 240
; IeeeMode: 1
; LDSByteSize: 4096 bytes/workgroup (compile time only)
; SGPRBlocks: 4
; VGPRBlocks: 2
; NumSGPRsForWavesPerEU: 38
; NumVGPRsForWavesPerEU: 20
; AccumOffset: 20
; Occupancy: 8
; WaveLimiterHint : 0
; COMPUTE_PGM_RSRC2:SCRATCH_EN: 0
; COMPUTE_PGM_RSRC2:USER_SGPR: 4
; COMPUTE_PGM_RSRC2:TRAP_HANDLER: 0
; COMPUTE_PGM_RSRC2:TGID_X_EN: 1
; COMPUTE_PGM_RSRC2:TGID_Y_EN: 0
; COMPUTE_PGM_RSRC2:TGID_Z_EN: 0
; COMPUTE_PGM_RSRC2:TIDIG_COMP_CNT: 2
; COMPUTE_PGM_RSRC3_GFX90A:ACCUM_OFFSET: 4
; COMPUTE_PGM_RSRC3_GFX90A:TG_SPLIT: 0
	.section	.text._ZN4vllm3moe22topkGatingSoftplusSqrtILi4ELi16ELi4ELi16ELi32ELb1ElfEEvPKT6_PKbPfiPT5_PiiiibdPKfPKS8_SE_,"axG",@progbits,_ZN4vllm3moe22topkGatingSoftplusSqrtILi4ELi16ELi4ELi16ELi32ELb1ElfEEvPKT6_PKbPfiPT5_PiiiibdPKfPKS8_SE_,comdat
	.protected	_ZN4vllm3moe22topkGatingSoftplusSqrtILi4ELi16ELi4ELi16ELi32ELb1ElfEEvPKT6_PKbPfiPT5_PiiiibdPKfPKS8_SE_ ; -- Begin function _ZN4vllm3moe22topkGatingSoftplusSqrtILi4ELi16ELi4ELi16ELi32ELb1ElfEEvPKT6_PKbPfiPT5_PiiiibdPKfPKS8_SE_
	.globl	_ZN4vllm3moe22topkGatingSoftplusSqrtILi4ELi16ELi4ELi16ELi32ELb1ElfEEvPKT6_PKbPfiPT5_PiiiibdPKfPKS8_SE_
	.p2align	8
	.type	_ZN4vllm3moe22topkGatingSoftplusSqrtILi4ELi16ELi4ELi16ELi32ELb1ElfEEvPKT6_PKbPfiPT5_PiiiibdPKfPKS8_SE_,@function
_ZN4vllm3moe22topkGatingSoftplusSqrtILi4ELi16ELi4ELi16ELi32ELb1ElfEEvPKT6_PKbPfiPT5_PiiiibdPKfPKS8_SE_: ; @_ZN4vllm3moe22topkGatingSoftplusSqrtILi4ELi16ELi4ELi16ELi32ELb1ElfEEvPKT6_PKbPfiPT5_PiiiibdPKfPKS8_SE_
; %bb.0:
	s_load_dword s3, s[0:1], 0x18
	v_bfe_u32 v1, v0, 10, 10
	v_and_b32_e32 v8, 0x3ff, v0
	s_lshl_b32 s2, s2, 5
	v_lshlrev_b32_e32 v1, 3, v1
	v_lshrrev_b32_e32 v0, 2, v8
	v_add3_u32 v2, s2, v1, v0
	s_waitcnt lgkmcnt(0)
	v_cmp_gt_i32_e32 vcc, s3, v2
	s_and_saveexec_b64 s[2:3], vcc
	s_cbranch_execz .LBB138_79
; %bb.1:
	s_load_dwordx4 s[8:11], s[0:1], 0x50
	s_load_dwordx2 s[2:3], s[0:1], 0x0
	s_load_dword s12, s[0:1], 0x30
	v_lshlrev_b32_e32 v0, 4, v2
	v_lshlrev_b32_e32 v3, 2, v8
	v_ashrrev_i32_e32 v1, 31, v0
	v_and_b32_e32 v14, 12, v3
	s_waitcnt lgkmcnt(0)
	v_lshl_add_u64 v[0:1], v[0:1], 2, s[2:3]
	v_lshlrev_b32_e32 v4, 2, v14
	v_mov_b32_e32 v5, 0
	v_lshl_add_u64 v[0:1], v[0:1], 0, v[4:5]
	global_load_dwordx4 v[10:13], v[0:1], off
	v_mov_b32_e32 v6, s8
	v_mov_b32_e32 v7, s9
	v_ashrrev_i32_e32 v3, 31, v2
	v_lshl_add_u64 v[6:7], v[2:3], 3, v[6:7]
	global_load_dwordx2 v[6:7], v[6:7], off
	s_ashr_i32 s13, s12, 31
	s_mov_b32 s6, 0x800000
	v_mov_b32_e32 v3, 0x4f800000
	s_mov_b32 s18, 0x3f317217
	s_mov_b32 s19, 0x7f800000
	v_mov_b32_e32 v4, 0x41b17218
	s_mov_b32 s15, 0x41a00000
	s_mov_b32 s20, 0xf800000
	v_mov_b32_e32 v9, 0x260
	v_cmp_lt_i64_e64 s[16:17], s[12:13], 1
	s_mov_b32 s14, 0
	v_cmp_gt_i64_e64 s[8:9], s[12:13], 0
	v_mul_lo_u32 v2, v2, s12
	s_waitcnt vmcnt(1)
	v_mul_f32_e32 v0, 0x3fb8aa3b, v10
	v_mul_f32_e32 v1, 0x3fb8aa3b, v11
	v_exp_f32_e32 v16, v0
	v_exp_f32_e32 v17, v1
	v_mul_f32_e32 v18, 0x3fb8aa3b, v12
	v_mul_f32_e32 v19, 0x3fb8aa3b, v13
	s_waitcnt vmcnt(0)
	v_mul_lo_u32 v7, v7, s12
	v_mul_lo_u32 v15, v6, s13
	v_exp_f32_e32 v18, v18
	v_exp_f32_e32 v19, v19
	v_mad_u64_u32 v[0:1], s[2:3], v6, s12, 0
	v_add3_u32 v1, v1, v15, v7
	v_pk_add_f32 v[6:7], v[16:17], 1.0 op_sel_hi:[1,0]
	v_pk_add_f32 v[16:17], v[18:19], 1.0 op_sel_hi:[1,0]
	v_cmp_gt_f32_e32 vcc, s6, v7
	v_cmp_gt_f32_e64 s[2:3], s6, v6
	v_cmp_gt_f32_e64 s[4:5], s6, v17
	v_cndmask_b32_e32 v15, 1.0, v3, vcc
	v_cndmask_b32_e64 v18, 1.0, v3, s[2:3]
	v_mul_f32_e32 v7, v7, v15
	v_mul_f32_e32 v6, v6, v18
	v_log_f32_e32 v7, v7
	v_log_f32_e32 v6, v6
	v_cndmask_b32_e64 v19, 1.0, v3, s[4:5]
	v_cmp_gt_f32_e64 s[6:7], s6, v16
	v_mul_f32_e32 v17, v17, v19
	v_mul_f32_e32 v20, 0x3f317217, v6
	v_cndmask_b32_e64 v3, 1.0, v3, s[6:7]
	v_mul_f32_e32 v3, v16, v3
	v_log_f32_e32 v16, v17
	v_mul_f32_e32 v17, 0x3f317217, v7
	v_fma_f32 v17, v7, s18, -v17
	v_fma_f32 v20, v6, s18, -v20
	v_fmac_f32_e32 v17, 0x3377d1cf, v7
	v_cndmask_b32_e32 v15, 0, v4, vcc
	v_fmac_f32_e32 v20, 0x3377d1cf, v6
	v_fmac_f32_e32 v17, 0x3f317217, v7
	v_cmp_lt_f32_e64 vcc, |v7|, s19
	v_fmac_f32_e32 v20, 0x3f317217, v6
	v_cndmask_b32_e64 v18, 0, v4, s[2:3]
	v_cndmask_b32_e32 v7, v7, v17, vcc
	v_cmp_lt_f32_e64 vcc, |v6|, s19
	v_sub_f32_e32 v7, v7, v15
	v_mul_f32_e32 v21, 0x3f317217, v16
	v_cndmask_b32_e32 v6, v6, v20, vcc
	v_sub_f32_e32 v6, v6, v18
	v_cmp_lt_f32_e32 vcc, s15, v10
	v_fma_f32 v21, v16, s18, -v21
	v_fmac_f32_e32 v21, 0x3377d1cf, v16
	v_cndmask_b32_e32 v6, v6, v10, vcc
	v_cmp_lt_f32_e32 vcc, s15, v11
	v_cmp_gt_f32_e64 s[2:3], s20, v6
	v_cndmask_b32_e64 v19, 0, v4, s[4:5]
	v_cndmask_b32_e32 v7, v7, v11, vcc
	v_mul_f32_e32 v10, 0x4f800000, v7
	v_cmp_gt_f32_e32 vcc, s20, v7
	v_mul_f32_e32 v11, 0x4f800000, v6
	v_cndmask_b32_e64 v6, v6, v11, s[2:3]
	v_cndmask_b32_e32 v7, v7, v10, vcc
	v_sqrt_f32_e32 v10, v7
	v_sqrt_f32_e32 v11, v6
	v_fmac_f32_e32 v21, 0x3f317217, v16
	v_cmp_lt_f32_e64 s[4:5], |v16|, s19
	v_add_u32_e32 v17, 1, v10
	v_add_u32_e32 v18, -1, v11
	v_cndmask_b32_e64 v15, v16, v21, s[4:5]
	v_add_u32_e32 v16, -1, v10
	v_fma_f32 v21, -v16, v10, v7
	v_fma_f32 v23, -v18, v11, v6
	v_cmp_ge_f32_e64 s[4:5], 0, v21
	v_add_u32_e32 v20, 1, v11
	v_fma_f32 v22, -v17, v10, v7
	v_cndmask_b32_e64 v10, v10, v16, s[4:5]
	v_cmp_ge_f32_e64 s[4:5], 0, v23
	v_log_f32_e32 v3, v3
	v_fma_f32 v24, -v20, v11, v6
	v_cndmask_b32_e64 v11, v11, v18, s[4:5]
	v_cmp_lt_f32_e64 s[4:5], 0, v22
	v_cndmask_b32_e64 v4, 0, v4, s[6:7]
	s_nop 0
	v_cndmask_b32_e64 v10, v10, v17, s[4:5]
	v_cmp_lt_f32_e64 s[4:5], 0, v24
	v_mul_f32_e32 v16, 0x37800000, v10
	v_cndmask_b32_e32 v10, v10, v16, vcc
	v_cndmask_b32_e64 v11, v11, v20, s[4:5]
	v_mul_f32_e32 v17, 0x37800000, v11
	v_cmp_class_f32_e32 vcc, v7, v9
	v_cndmask_b32_e64 v16, v11, v17, s[2:3]
	v_cmp_lt_f32_e64 s[2:3], s15, v12
	v_cndmask_b32_e32 v11, v10, v7, vcc
	v_mul_f32_e32 v7, 0x3f317217, v3
	v_fma_f32 v7, v3, s18, -v7
	v_cmp_class_f32_e32 vcc, v6, v9
	v_fmac_f32_e32 v7, 0x3377d1cf, v3
	v_fmac_f32_e32 v7, 0x3f317217, v3
	v_cndmask_b32_e32 v10, v16, v6, vcc
	v_cmp_lt_f32_e64 vcc, |v3|, s19
	v_sub_f32_e32 v6, v15, v19
	s_nop 0
	v_cndmask_b32_e32 v3, v3, v7, vcc
	v_cmp_lt_f32_e32 vcc, s15, v13
	v_sub_f32_e32 v3, v3, v4
	v_cndmask_b32_e64 v3, v3, v12, s[2:3]
	v_cndmask_b32_e32 v6, v6, v13, vcc
	v_mul_f32_e32 v7, 0x4f800000, v6
	v_cmp_gt_f32_e32 vcc, s20, v6
	s_nop 1
	v_cndmask_b32_e32 v6, v6, v7, vcc
	v_sqrt_f32_e32 v7, v6
	s_nop 0
	v_add_u32_e32 v4, -1, v7
	v_fma_f32 v12, -v4, v7, v6
	v_cmp_ge_f32_e64 s[2:3], 0, v12
	v_add_u32_e32 v12, 1, v7
	s_nop 0
	v_cndmask_b32_e64 v4, v7, v4, s[2:3]
	v_fma_f32 v7, -v12, v7, v6
	v_cmp_lt_f32_e64 s[2:3], 0, v7
	s_nop 1
	v_cndmask_b32_e64 v4, v4, v12, s[2:3]
	v_mul_f32_e32 v12, 0x4f800000, v3
	v_cmp_gt_f32_e64 s[2:3], s20, v3
	v_mul_f32_e32 v7, 0x37800000, v4
	v_cndmask_b32_e32 v4, v4, v7, vcc
	v_cndmask_b32_e64 v3, v3, v12, s[2:3]
	v_sqrt_f32_e32 v12, v3
	v_cmp_class_f32_e32 vcc, v6, v9
	s_nop 1
	v_cndmask_b32_e32 v13, v4, v6, vcc
	v_add_u32_e32 v4, -1, v12
	v_fma_f32 v6, -v4, v12, v3
	v_cmp_ge_f32_e32 vcc, 0, v6
	v_add_u32_e32 v6, 1, v12
	v_fma_f32 v7, -v6, v12, v3
	v_cndmask_b32_e32 v4, v12, v4, vcc
	v_cmp_lt_f32_e32 vcc, 0, v7
	s_nop 1
	v_cndmask_b32_e32 v4, v4, v6, vcc
	v_mul_f32_e32 v6, 0x37800000, v4
	v_cndmask_b32_e64 v4, v4, v6, s[2:3]
	v_cmp_class_f32_e32 vcc, v3, v9
	s_nop 1
	v_cndmask_b32_e32 v12, v4, v3, vcc
	s_and_b64 vcc, exec, s[16:17]
	scratch_store_dwordx4 off, v[10:13], off
	s_cbranch_vccnz .LBB138_28
; %bb.2:
	s_load_dwordx2 s[4:5], s[0:1], 0x20
	v_lshl_add_u64 v[6:7], v[0:1], 3, s[10:11]
	s_cmp_lt_u32 s12, 4
	v_and_b32_e32 v4, 3, v8
	s_cbranch_scc1 .LBB138_21
; %bb.3:
	v_lshlrev_b32_e32 v5, 2, v4
	s_mov_b32 s7, 0
	s_and_b32 s14, s12, 0x7ffffffc
	v_ashrrev_i32_e32 v3, 31, v2
	v_sub_u32_e32 v15, 0, v5
	v_mov_b32_e32 v5, 0
	s_mov_b32 s6, s7
	s_branch .LBB138_5
.LBB138_4:                              ;   in Loop: Header=BB138_5 Depth=1
	s_or_b64 exec, exec, s[16:17]
	s_add_i32 s6, s6, 4
	s_cmp_eq_u32 s6, s14
	s_cbranch_scc1 .LBB138_21
.LBB138_5:                              ; =>This Loop Header: Depth=1
                                        ;     Child Loop BB138_7 Depth 2
                                        ;     Child Loop BB138_11 Depth 2
	;; [unrolled: 1-line block ×4, first 2 shown]
	v_lshl_add_u64 v[8:9], s[6:7], 3, v[6:7]
	global_load_dwordx2 v[10:11], v[8:9], off
	v_add_u32_e32 v12, s6, v2
	v_ashrrev_i32_e32 v13, 31, v12
	v_mov_b32_e32 v16, 0
	s_mov_b64 s[16:17], 0
	s_waitcnt lgkmcnt(0)
	v_lshl_add_u64 v[12:13], v[12:13], 3, s[4:5]
	s_mov_b32 s13, 0
	s_waitcnt vmcnt(0)
	v_ashrrev_i32_e32 v11, 31, v10
	v_add_u32_e32 v17, v15, v10
	s_branch .LBB138_7
.LBB138_6:                              ;   in Loop: Header=BB138_7 Depth=2
	s_or_b64 exec, exec, s[18:19]
	s_add_i32 s15, s13, 1
	s_cmp_gt_u32 s13, 2
	s_cselect_b64 s[2:3], -1, 0
	s_xor_b64 s[18:19], vcc, -1
	s_or_b64 s[2:3], s[18:19], s[2:3]
	s_and_b64 s[2:3], exec, s[2:3]
	v_add_u32_e32 v16, 4, v16
	s_or_b64 s[16:17], s[2:3], s[16:17]
	s_mov_b32 s13, s15
	s_andn2_b64 exec, exec, s[16:17]
	s_cbranch_execz .LBB138_9
.LBB138_7:                              ;   Parent Loop BB138_5 Depth=1
                                        ; =>  This Inner Loop Header: Depth=2
	v_cmp_ne_u32_e32 vcc, s13, v17
	v_cmp_eq_u32_e64 s[2:3], s13, v17
	s_and_saveexec_b64 s[18:19], s[2:3]
	s_cbranch_execz .LBB138_6
; %bb.8:                                ;   in Loop: Header=BB138_7 Depth=2
	scratch_load_dword v18, v16, off
	s_waitcnt vmcnt(0)
	v_add_f32_e32 v5, v5, v18
	global_store_dwordx2 v[12:13], v[10:11], off
	s_branch .LBB138_6
.LBB138_9:                              ;   in Loop: Header=BB138_5 Depth=1
	s_or_b64 exec, exec, s[16:17]
	global_load_dwordx2 v[12:13], v[8:9], off offset:8
	s_ashr_i32 s3, s6, 31
	s_mov_b32 s2, s6
	v_lshl_add_u64 v[10:11], s[2:3], 0, v[2:3]
	v_mov_b32_e32 v16, 0
	s_mov_b32 s13, 0
	v_lshl_add_u64 v[10:11], v[10:11], 3, s[4:5]
	s_mov_b64 s[16:17], 0
	s_waitcnt vmcnt(0)
	v_ashrrev_i32_e32 v13, 31, v12
	v_add_u32_e32 v17, v15, v12
	s_branch .LBB138_11
.LBB138_10:                             ;   in Loop: Header=BB138_11 Depth=2
	s_or_b64 exec, exec, s[18:19]
	s_add_i32 s15, s13, 1
	s_cmp_gt_u32 s13, 2
	s_cselect_b64 s[2:3], -1, 0
	s_xor_b64 s[18:19], vcc, -1
	s_or_b64 s[2:3], s[18:19], s[2:3]
	s_and_b64 s[2:3], exec, s[2:3]
	v_add_u32_e32 v16, 4, v16
	s_or_b64 s[16:17], s[2:3], s[16:17]
	s_mov_b32 s13, s15
	s_andn2_b64 exec, exec, s[16:17]
	s_cbranch_execz .LBB138_13
.LBB138_11:                             ;   Parent Loop BB138_5 Depth=1
                                        ; =>  This Inner Loop Header: Depth=2
	v_cmp_ne_u32_e32 vcc, s13, v17
	v_cmp_eq_u32_e64 s[2:3], s13, v17
	s_and_saveexec_b64 s[18:19], s[2:3]
	s_cbranch_execz .LBB138_10
; %bb.12:                               ;   in Loop: Header=BB138_11 Depth=2
	scratch_load_dword v18, v16, off
	s_waitcnt vmcnt(0)
	v_add_f32_e32 v5, v5, v18
	global_store_dwordx2 v[10:11], v[12:13], off offset:8
	s_branch .LBB138_10
.LBB138_13:                             ;   in Loop: Header=BB138_5 Depth=1
	s_or_b64 exec, exec, s[16:17]
	global_load_dwordx2 v[12:13], v[8:9], off offset:16
	v_mov_b32_e32 v16, 0
	s_mov_b32 s13, 0
	s_mov_b64 s[16:17], 0
	s_waitcnt vmcnt(0)
	v_ashrrev_i32_e32 v13, 31, v12
	v_add_u32_e32 v17, v15, v12
	s_branch .LBB138_15
.LBB138_14:                             ;   in Loop: Header=BB138_15 Depth=2
	s_or_b64 exec, exec, s[18:19]
	s_add_i32 s15, s13, 1
	s_cmp_gt_u32 s13, 2
	s_cselect_b64 s[2:3], -1, 0
	s_xor_b64 s[18:19], vcc, -1
	s_or_b64 s[2:3], s[18:19], s[2:3]
	s_and_b64 s[2:3], exec, s[2:3]
	v_add_u32_e32 v16, 4, v16
	s_or_b64 s[16:17], s[2:3], s[16:17]
	s_mov_b32 s13, s15
	s_andn2_b64 exec, exec, s[16:17]
	s_cbranch_execz .LBB138_17
.LBB138_15:                             ;   Parent Loop BB138_5 Depth=1
                                        ; =>  This Inner Loop Header: Depth=2
	v_cmp_ne_u32_e32 vcc, s13, v17
	v_cmp_eq_u32_e64 s[2:3], s13, v17
	s_and_saveexec_b64 s[18:19], s[2:3]
	s_cbranch_execz .LBB138_14
; %bb.16:                               ;   in Loop: Header=BB138_15 Depth=2
	scratch_load_dword v18, v16, off
	s_waitcnt vmcnt(0)
	v_add_f32_e32 v5, v5, v18
	global_store_dwordx2 v[10:11], v[12:13], off offset:16
	s_branch .LBB138_14
.LBB138_17:                             ;   in Loop: Header=BB138_5 Depth=1
	s_or_b64 exec, exec, s[16:17]
	global_load_dwordx2 v[8:9], v[8:9], off offset:24
	v_mov_b32_e32 v12, 0
	s_mov_b32 s13, 0
	s_mov_b64 s[16:17], 0
	s_waitcnt vmcnt(0)
	v_ashrrev_i32_e32 v9, 31, v8
	v_add_u32_e32 v13, v15, v8
	s_branch .LBB138_19
.LBB138_18:                             ;   in Loop: Header=BB138_19 Depth=2
	s_or_b64 exec, exec, s[18:19]
	s_add_i32 s15, s13, 1
	s_cmp_gt_u32 s13, 2
	s_cselect_b64 s[2:3], -1, 0
	s_xor_b64 s[18:19], vcc, -1
	s_or_b64 s[2:3], s[18:19], s[2:3]
	s_and_b64 s[2:3], exec, s[2:3]
	v_add_u32_e32 v12, 4, v12
	s_or_b64 s[16:17], s[2:3], s[16:17]
	s_mov_b32 s13, s15
	s_andn2_b64 exec, exec, s[16:17]
	s_cbranch_execz .LBB138_4
.LBB138_19:                             ;   Parent Loop BB138_5 Depth=1
                                        ; =>  This Inner Loop Header: Depth=2
	v_cmp_ne_u32_e32 vcc, s13, v13
	v_cmp_eq_u32_e64 s[2:3], s13, v13
	s_and_saveexec_b64 s[18:19], s[2:3]
	s_cbranch_execz .LBB138_18
; %bb.20:                               ;   in Loop: Header=BB138_19 Depth=2
	scratch_load_dword v16, v12, off
	s_waitcnt vmcnt(0)
	v_add_f32_e32 v5, v5, v16
	global_store_dwordx2 v[10:11], v[8:9], off offset:24
	s_branch .LBB138_18
.LBB138_21:
	s_and_b32 s13, s12, 3
	s_cmp_eq_u32 s13, 0
	s_mov_b32 s15, 0
	s_cbranch_scc1 .LBB138_28
; %bb.22:
	v_lshlrev_b32_e32 v3, 2, v4
	v_sub_u32_e32 v3, 0, v3
	s_mov_b32 s18, s15
	s_branch .LBB138_24
.LBB138_23:                             ;   in Loop: Header=BB138_24 Depth=1
	s_or_b64 exec, exec, s[6:7]
	s_add_i32 s14, s14, 1
	s_add_i32 s18, s18, 1
	s_cmp_lg_u32 s18, s13
	s_cbranch_scc0 .LBB138_28
.LBB138_24:                             ; =>This Loop Header: Depth=1
                                        ;     Child Loop BB138_26 Depth 2
	v_lshl_add_u64 v[8:9], s[14:15], 3, v[6:7]
	global_load_dwordx2 v[8:9], v[8:9], off
	v_add_u32_e32 v10, s14, v2
	v_ashrrev_i32_e32 v11, 31, v10
	v_mov_b32_e32 v4, 0
	s_mov_b32 s19, 0
	s_waitcnt lgkmcnt(0)
	v_lshl_add_u64 v[10:11], v[10:11], 3, s[4:5]
	s_mov_b64 s[6:7], 0
	s_waitcnt vmcnt(0)
	v_ashrrev_i32_e32 v9, 31, v8
	v_add_u32_e32 v12, v3, v8
	s_branch .LBB138_26
.LBB138_25:                             ;   in Loop: Header=BB138_26 Depth=2
	s_or_b64 exec, exec, s[16:17]
	s_add_i32 s20, s19, 1
	s_cmp_gt_u32 s19, 2
	s_cselect_b64 s[2:3], -1, 0
	s_xor_b64 s[16:17], vcc, -1
	s_or_b64 s[2:3], s[16:17], s[2:3]
	s_and_b64 s[2:3], exec, s[2:3]
	v_add_u32_e32 v4, 4, v4
	s_or_b64 s[6:7], s[2:3], s[6:7]
	s_mov_b32 s19, s20
	s_andn2_b64 exec, exec, s[6:7]
	s_cbranch_execz .LBB138_23
.LBB138_26:                             ;   Parent Loop BB138_24 Depth=1
                                        ; =>  This Inner Loop Header: Depth=2
	v_cmp_ne_u32_e32 vcc, s19, v12
	v_cmp_eq_u32_e64 s[2:3], s19, v12
	s_and_saveexec_b64 s[16:17], s[2:3]
	s_cbranch_execz .LBB138_25
; %bb.27:                               ;   in Loop: Header=BB138_26 Depth=2
	scratch_load_dword v13, v4, off
	s_waitcnt vmcnt(0)
	v_add_f32_e32 v5, v5, v13
	global_store_dwordx2 v[10:11], v[8:9], off
	s_branch .LBB138_25
.LBB138_28:
	s_waitcnt lgkmcnt(0)
	s_load_dword s4, s[0:1], 0x3c
	s_waitcnt lgkmcnt(0)
	s_bitcmp1_b32 s4, 0
	s_cselect_b64 s[2:3], -1, 0
	s_bitcmp0_b32 s4, 0
	s_cbranch_scc0 .LBB138_31
; %bb.29:
	s_load_dwordx2 s[4:5], s[0:1], 0x40
	s_andn2_b64 vcc, exec, s[2:3]
	s_waitcnt lgkmcnt(0)
	v_cvt_f32_f64_e32 v8, s[4:5]
	s_cbranch_vccz .LBB138_32
.LBB138_30:
	s_andn2_b64 vcc, exec, s[8:9]
	s_cbranch_vccz .LBB138_33
	s_branch .LBB138_79
.LBB138_31:
	v_mbcnt_lo_u32_b32 v3, -1, 0
	v_mbcnt_hi_u32_b32 v3, -1, v3
	v_and_b32_e32 v4, 0x7c, v3
	v_add_u32_e32 v4, 4, v4
	v_xor_b32_e32 v6, 2, v3
	v_cmp_lt_i32_e32 vcc, v6, v4
	v_xor_b32_e32 v7, 1, v3
	s_nop 0
	v_cndmask_b32_e32 v6, v3, v6, vcc
	v_lshlrev_b32_e32 v6, 2, v6
	ds_bpermute_b32 v6, v6, v5
	v_cmp_lt_i32_e32 vcc, v7, v4
	s_waitcnt lgkmcnt(0)
	v_add_f32_e32 v5, v5, v6
	v_cndmask_b32_e32 v3, v3, v7, vcc
	v_lshlrev_b32_e32 v3, 2, v3
	ds_bpermute_b32 v3, v3, v5
	s_waitcnt lgkmcnt(0)
	v_add_f32_e32 v5, v5, v3
	s_load_dwordx2 s[4:5], s[0:1], 0x40
	s_andn2_b64 vcc, exec, s[2:3]
	s_waitcnt lgkmcnt(0)
	v_cvt_f32_f64_e32 v8, s[4:5]
	s_cbranch_vccnz .LBB138_30
.LBB138_32:
	v_cmp_lt_f32_e32 vcc, 0, v5
	s_nop 1
	v_cndmask_b32_e32 v3, 1.0, v5, vcc
	v_div_scale_f32 v4, s[2:3], v3, v3, v8
	v_rcp_f32_e32 v5, v4
	s_nop 0
	v_fma_f32 v6, -v4, v5, 1.0
	v_fmac_f32_e32 v5, v6, v5
	v_div_scale_f32 v6, vcc, v8, v3, v8
	v_mul_f32_e32 v7, v6, v5
	v_fma_f32 v9, -v4, v7, v6
	v_fmac_f32_e32 v7, v9, v5
	v_fma_f32 v4, -v4, v7, v6
	v_div_fmas_f32 v4, v4, v5, v7
	v_div_fixup_f32 v8, v4, v3, v8
	s_andn2_b64 vcc, exec, s[8:9]
	s_cbranch_vccnz .LBB138_79
.LBB138_33:
	s_load_dwordx2 s[4:5], s[0:1], 0x10
	v_mov_b32_e32 v3, 0
	v_or_b32_e32 v9, 4, v3
	v_or_b32_e32 v10, 8, v3
	;; [unrolled: 1-line block ×6, first 2 shown]
	s_cmp_lt_u32 s12, 4
	s_mov_b32 s6, 0
	s_cbranch_scc1 .LBB138_68
; %bb.34:
	v_ashrrev_i32_e32 v3, 31, v2
	s_waitcnt lgkmcnt(0)
	v_lshl_add_u64 v[4:5], v[2:3], 2, s[4:5]
	v_lshl_add_u64 v[6:7], v[0:1], 3, s[10:11]
	s_and_b32 s6, s12, 0x7ffffffc
	v_lshl_add_u64 v[4:5], v[4:5], 0, 12
	v_lshl_add_u64 v[6:7], v[6:7], 0, 16
	s_mov_b32 s7, 0
	s_branch .LBB138_36
.LBB138_35:                             ;   in Loop: Header=BB138_36 Depth=1
	s_or_b64 exec, exec, s[2:3]
	s_add_i32 s7, s7, 4
	v_lshl_add_u64 v[4:5], v[4:5], 0, 16
	s_cmp_eq_u32 s6, s7
	v_lshl_add_u64 v[6:7], v[6:7], 0, 32
	s_cbranch_scc1 .LBB138_68
.LBB138_36:                             ; =>This Inner Loop Header: Depth=1
	global_load_dword v16, v[6:7], off offset:-16
	v_mov_b32_e32 v3, 0
	s_waitcnt vmcnt(0)
	v_cmp_eq_u32_e32 vcc, v14, v16
	v_cmp_ne_u32_e64 s[0:1], v14, v16
	s_and_saveexec_b64 s[8:9], s[0:1]
	s_cbranch_execz .LBB138_42
; %bb.37:                               ;   in Loop: Header=BB138_36 Depth=1
	v_cmp_eq_u32_e64 s[0:1], v12, v16
	v_cmp_ne_u32_e64 s[2:3], v12, v16
	v_mov_b32_e32 v3, v9
	s_and_saveexec_b64 s[14:15], s[2:3]
	s_cbranch_execz .LBB138_41
; %bb.38:                               ;   in Loop: Header=BB138_36 Depth=1
	v_cmp_eq_u32_e64 s[16:17], v13, v16
	v_cmp_ne_u32_e64 s[2:3], v13, v16
	v_mov_b32_e32 v3, v10
	s_and_saveexec_b64 s[18:19], s[2:3]
	s_xor_b64 s[18:19], exec, s[18:19]
; %bb.39:                               ;   in Loop: Header=BB138_36 Depth=1
	v_cmp_eq_u32_e64 s[2:3], v15, v16
	s_andn2_b64 s[16:17], s[16:17], exec
	s_and_b64 s[2:3], s[2:3], exec
	s_or_b64 s[16:17], s[16:17], s[2:3]
	v_mov_b32_e32 v3, v11
; %bb.40:                               ;   in Loop: Header=BB138_36 Depth=1
	s_or_b64 exec, exec, s[18:19]
	s_andn2_b64 s[0:1], s[0:1], exec
	s_and_b64 s[2:3], s[16:17], exec
	s_or_b64 s[0:1], s[0:1], s[2:3]
.LBB138_41:                             ;   in Loop: Header=BB138_36 Depth=1
	s_or_b64 exec, exec, s[14:15]
	s_andn2_b64 s[2:3], vcc, exec
	s_and_b64 s[0:1], s[0:1], exec
	s_or_b64 vcc, s[2:3], s[0:1]
.LBB138_42:                             ;   in Loop: Header=BB138_36 Depth=1
	s_or_b64 exec, exec, s[8:9]
	s_and_saveexec_b64 s[0:1], vcc
	s_cbranch_execz .LBB138_44
; %bb.43:                               ;   in Loop: Header=BB138_36 Depth=1
	scratch_load_dword v3, v3, off
	v_add_u32_e32 v16, s7, v2
	v_ashrrev_i32_e32 v17, 31, v16
	v_lshl_add_u64 v[16:17], v[16:17], 2, s[4:5]
	s_waitcnt vmcnt(0)
	v_mul_f32_e32 v3, v8, v3
	global_store_dword v[16:17], v3, off
.LBB138_44:                             ;   in Loop: Header=BB138_36 Depth=1
	s_or_b64 exec, exec, s[0:1]
	global_load_dword v16, v[6:7], off offset:-8
	v_mov_b32_e32 v3, 0
	s_waitcnt vmcnt(0)
	v_cmp_eq_u32_e64 s[0:1], v14, v16
	v_cmp_ne_u32_e32 vcc, v14, v16
	s_and_saveexec_b64 s[2:3], vcc
	s_cbranch_execz .LBB138_50
; %bb.45:                               ;   in Loop: Header=BB138_36 Depth=1
	v_cmp_eq_u32_e64 s[8:9], v12, v16
	v_cmp_ne_u32_e32 vcc, v12, v16
	v_mov_b32_e32 v3, v9
	s_and_saveexec_b64 s[14:15], vcc
	s_cbranch_execz .LBB138_49
; %bb.46:                               ;   in Loop: Header=BB138_36 Depth=1
	v_cmp_eq_u32_e64 s[16:17], v13, v16
	v_cmp_ne_u32_e32 vcc, v13, v16
	v_mov_b32_e32 v3, v10
	s_and_saveexec_b64 s[18:19], vcc
; %bb.47:                               ;   in Loop: Header=BB138_36 Depth=1
	v_cmp_eq_u32_e32 vcc, v15, v16
	s_andn2_b64 s[16:17], s[16:17], exec
	s_and_b64 s[20:21], vcc, exec
	s_or_b64 s[16:17], s[16:17], s[20:21]
	v_mov_b32_e32 v3, v11
; %bb.48:                               ;   in Loop: Header=BB138_36 Depth=1
	s_or_b64 exec, exec, s[18:19]
	s_andn2_b64 s[8:9], s[8:9], exec
	s_and_b64 s[16:17], s[16:17], exec
	s_or_b64 s[8:9], s[8:9], s[16:17]
.LBB138_49:                             ;   in Loop: Header=BB138_36 Depth=1
	s_or_b64 exec, exec, s[14:15]
	s_andn2_b64 s[0:1], s[0:1], exec
	s_and_b64 s[8:9], s[8:9], exec
	s_or_b64 s[0:1], s[0:1], s[8:9]
.LBB138_50:                             ;   in Loop: Header=BB138_36 Depth=1
	s_or_b64 exec, exec, s[2:3]
	s_and_saveexec_b64 s[2:3], s[0:1]
	s_cbranch_execz .LBB138_52
; %bb.51:                               ;   in Loop: Header=BB138_36 Depth=1
	scratch_load_dword v3, v3, off
	s_waitcnt vmcnt(0)
	v_mul_f32_e32 v3, v8, v3
	global_store_dword v[4:5], v3, off offset:-8
.LBB138_52:                             ;   in Loop: Header=BB138_36 Depth=1
	s_or_b64 exec, exec, s[2:3]
	global_load_dword v16, v[6:7], off
	v_mov_b32_e32 v3, 0
	s_waitcnt vmcnt(0)
	v_cmp_eq_u32_e64 s[0:1], v14, v16
	v_cmp_ne_u32_e32 vcc, v14, v16
	s_and_saveexec_b64 s[2:3], vcc
	s_cbranch_execz .LBB138_58
; %bb.53:                               ;   in Loop: Header=BB138_36 Depth=1
	v_cmp_eq_u32_e64 s[8:9], v12, v16
	v_cmp_ne_u32_e32 vcc, v12, v16
	v_mov_b32_e32 v3, v9
	s_and_saveexec_b64 s[14:15], vcc
	s_cbranch_execz .LBB138_57
; %bb.54:                               ;   in Loop: Header=BB138_36 Depth=1
	v_cmp_eq_u32_e64 s[16:17], v13, v16
	v_cmp_ne_u32_e32 vcc, v13, v16
	v_mov_b32_e32 v3, v10
	s_and_saveexec_b64 s[18:19], vcc
; %bb.55:                               ;   in Loop: Header=BB138_36 Depth=1
	v_cmp_eq_u32_e32 vcc, v15, v16
	s_andn2_b64 s[16:17], s[16:17], exec
	s_and_b64 s[20:21], vcc, exec
	s_or_b64 s[16:17], s[16:17], s[20:21]
	v_mov_b32_e32 v3, v11
; %bb.56:                               ;   in Loop: Header=BB138_36 Depth=1
	s_or_b64 exec, exec, s[18:19]
	s_andn2_b64 s[8:9], s[8:9], exec
	s_and_b64 s[16:17], s[16:17], exec
	s_or_b64 s[8:9], s[8:9], s[16:17]
.LBB138_57:                             ;   in Loop: Header=BB138_36 Depth=1
	s_or_b64 exec, exec, s[14:15]
	s_andn2_b64 s[0:1], s[0:1], exec
	s_and_b64 s[8:9], s[8:9], exec
	s_or_b64 s[0:1], s[0:1], s[8:9]
.LBB138_58:                             ;   in Loop: Header=BB138_36 Depth=1
	s_or_b64 exec, exec, s[2:3]
	s_and_saveexec_b64 s[2:3], s[0:1]
	s_cbranch_execz .LBB138_60
; %bb.59:                               ;   in Loop: Header=BB138_36 Depth=1
	scratch_load_dword v3, v3, off
	s_waitcnt vmcnt(0)
	v_mul_f32_e32 v3, v8, v3
	global_store_dword v[4:5], v3, off offset:-4
.LBB138_60:                             ;   in Loop: Header=BB138_36 Depth=1
	s_or_b64 exec, exec, s[2:3]
	global_load_dword v16, v[6:7], off offset:8
	v_mov_b32_e32 v3, 0
	s_waitcnt vmcnt(0)
	v_cmp_eq_u32_e64 s[0:1], v14, v16
	v_cmp_ne_u32_e32 vcc, v14, v16
	s_and_saveexec_b64 s[2:3], vcc
	s_cbranch_execz .LBB138_66
; %bb.61:                               ;   in Loop: Header=BB138_36 Depth=1
	v_cmp_eq_u32_e64 s[8:9], v12, v16
	v_cmp_ne_u32_e32 vcc, v12, v16
	v_mov_b32_e32 v3, v9
	s_and_saveexec_b64 s[14:15], vcc
	s_cbranch_execz .LBB138_65
; %bb.62:                               ;   in Loop: Header=BB138_36 Depth=1
	v_cmp_eq_u32_e64 s[16:17], v13, v16
	v_cmp_ne_u32_e32 vcc, v13, v16
	v_mov_b32_e32 v3, v10
	s_and_saveexec_b64 s[18:19], vcc
; %bb.63:                               ;   in Loop: Header=BB138_36 Depth=1
	v_cmp_eq_u32_e32 vcc, v15, v16
	s_andn2_b64 s[16:17], s[16:17], exec
	s_and_b64 s[20:21], vcc, exec
	s_or_b64 s[16:17], s[16:17], s[20:21]
	v_mov_b32_e32 v3, v11
; %bb.64:                               ;   in Loop: Header=BB138_36 Depth=1
	s_or_b64 exec, exec, s[18:19]
	s_andn2_b64 s[8:9], s[8:9], exec
	s_and_b64 s[16:17], s[16:17], exec
	s_or_b64 s[8:9], s[8:9], s[16:17]
.LBB138_65:                             ;   in Loop: Header=BB138_36 Depth=1
	s_or_b64 exec, exec, s[14:15]
	s_andn2_b64 s[0:1], s[0:1], exec
	s_and_b64 s[8:9], s[8:9], exec
	s_or_b64 s[0:1], s[0:1], s[8:9]
.LBB138_66:                             ;   in Loop: Header=BB138_36 Depth=1
	s_or_b64 exec, exec, s[2:3]
	s_and_saveexec_b64 s[2:3], s[0:1]
	s_cbranch_execz .LBB138_35
; %bb.67:                               ;   in Loop: Header=BB138_36 Depth=1
	scratch_load_dword v3, v3, off
	s_waitcnt vmcnt(0)
	v_mul_f32_e32 v3, v8, v3
	global_store_dword v[4:5], v3, off
	s_branch .LBB138_35
.LBB138_68:
	s_and_b32 s14, s12, 3
	s_cmp_eq_u32 s14, 0
	s_mov_b32 s7, 0
	s_cbranch_scc1 .LBB138_79
; %bb.69:
	s_lshl_b64 s[0:1], s[6:7], 3
	s_add_u32 s0, s10, s0
	s_addc_u32 s1, s11, s1
	v_add_u32_e32 v2, s6, v2
	v_lshl_add_u64 v[0:1], v[0:1], 3, s[0:1]
	s_branch .LBB138_71
.LBB138_70:                             ;   in Loop: Header=BB138_71 Depth=1
	s_or_b64 exec, exec, s[2:3]
	s_add_i32 s14, s14, -1
	v_add_u32_e32 v2, 1, v2
	s_cmp_lg_u32 s14, 0
	v_lshl_add_u64 v[0:1], v[0:1], 0, 8
	s_cbranch_scc0 .LBB138_79
.LBB138_71:                             ; =>This Inner Loop Header: Depth=1
	global_load_dword v4, v[0:1], off
	v_mov_b32_e32 v3, 0
	s_waitcnt vmcnt(0)
	v_cmp_eq_u32_e64 s[0:1], v14, v4
	v_cmp_ne_u32_e32 vcc, v14, v4
	s_and_saveexec_b64 s[2:3], vcc
	s_cbranch_execz .LBB138_77
; %bb.72:                               ;   in Loop: Header=BB138_71 Depth=1
	v_cmp_eq_u32_e64 s[6:7], v12, v4
	v_cmp_ne_u32_e32 vcc, v12, v4
	v_mov_b32_e32 v3, v9
	s_and_saveexec_b64 s[8:9], vcc
	s_cbranch_execz .LBB138_76
; %bb.73:                               ;   in Loop: Header=BB138_71 Depth=1
	v_cmp_eq_u32_e64 s[10:11], v13, v4
	v_cmp_ne_u32_e32 vcc, v13, v4
	v_mov_b32_e32 v3, v10
	s_and_saveexec_b64 s[12:13], vcc
; %bb.74:                               ;   in Loop: Header=BB138_71 Depth=1
	v_cmp_eq_u32_e32 vcc, v15, v4
	s_andn2_b64 s[10:11], s[10:11], exec
	s_and_b64 s[16:17], vcc, exec
	s_or_b64 s[10:11], s[10:11], s[16:17]
	v_mov_b32_e32 v3, v11
; %bb.75:                               ;   in Loop: Header=BB138_71 Depth=1
	s_or_b64 exec, exec, s[12:13]
	s_andn2_b64 s[6:7], s[6:7], exec
	s_and_b64 s[10:11], s[10:11], exec
	s_or_b64 s[6:7], s[6:7], s[10:11]
.LBB138_76:                             ;   in Loop: Header=BB138_71 Depth=1
	s_or_b64 exec, exec, s[8:9]
	s_andn2_b64 s[0:1], s[0:1], exec
	s_and_b64 s[6:7], s[6:7], exec
	s_or_b64 s[0:1], s[0:1], s[6:7]
.LBB138_77:                             ;   in Loop: Header=BB138_71 Depth=1
	s_or_b64 exec, exec, s[2:3]
	s_and_saveexec_b64 s[2:3], s[0:1]
	s_cbranch_execz .LBB138_70
; %bb.78:                               ;   in Loop: Header=BB138_71 Depth=1
	scratch_load_dword v4, v3, off
	v_ashrrev_i32_e32 v3, 31, v2
	s_waitcnt vmcnt(0)
	v_mul_f32_e32 v6, v8, v4
	s_waitcnt lgkmcnt(0)
	v_lshl_add_u64 v[4:5], v[2:3], 2, s[4:5]
	global_store_dword v[4:5], v6, off
	s_branch .LBB138_70
.LBB138_79:
	s_endpgm
	.section	.rodata,"a",@progbits
	.p2align	6, 0x0
	.amdhsa_kernel _ZN4vllm3moe22topkGatingSoftplusSqrtILi4ELi16ELi4ELi16ELi32ELb1ElfEEvPKT6_PKbPfiPT5_PiiiibdPKfPKS8_SE_
		.amdhsa_group_segment_fixed_size 0
		.amdhsa_private_segment_fixed_size 32
		.amdhsa_kernarg_size 96
		.amdhsa_user_sgpr_count 2
		.amdhsa_user_sgpr_dispatch_ptr 0
		.amdhsa_user_sgpr_queue_ptr 0
		.amdhsa_user_sgpr_kernarg_segment_ptr 1
		.amdhsa_user_sgpr_dispatch_id 0
		.amdhsa_user_sgpr_kernarg_preload_length 0
		.amdhsa_user_sgpr_kernarg_preload_offset 0
		.amdhsa_user_sgpr_private_segment_size 0
		.amdhsa_uses_dynamic_stack 0
		.amdhsa_enable_private_segment 1
		.amdhsa_system_sgpr_workgroup_id_x 1
		.amdhsa_system_sgpr_workgroup_id_y 0
		.amdhsa_system_sgpr_workgroup_id_z 0
		.amdhsa_system_sgpr_workgroup_info 0
		.amdhsa_system_vgpr_workitem_id 1
		.amdhsa_next_free_vgpr 25
		.amdhsa_next_free_sgpr 22
		.amdhsa_accum_offset 28
		.amdhsa_reserve_vcc 1
		.amdhsa_float_round_mode_32 0
		.amdhsa_float_round_mode_16_64 0
		.amdhsa_float_denorm_mode_32 3
		.amdhsa_float_denorm_mode_16_64 3
		.amdhsa_dx10_clamp 1
		.amdhsa_ieee_mode 1
		.amdhsa_fp16_overflow 0
		.amdhsa_tg_split 0
		.amdhsa_exception_fp_ieee_invalid_op 0
		.amdhsa_exception_fp_denorm_src 0
		.amdhsa_exception_fp_ieee_div_zero 0
		.amdhsa_exception_fp_ieee_overflow 0
		.amdhsa_exception_fp_ieee_underflow 0
		.amdhsa_exception_fp_ieee_inexact 0
		.amdhsa_exception_int_div_zero 0
	.end_amdhsa_kernel
	.section	.text._ZN4vllm3moe22topkGatingSoftplusSqrtILi4ELi16ELi4ELi16ELi32ELb1ElfEEvPKT6_PKbPfiPT5_PiiiibdPKfPKS8_SE_,"axG",@progbits,_ZN4vllm3moe22topkGatingSoftplusSqrtILi4ELi16ELi4ELi16ELi32ELb1ElfEEvPKT6_PKbPfiPT5_PiiiibdPKfPKS8_SE_,comdat
.Lfunc_end138:
	.size	_ZN4vllm3moe22topkGatingSoftplusSqrtILi4ELi16ELi4ELi16ELi32ELb1ElfEEvPKT6_PKbPfiPT5_PiiiibdPKfPKS8_SE_, .Lfunc_end138-_ZN4vllm3moe22topkGatingSoftplusSqrtILi4ELi16ELi4ELi16ELi32ELb1ElfEEvPKT6_PKbPfiPT5_PiiiibdPKfPKS8_SE_
                                        ; -- End function
	.section	.AMDGPU.csdata,"",@progbits
; Kernel info:
; codeLenInByte = 3448
; NumSgprs: 28
; NumVgprs: 25
; NumAgprs: 0
; TotalNumVgprs: 25
; ScratchSize: 32
; MemoryBound: 0
; FloatMode: 240
; IeeeMode: 1
; LDSByteSize: 0 bytes/workgroup (compile time only)
; SGPRBlocks: 3
; VGPRBlocks: 3
; NumSGPRsForWavesPerEU: 28
; NumVGPRsForWavesPerEU: 25
; AccumOffset: 28
; Occupancy: 8
; WaveLimiterHint : 1
; COMPUTE_PGM_RSRC2:SCRATCH_EN: 1
; COMPUTE_PGM_RSRC2:USER_SGPR: 2
; COMPUTE_PGM_RSRC2:TRAP_HANDLER: 0
; COMPUTE_PGM_RSRC2:TGID_X_EN: 1
; COMPUTE_PGM_RSRC2:TGID_Y_EN: 0
; COMPUTE_PGM_RSRC2:TGID_Z_EN: 0
; COMPUTE_PGM_RSRC2:TIDIG_COMP_CNT: 1
; COMPUTE_PGM_RSRC3_GFX90A:ACCUM_OFFSET: 6
; COMPUTE_PGM_RSRC3_GFX90A:TG_SPLIT: 0
	.section	.text._ZN4vllm3moe22topkGatingSoftplusSqrtILi4ELi16ELi4ELi16ELi32ELb0ElfEEvPKT6_PKbPfiPT5_PiiiibdPKfPKS8_SE_,"axG",@progbits,_ZN4vllm3moe22topkGatingSoftplusSqrtILi4ELi16ELi4ELi16ELi32ELb0ElfEEvPKT6_PKbPfiPT5_PiiiibdPKfPKS8_SE_,comdat
	.protected	_ZN4vllm3moe22topkGatingSoftplusSqrtILi4ELi16ELi4ELi16ELi32ELb0ElfEEvPKT6_PKbPfiPT5_PiiiibdPKfPKS8_SE_ ; -- Begin function _ZN4vllm3moe22topkGatingSoftplusSqrtILi4ELi16ELi4ELi16ELi32ELb0ElfEEvPKT6_PKbPfiPT5_PiiiibdPKfPKS8_SE_
	.globl	_ZN4vllm3moe22topkGatingSoftplusSqrtILi4ELi16ELi4ELi16ELi32ELb0ElfEEvPKT6_PKbPfiPT5_PiiiibdPKfPKS8_SE_
	.p2align	8
	.type	_ZN4vllm3moe22topkGatingSoftplusSqrtILi4ELi16ELi4ELi16ELi32ELb0ElfEEvPKT6_PKbPfiPT5_PiiiibdPKfPKS8_SE_,@function
_ZN4vllm3moe22topkGatingSoftplusSqrtILi4ELi16ELi4ELi16ELi32ELb0ElfEEvPKT6_PKbPfiPT5_PiiiibdPKfPKS8_SE_: ; @_ZN4vllm3moe22topkGatingSoftplusSqrtILi4ELi16ELi4ELi16ELi32ELb0ElfEEvPKT6_PKbPfiPT5_PiiiibdPKfPKS8_SE_
; %bb.0:
	s_load_dword s30, s[2:3], 0x18
	v_and_b32_e32 v1, 0x3ff, v0
	v_bfe_u32 v4, v0, 10, 10
	s_lshl_b32 s4, s4, 5
	v_lshlrev_b32_e32 v2, 3, v4
	v_lshrrev_b32_e32 v3, 2, v1
	v_add3_u32 v2, s4, v2, v3
	s_waitcnt lgkmcnt(0)
	v_cmp_gt_i32_e32 vcc, s30, v2
	s_and_saveexec_b64 s[4:5], vcc
	s_cbranch_execz .LBB139_43
; %bb.1:
	s_load_dwordx4 s[4:7], s[2:3], 0x0
	s_load_dwordx2 s[20:21], s[2:3], 0x10
	s_waitcnt lgkmcnt(0)
	s_cmp_eq_u64 s[6:7], 0
	s_cbranch_scc1 .LBB139_3
; %bb.2:
	v_ashrrev_i32_e32 v3, 31, v2
	v_lshl_add_u64 v[6:7], s[6:7], 0, v[2:3]
	global_load_ubyte v3, v[6:7], off
	s_waitcnt vmcnt(0)
	v_and_b32_e32 v3, 1, v3
	v_cmp_eq_u32_e32 vcc, 1, v3
	s_xor_b64 s[6:7], vcc, -1
	s_orn2_b64 s[22:23], s[6:7], exec
	s_branch .LBB139_4
.LBB139_3:
	s_mov_b64 s[22:23], -1
.LBB139_4:
	v_lshlrev_b32_e32 v8, 4, v2
	v_mov_b32_e32 v6, s4
	v_mov_b32_e32 v7, s5
	v_ashrrev_i32_e32 v9, 31, v8
	v_and_b32_e32 v3, 3, v1
	v_lshl_add_u64 v[6:7], v[8:9], 2, v[6:7]
	v_mov_b32_e32 v9, 0
	v_lshlrev_b32_e32 v8, 4, v3
	v_lshl_add_u64 v[6:7], v[6:7], 0, v[8:9]
	global_load_dwordx4 v[6:9], v[6:7], off
	s_load_dwordx2 s[4:5], s[0:1], 0x4
	s_load_dwordx4 s[8:11], s[2:3], 0x40
	v_bfe_u32 v0, v0, 20, 10
	s_mov_b32 s16, 0x800000
	s_mov_b32 s13, 0x3f317217
	s_waitcnt lgkmcnt(0)
	s_lshr_b32 s0, s4, 16
	v_mul_u32_u24_e32 v4, s5, v4
	s_mul_i32 s0, s0, s5
	v_mad_u32_u24 v1, s0, v1, v4
	v_add_lshl_u32 v4, v1, v0, 4
	s_mov_b32 s14, 0x7f800000
	s_mov_b32 s12, 0x41a00000
	;; [unrolled: 1-line block ×3, first 2 shown]
	s_cmp_lg_u64 s[10:11], 0
	v_mov_b32_e32 v1, 0x260
	s_cselect_b64 s[6:7], -1, 0
	s_and_b64 s[0:1], exec, s[6:7]
	s_waitcnt vmcnt(0)
	ds_write_b128 v4, v[6:9]
	ds_read_b32 v8, v4
	v_mov_b32_e32 v6, 0x4f800000
	v_mov_b32_e32 v7, 0x41b17218
	s_waitcnt lgkmcnt(0)
	v_mul_f32_e32 v0, 0x3fb8aa3b, v8
	v_exp_f32_e32 v0, v0
	s_nop 0
	v_add_f32_e32 v0, 1.0, v0
	v_cmp_gt_f32_e32 vcc, s16, v0
	s_nop 1
	v_cndmask_b32_e32 v5, 1.0, v6, vcc
	v_mul_f32_e32 v0, v0, v5
	v_log_f32_e32 v9, v0
	v_cndmask_b32_e32 v10, 0, v7, vcc
	v_lshlrev_b32_e32 v5, 2, v3
	v_lshlrev_b32_e32 v0, 2, v5
	v_mul_f32_e32 v11, 0x3f317217, v9
	v_fma_f32 v11, v9, s13, -v11
	v_fmac_f32_e32 v11, 0x3377d1cf, v9
	v_fmac_f32_e32 v11, 0x3f317217, v9
	v_cmp_lt_f32_e64 vcc, |v9|, s14
	s_nop 1
	v_cndmask_b32_e32 v9, v9, v11, vcc
	v_sub_f32_e32 v9, v9, v10
	v_cmp_lt_f32_e32 vcc, s12, v8
	s_nop 1
	v_cndmask_b32_e32 v8, v9, v8, vcc
	v_mul_f32_e32 v9, 0x4f800000, v8
	v_cmp_gt_f32_e32 vcc, s15, v8
	s_nop 1
	v_cndmask_b32_e32 v8, v8, v9, vcc
	v_sqrt_f32_e32 v9, v8
	s_nop 0
	v_add_u32_e32 v10, -1, v9
	v_add_u32_e32 v11, 1, v9
	v_fma_f32 v12, -v10, v9, v8
	v_fma_f32 v13, -v11, v9, v8
	v_cmp_ge_f32_e64 s[4:5], 0, v12
	s_nop 1
	v_cndmask_b32_e64 v9, v9, v10, s[4:5]
	v_cmp_lt_f32_e64 s[4:5], 0, v13
	s_nop 1
	v_cndmask_b32_e64 v9, v9, v11, s[4:5]
	v_mul_f32_e32 v10, 0x37800000, v9
	v_cndmask_b32_e32 v9, v9, v10, vcc
	v_cmp_class_f32_e32 vcc, v8, v1
	s_nop 1
	v_cndmask_b32_e32 v8, v9, v8, vcc
	s_mov_b64 vcc, s[0:1]
	s_cbranch_vccz .LBB139_6
; %bb.5:
	global_load_dword v9, v0, s[10:11]
	s_waitcnt vmcnt(0)
	v_add_f32_e32 v8, v8, v9
.LBB139_6:
	ds_read_b32 v9, v4 offset:4
	ds_write_b32 v4, v8
	s_waitcnt lgkmcnt(1)
	v_mul_f32_e32 v10, 0x3fb8aa3b, v9
	v_exp_f32_e32 v10, v10
	s_nop 0
	v_add_f32_e32 v10, 1.0, v10
	v_cmp_gt_f32_e32 vcc, s16, v10
	s_nop 1
	v_cndmask_b32_e32 v6, 1.0, v6, vcc
	v_mul_f32_e32 v6, v10, v6
	v_log_f32_e32 v6, v6
	v_cndmask_b32_e32 v7, 0, v7, vcc
	v_mul_f32_e32 v8, 0x3f317217, v6
	v_fma_f32 v8, v6, s13, -v8
	v_fmac_f32_e32 v8, 0x3377d1cf, v6
	v_fmac_f32_e32 v8, 0x3f317217, v6
	v_cmp_lt_f32_e64 vcc, |v6|, s14
	s_nop 1
	v_cndmask_b32_e32 v6, v6, v8, vcc
	v_sub_f32_e32 v6, v6, v7
	v_cmp_lt_f32_e32 vcc, s12, v9
	v_cndmask_b32_e64 v8, 0, 1, s[6:7]
	v_cmp_ne_u32_e64 s[0:1], 1, v8
	v_cndmask_b32_e32 v6, v6, v9, vcc
	v_mul_f32_e32 v7, 0x4f800000, v6
	v_cmp_gt_f32_e64 s[4:5], s15, v6
	s_andn2_b64 vcc, exec, s[6:7]
	s_nop 0
	v_cndmask_b32_e64 v6, v6, v7, s[4:5]
	v_sqrt_f32_e32 v7, v6
	s_nop 0
	v_add_u32_e32 v8, -1, v7
	v_add_u32_e32 v9, 1, v7
	v_fma_f32 v10, -v8, v7, v6
	v_fma_f32 v11, -v9, v7, v6
	v_cmp_ge_f32_e64 s[6:7], 0, v10
	s_nop 1
	v_cndmask_b32_e64 v7, v7, v8, s[6:7]
	v_cmp_lt_f32_e64 s[6:7], 0, v11
	s_nop 1
	v_cndmask_b32_e64 v7, v7, v9, s[6:7]
	v_mul_f32_e32 v8, 0x37800000, v7
	v_cndmask_b32_e64 v7, v7, v8, s[4:5]
	v_cmp_class_f32_e64 s[4:5], v6, v1
	s_nop 1
	v_cndmask_b32_e64 v1, v7, v6, s[4:5]
	s_cbranch_vccnz .LBB139_8
; %bb.7:
	global_load_dword v6, v0, s[10:11] offset:4
	s_waitcnt vmcnt(0)
	v_add_f32_e32 v1, v1, v6
.LBB139_8:
	ds_read_b32 v8, v4 offset:8
	s_mov_b32 s12, 0x800000
	s_mov_b32 s7, 0x3f317217
	;; [unrolled: 1-line block ×4, first 2 shown]
	s_waitcnt lgkmcnt(0)
	v_mul_f32_e32 v6, 0x3fb8aa3b, v8
	v_exp_f32_e32 v7, v6
	v_mov_b32_e32 v6, 0x4f800000
	s_mov_b32 s14, 0xf800000
	ds_write_b32 v4, v1 offset:4
	v_add_f32_e32 v7, 1.0, v7
	v_cmp_gt_f32_e32 vcc, s12, v7
	s_nop 1
	v_cndmask_b32_e32 v9, 1.0, v6, vcc
	v_mul_f32_e32 v7, v7, v9
	v_log_f32_e32 v9, v7
	v_mov_b32_e32 v7, 0x41b17218
	v_cndmask_b32_e32 v10, 0, v7, vcc
	v_mul_f32_e32 v11, 0x3f317217, v9
	v_fma_f32 v11, v9, s7, -v11
	v_fmac_f32_e32 v11, 0x3377d1cf, v9
	v_fmac_f32_e32 v11, 0x3f317217, v9
	v_cmp_lt_f32_e64 vcc, |v9|, s13
	s_nop 1
	v_cndmask_b32_e32 v9, v9, v11, vcc
	v_sub_f32_e32 v9, v9, v10
	v_cmp_lt_f32_e32 vcc, s6, v8
	s_nop 1
	v_cndmask_b32_e32 v8, v9, v8, vcc
	v_mul_f32_e32 v9, 0x4f800000, v8
	v_cmp_gt_f32_e32 vcc, s14, v8
	s_nop 1
	v_cndmask_b32_e32 v8, v8, v9, vcc
	v_sqrt_f32_e32 v9, v8
	s_nop 0
	v_add_u32_e32 v1, -1, v9
	v_fma_f32 v10, -v1, v9, v8
	v_cmp_ge_f32_e64 s[4:5], 0, v10
	v_add_u32_e32 v10, 1, v9
	s_nop 0
	v_cndmask_b32_e64 v1, v9, v1, s[4:5]
	v_fma_f32 v9, -v10, v9, v8
	v_cmp_lt_f32_e64 s[4:5], 0, v9
	s_nop 1
	v_cndmask_b32_e64 v1, v1, v10, s[4:5]
	v_mul_f32_e32 v9, 0x37800000, v1
	v_cndmask_b32_e32 v9, v1, v9, vcc
	v_mov_b32_e32 v1, 0x260
	v_cmp_class_f32_e64 s[4:5], v8, v1
	s_and_b64 vcc, exec, s[0:1]
	s_nop 0
	v_cndmask_b32_e64 v8, v9, v8, s[4:5]
	s_cbranch_vccnz .LBB139_10
; %bb.9:
	global_load_dword v9, v0, s[10:11] offset:8
	s_waitcnt vmcnt(0)
	v_add_f32_e32 v8, v8, v9
.LBB139_10:
	ds_read_b32 v9, v4 offset:12
	ds_write_b32 v4, v8 offset:8
	s_waitcnt lgkmcnt(1)
	v_mul_f32_e32 v10, 0x3fb8aa3b, v9
	v_exp_f32_e32 v10, v10
	s_nop 0
	v_add_f32_e32 v10, 1.0, v10
	v_cmp_gt_f32_e32 vcc, s12, v10
	s_nop 1
	v_cndmask_b32_e32 v6, 1.0, v6, vcc
	v_mul_f32_e32 v6, v10, v6
	v_log_f32_e32 v6, v6
	v_cndmask_b32_e32 v7, 0, v7, vcc
	v_mul_f32_e32 v10, 0x3f317217, v6
	v_fma_f32 v10, v6, s7, -v10
	v_fmac_f32_e32 v10, 0x3377d1cf, v6
	v_fmac_f32_e32 v10, 0x3f317217, v6
	v_cmp_lt_f32_e64 vcc, |v6|, s13
	s_nop 1
	v_cndmask_b32_e32 v6, v6, v10, vcc
	v_sub_f32_e32 v6, v6, v7
	v_cmp_lt_f32_e32 vcc, s6, v9
	s_nop 1
	v_cndmask_b32_e32 v6, v6, v9, vcc
	v_mul_f32_e32 v7, 0x4f800000, v6
	v_cmp_gt_f32_e64 s[4:5], s14, v6
	s_and_b64 vcc, exec, s[0:1]
	s_nop 0
	v_cndmask_b32_e64 v6, v6, v7, s[4:5]
	v_sqrt_f32_e32 v7, v6
	s_nop 0
	v_add_u32_e32 v8, -1, v7
	v_add_u32_e32 v9, 1, v7
	v_fma_f32 v10, -v8, v7, v6
	v_fma_f32 v11, -v9, v7, v6
	v_cmp_ge_f32_e64 s[6:7], 0, v10
	s_nop 1
	v_cndmask_b32_e64 v7, v7, v8, s[6:7]
	v_cmp_lt_f32_e64 s[6:7], 0, v11
	s_nop 1
	v_cndmask_b32_e64 v7, v7, v9, s[6:7]
	v_mul_f32_e32 v8, 0x37800000, v7
	v_cndmask_b32_e64 v7, v7, v8, s[4:5]
	v_cmp_class_f32_e64 s[4:5], v6, v1
	s_nop 1
	v_cndmask_b32_e64 v1, v7, v6, s[4:5]
	s_cbranch_vccnz .LBB139_12
; %bb.11:
	global_load_dword v0, v0, s[10:11] offset:12
	s_waitcnt vmcnt(0)
	v_add_f32_e32 v1, v1, v0
.LBB139_12:
	s_load_dwordx4 s[12:15], s[2:3], 0x30
	s_mov_b32 s31, 0
	v_cmp_eq_u32_e64 s[6:7], 0, v3
	ds_write_b32 v4, v1 offset:12
	s_waitcnt lgkmcnt(0)
	s_bitcmp1_b32 s15, 0
	s_cselect_b64 s[4:5], -1, 0
	s_cmp_gt_i32 s12, 0
	s_cselect_b64 s[24:25], -1, 0
	s_and_b64 vcc, exec, s[24:25]
	s_cbranch_vccz .LBB139_29
; %bb.13:
	v_mbcnt_lo_u32_b32 v0, -1, 0
	v_mbcnt_hi_u32_b32 v0, -1, v0
	v_and_b32_e32 v1, 0x7c, v0
	v_add_u32_e32 v1, 4, v1
	v_xor_b32_e32 v6, 2, v0
	v_cmp_lt_i32_e32 vcc, v6, v1
	s_load_dwordx4 s[16:19], s[2:3], 0x20
	v_mul_lo_u32 v7, v2, s12
	v_cndmask_b32_e32 v6, v0, v6, vcc
	v_lshlrev_b32_e32 v8, 2, v6
	v_xor_b32_e32 v6, 1, v0
	v_cmp_lt_i32_e32 vcc, v6, v1
	v_mov_b32_e32 v10, 0xc61c4000
	v_mov_b32_e32 v11, v2
	v_cndmask_b32_e32 v0, v0, v6, vcc
	v_lshlrev_b32_e32 v9, 2, v0
	v_mov_b32_e32 v6, 0
	s_branch .LBB139_15
.LBB139_14:                             ;   in Loop: Header=BB139_15 Depth=1
	s_or_b64 exec, exec, s[2:3]
	s_cmp_eq_u32 s12, s31
	v_add_u32_e32 v11, s30, v11
	s_cbranch_scc1 .LBB139_30
.LBB139_15:                             ; =>This Inner Loop Header: Depth=1
	ds_read_b128 v[12:15], v4
	s_waitcnt lgkmcnt(0)
	v_cmp_gt_f32_e32 vcc, v13, v12
	s_nop 1
	v_cndmask_b32_e32 v1, v12, v13, vcc
	v_cndmask_b32_e64 v0, 0, 1, vcc
	v_cmp_gt_f32_e32 vcc, v14, v1
	s_nop 1
	v_cndmask_b32_e32 v1, v1, v14, vcc
	v_cndmask_b32_e64 v0, v0, 2, vcc
	v_cmp_gt_f32_e32 vcc, v15, v1
	s_nop 1
	v_cndmask_b32_e64 v0, v0, 3, vcc
	v_cndmask_b32_e32 v12, v1, v15, vcc
	ds_bpermute_b32 v1, v8, v12
	v_or_b32_e32 v0, v5, v0
	ds_bpermute_b32 v13, v8, v0
	s_waitcnt lgkmcnt(1)
	v_cmp_lt_f32_e64 s[26:27], v12, v1
	v_cmp_nlt_f32_e32 vcc, v12, v1
	s_and_saveexec_b64 s[28:29], vcc
	s_cbranch_execz .LBB139_17
; %bb.16:                               ;   in Loop: Header=BB139_15 Depth=1
	v_cmp_eq_f32_e32 vcc, v12, v1
	s_waitcnt lgkmcnt(0)
	v_cmp_lt_i32_e64 s[2:3], v13, v0
	s_and_b64 s[2:3], vcc, s[2:3]
	s_andn2_b64 s[26:27], s[26:27], exec
	s_and_b64 s[2:3], s[2:3], exec
	s_or_b64 s[26:27], s[26:27], s[2:3]
.LBB139_17:                             ;   in Loop: Header=BB139_15 Depth=1
	s_or_b64 exec, exec, s[28:29]
	s_and_saveexec_b64 s[2:3], s[26:27]
	s_cbranch_execz .LBB139_19
; %bb.18:                               ;   in Loop: Header=BB139_15 Depth=1
	v_mov_b32_e32 v12, v1
	s_waitcnt lgkmcnt(0)
	v_mov_b32_e32 v0, v13
.LBB139_19:                             ;   in Loop: Header=BB139_15 Depth=1
	s_or_b64 exec, exec, s[2:3]
	ds_bpermute_b32 v1, v9, v12
	s_waitcnt lgkmcnt(1)
	ds_bpermute_b32 v13, v9, v0
	s_waitcnt lgkmcnt(1)
	v_cmp_lt_f32_e64 s[26:27], v12, v1
	v_cmp_nlt_f32_e32 vcc, v12, v1
	s_and_saveexec_b64 s[28:29], vcc
	s_cbranch_execnz .LBB139_22
; %bb.20:                               ;   in Loop: Header=BB139_15 Depth=1
	s_or_b64 exec, exec, s[28:29]
	s_and_saveexec_b64 s[2:3], s[26:27]
	s_cbranch_execnz .LBB139_23
.LBB139_21:                             ;   in Loop: Header=BB139_15 Depth=1
	s_or_b64 exec, exec, s[2:3]
	s_and_saveexec_b64 s[26:27], s[6:7]
	s_cbranch_execnz .LBB139_24
	s_branch .LBB139_27
.LBB139_22:                             ;   in Loop: Header=BB139_15 Depth=1
	v_cmp_eq_f32_e32 vcc, v12, v1
	s_waitcnt lgkmcnt(0)
	v_cmp_lt_i32_e64 s[2:3], v13, v0
	s_and_b64 s[2:3], vcc, s[2:3]
	s_andn2_b64 s[26:27], s[26:27], exec
	s_and_b64 s[2:3], s[2:3], exec
	s_or_b64 s[26:27], s[26:27], s[2:3]
	s_or_b64 exec, exec, s[28:29]
	s_and_saveexec_b64 s[2:3], s[26:27]
	s_cbranch_execz .LBB139_21
.LBB139_23:                             ;   in Loop: Header=BB139_15 Depth=1
	s_waitcnt lgkmcnt(0)
	v_mov_b32_e32 v0, v13
	v_mov_b32_e32 v12, v1
	s_or_b64 exec, exec, s[2:3]
	s_and_saveexec_b64 s[26:27], s[6:7]
	s_cbranch_execz .LBB139_27
.LBB139_24:                             ;   in Loop: Header=BB139_15 Depth=1
	s_and_b64 vcc, exec, s[0:1]
	s_cbranch_vccnz .LBB139_26
; %bb.25:                               ;   in Loop: Header=BB139_15 Depth=1
	v_ashrrev_i32_e32 v1, 31, v0
	v_lshl_add_u64 v[14:15], v[0:1], 2, s[10:11]
	global_load_dword v1, v[14:15], off
	s_waitcnt vmcnt(0)
	v_sub_f32_e32 v12, v12, v1
.LBB139_26:                             ;   in Loop: Header=BB139_15 Depth=1
	v_add_u32_e32 v14, s31, v7
	v_cmp_le_i32_e32 vcc, s13, v0
	v_cmp_gt_i32_e64 s[2:3], s14, v0
	v_ashrrev_i32_e32 v15, 31, v14
	s_and_b64 s[2:3], vcc, s[2:3]
	v_lshlrev_b64 v[16:17], 2, v[14:15]
	v_subrev_u32_e32 v1, s13, v0
	v_lshl_add_u64 v[18:19], s[20:21], 0, v[16:17]
	s_waitcnt lgkmcnt(0)
	v_ashrrev_i32_e32 v13, 31, v1
	s_and_b64 vcc, s[22:23], s[2:3]
	global_store_dword v[18:19], v12, off
	v_cndmask_b32_e32 v19, 0, v13, vcc
	v_cndmask_b32_e32 v18, 16, v1, vcc
	v_lshl_add_u64 v[14:15], v[14:15], 3, s[16:17]
	v_add_f32_e32 v1, v6, v12
	global_store_dwordx2 v[14:15], v[18:19], off
	v_lshl_add_u64 v[14:15], s[18:19], 0, v[16:17]
	v_cndmask_b32_e64 v6, v6, v1, s[4:5]
	global_store_dword v[14:15], v11, off
.LBB139_27:                             ;   in Loop: Header=BB139_15 Depth=1
	s_or_b64 exec, exec, s[26:27]
	v_ashrrev_i32_e32 v1, 31, v0
	v_lshrrev_b32_e32 v12, 30, v1
	v_add_u32_e32 v12, v0, v12
	v_ashrrev_i32_e32 v12, 2, v12
	s_waitcnt lgkmcnt(0)
	v_lshrrev_b32_e32 v13, 30, v12
	v_add_u32_e32 v13, v12, v13
	s_add_i32 s31, s31, 1
	v_and_b32_e32 v13, -4, v13
	s_cmp_lt_i32 s31, s12
	v_sub_u32_e32 v13, v12, v13
	s_cselect_b64 s[2:3], -1, 0
	v_cmp_eq_u32_e32 vcc, v3, v13
	s_and_b64 s[26:27], s[2:3], vcc
	s_and_saveexec_b64 s[2:3], s[26:27]
	s_cbranch_execz .LBB139_14
; %bb.28:                               ;   in Loop: Header=BB139_15 Depth=1
	v_lshrrev_b32_e32 v1, 28, v1
	v_add_u32_e32 v1, v0, v1
	v_lshlrev_b32_e32 v12, 2, v12
	v_lshrrev_b32_e32 v1, 2, v1
	v_sub_u32_e32 v0, v0, v12
	v_and_b32_e32 v1, 0x3ffffffc, v1
	v_add_u32_e32 v0, v1, v0
	v_lshl_add_u32 v0, v0, 2, v4
	ds_write_b32 v0, v10
	s_branch .LBB139_14
.LBB139_29:
	v_mov_b32_e32 v6, 0
.LBB139_30:
	v_cmp_eq_u32_e32 vcc, 0, v3
	s_and_b64 exec, exec, vcc
	s_cbranch_execz .LBB139_43
; %bb.31:
	s_andn2_b64 vcc, exec, s[4:5]
	v_cvt_f32_f64_e32 v0, s[8:9]
	s_cbranch_vccnz .LBB139_33
; %bb.32:
	v_cmp_lt_f32_e32 vcc, 0, v6
	s_nop 1
	v_cndmask_b32_e32 v1, 1.0, v6, vcc
	v_div_scale_f32 v3, s[0:1], v1, v1, v0
	v_rcp_f32_e32 v4, v3
	s_nop 0
	v_fma_f32 v5, -v3, v4, 1.0
	v_fmac_f32_e32 v4, v5, v4
	v_div_scale_f32 v5, vcc, v0, v1, v0
	v_mul_f32_e32 v6, v5, v4
	v_fma_f32 v7, -v3, v6, v5
	v_fmac_f32_e32 v6, v7, v4
	v_fma_f32 v3, -v3, v6, v5
	v_div_fmas_f32 v3, v3, v4, v6
	v_div_fixup_f32 v0, v3, v1, v0
.LBB139_33:
	s_andn2_b64 vcc, exec, s[24:25]
	s_cbranch_vccnz .LBB139_43
; %bb.34:
	v_mul_lo_u32 v2, v2, s12
	s_cmp_gt_u32 s12, 3
	v_ashrrev_i32_e32 v3, 31, v2
	s_cbranch_scc0 .LBB139_38
; %bb.35:
	s_and_b32 s0, s12, 0x7ffffffc
	v_lshl_add_u64 v[4:5], v[2:3], 2, s[20:21]
	v_mov_b32_e32 v1, v0
	v_lshl_add_u64 v[4:5], v[4:5], 0, 8
	s_mov_b32 s1, s0
.LBB139_36:                             ; =>This Inner Loop Header: Depth=1
	global_load_dwordx4 v[6:9], v[4:5], off offset:-8
	s_add_i32 s1, s1, -4
	s_cmp_lg_u32 s1, 0
	s_waitcnt vmcnt(0)
	v_pk_mul_f32 v[6:7], v[0:1], v[6:7]
	v_pk_mul_f32 v[8:9], v[0:1], v[8:9]
	global_store_dwordx4 v[4:5], v[6:9], off offset:-8
	v_lshl_add_u64 v[4:5], v[4:5], 0, 16
	s_cbranch_scc1 .LBB139_36
; %bb.37:
	s_cmp_lg_u32 s0, s12
	s_cselect_b64 s[2:3], -1, 0
	s_branch .LBB139_40
.LBB139_38:
	s_mov_b64 s[2:3], 0
                                        ; implicit-def: $sgpr0
	s_cbranch_execz .LBB139_40
; %bb.39:
	s_mov_b64 s[2:3], -1
	s_mov_b32 s0, 0
.LBB139_40:
	s_andn2_b64 vcc, exec, s[2:3]
	s_cbranch_vccnz .LBB139_43
; %bb.41:
	s_mov_b32 s1, 0
	v_lshl_add_u64 v[2:3], v[2:3], 0, s[0:1]
	s_sub_i32 s2, s12, s0
	v_lshl_add_u64 v[2:3], v[2:3], 2, s[20:21]
.LBB139_42:                             ; =>This Inner Loop Header: Depth=1
	global_load_dword v1, v[2:3], off
	s_add_i32 s2, s2, -1
	s_cmp_lg_u32 s2, 0
	s_waitcnt vmcnt(0)
	v_mul_f32_e32 v1, v0, v1
	global_store_dword v[2:3], v1, off
	v_lshl_add_u64 v[2:3], v[2:3], 0, 4
	s_cbranch_scc1 .LBB139_42
.LBB139_43:
	s_endpgm
	.section	.rodata,"a",@progbits
	.p2align	6, 0x0
	.amdhsa_kernel _ZN4vllm3moe22topkGatingSoftplusSqrtILi4ELi16ELi4ELi16ELi32ELb0ElfEEvPKT6_PKbPfiPT5_PiiiibdPKfPKS8_SE_
		.amdhsa_group_segment_fixed_size 2048
		.amdhsa_private_segment_fixed_size 0
		.amdhsa_kernarg_size 96
		.amdhsa_user_sgpr_count 4
		.amdhsa_user_sgpr_dispatch_ptr 1
		.amdhsa_user_sgpr_queue_ptr 0
		.amdhsa_user_sgpr_kernarg_segment_ptr 1
		.amdhsa_user_sgpr_dispatch_id 0
		.amdhsa_user_sgpr_kernarg_preload_length 0
		.amdhsa_user_sgpr_kernarg_preload_offset 0
		.amdhsa_user_sgpr_private_segment_size 0
		.amdhsa_uses_dynamic_stack 0
		.amdhsa_enable_private_segment 0
		.amdhsa_system_sgpr_workgroup_id_x 1
		.amdhsa_system_sgpr_workgroup_id_y 0
		.amdhsa_system_sgpr_workgroup_id_z 0
		.amdhsa_system_sgpr_workgroup_info 0
		.amdhsa_system_vgpr_workitem_id 2
		.amdhsa_next_free_vgpr 20
		.amdhsa_next_free_sgpr 32
		.amdhsa_accum_offset 20
		.amdhsa_reserve_vcc 1
		.amdhsa_float_round_mode_32 0
		.amdhsa_float_round_mode_16_64 0
		.amdhsa_float_denorm_mode_32 3
		.amdhsa_float_denorm_mode_16_64 3
		.amdhsa_dx10_clamp 1
		.amdhsa_ieee_mode 1
		.amdhsa_fp16_overflow 0
		.amdhsa_tg_split 0
		.amdhsa_exception_fp_ieee_invalid_op 0
		.amdhsa_exception_fp_denorm_src 0
		.amdhsa_exception_fp_ieee_div_zero 0
		.amdhsa_exception_fp_ieee_overflow 0
		.amdhsa_exception_fp_ieee_underflow 0
		.amdhsa_exception_fp_ieee_inexact 0
		.amdhsa_exception_int_div_zero 0
	.end_amdhsa_kernel
	.section	.text._ZN4vllm3moe22topkGatingSoftplusSqrtILi4ELi16ELi4ELi16ELi32ELb0ElfEEvPKT6_PKbPfiPT5_PiiiibdPKfPKS8_SE_,"axG",@progbits,_ZN4vllm3moe22topkGatingSoftplusSqrtILi4ELi16ELi4ELi16ELi32ELb0ElfEEvPKT6_PKbPfiPT5_PiiiibdPKfPKS8_SE_,comdat
.Lfunc_end139:
	.size	_ZN4vllm3moe22topkGatingSoftplusSqrtILi4ELi16ELi4ELi16ELi32ELb0ElfEEvPKT6_PKbPfiPT5_PiiiibdPKfPKS8_SE_, .Lfunc_end139-_ZN4vllm3moe22topkGatingSoftplusSqrtILi4ELi16ELi4ELi16ELi32ELb0ElfEEvPKT6_PKbPfiPT5_PiiiibdPKfPKS8_SE_
                                        ; -- End function
	.section	.AMDGPU.csdata,"",@progbits
; Kernel info:
; codeLenInByte = 2620
; NumSgprs: 38
; NumVgprs: 20
; NumAgprs: 0
; TotalNumVgprs: 20
; ScratchSize: 0
; MemoryBound: 0
; FloatMode: 240
; IeeeMode: 1
; LDSByteSize: 2048 bytes/workgroup (compile time only)
; SGPRBlocks: 4
; VGPRBlocks: 2
; NumSGPRsForWavesPerEU: 38
; NumVGPRsForWavesPerEU: 20
; AccumOffset: 20
; Occupancy: 8
; WaveLimiterHint : 0
; COMPUTE_PGM_RSRC2:SCRATCH_EN: 0
; COMPUTE_PGM_RSRC2:USER_SGPR: 4
; COMPUTE_PGM_RSRC2:TRAP_HANDLER: 0
; COMPUTE_PGM_RSRC2:TGID_X_EN: 1
; COMPUTE_PGM_RSRC2:TGID_Y_EN: 0
; COMPUTE_PGM_RSRC2:TGID_Z_EN: 0
; COMPUTE_PGM_RSRC2:TIDIG_COMP_CNT: 2
; COMPUTE_PGM_RSRC3_GFX90A:ACCUM_OFFSET: 4
; COMPUTE_PGM_RSRC3_GFX90A:TG_SPLIT: 0
	.section	.text._ZN4vllm3moe22topkGatingSoftplusSqrtILi4ELi32ELi4ELi16ELi64ELb1ElfEEvPKT6_PKbPfiPT5_PiiiibdPKfPKS8_SE_,"axG",@progbits,_ZN4vllm3moe22topkGatingSoftplusSqrtILi4ELi32ELi4ELi16ELi64ELb1ElfEEvPKT6_PKbPfiPT5_PiiiibdPKfPKS8_SE_,comdat
	.protected	_ZN4vllm3moe22topkGatingSoftplusSqrtILi4ELi32ELi4ELi16ELi64ELb1ElfEEvPKT6_PKbPfiPT5_PiiiibdPKfPKS8_SE_ ; -- Begin function _ZN4vllm3moe22topkGatingSoftplusSqrtILi4ELi32ELi4ELi16ELi64ELb1ElfEEvPKT6_PKbPfiPT5_PiiiibdPKfPKS8_SE_
	.globl	_ZN4vllm3moe22topkGatingSoftplusSqrtILi4ELi32ELi4ELi16ELi64ELb1ElfEEvPKT6_PKbPfiPT5_PiiiibdPKfPKS8_SE_
	.p2align	8
	.type	_ZN4vllm3moe22topkGatingSoftplusSqrtILi4ELi32ELi4ELi16ELi64ELb1ElfEEvPKT6_PKbPfiPT5_PiiiibdPKfPKS8_SE_,@function
_ZN4vllm3moe22topkGatingSoftplusSqrtILi4ELi32ELi4ELi16ELi64ELb1ElfEEvPKT6_PKbPfiPT5_PiiiibdPKfPKS8_SE_: ; @_ZN4vllm3moe22topkGatingSoftplusSqrtILi4ELi32ELi4ELi16ELi64ELb1ElfEEvPKT6_PKbPfiPT5_PiiiibdPKfPKS8_SE_
; %bb.0:
	s_load_dword s3, s[0:1], 0x18
	v_bfe_u32 v1, v0, 10, 10
	v_and_b32_e32 v8, 0x3ff, v0
	s_lshl_b32 s2, s2, 5
	v_lshlrev_b32_e32 v1, 3, v1
	v_lshrrev_b32_e32 v0, 3, v8
	v_add3_u32 v2, s2, v1, v0
	s_waitcnt lgkmcnt(0)
	v_cmp_gt_i32_e32 vcc, s3, v2
	s_and_saveexec_b64 s[2:3], vcc
	s_cbranch_execz .LBB140_79
; %bb.1:
	s_load_dwordx4 s[8:11], s[0:1], 0x50
	s_load_dwordx2 s[2:3], s[0:1], 0x0
	s_load_dword s12, s[0:1], 0x30
	v_lshlrev_b32_e32 v0, 5, v2
	v_lshlrev_b32_e32 v3, 2, v8
	v_ashrrev_i32_e32 v1, 31, v0
	v_and_b32_e32 v14, 28, v3
	s_waitcnt lgkmcnt(0)
	v_lshl_add_u64 v[0:1], v[0:1], 2, s[2:3]
	v_lshlrev_b32_e32 v4, 2, v14
	v_mov_b32_e32 v5, 0
	v_lshl_add_u64 v[0:1], v[0:1], 0, v[4:5]
	global_load_dwordx4 v[10:13], v[0:1], off
	v_mov_b32_e32 v6, s8
	v_mov_b32_e32 v7, s9
	v_ashrrev_i32_e32 v3, 31, v2
	v_lshl_add_u64 v[6:7], v[2:3], 3, v[6:7]
	global_load_dwordx2 v[6:7], v[6:7], off
	s_ashr_i32 s13, s12, 31
	s_mov_b32 s6, 0x800000
	v_mov_b32_e32 v3, 0x4f800000
	s_mov_b32 s18, 0x3f317217
	s_mov_b32 s19, 0x7f800000
	v_mov_b32_e32 v4, 0x41b17218
	s_mov_b32 s15, 0x41a00000
	s_mov_b32 s20, 0xf800000
	v_mov_b32_e32 v9, 0x260
	v_cmp_lt_i64_e64 s[16:17], s[12:13], 1
	s_mov_b32 s14, 0
	v_cmp_gt_i64_e64 s[8:9], s[12:13], 0
	v_mul_lo_u32 v2, v2, s12
	s_waitcnt vmcnt(1)
	v_mul_f32_e32 v0, 0x3fb8aa3b, v10
	v_mul_f32_e32 v1, 0x3fb8aa3b, v11
	v_exp_f32_e32 v16, v0
	v_exp_f32_e32 v17, v1
	v_mul_f32_e32 v18, 0x3fb8aa3b, v12
	v_mul_f32_e32 v19, 0x3fb8aa3b, v13
	s_waitcnt vmcnt(0)
	v_mul_lo_u32 v7, v7, s12
	v_mul_lo_u32 v15, v6, s13
	v_exp_f32_e32 v18, v18
	v_exp_f32_e32 v19, v19
	v_mad_u64_u32 v[0:1], s[2:3], v6, s12, 0
	v_add3_u32 v1, v1, v15, v7
	v_pk_add_f32 v[6:7], v[16:17], 1.0 op_sel_hi:[1,0]
	v_pk_add_f32 v[16:17], v[18:19], 1.0 op_sel_hi:[1,0]
	v_cmp_gt_f32_e32 vcc, s6, v7
	v_cmp_gt_f32_e64 s[2:3], s6, v6
	v_cmp_gt_f32_e64 s[4:5], s6, v17
	v_cndmask_b32_e32 v15, 1.0, v3, vcc
	v_cndmask_b32_e64 v18, 1.0, v3, s[2:3]
	v_mul_f32_e32 v7, v7, v15
	v_mul_f32_e32 v6, v6, v18
	v_log_f32_e32 v7, v7
	v_log_f32_e32 v6, v6
	v_cndmask_b32_e64 v19, 1.0, v3, s[4:5]
	v_cmp_gt_f32_e64 s[6:7], s6, v16
	v_mul_f32_e32 v17, v17, v19
	v_mul_f32_e32 v20, 0x3f317217, v6
	v_cndmask_b32_e64 v3, 1.0, v3, s[6:7]
	v_mul_f32_e32 v3, v16, v3
	v_log_f32_e32 v16, v17
	v_mul_f32_e32 v17, 0x3f317217, v7
	v_fma_f32 v17, v7, s18, -v17
	v_fma_f32 v20, v6, s18, -v20
	v_fmac_f32_e32 v17, 0x3377d1cf, v7
	v_cndmask_b32_e32 v15, 0, v4, vcc
	v_fmac_f32_e32 v20, 0x3377d1cf, v6
	v_fmac_f32_e32 v17, 0x3f317217, v7
	v_cmp_lt_f32_e64 vcc, |v7|, s19
	v_fmac_f32_e32 v20, 0x3f317217, v6
	v_cndmask_b32_e64 v18, 0, v4, s[2:3]
	v_cndmask_b32_e32 v7, v7, v17, vcc
	v_cmp_lt_f32_e64 vcc, |v6|, s19
	v_sub_f32_e32 v7, v7, v15
	v_mul_f32_e32 v21, 0x3f317217, v16
	v_cndmask_b32_e32 v6, v6, v20, vcc
	v_sub_f32_e32 v6, v6, v18
	v_cmp_lt_f32_e32 vcc, s15, v10
	v_fma_f32 v21, v16, s18, -v21
	v_fmac_f32_e32 v21, 0x3377d1cf, v16
	v_cndmask_b32_e32 v6, v6, v10, vcc
	v_cmp_lt_f32_e32 vcc, s15, v11
	v_cmp_gt_f32_e64 s[2:3], s20, v6
	v_cndmask_b32_e64 v19, 0, v4, s[4:5]
	v_cndmask_b32_e32 v7, v7, v11, vcc
	v_mul_f32_e32 v10, 0x4f800000, v7
	v_cmp_gt_f32_e32 vcc, s20, v7
	v_mul_f32_e32 v11, 0x4f800000, v6
	v_cndmask_b32_e64 v6, v6, v11, s[2:3]
	v_cndmask_b32_e32 v7, v7, v10, vcc
	v_sqrt_f32_e32 v10, v7
	v_sqrt_f32_e32 v11, v6
	v_fmac_f32_e32 v21, 0x3f317217, v16
	v_cmp_lt_f32_e64 s[4:5], |v16|, s19
	v_add_u32_e32 v17, 1, v10
	v_add_u32_e32 v18, -1, v11
	v_cndmask_b32_e64 v15, v16, v21, s[4:5]
	v_add_u32_e32 v16, -1, v10
	v_fma_f32 v21, -v16, v10, v7
	v_fma_f32 v23, -v18, v11, v6
	v_cmp_ge_f32_e64 s[4:5], 0, v21
	v_add_u32_e32 v20, 1, v11
	v_fma_f32 v22, -v17, v10, v7
	v_cndmask_b32_e64 v10, v10, v16, s[4:5]
	v_cmp_ge_f32_e64 s[4:5], 0, v23
	v_log_f32_e32 v3, v3
	v_fma_f32 v24, -v20, v11, v6
	v_cndmask_b32_e64 v11, v11, v18, s[4:5]
	v_cmp_lt_f32_e64 s[4:5], 0, v22
	v_cndmask_b32_e64 v4, 0, v4, s[6:7]
	s_nop 0
	v_cndmask_b32_e64 v10, v10, v17, s[4:5]
	v_cmp_lt_f32_e64 s[4:5], 0, v24
	v_mul_f32_e32 v16, 0x37800000, v10
	v_cndmask_b32_e32 v10, v10, v16, vcc
	v_cndmask_b32_e64 v11, v11, v20, s[4:5]
	v_mul_f32_e32 v17, 0x37800000, v11
	v_cmp_class_f32_e32 vcc, v7, v9
	v_cndmask_b32_e64 v16, v11, v17, s[2:3]
	v_cmp_lt_f32_e64 s[2:3], s15, v12
	v_cndmask_b32_e32 v11, v10, v7, vcc
	v_mul_f32_e32 v7, 0x3f317217, v3
	v_fma_f32 v7, v3, s18, -v7
	v_cmp_class_f32_e32 vcc, v6, v9
	v_fmac_f32_e32 v7, 0x3377d1cf, v3
	v_fmac_f32_e32 v7, 0x3f317217, v3
	v_cndmask_b32_e32 v10, v16, v6, vcc
	v_cmp_lt_f32_e64 vcc, |v3|, s19
	v_sub_f32_e32 v6, v15, v19
	s_nop 0
	v_cndmask_b32_e32 v3, v3, v7, vcc
	v_cmp_lt_f32_e32 vcc, s15, v13
	v_sub_f32_e32 v3, v3, v4
	v_cndmask_b32_e64 v3, v3, v12, s[2:3]
	v_cndmask_b32_e32 v6, v6, v13, vcc
	v_mul_f32_e32 v7, 0x4f800000, v6
	v_cmp_gt_f32_e32 vcc, s20, v6
	s_nop 1
	v_cndmask_b32_e32 v6, v6, v7, vcc
	v_sqrt_f32_e32 v7, v6
	s_nop 0
	v_add_u32_e32 v4, -1, v7
	v_fma_f32 v12, -v4, v7, v6
	v_cmp_ge_f32_e64 s[2:3], 0, v12
	v_add_u32_e32 v12, 1, v7
	s_nop 0
	v_cndmask_b32_e64 v4, v7, v4, s[2:3]
	v_fma_f32 v7, -v12, v7, v6
	v_cmp_lt_f32_e64 s[2:3], 0, v7
	s_nop 1
	v_cndmask_b32_e64 v4, v4, v12, s[2:3]
	v_mul_f32_e32 v12, 0x4f800000, v3
	v_cmp_gt_f32_e64 s[2:3], s20, v3
	v_mul_f32_e32 v7, 0x37800000, v4
	v_cndmask_b32_e32 v4, v4, v7, vcc
	v_cndmask_b32_e64 v3, v3, v12, s[2:3]
	v_sqrt_f32_e32 v12, v3
	v_cmp_class_f32_e32 vcc, v6, v9
	s_nop 1
	v_cndmask_b32_e32 v13, v4, v6, vcc
	v_add_u32_e32 v4, -1, v12
	v_fma_f32 v6, -v4, v12, v3
	v_cmp_ge_f32_e32 vcc, 0, v6
	v_add_u32_e32 v6, 1, v12
	v_fma_f32 v7, -v6, v12, v3
	v_cndmask_b32_e32 v4, v12, v4, vcc
	v_cmp_lt_f32_e32 vcc, 0, v7
	s_nop 1
	v_cndmask_b32_e32 v4, v4, v6, vcc
	v_mul_f32_e32 v6, 0x37800000, v4
	v_cndmask_b32_e64 v4, v4, v6, s[2:3]
	v_cmp_class_f32_e32 vcc, v3, v9
	s_nop 1
	v_cndmask_b32_e32 v12, v4, v3, vcc
	s_and_b64 vcc, exec, s[16:17]
	scratch_store_dwordx4 off, v[10:13], off
	s_cbranch_vccnz .LBB140_28
; %bb.2:
	s_load_dwordx2 s[4:5], s[0:1], 0x20
	v_lshl_add_u64 v[6:7], v[0:1], 3, s[10:11]
	s_cmp_lt_u32 s12, 4
	v_and_b32_e32 v4, 7, v8
	s_cbranch_scc1 .LBB140_21
; %bb.3:
	v_lshlrev_b32_e32 v5, 2, v4
	s_mov_b32 s7, 0
	s_and_b32 s14, s12, 0x7ffffffc
	v_ashrrev_i32_e32 v3, 31, v2
	v_sub_u32_e32 v15, 0, v5
	v_mov_b32_e32 v5, 0
	s_mov_b32 s6, s7
	s_branch .LBB140_5
.LBB140_4:                              ;   in Loop: Header=BB140_5 Depth=1
	s_or_b64 exec, exec, s[16:17]
	s_add_i32 s6, s6, 4
	s_cmp_eq_u32 s6, s14
	s_cbranch_scc1 .LBB140_21
.LBB140_5:                              ; =>This Loop Header: Depth=1
                                        ;     Child Loop BB140_7 Depth 2
                                        ;     Child Loop BB140_11 Depth 2
	;; [unrolled: 1-line block ×4, first 2 shown]
	v_lshl_add_u64 v[8:9], s[6:7], 3, v[6:7]
	global_load_dwordx2 v[10:11], v[8:9], off
	v_add_u32_e32 v12, s6, v2
	v_ashrrev_i32_e32 v13, 31, v12
	v_mov_b32_e32 v16, 0
	s_mov_b64 s[16:17], 0
	s_waitcnt lgkmcnt(0)
	v_lshl_add_u64 v[12:13], v[12:13], 3, s[4:5]
	s_mov_b32 s13, 0
	s_waitcnt vmcnt(0)
	v_ashrrev_i32_e32 v11, 31, v10
	v_add_u32_e32 v17, v15, v10
	s_branch .LBB140_7
.LBB140_6:                              ;   in Loop: Header=BB140_7 Depth=2
	s_or_b64 exec, exec, s[18:19]
	s_add_i32 s15, s13, 1
	s_cmp_gt_u32 s13, 2
	s_cselect_b64 s[2:3], -1, 0
	s_xor_b64 s[18:19], vcc, -1
	s_or_b64 s[2:3], s[18:19], s[2:3]
	s_and_b64 s[2:3], exec, s[2:3]
	v_add_u32_e32 v16, 4, v16
	s_or_b64 s[16:17], s[2:3], s[16:17]
	s_mov_b32 s13, s15
	s_andn2_b64 exec, exec, s[16:17]
	s_cbranch_execz .LBB140_9
.LBB140_7:                              ;   Parent Loop BB140_5 Depth=1
                                        ; =>  This Inner Loop Header: Depth=2
	v_cmp_ne_u32_e32 vcc, s13, v17
	v_cmp_eq_u32_e64 s[2:3], s13, v17
	s_and_saveexec_b64 s[18:19], s[2:3]
	s_cbranch_execz .LBB140_6
; %bb.8:                                ;   in Loop: Header=BB140_7 Depth=2
	scratch_load_dword v18, v16, off
	s_waitcnt vmcnt(0)
	v_add_f32_e32 v5, v5, v18
	global_store_dwordx2 v[12:13], v[10:11], off
	s_branch .LBB140_6
.LBB140_9:                              ;   in Loop: Header=BB140_5 Depth=1
	s_or_b64 exec, exec, s[16:17]
	global_load_dwordx2 v[12:13], v[8:9], off offset:8
	s_ashr_i32 s3, s6, 31
	s_mov_b32 s2, s6
	v_lshl_add_u64 v[10:11], s[2:3], 0, v[2:3]
	v_mov_b32_e32 v16, 0
	s_mov_b32 s13, 0
	v_lshl_add_u64 v[10:11], v[10:11], 3, s[4:5]
	s_mov_b64 s[16:17], 0
	s_waitcnt vmcnt(0)
	v_ashrrev_i32_e32 v13, 31, v12
	v_add_u32_e32 v17, v15, v12
	s_branch .LBB140_11
.LBB140_10:                             ;   in Loop: Header=BB140_11 Depth=2
	s_or_b64 exec, exec, s[18:19]
	s_add_i32 s15, s13, 1
	s_cmp_gt_u32 s13, 2
	s_cselect_b64 s[2:3], -1, 0
	s_xor_b64 s[18:19], vcc, -1
	s_or_b64 s[2:3], s[18:19], s[2:3]
	s_and_b64 s[2:3], exec, s[2:3]
	v_add_u32_e32 v16, 4, v16
	s_or_b64 s[16:17], s[2:3], s[16:17]
	s_mov_b32 s13, s15
	s_andn2_b64 exec, exec, s[16:17]
	s_cbranch_execz .LBB140_13
.LBB140_11:                             ;   Parent Loop BB140_5 Depth=1
                                        ; =>  This Inner Loop Header: Depth=2
	v_cmp_ne_u32_e32 vcc, s13, v17
	v_cmp_eq_u32_e64 s[2:3], s13, v17
	s_and_saveexec_b64 s[18:19], s[2:3]
	s_cbranch_execz .LBB140_10
; %bb.12:                               ;   in Loop: Header=BB140_11 Depth=2
	scratch_load_dword v18, v16, off
	s_waitcnt vmcnt(0)
	v_add_f32_e32 v5, v5, v18
	global_store_dwordx2 v[10:11], v[12:13], off offset:8
	s_branch .LBB140_10
.LBB140_13:                             ;   in Loop: Header=BB140_5 Depth=1
	s_or_b64 exec, exec, s[16:17]
	global_load_dwordx2 v[12:13], v[8:9], off offset:16
	v_mov_b32_e32 v16, 0
	s_mov_b32 s13, 0
	s_mov_b64 s[16:17], 0
	s_waitcnt vmcnt(0)
	v_ashrrev_i32_e32 v13, 31, v12
	v_add_u32_e32 v17, v15, v12
	s_branch .LBB140_15
.LBB140_14:                             ;   in Loop: Header=BB140_15 Depth=2
	s_or_b64 exec, exec, s[18:19]
	s_add_i32 s15, s13, 1
	s_cmp_gt_u32 s13, 2
	s_cselect_b64 s[2:3], -1, 0
	s_xor_b64 s[18:19], vcc, -1
	s_or_b64 s[2:3], s[18:19], s[2:3]
	s_and_b64 s[2:3], exec, s[2:3]
	v_add_u32_e32 v16, 4, v16
	s_or_b64 s[16:17], s[2:3], s[16:17]
	s_mov_b32 s13, s15
	s_andn2_b64 exec, exec, s[16:17]
	s_cbranch_execz .LBB140_17
.LBB140_15:                             ;   Parent Loop BB140_5 Depth=1
                                        ; =>  This Inner Loop Header: Depth=2
	v_cmp_ne_u32_e32 vcc, s13, v17
	v_cmp_eq_u32_e64 s[2:3], s13, v17
	s_and_saveexec_b64 s[18:19], s[2:3]
	s_cbranch_execz .LBB140_14
; %bb.16:                               ;   in Loop: Header=BB140_15 Depth=2
	scratch_load_dword v18, v16, off
	s_waitcnt vmcnt(0)
	v_add_f32_e32 v5, v5, v18
	global_store_dwordx2 v[10:11], v[12:13], off offset:16
	s_branch .LBB140_14
.LBB140_17:                             ;   in Loop: Header=BB140_5 Depth=1
	s_or_b64 exec, exec, s[16:17]
	global_load_dwordx2 v[8:9], v[8:9], off offset:24
	v_mov_b32_e32 v12, 0
	s_mov_b32 s13, 0
	s_mov_b64 s[16:17], 0
	s_waitcnt vmcnt(0)
	v_ashrrev_i32_e32 v9, 31, v8
	v_add_u32_e32 v13, v15, v8
	s_branch .LBB140_19
.LBB140_18:                             ;   in Loop: Header=BB140_19 Depth=2
	s_or_b64 exec, exec, s[18:19]
	s_add_i32 s15, s13, 1
	s_cmp_gt_u32 s13, 2
	s_cselect_b64 s[2:3], -1, 0
	s_xor_b64 s[18:19], vcc, -1
	s_or_b64 s[2:3], s[18:19], s[2:3]
	s_and_b64 s[2:3], exec, s[2:3]
	v_add_u32_e32 v12, 4, v12
	s_or_b64 s[16:17], s[2:3], s[16:17]
	s_mov_b32 s13, s15
	s_andn2_b64 exec, exec, s[16:17]
	s_cbranch_execz .LBB140_4
.LBB140_19:                             ;   Parent Loop BB140_5 Depth=1
                                        ; =>  This Inner Loop Header: Depth=2
	v_cmp_ne_u32_e32 vcc, s13, v13
	v_cmp_eq_u32_e64 s[2:3], s13, v13
	s_and_saveexec_b64 s[18:19], s[2:3]
	s_cbranch_execz .LBB140_18
; %bb.20:                               ;   in Loop: Header=BB140_19 Depth=2
	scratch_load_dword v16, v12, off
	s_waitcnt vmcnt(0)
	v_add_f32_e32 v5, v5, v16
	global_store_dwordx2 v[10:11], v[8:9], off offset:24
	s_branch .LBB140_18
.LBB140_21:
	s_and_b32 s13, s12, 3
	s_cmp_eq_u32 s13, 0
	s_mov_b32 s15, 0
	s_cbranch_scc1 .LBB140_28
; %bb.22:
	v_lshlrev_b32_e32 v3, 2, v4
	v_sub_u32_e32 v3, 0, v3
	s_mov_b32 s18, s15
	s_branch .LBB140_24
.LBB140_23:                             ;   in Loop: Header=BB140_24 Depth=1
	s_or_b64 exec, exec, s[6:7]
	s_add_i32 s14, s14, 1
	s_add_i32 s18, s18, 1
	s_cmp_lg_u32 s18, s13
	s_cbranch_scc0 .LBB140_28
.LBB140_24:                             ; =>This Loop Header: Depth=1
                                        ;     Child Loop BB140_26 Depth 2
	v_lshl_add_u64 v[8:9], s[14:15], 3, v[6:7]
	global_load_dwordx2 v[8:9], v[8:9], off
	v_add_u32_e32 v10, s14, v2
	v_ashrrev_i32_e32 v11, 31, v10
	v_mov_b32_e32 v4, 0
	s_mov_b32 s19, 0
	s_waitcnt lgkmcnt(0)
	v_lshl_add_u64 v[10:11], v[10:11], 3, s[4:5]
	s_mov_b64 s[6:7], 0
	s_waitcnt vmcnt(0)
	v_ashrrev_i32_e32 v9, 31, v8
	v_add_u32_e32 v12, v3, v8
	s_branch .LBB140_26
.LBB140_25:                             ;   in Loop: Header=BB140_26 Depth=2
	s_or_b64 exec, exec, s[16:17]
	s_add_i32 s20, s19, 1
	s_cmp_gt_u32 s19, 2
	s_cselect_b64 s[2:3], -1, 0
	s_xor_b64 s[16:17], vcc, -1
	s_or_b64 s[2:3], s[16:17], s[2:3]
	s_and_b64 s[2:3], exec, s[2:3]
	v_add_u32_e32 v4, 4, v4
	s_or_b64 s[6:7], s[2:3], s[6:7]
	s_mov_b32 s19, s20
	s_andn2_b64 exec, exec, s[6:7]
	s_cbranch_execz .LBB140_23
.LBB140_26:                             ;   Parent Loop BB140_24 Depth=1
                                        ; =>  This Inner Loop Header: Depth=2
	v_cmp_ne_u32_e32 vcc, s19, v12
	v_cmp_eq_u32_e64 s[2:3], s19, v12
	s_and_saveexec_b64 s[16:17], s[2:3]
	s_cbranch_execz .LBB140_25
; %bb.27:                               ;   in Loop: Header=BB140_26 Depth=2
	scratch_load_dword v13, v4, off
	s_waitcnt vmcnt(0)
	v_add_f32_e32 v5, v5, v13
	global_store_dwordx2 v[10:11], v[8:9], off
	s_branch .LBB140_25
.LBB140_28:
	s_waitcnt lgkmcnt(0)
	s_load_dword s4, s[0:1], 0x3c
	s_waitcnt lgkmcnt(0)
	s_bitcmp1_b32 s4, 0
	s_cselect_b64 s[2:3], -1, 0
	s_bitcmp0_b32 s4, 0
	s_cbranch_scc0 .LBB140_31
; %bb.29:
	s_load_dwordx2 s[4:5], s[0:1], 0x40
	s_andn2_b64 vcc, exec, s[2:3]
	s_waitcnt lgkmcnt(0)
	v_cvt_f32_f64_e32 v8, s[4:5]
	s_cbranch_vccz .LBB140_32
.LBB140_30:
	s_andn2_b64 vcc, exec, s[8:9]
	s_cbranch_vccz .LBB140_33
	s_branch .LBB140_79
.LBB140_31:
	v_mbcnt_lo_u32_b32 v3, -1, 0
	v_mbcnt_hi_u32_b32 v3, -1, v3
	v_and_b32_e32 v4, 0x78, v3
	v_add_u32_e32 v4, 8, v4
	v_xor_b32_e32 v6, 4, v3
	v_cmp_lt_i32_e32 vcc, v6, v4
	v_xor_b32_e32 v7, 2, v3
	s_nop 0
	v_cndmask_b32_e32 v6, v3, v6, vcc
	v_lshlrev_b32_e32 v6, 2, v6
	ds_bpermute_b32 v6, v6, v5
	v_cmp_lt_i32_e32 vcc, v7, v4
	s_waitcnt lgkmcnt(0)
	v_add_f32_e32 v5, v5, v6
	v_cndmask_b32_e32 v6, v3, v7, vcc
	v_lshlrev_b32_e32 v6, 2, v6
	ds_bpermute_b32 v6, v6, v5
	v_xor_b32_e32 v7, 1, v3
	v_cmp_lt_i32_e32 vcc, v7, v4
	s_waitcnt lgkmcnt(0)
	v_add_f32_e32 v5, v5, v6
	v_cndmask_b32_e32 v3, v3, v7, vcc
	v_lshlrev_b32_e32 v3, 2, v3
	ds_bpermute_b32 v3, v3, v5
	s_waitcnt lgkmcnt(0)
	v_add_f32_e32 v5, v5, v3
	s_load_dwordx2 s[4:5], s[0:1], 0x40
	s_andn2_b64 vcc, exec, s[2:3]
	s_waitcnt lgkmcnt(0)
	v_cvt_f32_f64_e32 v8, s[4:5]
	s_cbranch_vccnz .LBB140_30
.LBB140_32:
	v_cmp_lt_f32_e32 vcc, 0, v5
	s_nop 1
	v_cndmask_b32_e32 v3, 1.0, v5, vcc
	v_div_scale_f32 v4, s[2:3], v3, v3, v8
	v_rcp_f32_e32 v5, v4
	s_nop 0
	v_fma_f32 v6, -v4, v5, 1.0
	v_fmac_f32_e32 v5, v6, v5
	v_div_scale_f32 v6, vcc, v8, v3, v8
	v_mul_f32_e32 v7, v6, v5
	v_fma_f32 v9, -v4, v7, v6
	v_fmac_f32_e32 v7, v9, v5
	v_fma_f32 v4, -v4, v7, v6
	v_div_fmas_f32 v4, v4, v5, v7
	v_div_fixup_f32 v8, v4, v3, v8
	s_andn2_b64 vcc, exec, s[8:9]
	s_cbranch_vccnz .LBB140_79
.LBB140_33:
	s_load_dwordx2 s[4:5], s[0:1], 0x10
	v_mov_b32_e32 v3, 0
	v_or_b32_e32 v9, 4, v3
	v_or_b32_e32 v10, 8, v3
	;; [unrolled: 1-line block ×6, first 2 shown]
	s_cmp_lt_u32 s12, 4
	s_mov_b32 s6, 0
	s_cbranch_scc1 .LBB140_68
; %bb.34:
	v_ashrrev_i32_e32 v3, 31, v2
	s_waitcnt lgkmcnt(0)
	v_lshl_add_u64 v[4:5], v[2:3], 2, s[4:5]
	v_lshl_add_u64 v[6:7], v[0:1], 3, s[10:11]
	s_and_b32 s6, s12, 0x7ffffffc
	v_lshl_add_u64 v[4:5], v[4:5], 0, 12
	v_lshl_add_u64 v[6:7], v[6:7], 0, 16
	s_mov_b32 s7, 0
	s_branch .LBB140_36
.LBB140_35:                             ;   in Loop: Header=BB140_36 Depth=1
	s_or_b64 exec, exec, s[2:3]
	s_add_i32 s7, s7, 4
	v_lshl_add_u64 v[4:5], v[4:5], 0, 16
	s_cmp_eq_u32 s6, s7
	v_lshl_add_u64 v[6:7], v[6:7], 0, 32
	s_cbranch_scc1 .LBB140_68
.LBB140_36:                             ; =>This Inner Loop Header: Depth=1
	global_load_dword v16, v[6:7], off offset:-16
	v_mov_b32_e32 v3, 0
	s_waitcnt vmcnt(0)
	v_cmp_eq_u32_e32 vcc, v14, v16
	v_cmp_ne_u32_e64 s[0:1], v14, v16
	s_and_saveexec_b64 s[8:9], s[0:1]
	s_cbranch_execz .LBB140_42
; %bb.37:                               ;   in Loop: Header=BB140_36 Depth=1
	v_cmp_eq_u32_e64 s[0:1], v12, v16
	v_cmp_ne_u32_e64 s[2:3], v12, v16
	v_mov_b32_e32 v3, v9
	s_and_saveexec_b64 s[14:15], s[2:3]
	s_cbranch_execz .LBB140_41
; %bb.38:                               ;   in Loop: Header=BB140_36 Depth=1
	v_cmp_eq_u32_e64 s[16:17], v13, v16
	v_cmp_ne_u32_e64 s[2:3], v13, v16
	v_mov_b32_e32 v3, v10
	s_and_saveexec_b64 s[18:19], s[2:3]
	s_xor_b64 s[18:19], exec, s[18:19]
; %bb.39:                               ;   in Loop: Header=BB140_36 Depth=1
	v_cmp_eq_u32_e64 s[2:3], v15, v16
	s_andn2_b64 s[16:17], s[16:17], exec
	s_and_b64 s[2:3], s[2:3], exec
	s_or_b64 s[16:17], s[16:17], s[2:3]
	v_mov_b32_e32 v3, v11
; %bb.40:                               ;   in Loop: Header=BB140_36 Depth=1
	s_or_b64 exec, exec, s[18:19]
	s_andn2_b64 s[0:1], s[0:1], exec
	s_and_b64 s[2:3], s[16:17], exec
	s_or_b64 s[0:1], s[0:1], s[2:3]
.LBB140_41:                             ;   in Loop: Header=BB140_36 Depth=1
	s_or_b64 exec, exec, s[14:15]
	s_andn2_b64 s[2:3], vcc, exec
	s_and_b64 s[0:1], s[0:1], exec
	s_or_b64 vcc, s[2:3], s[0:1]
.LBB140_42:                             ;   in Loop: Header=BB140_36 Depth=1
	s_or_b64 exec, exec, s[8:9]
	s_and_saveexec_b64 s[0:1], vcc
	s_cbranch_execz .LBB140_44
; %bb.43:                               ;   in Loop: Header=BB140_36 Depth=1
	scratch_load_dword v3, v3, off
	v_add_u32_e32 v16, s7, v2
	v_ashrrev_i32_e32 v17, 31, v16
	v_lshl_add_u64 v[16:17], v[16:17], 2, s[4:5]
	s_waitcnt vmcnt(0)
	v_mul_f32_e32 v3, v8, v3
	global_store_dword v[16:17], v3, off
.LBB140_44:                             ;   in Loop: Header=BB140_36 Depth=1
	s_or_b64 exec, exec, s[0:1]
	global_load_dword v16, v[6:7], off offset:-8
	v_mov_b32_e32 v3, 0
	s_waitcnt vmcnt(0)
	v_cmp_eq_u32_e64 s[0:1], v14, v16
	v_cmp_ne_u32_e32 vcc, v14, v16
	s_and_saveexec_b64 s[2:3], vcc
	s_cbranch_execz .LBB140_50
; %bb.45:                               ;   in Loop: Header=BB140_36 Depth=1
	v_cmp_eq_u32_e64 s[8:9], v12, v16
	v_cmp_ne_u32_e32 vcc, v12, v16
	v_mov_b32_e32 v3, v9
	s_and_saveexec_b64 s[14:15], vcc
	s_cbranch_execz .LBB140_49
; %bb.46:                               ;   in Loop: Header=BB140_36 Depth=1
	v_cmp_eq_u32_e64 s[16:17], v13, v16
	v_cmp_ne_u32_e32 vcc, v13, v16
	v_mov_b32_e32 v3, v10
	s_and_saveexec_b64 s[18:19], vcc
; %bb.47:                               ;   in Loop: Header=BB140_36 Depth=1
	v_cmp_eq_u32_e32 vcc, v15, v16
	s_andn2_b64 s[16:17], s[16:17], exec
	s_and_b64 s[20:21], vcc, exec
	s_or_b64 s[16:17], s[16:17], s[20:21]
	v_mov_b32_e32 v3, v11
; %bb.48:                               ;   in Loop: Header=BB140_36 Depth=1
	s_or_b64 exec, exec, s[18:19]
	s_andn2_b64 s[8:9], s[8:9], exec
	s_and_b64 s[16:17], s[16:17], exec
	s_or_b64 s[8:9], s[8:9], s[16:17]
.LBB140_49:                             ;   in Loop: Header=BB140_36 Depth=1
	s_or_b64 exec, exec, s[14:15]
	s_andn2_b64 s[0:1], s[0:1], exec
	s_and_b64 s[8:9], s[8:9], exec
	s_or_b64 s[0:1], s[0:1], s[8:9]
.LBB140_50:                             ;   in Loop: Header=BB140_36 Depth=1
	s_or_b64 exec, exec, s[2:3]
	s_and_saveexec_b64 s[2:3], s[0:1]
	s_cbranch_execz .LBB140_52
; %bb.51:                               ;   in Loop: Header=BB140_36 Depth=1
	scratch_load_dword v3, v3, off
	s_waitcnt vmcnt(0)
	v_mul_f32_e32 v3, v8, v3
	global_store_dword v[4:5], v3, off offset:-8
.LBB140_52:                             ;   in Loop: Header=BB140_36 Depth=1
	s_or_b64 exec, exec, s[2:3]
	global_load_dword v16, v[6:7], off
	v_mov_b32_e32 v3, 0
	s_waitcnt vmcnt(0)
	v_cmp_eq_u32_e64 s[0:1], v14, v16
	v_cmp_ne_u32_e32 vcc, v14, v16
	s_and_saveexec_b64 s[2:3], vcc
	s_cbranch_execz .LBB140_58
; %bb.53:                               ;   in Loop: Header=BB140_36 Depth=1
	v_cmp_eq_u32_e64 s[8:9], v12, v16
	v_cmp_ne_u32_e32 vcc, v12, v16
	v_mov_b32_e32 v3, v9
	s_and_saveexec_b64 s[14:15], vcc
	s_cbranch_execz .LBB140_57
; %bb.54:                               ;   in Loop: Header=BB140_36 Depth=1
	v_cmp_eq_u32_e64 s[16:17], v13, v16
	v_cmp_ne_u32_e32 vcc, v13, v16
	v_mov_b32_e32 v3, v10
	s_and_saveexec_b64 s[18:19], vcc
; %bb.55:                               ;   in Loop: Header=BB140_36 Depth=1
	v_cmp_eq_u32_e32 vcc, v15, v16
	s_andn2_b64 s[16:17], s[16:17], exec
	s_and_b64 s[20:21], vcc, exec
	s_or_b64 s[16:17], s[16:17], s[20:21]
	v_mov_b32_e32 v3, v11
; %bb.56:                               ;   in Loop: Header=BB140_36 Depth=1
	s_or_b64 exec, exec, s[18:19]
	s_andn2_b64 s[8:9], s[8:9], exec
	s_and_b64 s[16:17], s[16:17], exec
	s_or_b64 s[8:9], s[8:9], s[16:17]
.LBB140_57:                             ;   in Loop: Header=BB140_36 Depth=1
	s_or_b64 exec, exec, s[14:15]
	s_andn2_b64 s[0:1], s[0:1], exec
	s_and_b64 s[8:9], s[8:9], exec
	s_or_b64 s[0:1], s[0:1], s[8:9]
.LBB140_58:                             ;   in Loop: Header=BB140_36 Depth=1
	s_or_b64 exec, exec, s[2:3]
	s_and_saveexec_b64 s[2:3], s[0:1]
	s_cbranch_execz .LBB140_60
; %bb.59:                               ;   in Loop: Header=BB140_36 Depth=1
	scratch_load_dword v3, v3, off
	s_waitcnt vmcnt(0)
	v_mul_f32_e32 v3, v8, v3
	global_store_dword v[4:5], v3, off offset:-4
.LBB140_60:                             ;   in Loop: Header=BB140_36 Depth=1
	s_or_b64 exec, exec, s[2:3]
	global_load_dword v16, v[6:7], off offset:8
	v_mov_b32_e32 v3, 0
	s_waitcnt vmcnt(0)
	v_cmp_eq_u32_e64 s[0:1], v14, v16
	v_cmp_ne_u32_e32 vcc, v14, v16
	s_and_saveexec_b64 s[2:3], vcc
	s_cbranch_execz .LBB140_66
; %bb.61:                               ;   in Loop: Header=BB140_36 Depth=1
	v_cmp_eq_u32_e64 s[8:9], v12, v16
	v_cmp_ne_u32_e32 vcc, v12, v16
	v_mov_b32_e32 v3, v9
	s_and_saveexec_b64 s[14:15], vcc
	s_cbranch_execz .LBB140_65
; %bb.62:                               ;   in Loop: Header=BB140_36 Depth=1
	v_cmp_eq_u32_e64 s[16:17], v13, v16
	v_cmp_ne_u32_e32 vcc, v13, v16
	v_mov_b32_e32 v3, v10
	s_and_saveexec_b64 s[18:19], vcc
; %bb.63:                               ;   in Loop: Header=BB140_36 Depth=1
	v_cmp_eq_u32_e32 vcc, v15, v16
	s_andn2_b64 s[16:17], s[16:17], exec
	s_and_b64 s[20:21], vcc, exec
	s_or_b64 s[16:17], s[16:17], s[20:21]
	v_mov_b32_e32 v3, v11
; %bb.64:                               ;   in Loop: Header=BB140_36 Depth=1
	s_or_b64 exec, exec, s[18:19]
	s_andn2_b64 s[8:9], s[8:9], exec
	s_and_b64 s[16:17], s[16:17], exec
	s_or_b64 s[8:9], s[8:9], s[16:17]
.LBB140_65:                             ;   in Loop: Header=BB140_36 Depth=1
	s_or_b64 exec, exec, s[14:15]
	s_andn2_b64 s[0:1], s[0:1], exec
	s_and_b64 s[8:9], s[8:9], exec
	s_or_b64 s[0:1], s[0:1], s[8:9]
.LBB140_66:                             ;   in Loop: Header=BB140_36 Depth=1
	s_or_b64 exec, exec, s[2:3]
	s_and_saveexec_b64 s[2:3], s[0:1]
	s_cbranch_execz .LBB140_35
; %bb.67:                               ;   in Loop: Header=BB140_36 Depth=1
	scratch_load_dword v3, v3, off
	s_waitcnt vmcnt(0)
	v_mul_f32_e32 v3, v8, v3
	global_store_dword v[4:5], v3, off
	s_branch .LBB140_35
.LBB140_68:
	s_and_b32 s14, s12, 3
	s_cmp_eq_u32 s14, 0
	s_mov_b32 s7, 0
	s_cbranch_scc1 .LBB140_79
; %bb.69:
	s_lshl_b64 s[0:1], s[6:7], 3
	s_add_u32 s0, s10, s0
	s_addc_u32 s1, s11, s1
	v_add_u32_e32 v2, s6, v2
	v_lshl_add_u64 v[0:1], v[0:1], 3, s[0:1]
	s_branch .LBB140_71
.LBB140_70:                             ;   in Loop: Header=BB140_71 Depth=1
	s_or_b64 exec, exec, s[2:3]
	s_add_i32 s14, s14, -1
	v_add_u32_e32 v2, 1, v2
	s_cmp_lg_u32 s14, 0
	v_lshl_add_u64 v[0:1], v[0:1], 0, 8
	s_cbranch_scc0 .LBB140_79
.LBB140_71:                             ; =>This Inner Loop Header: Depth=1
	global_load_dword v4, v[0:1], off
	v_mov_b32_e32 v3, 0
	s_waitcnt vmcnt(0)
	v_cmp_eq_u32_e64 s[0:1], v14, v4
	v_cmp_ne_u32_e32 vcc, v14, v4
	s_and_saveexec_b64 s[2:3], vcc
	s_cbranch_execz .LBB140_77
; %bb.72:                               ;   in Loop: Header=BB140_71 Depth=1
	v_cmp_eq_u32_e64 s[6:7], v12, v4
	v_cmp_ne_u32_e32 vcc, v12, v4
	v_mov_b32_e32 v3, v9
	s_and_saveexec_b64 s[8:9], vcc
	s_cbranch_execz .LBB140_76
; %bb.73:                               ;   in Loop: Header=BB140_71 Depth=1
	v_cmp_eq_u32_e64 s[10:11], v13, v4
	v_cmp_ne_u32_e32 vcc, v13, v4
	v_mov_b32_e32 v3, v10
	s_and_saveexec_b64 s[12:13], vcc
; %bb.74:                               ;   in Loop: Header=BB140_71 Depth=1
	v_cmp_eq_u32_e32 vcc, v15, v4
	s_andn2_b64 s[10:11], s[10:11], exec
	s_and_b64 s[16:17], vcc, exec
	s_or_b64 s[10:11], s[10:11], s[16:17]
	v_mov_b32_e32 v3, v11
; %bb.75:                               ;   in Loop: Header=BB140_71 Depth=1
	s_or_b64 exec, exec, s[12:13]
	s_andn2_b64 s[6:7], s[6:7], exec
	s_and_b64 s[10:11], s[10:11], exec
	s_or_b64 s[6:7], s[6:7], s[10:11]
.LBB140_76:                             ;   in Loop: Header=BB140_71 Depth=1
	s_or_b64 exec, exec, s[8:9]
	s_andn2_b64 s[0:1], s[0:1], exec
	s_and_b64 s[6:7], s[6:7], exec
	s_or_b64 s[0:1], s[0:1], s[6:7]
.LBB140_77:                             ;   in Loop: Header=BB140_71 Depth=1
	s_or_b64 exec, exec, s[2:3]
	s_and_saveexec_b64 s[2:3], s[0:1]
	s_cbranch_execz .LBB140_70
; %bb.78:                               ;   in Loop: Header=BB140_71 Depth=1
	scratch_load_dword v4, v3, off
	v_ashrrev_i32_e32 v3, 31, v2
	s_waitcnt vmcnt(0)
	v_mul_f32_e32 v6, v8, v4
	s_waitcnt lgkmcnt(0)
	v_lshl_add_u64 v[4:5], v[2:3], 2, s[4:5]
	global_store_dword v[4:5], v6, off
	s_branch .LBB140_70
.LBB140_79:
	s_endpgm
	.section	.rodata,"a",@progbits
	.p2align	6, 0x0
	.amdhsa_kernel _ZN4vllm3moe22topkGatingSoftplusSqrtILi4ELi32ELi4ELi16ELi64ELb1ElfEEvPKT6_PKbPfiPT5_PiiiibdPKfPKS8_SE_
		.amdhsa_group_segment_fixed_size 0
		.amdhsa_private_segment_fixed_size 32
		.amdhsa_kernarg_size 96
		.amdhsa_user_sgpr_count 2
		.amdhsa_user_sgpr_dispatch_ptr 0
		.amdhsa_user_sgpr_queue_ptr 0
		.amdhsa_user_sgpr_kernarg_segment_ptr 1
		.amdhsa_user_sgpr_dispatch_id 0
		.amdhsa_user_sgpr_kernarg_preload_length 0
		.amdhsa_user_sgpr_kernarg_preload_offset 0
		.amdhsa_user_sgpr_private_segment_size 0
		.amdhsa_uses_dynamic_stack 0
		.amdhsa_enable_private_segment 1
		.amdhsa_system_sgpr_workgroup_id_x 1
		.amdhsa_system_sgpr_workgroup_id_y 0
		.amdhsa_system_sgpr_workgroup_id_z 0
		.amdhsa_system_sgpr_workgroup_info 0
		.amdhsa_system_vgpr_workitem_id 1
		.amdhsa_next_free_vgpr 25
		.amdhsa_next_free_sgpr 22
		.amdhsa_accum_offset 28
		.amdhsa_reserve_vcc 1
		.amdhsa_float_round_mode_32 0
		.amdhsa_float_round_mode_16_64 0
		.amdhsa_float_denorm_mode_32 3
		.amdhsa_float_denorm_mode_16_64 3
		.amdhsa_dx10_clamp 1
		.amdhsa_ieee_mode 1
		.amdhsa_fp16_overflow 0
		.amdhsa_tg_split 0
		.amdhsa_exception_fp_ieee_invalid_op 0
		.amdhsa_exception_fp_denorm_src 0
		.amdhsa_exception_fp_ieee_div_zero 0
		.amdhsa_exception_fp_ieee_overflow 0
		.amdhsa_exception_fp_ieee_underflow 0
		.amdhsa_exception_fp_ieee_inexact 0
		.amdhsa_exception_int_div_zero 0
	.end_amdhsa_kernel
	.section	.text._ZN4vllm3moe22topkGatingSoftplusSqrtILi4ELi32ELi4ELi16ELi64ELb1ElfEEvPKT6_PKbPfiPT5_PiiiibdPKfPKS8_SE_,"axG",@progbits,_ZN4vllm3moe22topkGatingSoftplusSqrtILi4ELi32ELi4ELi16ELi64ELb1ElfEEvPKT6_PKbPfiPT5_PiiiibdPKfPKS8_SE_,comdat
.Lfunc_end140:
	.size	_ZN4vllm3moe22topkGatingSoftplusSqrtILi4ELi32ELi4ELi16ELi64ELb1ElfEEvPKT6_PKbPfiPT5_PiiiibdPKfPKS8_SE_, .Lfunc_end140-_ZN4vllm3moe22topkGatingSoftplusSqrtILi4ELi32ELi4ELi16ELi64ELb1ElfEEvPKT6_PKbPfiPT5_PiiiibdPKfPKS8_SE_
                                        ; -- End function
	.section	.AMDGPU.csdata,"",@progbits
; Kernel info:
; codeLenInByte = 3480
; NumSgprs: 28
; NumVgprs: 25
; NumAgprs: 0
; TotalNumVgprs: 25
; ScratchSize: 32
; MemoryBound: 0
; FloatMode: 240
; IeeeMode: 1
; LDSByteSize: 0 bytes/workgroup (compile time only)
; SGPRBlocks: 3
; VGPRBlocks: 3
; NumSGPRsForWavesPerEU: 28
; NumVGPRsForWavesPerEU: 25
; AccumOffset: 28
; Occupancy: 8
; WaveLimiterHint : 1
; COMPUTE_PGM_RSRC2:SCRATCH_EN: 1
; COMPUTE_PGM_RSRC2:USER_SGPR: 2
; COMPUTE_PGM_RSRC2:TRAP_HANDLER: 0
; COMPUTE_PGM_RSRC2:TGID_X_EN: 1
; COMPUTE_PGM_RSRC2:TGID_Y_EN: 0
; COMPUTE_PGM_RSRC2:TGID_Z_EN: 0
; COMPUTE_PGM_RSRC2:TIDIG_COMP_CNT: 1
; COMPUTE_PGM_RSRC3_GFX90A:ACCUM_OFFSET: 6
; COMPUTE_PGM_RSRC3_GFX90A:TG_SPLIT: 0
	.section	.text._ZN4vllm3moe22topkGatingSoftplusSqrtILi4ELi32ELi4ELi16ELi64ELb0ElfEEvPKT6_PKbPfiPT5_PiiiibdPKfPKS8_SE_,"axG",@progbits,_ZN4vllm3moe22topkGatingSoftplusSqrtILi4ELi32ELi4ELi16ELi64ELb0ElfEEvPKT6_PKbPfiPT5_PiiiibdPKfPKS8_SE_,comdat
	.protected	_ZN4vllm3moe22topkGatingSoftplusSqrtILi4ELi32ELi4ELi16ELi64ELb0ElfEEvPKT6_PKbPfiPT5_PiiiibdPKfPKS8_SE_ ; -- Begin function _ZN4vllm3moe22topkGatingSoftplusSqrtILi4ELi32ELi4ELi16ELi64ELb0ElfEEvPKT6_PKbPfiPT5_PiiiibdPKfPKS8_SE_
	.globl	_ZN4vllm3moe22topkGatingSoftplusSqrtILi4ELi32ELi4ELi16ELi64ELb0ElfEEvPKT6_PKbPfiPT5_PiiiibdPKfPKS8_SE_
	.p2align	8
	.type	_ZN4vllm3moe22topkGatingSoftplusSqrtILi4ELi32ELi4ELi16ELi64ELb0ElfEEvPKT6_PKbPfiPT5_PiiiibdPKfPKS8_SE_,@function
_ZN4vllm3moe22topkGatingSoftplusSqrtILi4ELi32ELi4ELi16ELi64ELb0ElfEEvPKT6_PKbPfiPT5_PiiiibdPKfPKS8_SE_: ; @_ZN4vllm3moe22topkGatingSoftplusSqrtILi4ELi32ELi4ELi16ELi64ELb0ElfEEvPKT6_PKbPfiPT5_PiiiibdPKfPKS8_SE_
; %bb.0:
	s_load_dword s30, s[2:3], 0x18
	v_and_b32_e32 v1, 0x3ff, v0
	v_bfe_u32 v4, v0, 10, 10
	s_lshl_b32 s4, s4, 5
	v_lshlrev_b32_e32 v2, 3, v4
	v_lshrrev_b32_e32 v3, 3, v1
	v_add3_u32 v2, s4, v2, v3
	s_waitcnt lgkmcnt(0)
	v_cmp_gt_i32_e32 vcc, s30, v2
	s_and_saveexec_b64 s[4:5], vcc
	s_cbranch_execz .LBB141_47
; %bb.1:
	s_load_dwordx4 s[4:7], s[2:3], 0x0
	s_load_dwordx2 s[20:21], s[2:3], 0x10
	s_waitcnt lgkmcnt(0)
	s_cmp_eq_u64 s[6:7], 0
	s_cbranch_scc1 .LBB141_3
; %bb.2:
	v_ashrrev_i32_e32 v3, 31, v2
	v_lshl_add_u64 v[6:7], s[6:7], 0, v[2:3]
	global_load_ubyte v3, v[6:7], off
	s_waitcnt vmcnt(0)
	v_and_b32_e32 v3, 1, v3
	v_cmp_eq_u32_e32 vcc, 1, v3
	s_xor_b64 s[6:7], vcc, -1
	s_orn2_b64 s[22:23], s[6:7], exec
	s_branch .LBB141_4
.LBB141_3:
	s_mov_b64 s[22:23], -1
.LBB141_4:
	v_lshlrev_b32_e32 v8, 5, v2
	v_mov_b32_e32 v6, s4
	v_mov_b32_e32 v7, s5
	v_ashrrev_i32_e32 v9, 31, v8
	v_and_b32_e32 v3, 7, v1
	v_lshl_add_u64 v[6:7], v[8:9], 2, v[6:7]
	v_mov_b32_e32 v9, 0
	v_lshlrev_b32_e32 v8, 4, v3
	v_lshl_add_u64 v[6:7], v[6:7], 0, v[8:9]
	global_load_dwordx4 v[6:9], v[6:7], off
	s_load_dwordx2 s[4:5], s[0:1], 0x4
	s_load_dwordx4 s[8:11], s[2:3], 0x40
	v_bfe_u32 v0, v0, 20, 10
	s_mov_b32 s16, 0x800000
	s_mov_b32 s13, 0x3f317217
	s_waitcnt lgkmcnt(0)
	s_lshr_b32 s0, s4, 16
	s_mul_i32 s0, s0, s5
	v_mul_lo_u32 v1, s0, v1
	v_mad_u32_u24 v1, v4, s5, v1
	v_add_lshl_u32 v4, v1, v0, 4
	s_mov_b32 s14, 0x7f800000
	s_mov_b32 s12, 0x41a00000
	;; [unrolled: 1-line block ×3, first 2 shown]
	s_cmp_lg_u64 s[10:11], 0
	v_mov_b32_e32 v1, 0x260
	s_cselect_b64 s[6:7], -1, 0
	s_and_b64 s[0:1], exec, s[6:7]
	s_waitcnt vmcnt(0)
	ds_write_b128 v4, v[6:9]
	ds_read_b32 v8, v4
	v_mov_b32_e32 v6, 0x4f800000
	v_mov_b32_e32 v7, 0x41b17218
	s_waitcnt lgkmcnt(0)
	v_mul_f32_e32 v0, 0x3fb8aa3b, v8
	v_exp_f32_e32 v0, v0
	s_nop 0
	v_add_f32_e32 v0, 1.0, v0
	v_cmp_gt_f32_e32 vcc, s16, v0
	s_nop 1
	v_cndmask_b32_e32 v5, 1.0, v6, vcc
	v_mul_f32_e32 v0, v0, v5
	v_log_f32_e32 v9, v0
	v_cndmask_b32_e32 v10, 0, v7, vcc
	v_lshlrev_b32_e32 v5, 2, v3
	v_lshlrev_b32_e32 v0, 2, v5
	v_mul_f32_e32 v11, 0x3f317217, v9
	v_fma_f32 v11, v9, s13, -v11
	v_fmac_f32_e32 v11, 0x3377d1cf, v9
	v_fmac_f32_e32 v11, 0x3f317217, v9
	v_cmp_lt_f32_e64 vcc, |v9|, s14
	s_nop 1
	v_cndmask_b32_e32 v9, v9, v11, vcc
	v_sub_f32_e32 v9, v9, v10
	v_cmp_lt_f32_e32 vcc, s12, v8
	s_nop 1
	v_cndmask_b32_e32 v8, v9, v8, vcc
	v_mul_f32_e32 v9, 0x4f800000, v8
	v_cmp_gt_f32_e32 vcc, s15, v8
	s_nop 1
	v_cndmask_b32_e32 v8, v8, v9, vcc
	v_sqrt_f32_e32 v9, v8
	s_nop 0
	v_add_u32_e32 v10, -1, v9
	v_add_u32_e32 v11, 1, v9
	v_fma_f32 v12, -v10, v9, v8
	v_fma_f32 v13, -v11, v9, v8
	v_cmp_ge_f32_e64 s[4:5], 0, v12
	s_nop 1
	v_cndmask_b32_e64 v9, v9, v10, s[4:5]
	v_cmp_lt_f32_e64 s[4:5], 0, v13
	s_nop 1
	v_cndmask_b32_e64 v9, v9, v11, s[4:5]
	v_mul_f32_e32 v10, 0x37800000, v9
	v_cndmask_b32_e32 v9, v9, v10, vcc
	v_cmp_class_f32_e32 vcc, v8, v1
	s_nop 1
	v_cndmask_b32_e32 v8, v9, v8, vcc
	s_mov_b64 vcc, s[0:1]
	s_cbranch_vccz .LBB141_6
; %bb.5:
	global_load_dword v9, v0, s[10:11]
	s_waitcnt vmcnt(0)
	v_add_f32_e32 v8, v8, v9
.LBB141_6:
	ds_read_b32 v9, v4 offset:4
	ds_write_b32 v4, v8
	s_waitcnt lgkmcnt(1)
	v_mul_f32_e32 v10, 0x3fb8aa3b, v9
	v_exp_f32_e32 v10, v10
	s_nop 0
	v_add_f32_e32 v10, 1.0, v10
	v_cmp_gt_f32_e32 vcc, s16, v10
	s_nop 1
	v_cndmask_b32_e32 v6, 1.0, v6, vcc
	v_mul_f32_e32 v6, v10, v6
	v_log_f32_e32 v6, v6
	v_cndmask_b32_e32 v7, 0, v7, vcc
	v_mul_f32_e32 v8, 0x3f317217, v6
	v_fma_f32 v8, v6, s13, -v8
	v_fmac_f32_e32 v8, 0x3377d1cf, v6
	v_fmac_f32_e32 v8, 0x3f317217, v6
	v_cmp_lt_f32_e64 vcc, |v6|, s14
	s_nop 1
	v_cndmask_b32_e32 v6, v6, v8, vcc
	v_sub_f32_e32 v6, v6, v7
	v_cmp_lt_f32_e32 vcc, s12, v9
	v_cndmask_b32_e64 v8, 0, 1, s[6:7]
	v_cmp_ne_u32_e64 s[0:1], 1, v8
	v_cndmask_b32_e32 v6, v6, v9, vcc
	v_mul_f32_e32 v7, 0x4f800000, v6
	v_cmp_gt_f32_e64 s[4:5], s15, v6
	s_andn2_b64 vcc, exec, s[6:7]
	s_nop 0
	v_cndmask_b32_e64 v6, v6, v7, s[4:5]
	v_sqrt_f32_e32 v7, v6
	s_nop 0
	v_add_u32_e32 v8, -1, v7
	v_add_u32_e32 v9, 1, v7
	v_fma_f32 v10, -v8, v7, v6
	v_fma_f32 v11, -v9, v7, v6
	v_cmp_ge_f32_e64 s[6:7], 0, v10
	s_nop 1
	v_cndmask_b32_e64 v7, v7, v8, s[6:7]
	v_cmp_lt_f32_e64 s[6:7], 0, v11
	s_nop 1
	v_cndmask_b32_e64 v7, v7, v9, s[6:7]
	v_mul_f32_e32 v8, 0x37800000, v7
	v_cndmask_b32_e64 v7, v7, v8, s[4:5]
	v_cmp_class_f32_e64 s[4:5], v6, v1
	s_nop 1
	v_cndmask_b32_e64 v1, v7, v6, s[4:5]
	s_cbranch_vccnz .LBB141_8
; %bb.7:
	global_load_dword v6, v0, s[10:11] offset:4
	s_waitcnt vmcnt(0)
	v_add_f32_e32 v1, v1, v6
.LBB141_8:
	ds_read_b32 v8, v4 offset:8
	s_mov_b32 s12, 0x800000
	s_mov_b32 s7, 0x3f317217
	;; [unrolled: 1-line block ×4, first 2 shown]
	s_waitcnt lgkmcnt(0)
	v_mul_f32_e32 v6, 0x3fb8aa3b, v8
	v_exp_f32_e32 v7, v6
	v_mov_b32_e32 v6, 0x4f800000
	s_mov_b32 s14, 0xf800000
	ds_write_b32 v4, v1 offset:4
	v_add_f32_e32 v7, 1.0, v7
	v_cmp_gt_f32_e32 vcc, s12, v7
	s_nop 1
	v_cndmask_b32_e32 v9, 1.0, v6, vcc
	v_mul_f32_e32 v7, v7, v9
	v_log_f32_e32 v9, v7
	v_mov_b32_e32 v7, 0x41b17218
	v_cndmask_b32_e32 v10, 0, v7, vcc
	v_mul_f32_e32 v11, 0x3f317217, v9
	v_fma_f32 v11, v9, s7, -v11
	v_fmac_f32_e32 v11, 0x3377d1cf, v9
	v_fmac_f32_e32 v11, 0x3f317217, v9
	v_cmp_lt_f32_e64 vcc, |v9|, s13
	s_nop 1
	v_cndmask_b32_e32 v9, v9, v11, vcc
	v_sub_f32_e32 v9, v9, v10
	v_cmp_lt_f32_e32 vcc, s6, v8
	s_nop 1
	v_cndmask_b32_e32 v8, v9, v8, vcc
	v_mul_f32_e32 v9, 0x4f800000, v8
	v_cmp_gt_f32_e32 vcc, s14, v8
	s_nop 1
	v_cndmask_b32_e32 v8, v8, v9, vcc
	v_sqrt_f32_e32 v9, v8
	s_nop 0
	v_add_u32_e32 v1, -1, v9
	v_fma_f32 v10, -v1, v9, v8
	v_cmp_ge_f32_e64 s[4:5], 0, v10
	v_add_u32_e32 v10, 1, v9
	s_nop 0
	v_cndmask_b32_e64 v1, v9, v1, s[4:5]
	v_fma_f32 v9, -v10, v9, v8
	v_cmp_lt_f32_e64 s[4:5], 0, v9
	s_nop 1
	v_cndmask_b32_e64 v1, v1, v10, s[4:5]
	v_mul_f32_e32 v9, 0x37800000, v1
	v_cndmask_b32_e32 v9, v1, v9, vcc
	v_mov_b32_e32 v1, 0x260
	v_cmp_class_f32_e64 s[4:5], v8, v1
	s_and_b64 vcc, exec, s[0:1]
	s_nop 0
	v_cndmask_b32_e64 v8, v9, v8, s[4:5]
	s_cbranch_vccnz .LBB141_10
; %bb.9:
	global_load_dword v9, v0, s[10:11] offset:8
	s_waitcnt vmcnt(0)
	v_add_f32_e32 v8, v8, v9
.LBB141_10:
	ds_read_b32 v9, v4 offset:12
	ds_write_b32 v4, v8 offset:8
	s_waitcnt lgkmcnt(1)
	v_mul_f32_e32 v10, 0x3fb8aa3b, v9
	v_exp_f32_e32 v10, v10
	s_nop 0
	v_add_f32_e32 v10, 1.0, v10
	v_cmp_gt_f32_e32 vcc, s12, v10
	s_nop 1
	v_cndmask_b32_e32 v6, 1.0, v6, vcc
	v_mul_f32_e32 v6, v10, v6
	v_log_f32_e32 v6, v6
	v_cndmask_b32_e32 v7, 0, v7, vcc
	v_mul_f32_e32 v10, 0x3f317217, v6
	v_fma_f32 v10, v6, s7, -v10
	v_fmac_f32_e32 v10, 0x3377d1cf, v6
	v_fmac_f32_e32 v10, 0x3f317217, v6
	v_cmp_lt_f32_e64 vcc, |v6|, s13
	s_nop 1
	v_cndmask_b32_e32 v6, v6, v10, vcc
	v_sub_f32_e32 v6, v6, v7
	v_cmp_lt_f32_e32 vcc, s6, v9
	s_nop 1
	v_cndmask_b32_e32 v6, v6, v9, vcc
	v_mul_f32_e32 v7, 0x4f800000, v6
	v_cmp_gt_f32_e64 s[4:5], s14, v6
	s_and_b64 vcc, exec, s[0:1]
	s_nop 0
	v_cndmask_b32_e64 v6, v6, v7, s[4:5]
	v_sqrt_f32_e32 v7, v6
	s_nop 0
	v_add_u32_e32 v8, -1, v7
	v_add_u32_e32 v9, 1, v7
	v_fma_f32 v10, -v8, v7, v6
	v_fma_f32 v11, -v9, v7, v6
	v_cmp_ge_f32_e64 s[6:7], 0, v10
	s_nop 1
	v_cndmask_b32_e64 v7, v7, v8, s[6:7]
	v_cmp_lt_f32_e64 s[6:7], 0, v11
	s_nop 1
	v_cndmask_b32_e64 v7, v7, v9, s[6:7]
	v_mul_f32_e32 v8, 0x37800000, v7
	v_cndmask_b32_e64 v7, v7, v8, s[4:5]
	v_cmp_class_f32_e64 s[4:5], v6, v1
	s_nop 1
	v_cndmask_b32_e64 v1, v7, v6, s[4:5]
	s_cbranch_vccnz .LBB141_12
; %bb.11:
	global_load_dword v0, v0, s[10:11] offset:12
	s_waitcnt vmcnt(0)
	v_add_f32_e32 v1, v1, v0
.LBB141_12:
	s_load_dwordx4 s[12:15], s[2:3], 0x30
	s_mov_b32 s31, 0
	v_cmp_eq_u32_e64 s[6:7], 0, v3
	ds_write_b32 v4, v1 offset:12
	s_waitcnt lgkmcnt(0)
	s_bitcmp1_b32 s15, 0
	s_cselect_b64 s[4:5], -1, 0
	s_cmp_gt_i32 s12, 0
	s_cselect_b64 s[24:25], -1, 0
	s_and_b64 vcc, exec, s[24:25]
	s_cbranch_vccz .LBB141_33
; %bb.13:
	v_mbcnt_lo_u32_b32 v0, -1, 0
	v_mbcnt_hi_u32_b32 v0, -1, v0
	v_and_b32_e32 v1, 0x78, v0
	v_add_u32_e32 v1, 8, v1
	v_xor_b32_e32 v6, 4, v0
	v_cmp_lt_i32_e32 vcc, v6, v1
	s_load_dwordx4 s[16:19], s[2:3], 0x20
	v_mul_lo_u32 v7, v2, s12
	v_cndmask_b32_e32 v6, v0, v6, vcc
	v_lshlrev_b32_e32 v8, 2, v6
	v_xor_b32_e32 v6, 2, v0
	v_cmp_lt_i32_e32 vcc, v6, v1
	v_mov_b32_e32 v11, 0xc61c4000
	v_mov_b32_e32 v12, v2
	v_cndmask_b32_e32 v6, v0, v6, vcc
	v_lshlrev_b32_e32 v9, 2, v6
	v_xor_b32_e32 v6, 1, v0
	v_cmp_lt_i32_e32 vcc, v6, v1
	s_nop 1
	v_cndmask_b32_e32 v0, v0, v6, vcc
	v_lshlrev_b32_e32 v10, 2, v0
	v_mov_b32_e32 v6, 0
	s_branch .LBB141_15
.LBB141_14:                             ;   in Loop: Header=BB141_15 Depth=1
	s_or_b64 exec, exec, s[2:3]
	s_cmp_eq_u32 s12, s31
	v_add_u32_e32 v12, s30, v12
	s_cbranch_scc1 .LBB141_34
.LBB141_15:                             ; =>This Inner Loop Header: Depth=1
	ds_read_b128 v[14:17], v4
	s_waitcnt lgkmcnt(0)
	v_cmp_gt_f32_e32 vcc, v15, v14
	s_nop 1
	v_cndmask_b32_e32 v1, v14, v15, vcc
	v_cndmask_b32_e64 v0, 0, 1, vcc
	v_cmp_gt_f32_e32 vcc, v16, v1
	s_nop 1
	v_cndmask_b32_e32 v1, v1, v16, vcc
	v_cndmask_b32_e64 v0, v0, 2, vcc
	v_cmp_gt_f32_e32 vcc, v17, v1
	s_nop 1
	v_cndmask_b32_e64 v0, v0, 3, vcc
	v_cndmask_b32_e32 v13, v1, v17, vcc
	ds_bpermute_b32 v1, v8, v13
	v_or_b32_e32 v0, v5, v0
	ds_bpermute_b32 v14, v8, v0
	s_waitcnt lgkmcnt(1)
	v_cmp_lt_f32_e64 s[26:27], v13, v1
	v_cmp_nlt_f32_e32 vcc, v13, v1
	s_and_saveexec_b64 s[28:29], vcc
	s_cbranch_execz .LBB141_17
; %bb.16:                               ;   in Loop: Header=BB141_15 Depth=1
	v_cmp_eq_f32_e32 vcc, v13, v1
	s_waitcnt lgkmcnt(0)
	v_cmp_lt_i32_e64 s[2:3], v14, v0
	s_and_b64 s[2:3], vcc, s[2:3]
	s_andn2_b64 s[26:27], s[26:27], exec
	s_and_b64 s[2:3], s[2:3], exec
	s_or_b64 s[26:27], s[26:27], s[2:3]
.LBB141_17:                             ;   in Loop: Header=BB141_15 Depth=1
	s_or_b64 exec, exec, s[28:29]
	s_and_saveexec_b64 s[2:3], s[26:27]
	s_cbranch_execz .LBB141_19
; %bb.18:                               ;   in Loop: Header=BB141_15 Depth=1
	v_mov_b32_e32 v13, v1
	s_waitcnt lgkmcnt(0)
	v_mov_b32_e32 v0, v14
.LBB141_19:                             ;   in Loop: Header=BB141_15 Depth=1
	s_or_b64 exec, exec, s[2:3]
	ds_bpermute_b32 v1, v9, v13
	s_waitcnt lgkmcnt(1)
	ds_bpermute_b32 v14, v9, v0
	s_waitcnt lgkmcnt(1)
	v_cmp_lt_f32_e64 s[26:27], v13, v1
	v_cmp_nlt_f32_e32 vcc, v13, v1
	s_and_saveexec_b64 s[28:29], vcc
	s_cbranch_execz .LBB141_21
; %bb.20:                               ;   in Loop: Header=BB141_15 Depth=1
	v_cmp_eq_f32_e32 vcc, v13, v1
	s_waitcnt lgkmcnt(0)
	v_cmp_lt_i32_e64 s[2:3], v14, v0
	s_and_b64 s[2:3], vcc, s[2:3]
	s_andn2_b64 s[26:27], s[26:27], exec
	s_and_b64 s[2:3], s[2:3], exec
	s_or_b64 s[26:27], s[26:27], s[2:3]
.LBB141_21:                             ;   in Loop: Header=BB141_15 Depth=1
	s_or_b64 exec, exec, s[28:29]
	s_and_saveexec_b64 s[2:3], s[26:27]
	s_cbranch_execz .LBB141_23
; %bb.22:                               ;   in Loop: Header=BB141_15 Depth=1
	v_mov_b32_e32 v13, v1
	s_waitcnt lgkmcnt(0)
	v_mov_b32_e32 v0, v14
.LBB141_23:                             ;   in Loop: Header=BB141_15 Depth=1
	s_or_b64 exec, exec, s[2:3]
	ds_bpermute_b32 v1, v10, v13
	s_waitcnt lgkmcnt(1)
	ds_bpermute_b32 v14, v10, v0
	s_waitcnt lgkmcnt(1)
	v_cmp_lt_f32_e64 s[26:27], v13, v1
	v_cmp_nlt_f32_e32 vcc, v13, v1
	s_and_saveexec_b64 s[28:29], vcc
	s_cbranch_execnz .LBB141_26
; %bb.24:                               ;   in Loop: Header=BB141_15 Depth=1
	s_or_b64 exec, exec, s[28:29]
	s_and_saveexec_b64 s[2:3], s[26:27]
	s_cbranch_execnz .LBB141_27
.LBB141_25:                             ;   in Loop: Header=BB141_15 Depth=1
	s_or_b64 exec, exec, s[2:3]
	s_and_saveexec_b64 s[26:27], s[6:7]
	s_cbranch_execnz .LBB141_28
	s_branch .LBB141_31
.LBB141_26:                             ;   in Loop: Header=BB141_15 Depth=1
	v_cmp_eq_f32_e32 vcc, v13, v1
	s_waitcnt lgkmcnt(0)
	v_cmp_lt_i32_e64 s[2:3], v14, v0
	s_and_b64 s[2:3], vcc, s[2:3]
	s_andn2_b64 s[26:27], s[26:27], exec
	s_and_b64 s[2:3], s[2:3], exec
	s_or_b64 s[26:27], s[26:27], s[2:3]
	s_or_b64 exec, exec, s[28:29]
	s_and_saveexec_b64 s[2:3], s[26:27]
	s_cbranch_execz .LBB141_25
.LBB141_27:                             ;   in Loop: Header=BB141_15 Depth=1
	s_waitcnt lgkmcnt(0)
	v_mov_b32_e32 v0, v14
	v_mov_b32_e32 v13, v1
	s_or_b64 exec, exec, s[2:3]
	s_and_saveexec_b64 s[26:27], s[6:7]
	s_cbranch_execz .LBB141_31
.LBB141_28:                             ;   in Loop: Header=BB141_15 Depth=1
	s_and_b64 vcc, exec, s[0:1]
	s_cbranch_vccnz .LBB141_30
; %bb.29:                               ;   in Loop: Header=BB141_15 Depth=1
	v_ashrrev_i32_e32 v1, 31, v0
	s_waitcnt lgkmcnt(0)
	v_lshl_add_u64 v[14:15], v[0:1], 2, s[10:11]
	global_load_dword v1, v[14:15], off
	s_waitcnt vmcnt(0)
	v_sub_f32_e32 v13, v13, v1
.LBB141_30:                             ;   in Loop: Header=BB141_15 Depth=1
	s_waitcnt lgkmcnt(0)
	v_add_u32_e32 v14, s31, v7
	v_ashrrev_i32_e32 v15, 31, v14
	v_cmp_le_i32_e32 vcc, s13, v0
	v_cmp_gt_i32_e64 s[2:3], s14, v0
	v_lshlrev_b64 v[16:17], 2, v[14:15]
	s_and_b64 s[2:3], vcc, s[2:3]
	v_lshl_add_u64 v[18:19], s[20:21], 0, v[16:17]
	v_subrev_u32_e32 v1, s13, v0
	global_store_dword v[18:19], v13, off
	v_ashrrev_i32_e32 v18, 31, v1
	s_and_b64 vcc, s[22:23], s[2:3]
	v_cndmask_b32_e32 v19, 0, v18, vcc
	v_cndmask_b32_e32 v18, 32, v1, vcc
	v_lshl_add_u64 v[14:15], v[14:15], 3, s[16:17]
	v_add_f32_e32 v1, v6, v13
	global_store_dwordx2 v[14:15], v[18:19], off
	v_lshl_add_u64 v[14:15], s[18:19], 0, v[16:17]
	v_cndmask_b32_e64 v6, v6, v1, s[4:5]
	global_store_dword v[14:15], v12, off
.LBB141_31:                             ;   in Loop: Header=BB141_15 Depth=1
	s_or_b64 exec, exec, s[26:27]
	v_ashrrev_i32_e32 v13, 31, v0
	v_lshrrev_b32_e32 v1, 30, v13
	v_add_u32_e32 v1, v0, v1
	v_ashrrev_i32_e32 v1, 2, v1
	s_waitcnt lgkmcnt(0)
	v_lshrrev_b32_e32 v14, 29, v1
	v_add_u32_e32 v14, v1, v14
	s_add_i32 s31, s31, 1
	v_and_b32_e32 v14, -8, v14
	s_cmp_lt_i32 s31, s12
	v_sub_u32_e32 v14, v1, v14
	s_cselect_b64 s[2:3], -1, 0
	v_cmp_eq_u32_e32 vcc, v3, v14
	s_and_b64 s[26:27], s[2:3], vcc
	s_and_saveexec_b64 s[2:3], s[26:27]
	s_cbranch_execz .LBB141_14
; %bb.32:                               ;   in Loop: Header=BB141_15 Depth=1
	v_lshrrev_b32_e32 v13, 27, v13
	v_add_u32_e32 v13, v0, v13
	v_lshlrev_b32_e32 v1, 2, v1
	v_ashrrev_i32_e32 v13, 5, v13
	v_sub_u32_e32 v0, v0, v1
	v_lshl_add_u32 v0, v13, 2, v0
	v_lshl_add_u32 v0, v0, 2, v4
	ds_write_b32 v0, v11
	s_branch .LBB141_14
.LBB141_33:
	v_mov_b32_e32 v6, 0
.LBB141_34:
	v_cmp_eq_u32_e32 vcc, 0, v3
	s_and_b64 exec, exec, vcc
	s_cbranch_execz .LBB141_47
; %bb.35:
	s_andn2_b64 vcc, exec, s[4:5]
	v_cvt_f32_f64_e32 v0, s[8:9]
	s_cbranch_vccnz .LBB141_37
; %bb.36:
	v_cmp_lt_f32_e32 vcc, 0, v6
	s_nop 1
	v_cndmask_b32_e32 v1, 1.0, v6, vcc
	v_div_scale_f32 v3, s[0:1], v1, v1, v0
	v_rcp_f32_e32 v4, v3
	s_nop 0
	v_fma_f32 v5, -v3, v4, 1.0
	v_fmac_f32_e32 v4, v5, v4
	v_div_scale_f32 v5, vcc, v0, v1, v0
	v_mul_f32_e32 v6, v5, v4
	v_fma_f32 v7, -v3, v6, v5
	v_fmac_f32_e32 v6, v7, v4
	v_fma_f32 v3, -v3, v6, v5
	v_div_fmas_f32 v3, v3, v4, v6
	v_div_fixup_f32 v0, v3, v1, v0
.LBB141_37:
	s_andn2_b64 vcc, exec, s[24:25]
	s_cbranch_vccnz .LBB141_47
; %bb.38:
	v_mul_lo_u32 v2, v2, s12
	s_cmp_gt_u32 s12, 3
	v_ashrrev_i32_e32 v3, 31, v2
	s_cbranch_scc0 .LBB141_42
; %bb.39:
	s_and_b32 s0, s12, 0x7ffffffc
	v_lshl_add_u64 v[4:5], v[2:3], 2, s[20:21]
	v_mov_b32_e32 v1, v0
	v_lshl_add_u64 v[4:5], v[4:5], 0, 8
	s_mov_b32 s1, s0
.LBB141_40:                             ; =>This Inner Loop Header: Depth=1
	global_load_dwordx4 v[6:9], v[4:5], off offset:-8
	s_add_i32 s1, s1, -4
	s_cmp_lg_u32 s1, 0
	s_waitcnt vmcnt(0)
	v_pk_mul_f32 v[6:7], v[0:1], v[6:7]
	v_pk_mul_f32 v[8:9], v[0:1], v[8:9]
	global_store_dwordx4 v[4:5], v[6:9], off offset:-8
	v_lshl_add_u64 v[4:5], v[4:5], 0, 16
	s_cbranch_scc1 .LBB141_40
; %bb.41:
	s_cmp_lg_u32 s0, s12
	s_cselect_b64 s[2:3], -1, 0
	s_branch .LBB141_44
.LBB141_42:
	s_mov_b64 s[2:3], 0
                                        ; implicit-def: $sgpr0
	s_cbranch_execz .LBB141_44
; %bb.43:
	s_mov_b64 s[2:3], -1
	s_mov_b32 s0, 0
.LBB141_44:
	s_andn2_b64 vcc, exec, s[2:3]
	s_cbranch_vccnz .LBB141_47
; %bb.45:
	s_mov_b32 s1, 0
	v_lshl_add_u64 v[2:3], v[2:3], 0, s[0:1]
	s_sub_i32 s2, s12, s0
	v_lshl_add_u64 v[2:3], v[2:3], 2, s[20:21]
.LBB141_46:                             ; =>This Inner Loop Header: Depth=1
	global_load_dword v1, v[2:3], off
	s_add_i32 s2, s2, -1
	s_cmp_lg_u32 s2, 0
	s_waitcnt vmcnt(0)
	v_mul_f32_e32 v1, v0, v1
	global_store_dword v[2:3], v1, off
	v_lshl_add_u64 v[2:3], v[2:3], 0, 4
	s_cbranch_scc1 .LBB141_46
.LBB141_47:
	s_endpgm
	.section	.rodata,"a",@progbits
	.p2align	6, 0x0
	.amdhsa_kernel _ZN4vllm3moe22topkGatingSoftplusSqrtILi4ELi32ELi4ELi16ELi64ELb0ElfEEvPKT6_PKbPfiPT5_PiiiibdPKfPKS8_SE_
		.amdhsa_group_segment_fixed_size 4096
		.amdhsa_private_segment_fixed_size 0
		.amdhsa_kernarg_size 96
		.amdhsa_user_sgpr_count 4
		.amdhsa_user_sgpr_dispatch_ptr 1
		.amdhsa_user_sgpr_queue_ptr 0
		.amdhsa_user_sgpr_kernarg_segment_ptr 1
		.amdhsa_user_sgpr_dispatch_id 0
		.amdhsa_user_sgpr_kernarg_preload_length 0
		.amdhsa_user_sgpr_kernarg_preload_offset 0
		.amdhsa_user_sgpr_private_segment_size 0
		.amdhsa_uses_dynamic_stack 0
		.amdhsa_enable_private_segment 0
		.amdhsa_system_sgpr_workgroup_id_x 1
		.amdhsa_system_sgpr_workgroup_id_y 0
		.amdhsa_system_sgpr_workgroup_id_z 0
		.amdhsa_system_sgpr_workgroup_info 0
		.amdhsa_system_vgpr_workitem_id 2
		.amdhsa_next_free_vgpr 20
		.amdhsa_next_free_sgpr 32
		.amdhsa_accum_offset 20
		.amdhsa_reserve_vcc 1
		.amdhsa_float_round_mode_32 0
		.amdhsa_float_round_mode_16_64 0
		.amdhsa_float_denorm_mode_32 3
		.amdhsa_float_denorm_mode_16_64 3
		.amdhsa_dx10_clamp 1
		.amdhsa_ieee_mode 1
		.amdhsa_fp16_overflow 0
		.amdhsa_tg_split 0
		.amdhsa_exception_fp_ieee_invalid_op 0
		.amdhsa_exception_fp_denorm_src 0
		.amdhsa_exception_fp_ieee_div_zero 0
		.amdhsa_exception_fp_ieee_overflow 0
		.amdhsa_exception_fp_ieee_underflow 0
		.amdhsa_exception_fp_ieee_inexact 0
		.amdhsa_exception_int_div_zero 0
	.end_amdhsa_kernel
	.section	.text._ZN4vllm3moe22topkGatingSoftplusSqrtILi4ELi32ELi4ELi16ELi64ELb0ElfEEvPKT6_PKbPfiPT5_PiiiibdPKfPKS8_SE_,"axG",@progbits,_ZN4vllm3moe22topkGatingSoftplusSqrtILi4ELi32ELi4ELi16ELi64ELb0ElfEEvPKT6_PKbPfiPT5_PiiiibdPKfPKS8_SE_,comdat
.Lfunc_end141:
	.size	_ZN4vllm3moe22topkGatingSoftplusSqrtILi4ELi32ELi4ELi16ELi64ELb0ElfEEvPKT6_PKbPfiPT5_PiiiibdPKfPKS8_SE_, .Lfunc_end141-_ZN4vllm3moe22topkGatingSoftplusSqrtILi4ELi32ELi4ELi16ELi64ELb0ElfEEvPKT6_PKbPfiPT5_PiiiibdPKfPKS8_SE_
                                        ; -- End function
	.section	.AMDGPU.csdata,"",@progbits
; Kernel info:
; codeLenInByte = 2748
; NumSgprs: 38
; NumVgprs: 20
; NumAgprs: 0
; TotalNumVgprs: 20
; ScratchSize: 0
; MemoryBound: 0
; FloatMode: 240
; IeeeMode: 1
; LDSByteSize: 4096 bytes/workgroup (compile time only)
; SGPRBlocks: 4
; VGPRBlocks: 2
; NumSGPRsForWavesPerEU: 38
; NumVGPRsForWavesPerEU: 20
; AccumOffset: 20
; Occupancy: 8
; WaveLimiterHint : 0
; COMPUTE_PGM_RSRC2:SCRATCH_EN: 0
; COMPUTE_PGM_RSRC2:USER_SGPR: 4
; COMPUTE_PGM_RSRC2:TRAP_HANDLER: 0
; COMPUTE_PGM_RSRC2:TGID_X_EN: 1
; COMPUTE_PGM_RSRC2:TGID_Y_EN: 0
; COMPUTE_PGM_RSRC2:TGID_Z_EN: 0
; COMPUTE_PGM_RSRC2:TIDIG_COMP_CNT: 2
; COMPUTE_PGM_RSRC3_GFX90A:ACCUM_OFFSET: 4
; COMPUTE_PGM_RSRC3_GFX90A:TG_SPLIT: 0
	.section	.text._ZN4vllm3moe22topkGatingSoftplusSqrtILi4ELi32ELi4ELi16ELi32ELb1ElfEEvPKT6_PKbPfiPT5_PiiiibdPKfPKS8_SE_,"axG",@progbits,_ZN4vllm3moe22topkGatingSoftplusSqrtILi4ELi32ELi4ELi16ELi32ELb1ElfEEvPKT6_PKbPfiPT5_PiiiibdPKfPKS8_SE_,comdat
	.protected	_ZN4vllm3moe22topkGatingSoftplusSqrtILi4ELi32ELi4ELi16ELi32ELb1ElfEEvPKT6_PKbPfiPT5_PiiiibdPKfPKS8_SE_ ; -- Begin function _ZN4vllm3moe22topkGatingSoftplusSqrtILi4ELi32ELi4ELi16ELi32ELb1ElfEEvPKT6_PKbPfiPT5_PiiiibdPKfPKS8_SE_
	.globl	_ZN4vllm3moe22topkGatingSoftplusSqrtILi4ELi32ELi4ELi16ELi32ELb1ElfEEvPKT6_PKbPfiPT5_PiiiibdPKfPKS8_SE_
	.p2align	8
	.type	_ZN4vllm3moe22topkGatingSoftplusSqrtILi4ELi32ELi4ELi16ELi32ELb1ElfEEvPKT6_PKbPfiPT5_PiiiibdPKfPKS8_SE_,@function
_ZN4vllm3moe22topkGatingSoftplusSqrtILi4ELi32ELi4ELi16ELi32ELb1ElfEEvPKT6_PKbPfiPT5_PiiiibdPKfPKS8_SE_: ; @_ZN4vllm3moe22topkGatingSoftplusSqrtILi4ELi32ELi4ELi16ELi32ELb1ElfEEvPKT6_PKbPfiPT5_PiiiibdPKfPKS8_SE_
; %bb.0:
	s_load_dword s3, s[0:1], 0x18
	v_bfe_u32 v1, v0, 10, 10
	v_and_b32_e32 v8, 0x3ff, v0
	s_lshl_b32 s2, s2, 4
	v_lshlrev_b32_e32 v1, 2, v1
	v_lshrrev_b32_e32 v0, 3, v8
	v_add3_u32 v2, s2, v1, v0
	s_waitcnt lgkmcnt(0)
	v_cmp_gt_i32_e32 vcc, s3, v2
	s_and_saveexec_b64 s[2:3], vcc
	s_cbranch_execz .LBB142_79
; %bb.1:
	s_load_dwordx4 s[8:11], s[0:1], 0x50
	s_load_dwordx2 s[2:3], s[0:1], 0x0
	s_load_dword s12, s[0:1], 0x30
	v_lshlrev_b32_e32 v0, 5, v2
	v_lshlrev_b32_e32 v3, 2, v8
	v_ashrrev_i32_e32 v1, 31, v0
	v_and_b32_e32 v14, 28, v3
	s_waitcnt lgkmcnt(0)
	v_lshl_add_u64 v[0:1], v[0:1], 2, s[2:3]
	v_lshlrev_b32_e32 v4, 2, v14
	v_mov_b32_e32 v5, 0
	v_lshl_add_u64 v[0:1], v[0:1], 0, v[4:5]
	global_load_dwordx4 v[10:13], v[0:1], off
	v_mov_b32_e32 v6, s8
	v_mov_b32_e32 v7, s9
	v_ashrrev_i32_e32 v3, 31, v2
	v_lshl_add_u64 v[6:7], v[2:3], 3, v[6:7]
	global_load_dwordx2 v[6:7], v[6:7], off
	s_ashr_i32 s13, s12, 31
	s_mov_b32 s6, 0x800000
	v_mov_b32_e32 v3, 0x4f800000
	s_mov_b32 s18, 0x3f317217
	s_mov_b32 s19, 0x7f800000
	v_mov_b32_e32 v4, 0x41b17218
	s_mov_b32 s15, 0x41a00000
	s_mov_b32 s20, 0xf800000
	v_mov_b32_e32 v9, 0x260
	v_cmp_lt_i64_e64 s[16:17], s[12:13], 1
	s_mov_b32 s14, 0
	v_cmp_gt_i64_e64 s[8:9], s[12:13], 0
	v_mul_lo_u32 v2, v2, s12
	s_waitcnt vmcnt(1)
	v_mul_f32_e32 v0, 0x3fb8aa3b, v10
	v_mul_f32_e32 v1, 0x3fb8aa3b, v11
	v_exp_f32_e32 v16, v0
	v_exp_f32_e32 v17, v1
	v_mul_f32_e32 v18, 0x3fb8aa3b, v12
	v_mul_f32_e32 v19, 0x3fb8aa3b, v13
	s_waitcnt vmcnt(0)
	v_mul_lo_u32 v7, v7, s12
	v_mul_lo_u32 v15, v6, s13
	v_exp_f32_e32 v18, v18
	v_exp_f32_e32 v19, v19
	v_mad_u64_u32 v[0:1], s[2:3], v6, s12, 0
	v_add3_u32 v1, v1, v15, v7
	v_pk_add_f32 v[6:7], v[16:17], 1.0 op_sel_hi:[1,0]
	v_pk_add_f32 v[16:17], v[18:19], 1.0 op_sel_hi:[1,0]
	v_cmp_gt_f32_e32 vcc, s6, v7
	v_cmp_gt_f32_e64 s[2:3], s6, v6
	v_cmp_gt_f32_e64 s[4:5], s6, v17
	v_cndmask_b32_e32 v15, 1.0, v3, vcc
	v_cndmask_b32_e64 v18, 1.0, v3, s[2:3]
	v_mul_f32_e32 v7, v7, v15
	v_mul_f32_e32 v6, v6, v18
	v_log_f32_e32 v7, v7
	v_log_f32_e32 v6, v6
	v_cndmask_b32_e64 v19, 1.0, v3, s[4:5]
	v_cmp_gt_f32_e64 s[6:7], s6, v16
	v_mul_f32_e32 v17, v17, v19
	v_mul_f32_e32 v20, 0x3f317217, v6
	v_cndmask_b32_e64 v3, 1.0, v3, s[6:7]
	v_mul_f32_e32 v3, v16, v3
	v_log_f32_e32 v16, v17
	v_mul_f32_e32 v17, 0x3f317217, v7
	v_fma_f32 v17, v7, s18, -v17
	v_fma_f32 v20, v6, s18, -v20
	v_fmac_f32_e32 v17, 0x3377d1cf, v7
	v_cndmask_b32_e32 v15, 0, v4, vcc
	v_fmac_f32_e32 v20, 0x3377d1cf, v6
	v_fmac_f32_e32 v17, 0x3f317217, v7
	v_cmp_lt_f32_e64 vcc, |v7|, s19
	v_fmac_f32_e32 v20, 0x3f317217, v6
	v_cndmask_b32_e64 v18, 0, v4, s[2:3]
	v_cndmask_b32_e32 v7, v7, v17, vcc
	v_cmp_lt_f32_e64 vcc, |v6|, s19
	v_sub_f32_e32 v7, v7, v15
	v_mul_f32_e32 v21, 0x3f317217, v16
	v_cndmask_b32_e32 v6, v6, v20, vcc
	v_sub_f32_e32 v6, v6, v18
	v_cmp_lt_f32_e32 vcc, s15, v10
	v_fma_f32 v21, v16, s18, -v21
	v_fmac_f32_e32 v21, 0x3377d1cf, v16
	v_cndmask_b32_e32 v6, v6, v10, vcc
	v_cmp_lt_f32_e32 vcc, s15, v11
	v_cmp_gt_f32_e64 s[2:3], s20, v6
	v_cndmask_b32_e64 v19, 0, v4, s[4:5]
	v_cndmask_b32_e32 v7, v7, v11, vcc
	v_mul_f32_e32 v10, 0x4f800000, v7
	v_cmp_gt_f32_e32 vcc, s20, v7
	v_mul_f32_e32 v11, 0x4f800000, v6
	v_cndmask_b32_e64 v6, v6, v11, s[2:3]
	v_cndmask_b32_e32 v7, v7, v10, vcc
	v_sqrt_f32_e32 v10, v7
	v_sqrt_f32_e32 v11, v6
	v_fmac_f32_e32 v21, 0x3f317217, v16
	v_cmp_lt_f32_e64 s[4:5], |v16|, s19
	v_add_u32_e32 v17, 1, v10
	v_add_u32_e32 v18, -1, v11
	v_cndmask_b32_e64 v15, v16, v21, s[4:5]
	v_add_u32_e32 v16, -1, v10
	v_fma_f32 v21, -v16, v10, v7
	v_fma_f32 v23, -v18, v11, v6
	v_cmp_ge_f32_e64 s[4:5], 0, v21
	v_add_u32_e32 v20, 1, v11
	v_fma_f32 v22, -v17, v10, v7
	v_cndmask_b32_e64 v10, v10, v16, s[4:5]
	v_cmp_ge_f32_e64 s[4:5], 0, v23
	v_log_f32_e32 v3, v3
	v_fma_f32 v24, -v20, v11, v6
	v_cndmask_b32_e64 v11, v11, v18, s[4:5]
	v_cmp_lt_f32_e64 s[4:5], 0, v22
	v_cndmask_b32_e64 v4, 0, v4, s[6:7]
	s_nop 0
	v_cndmask_b32_e64 v10, v10, v17, s[4:5]
	v_cmp_lt_f32_e64 s[4:5], 0, v24
	v_mul_f32_e32 v16, 0x37800000, v10
	v_cndmask_b32_e32 v10, v10, v16, vcc
	v_cndmask_b32_e64 v11, v11, v20, s[4:5]
	v_mul_f32_e32 v17, 0x37800000, v11
	v_cmp_class_f32_e32 vcc, v7, v9
	v_cndmask_b32_e64 v16, v11, v17, s[2:3]
	v_cmp_lt_f32_e64 s[2:3], s15, v12
	v_cndmask_b32_e32 v11, v10, v7, vcc
	v_mul_f32_e32 v7, 0x3f317217, v3
	v_fma_f32 v7, v3, s18, -v7
	v_cmp_class_f32_e32 vcc, v6, v9
	v_fmac_f32_e32 v7, 0x3377d1cf, v3
	v_fmac_f32_e32 v7, 0x3f317217, v3
	v_cndmask_b32_e32 v10, v16, v6, vcc
	v_cmp_lt_f32_e64 vcc, |v3|, s19
	v_sub_f32_e32 v6, v15, v19
	s_nop 0
	v_cndmask_b32_e32 v3, v3, v7, vcc
	v_cmp_lt_f32_e32 vcc, s15, v13
	v_sub_f32_e32 v3, v3, v4
	v_cndmask_b32_e64 v3, v3, v12, s[2:3]
	v_cndmask_b32_e32 v6, v6, v13, vcc
	v_mul_f32_e32 v7, 0x4f800000, v6
	v_cmp_gt_f32_e32 vcc, s20, v6
	s_nop 1
	v_cndmask_b32_e32 v6, v6, v7, vcc
	v_sqrt_f32_e32 v7, v6
	s_nop 0
	v_add_u32_e32 v4, -1, v7
	v_fma_f32 v12, -v4, v7, v6
	v_cmp_ge_f32_e64 s[2:3], 0, v12
	v_add_u32_e32 v12, 1, v7
	s_nop 0
	v_cndmask_b32_e64 v4, v7, v4, s[2:3]
	v_fma_f32 v7, -v12, v7, v6
	v_cmp_lt_f32_e64 s[2:3], 0, v7
	s_nop 1
	v_cndmask_b32_e64 v4, v4, v12, s[2:3]
	v_mul_f32_e32 v12, 0x4f800000, v3
	v_cmp_gt_f32_e64 s[2:3], s20, v3
	v_mul_f32_e32 v7, 0x37800000, v4
	v_cndmask_b32_e32 v4, v4, v7, vcc
	v_cndmask_b32_e64 v3, v3, v12, s[2:3]
	v_sqrt_f32_e32 v12, v3
	v_cmp_class_f32_e32 vcc, v6, v9
	s_nop 1
	v_cndmask_b32_e32 v13, v4, v6, vcc
	v_add_u32_e32 v4, -1, v12
	v_fma_f32 v6, -v4, v12, v3
	v_cmp_ge_f32_e32 vcc, 0, v6
	v_add_u32_e32 v6, 1, v12
	v_fma_f32 v7, -v6, v12, v3
	v_cndmask_b32_e32 v4, v12, v4, vcc
	v_cmp_lt_f32_e32 vcc, 0, v7
	s_nop 1
	v_cndmask_b32_e32 v4, v4, v6, vcc
	v_mul_f32_e32 v6, 0x37800000, v4
	v_cndmask_b32_e64 v4, v4, v6, s[2:3]
	v_cmp_class_f32_e32 vcc, v3, v9
	s_nop 1
	v_cndmask_b32_e32 v12, v4, v3, vcc
	s_and_b64 vcc, exec, s[16:17]
	scratch_store_dwordx4 off, v[10:13], off
	s_cbranch_vccnz .LBB142_28
; %bb.2:
	s_load_dwordx2 s[4:5], s[0:1], 0x20
	v_lshl_add_u64 v[6:7], v[0:1], 3, s[10:11]
	s_cmp_lt_u32 s12, 4
	v_and_b32_e32 v4, 7, v8
	s_cbranch_scc1 .LBB142_21
; %bb.3:
	v_lshlrev_b32_e32 v5, 2, v4
	s_mov_b32 s7, 0
	s_and_b32 s14, s12, 0x7ffffffc
	v_ashrrev_i32_e32 v3, 31, v2
	v_sub_u32_e32 v15, 0, v5
	v_mov_b32_e32 v5, 0
	s_mov_b32 s6, s7
	s_branch .LBB142_5
.LBB142_4:                              ;   in Loop: Header=BB142_5 Depth=1
	s_or_b64 exec, exec, s[16:17]
	s_add_i32 s6, s6, 4
	s_cmp_eq_u32 s6, s14
	s_cbranch_scc1 .LBB142_21
.LBB142_5:                              ; =>This Loop Header: Depth=1
                                        ;     Child Loop BB142_7 Depth 2
                                        ;     Child Loop BB142_11 Depth 2
	;; [unrolled: 1-line block ×4, first 2 shown]
	v_lshl_add_u64 v[8:9], s[6:7], 3, v[6:7]
	global_load_dwordx2 v[10:11], v[8:9], off
	v_add_u32_e32 v12, s6, v2
	v_ashrrev_i32_e32 v13, 31, v12
	v_mov_b32_e32 v16, 0
	s_mov_b64 s[16:17], 0
	s_waitcnt lgkmcnt(0)
	v_lshl_add_u64 v[12:13], v[12:13], 3, s[4:5]
	s_mov_b32 s13, 0
	s_waitcnt vmcnt(0)
	v_ashrrev_i32_e32 v11, 31, v10
	v_add_u32_e32 v17, v15, v10
	s_branch .LBB142_7
.LBB142_6:                              ;   in Loop: Header=BB142_7 Depth=2
	s_or_b64 exec, exec, s[18:19]
	s_add_i32 s15, s13, 1
	s_cmp_gt_u32 s13, 2
	s_cselect_b64 s[2:3], -1, 0
	s_xor_b64 s[18:19], vcc, -1
	s_or_b64 s[2:3], s[18:19], s[2:3]
	s_and_b64 s[2:3], exec, s[2:3]
	v_add_u32_e32 v16, 4, v16
	s_or_b64 s[16:17], s[2:3], s[16:17]
	s_mov_b32 s13, s15
	s_andn2_b64 exec, exec, s[16:17]
	s_cbranch_execz .LBB142_9
.LBB142_7:                              ;   Parent Loop BB142_5 Depth=1
                                        ; =>  This Inner Loop Header: Depth=2
	v_cmp_ne_u32_e32 vcc, s13, v17
	v_cmp_eq_u32_e64 s[2:3], s13, v17
	s_and_saveexec_b64 s[18:19], s[2:3]
	s_cbranch_execz .LBB142_6
; %bb.8:                                ;   in Loop: Header=BB142_7 Depth=2
	scratch_load_dword v18, v16, off
	s_waitcnt vmcnt(0)
	v_add_f32_e32 v5, v5, v18
	global_store_dwordx2 v[12:13], v[10:11], off
	s_branch .LBB142_6
.LBB142_9:                              ;   in Loop: Header=BB142_5 Depth=1
	s_or_b64 exec, exec, s[16:17]
	global_load_dwordx2 v[12:13], v[8:9], off offset:8
	s_ashr_i32 s3, s6, 31
	s_mov_b32 s2, s6
	v_lshl_add_u64 v[10:11], s[2:3], 0, v[2:3]
	v_mov_b32_e32 v16, 0
	s_mov_b32 s13, 0
	v_lshl_add_u64 v[10:11], v[10:11], 3, s[4:5]
	s_mov_b64 s[16:17], 0
	s_waitcnt vmcnt(0)
	v_ashrrev_i32_e32 v13, 31, v12
	v_add_u32_e32 v17, v15, v12
	s_branch .LBB142_11
.LBB142_10:                             ;   in Loop: Header=BB142_11 Depth=2
	s_or_b64 exec, exec, s[18:19]
	s_add_i32 s15, s13, 1
	s_cmp_gt_u32 s13, 2
	s_cselect_b64 s[2:3], -1, 0
	s_xor_b64 s[18:19], vcc, -1
	s_or_b64 s[2:3], s[18:19], s[2:3]
	s_and_b64 s[2:3], exec, s[2:3]
	v_add_u32_e32 v16, 4, v16
	s_or_b64 s[16:17], s[2:3], s[16:17]
	s_mov_b32 s13, s15
	s_andn2_b64 exec, exec, s[16:17]
	s_cbranch_execz .LBB142_13
.LBB142_11:                             ;   Parent Loop BB142_5 Depth=1
                                        ; =>  This Inner Loop Header: Depth=2
	v_cmp_ne_u32_e32 vcc, s13, v17
	v_cmp_eq_u32_e64 s[2:3], s13, v17
	s_and_saveexec_b64 s[18:19], s[2:3]
	s_cbranch_execz .LBB142_10
; %bb.12:                               ;   in Loop: Header=BB142_11 Depth=2
	scratch_load_dword v18, v16, off
	s_waitcnt vmcnt(0)
	v_add_f32_e32 v5, v5, v18
	global_store_dwordx2 v[10:11], v[12:13], off offset:8
	s_branch .LBB142_10
.LBB142_13:                             ;   in Loop: Header=BB142_5 Depth=1
	s_or_b64 exec, exec, s[16:17]
	global_load_dwordx2 v[12:13], v[8:9], off offset:16
	v_mov_b32_e32 v16, 0
	s_mov_b32 s13, 0
	s_mov_b64 s[16:17], 0
	s_waitcnt vmcnt(0)
	v_ashrrev_i32_e32 v13, 31, v12
	v_add_u32_e32 v17, v15, v12
	s_branch .LBB142_15
.LBB142_14:                             ;   in Loop: Header=BB142_15 Depth=2
	s_or_b64 exec, exec, s[18:19]
	s_add_i32 s15, s13, 1
	s_cmp_gt_u32 s13, 2
	s_cselect_b64 s[2:3], -1, 0
	s_xor_b64 s[18:19], vcc, -1
	s_or_b64 s[2:3], s[18:19], s[2:3]
	s_and_b64 s[2:3], exec, s[2:3]
	v_add_u32_e32 v16, 4, v16
	s_or_b64 s[16:17], s[2:3], s[16:17]
	s_mov_b32 s13, s15
	s_andn2_b64 exec, exec, s[16:17]
	s_cbranch_execz .LBB142_17
.LBB142_15:                             ;   Parent Loop BB142_5 Depth=1
                                        ; =>  This Inner Loop Header: Depth=2
	v_cmp_ne_u32_e32 vcc, s13, v17
	v_cmp_eq_u32_e64 s[2:3], s13, v17
	s_and_saveexec_b64 s[18:19], s[2:3]
	s_cbranch_execz .LBB142_14
; %bb.16:                               ;   in Loop: Header=BB142_15 Depth=2
	scratch_load_dword v18, v16, off
	s_waitcnt vmcnt(0)
	v_add_f32_e32 v5, v5, v18
	global_store_dwordx2 v[10:11], v[12:13], off offset:16
	s_branch .LBB142_14
.LBB142_17:                             ;   in Loop: Header=BB142_5 Depth=1
	s_or_b64 exec, exec, s[16:17]
	global_load_dwordx2 v[8:9], v[8:9], off offset:24
	v_mov_b32_e32 v12, 0
	s_mov_b32 s13, 0
	s_mov_b64 s[16:17], 0
	s_waitcnt vmcnt(0)
	v_ashrrev_i32_e32 v9, 31, v8
	v_add_u32_e32 v13, v15, v8
	s_branch .LBB142_19
.LBB142_18:                             ;   in Loop: Header=BB142_19 Depth=2
	s_or_b64 exec, exec, s[18:19]
	s_add_i32 s15, s13, 1
	s_cmp_gt_u32 s13, 2
	s_cselect_b64 s[2:3], -1, 0
	s_xor_b64 s[18:19], vcc, -1
	s_or_b64 s[2:3], s[18:19], s[2:3]
	s_and_b64 s[2:3], exec, s[2:3]
	v_add_u32_e32 v12, 4, v12
	s_or_b64 s[16:17], s[2:3], s[16:17]
	s_mov_b32 s13, s15
	s_andn2_b64 exec, exec, s[16:17]
	s_cbranch_execz .LBB142_4
.LBB142_19:                             ;   Parent Loop BB142_5 Depth=1
                                        ; =>  This Inner Loop Header: Depth=2
	v_cmp_ne_u32_e32 vcc, s13, v13
	v_cmp_eq_u32_e64 s[2:3], s13, v13
	s_and_saveexec_b64 s[18:19], s[2:3]
	s_cbranch_execz .LBB142_18
; %bb.20:                               ;   in Loop: Header=BB142_19 Depth=2
	scratch_load_dword v16, v12, off
	s_waitcnt vmcnt(0)
	v_add_f32_e32 v5, v5, v16
	global_store_dwordx2 v[10:11], v[8:9], off offset:24
	s_branch .LBB142_18
.LBB142_21:
	s_and_b32 s13, s12, 3
	s_cmp_eq_u32 s13, 0
	s_mov_b32 s15, 0
	s_cbranch_scc1 .LBB142_28
; %bb.22:
	v_lshlrev_b32_e32 v3, 2, v4
	v_sub_u32_e32 v3, 0, v3
	s_mov_b32 s18, s15
	s_branch .LBB142_24
.LBB142_23:                             ;   in Loop: Header=BB142_24 Depth=1
	s_or_b64 exec, exec, s[6:7]
	s_add_i32 s14, s14, 1
	s_add_i32 s18, s18, 1
	s_cmp_lg_u32 s18, s13
	s_cbranch_scc0 .LBB142_28
.LBB142_24:                             ; =>This Loop Header: Depth=1
                                        ;     Child Loop BB142_26 Depth 2
	v_lshl_add_u64 v[8:9], s[14:15], 3, v[6:7]
	global_load_dwordx2 v[8:9], v[8:9], off
	v_add_u32_e32 v10, s14, v2
	v_ashrrev_i32_e32 v11, 31, v10
	v_mov_b32_e32 v4, 0
	s_mov_b32 s19, 0
	s_waitcnt lgkmcnt(0)
	v_lshl_add_u64 v[10:11], v[10:11], 3, s[4:5]
	s_mov_b64 s[6:7], 0
	s_waitcnt vmcnt(0)
	v_ashrrev_i32_e32 v9, 31, v8
	v_add_u32_e32 v12, v3, v8
	s_branch .LBB142_26
.LBB142_25:                             ;   in Loop: Header=BB142_26 Depth=2
	s_or_b64 exec, exec, s[16:17]
	s_add_i32 s20, s19, 1
	s_cmp_gt_u32 s19, 2
	s_cselect_b64 s[2:3], -1, 0
	s_xor_b64 s[16:17], vcc, -1
	s_or_b64 s[2:3], s[16:17], s[2:3]
	s_and_b64 s[2:3], exec, s[2:3]
	v_add_u32_e32 v4, 4, v4
	s_or_b64 s[6:7], s[2:3], s[6:7]
	s_mov_b32 s19, s20
	s_andn2_b64 exec, exec, s[6:7]
	s_cbranch_execz .LBB142_23
.LBB142_26:                             ;   Parent Loop BB142_24 Depth=1
                                        ; =>  This Inner Loop Header: Depth=2
	v_cmp_ne_u32_e32 vcc, s19, v12
	v_cmp_eq_u32_e64 s[2:3], s19, v12
	s_and_saveexec_b64 s[16:17], s[2:3]
	s_cbranch_execz .LBB142_25
; %bb.27:                               ;   in Loop: Header=BB142_26 Depth=2
	scratch_load_dword v13, v4, off
	s_waitcnt vmcnt(0)
	v_add_f32_e32 v5, v5, v13
	global_store_dwordx2 v[10:11], v[8:9], off
	s_branch .LBB142_25
.LBB142_28:
	s_waitcnt lgkmcnt(0)
	s_load_dword s4, s[0:1], 0x3c
	s_waitcnt lgkmcnt(0)
	s_bitcmp1_b32 s4, 0
	s_cselect_b64 s[2:3], -1, 0
	s_bitcmp0_b32 s4, 0
	s_cbranch_scc0 .LBB142_31
; %bb.29:
	s_load_dwordx2 s[4:5], s[0:1], 0x40
	s_andn2_b64 vcc, exec, s[2:3]
	s_waitcnt lgkmcnt(0)
	v_cvt_f32_f64_e32 v8, s[4:5]
	s_cbranch_vccz .LBB142_32
.LBB142_30:
	s_andn2_b64 vcc, exec, s[8:9]
	s_cbranch_vccz .LBB142_33
	s_branch .LBB142_79
.LBB142_31:
	v_mbcnt_lo_u32_b32 v3, -1, 0
	v_mbcnt_hi_u32_b32 v3, -1, v3
	v_and_b32_e32 v4, 0x78, v3
	v_add_u32_e32 v4, 8, v4
	v_xor_b32_e32 v6, 4, v3
	v_cmp_lt_i32_e32 vcc, v6, v4
	v_xor_b32_e32 v7, 2, v3
	s_nop 0
	v_cndmask_b32_e32 v6, v3, v6, vcc
	v_lshlrev_b32_e32 v6, 2, v6
	ds_bpermute_b32 v6, v6, v5
	v_cmp_lt_i32_e32 vcc, v7, v4
	s_waitcnt lgkmcnt(0)
	v_add_f32_e32 v5, v5, v6
	v_cndmask_b32_e32 v6, v3, v7, vcc
	v_lshlrev_b32_e32 v6, 2, v6
	ds_bpermute_b32 v6, v6, v5
	v_xor_b32_e32 v7, 1, v3
	v_cmp_lt_i32_e32 vcc, v7, v4
	s_waitcnt lgkmcnt(0)
	v_add_f32_e32 v5, v5, v6
	v_cndmask_b32_e32 v3, v3, v7, vcc
	v_lshlrev_b32_e32 v3, 2, v3
	ds_bpermute_b32 v3, v3, v5
	s_waitcnt lgkmcnt(0)
	v_add_f32_e32 v5, v5, v3
	s_load_dwordx2 s[4:5], s[0:1], 0x40
	s_andn2_b64 vcc, exec, s[2:3]
	s_waitcnt lgkmcnt(0)
	v_cvt_f32_f64_e32 v8, s[4:5]
	s_cbranch_vccnz .LBB142_30
.LBB142_32:
	v_cmp_lt_f32_e32 vcc, 0, v5
	s_nop 1
	v_cndmask_b32_e32 v3, 1.0, v5, vcc
	v_div_scale_f32 v4, s[2:3], v3, v3, v8
	v_rcp_f32_e32 v5, v4
	s_nop 0
	v_fma_f32 v6, -v4, v5, 1.0
	v_fmac_f32_e32 v5, v6, v5
	v_div_scale_f32 v6, vcc, v8, v3, v8
	v_mul_f32_e32 v7, v6, v5
	v_fma_f32 v9, -v4, v7, v6
	v_fmac_f32_e32 v7, v9, v5
	v_fma_f32 v4, -v4, v7, v6
	v_div_fmas_f32 v4, v4, v5, v7
	v_div_fixup_f32 v8, v4, v3, v8
	s_andn2_b64 vcc, exec, s[8:9]
	s_cbranch_vccnz .LBB142_79
.LBB142_33:
	s_load_dwordx2 s[4:5], s[0:1], 0x10
	v_mov_b32_e32 v3, 0
	v_or_b32_e32 v9, 4, v3
	v_or_b32_e32 v10, 8, v3
	;; [unrolled: 1-line block ×6, first 2 shown]
	s_cmp_lt_u32 s12, 4
	s_mov_b32 s6, 0
	s_cbranch_scc1 .LBB142_68
; %bb.34:
	v_ashrrev_i32_e32 v3, 31, v2
	s_waitcnt lgkmcnt(0)
	v_lshl_add_u64 v[4:5], v[2:3], 2, s[4:5]
	v_lshl_add_u64 v[6:7], v[0:1], 3, s[10:11]
	s_and_b32 s6, s12, 0x7ffffffc
	v_lshl_add_u64 v[4:5], v[4:5], 0, 12
	v_lshl_add_u64 v[6:7], v[6:7], 0, 16
	s_mov_b32 s7, 0
	s_branch .LBB142_36
.LBB142_35:                             ;   in Loop: Header=BB142_36 Depth=1
	s_or_b64 exec, exec, s[2:3]
	s_add_i32 s7, s7, 4
	v_lshl_add_u64 v[4:5], v[4:5], 0, 16
	s_cmp_eq_u32 s6, s7
	v_lshl_add_u64 v[6:7], v[6:7], 0, 32
	s_cbranch_scc1 .LBB142_68
.LBB142_36:                             ; =>This Inner Loop Header: Depth=1
	global_load_dword v16, v[6:7], off offset:-16
	v_mov_b32_e32 v3, 0
	s_waitcnt vmcnt(0)
	v_cmp_eq_u32_e32 vcc, v14, v16
	v_cmp_ne_u32_e64 s[0:1], v14, v16
	s_and_saveexec_b64 s[8:9], s[0:1]
	s_cbranch_execz .LBB142_42
; %bb.37:                               ;   in Loop: Header=BB142_36 Depth=1
	v_cmp_eq_u32_e64 s[0:1], v12, v16
	v_cmp_ne_u32_e64 s[2:3], v12, v16
	v_mov_b32_e32 v3, v9
	s_and_saveexec_b64 s[14:15], s[2:3]
	s_cbranch_execz .LBB142_41
; %bb.38:                               ;   in Loop: Header=BB142_36 Depth=1
	v_cmp_eq_u32_e64 s[16:17], v13, v16
	v_cmp_ne_u32_e64 s[2:3], v13, v16
	v_mov_b32_e32 v3, v10
	s_and_saveexec_b64 s[18:19], s[2:3]
	s_xor_b64 s[18:19], exec, s[18:19]
; %bb.39:                               ;   in Loop: Header=BB142_36 Depth=1
	v_cmp_eq_u32_e64 s[2:3], v15, v16
	s_andn2_b64 s[16:17], s[16:17], exec
	s_and_b64 s[2:3], s[2:3], exec
	s_or_b64 s[16:17], s[16:17], s[2:3]
	v_mov_b32_e32 v3, v11
; %bb.40:                               ;   in Loop: Header=BB142_36 Depth=1
	s_or_b64 exec, exec, s[18:19]
	s_andn2_b64 s[0:1], s[0:1], exec
	s_and_b64 s[2:3], s[16:17], exec
	s_or_b64 s[0:1], s[0:1], s[2:3]
.LBB142_41:                             ;   in Loop: Header=BB142_36 Depth=1
	s_or_b64 exec, exec, s[14:15]
	s_andn2_b64 s[2:3], vcc, exec
	s_and_b64 s[0:1], s[0:1], exec
	s_or_b64 vcc, s[2:3], s[0:1]
.LBB142_42:                             ;   in Loop: Header=BB142_36 Depth=1
	s_or_b64 exec, exec, s[8:9]
	s_and_saveexec_b64 s[0:1], vcc
	s_cbranch_execz .LBB142_44
; %bb.43:                               ;   in Loop: Header=BB142_36 Depth=1
	scratch_load_dword v3, v3, off
	v_add_u32_e32 v16, s7, v2
	v_ashrrev_i32_e32 v17, 31, v16
	v_lshl_add_u64 v[16:17], v[16:17], 2, s[4:5]
	s_waitcnt vmcnt(0)
	v_mul_f32_e32 v3, v8, v3
	global_store_dword v[16:17], v3, off
.LBB142_44:                             ;   in Loop: Header=BB142_36 Depth=1
	s_or_b64 exec, exec, s[0:1]
	global_load_dword v16, v[6:7], off offset:-8
	v_mov_b32_e32 v3, 0
	s_waitcnt vmcnt(0)
	v_cmp_eq_u32_e64 s[0:1], v14, v16
	v_cmp_ne_u32_e32 vcc, v14, v16
	s_and_saveexec_b64 s[2:3], vcc
	s_cbranch_execz .LBB142_50
; %bb.45:                               ;   in Loop: Header=BB142_36 Depth=1
	v_cmp_eq_u32_e64 s[8:9], v12, v16
	v_cmp_ne_u32_e32 vcc, v12, v16
	v_mov_b32_e32 v3, v9
	s_and_saveexec_b64 s[14:15], vcc
	s_cbranch_execz .LBB142_49
; %bb.46:                               ;   in Loop: Header=BB142_36 Depth=1
	v_cmp_eq_u32_e64 s[16:17], v13, v16
	v_cmp_ne_u32_e32 vcc, v13, v16
	v_mov_b32_e32 v3, v10
	s_and_saveexec_b64 s[18:19], vcc
; %bb.47:                               ;   in Loop: Header=BB142_36 Depth=1
	v_cmp_eq_u32_e32 vcc, v15, v16
	s_andn2_b64 s[16:17], s[16:17], exec
	s_and_b64 s[20:21], vcc, exec
	s_or_b64 s[16:17], s[16:17], s[20:21]
	v_mov_b32_e32 v3, v11
; %bb.48:                               ;   in Loop: Header=BB142_36 Depth=1
	s_or_b64 exec, exec, s[18:19]
	s_andn2_b64 s[8:9], s[8:9], exec
	s_and_b64 s[16:17], s[16:17], exec
	s_or_b64 s[8:9], s[8:9], s[16:17]
.LBB142_49:                             ;   in Loop: Header=BB142_36 Depth=1
	s_or_b64 exec, exec, s[14:15]
	s_andn2_b64 s[0:1], s[0:1], exec
	s_and_b64 s[8:9], s[8:9], exec
	s_or_b64 s[0:1], s[0:1], s[8:9]
.LBB142_50:                             ;   in Loop: Header=BB142_36 Depth=1
	s_or_b64 exec, exec, s[2:3]
	s_and_saveexec_b64 s[2:3], s[0:1]
	s_cbranch_execz .LBB142_52
; %bb.51:                               ;   in Loop: Header=BB142_36 Depth=1
	scratch_load_dword v3, v3, off
	s_waitcnt vmcnt(0)
	v_mul_f32_e32 v3, v8, v3
	global_store_dword v[4:5], v3, off offset:-8
.LBB142_52:                             ;   in Loop: Header=BB142_36 Depth=1
	s_or_b64 exec, exec, s[2:3]
	global_load_dword v16, v[6:7], off
	v_mov_b32_e32 v3, 0
	s_waitcnt vmcnt(0)
	v_cmp_eq_u32_e64 s[0:1], v14, v16
	v_cmp_ne_u32_e32 vcc, v14, v16
	s_and_saveexec_b64 s[2:3], vcc
	s_cbranch_execz .LBB142_58
; %bb.53:                               ;   in Loop: Header=BB142_36 Depth=1
	v_cmp_eq_u32_e64 s[8:9], v12, v16
	v_cmp_ne_u32_e32 vcc, v12, v16
	v_mov_b32_e32 v3, v9
	s_and_saveexec_b64 s[14:15], vcc
	s_cbranch_execz .LBB142_57
; %bb.54:                               ;   in Loop: Header=BB142_36 Depth=1
	v_cmp_eq_u32_e64 s[16:17], v13, v16
	v_cmp_ne_u32_e32 vcc, v13, v16
	v_mov_b32_e32 v3, v10
	s_and_saveexec_b64 s[18:19], vcc
; %bb.55:                               ;   in Loop: Header=BB142_36 Depth=1
	v_cmp_eq_u32_e32 vcc, v15, v16
	s_andn2_b64 s[16:17], s[16:17], exec
	s_and_b64 s[20:21], vcc, exec
	s_or_b64 s[16:17], s[16:17], s[20:21]
	v_mov_b32_e32 v3, v11
; %bb.56:                               ;   in Loop: Header=BB142_36 Depth=1
	s_or_b64 exec, exec, s[18:19]
	s_andn2_b64 s[8:9], s[8:9], exec
	s_and_b64 s[16:17], s[16:17], exec
	s_or_b64 s[8:9], s[8:9], s[16:17]
.LBB142_57:                             ;   in Loop: Header=BB142_36 Depth=1
	s_or_b64 exec, exec, s[14:15]
	s_andn2_b64 s[0:1], s[0:1], exec
	s_and_b64 s[8:9], s[8:9], exec
	s_or_b64 s[0:1], s[0:1], s[8:9]
.LBB142_58:                             ;   in Loop: Header=BB142_36 Depth=1
	s_or_b64 exec, exec, s[2:3]
	s_and_saveexec_b64 s[2:3], s[0:1]
	s_cbranch_execz .LBB142_60
; %bb.59:                               ;   in Loop: Header=BB142_36 Depth=1
	scratch_load_dword v3, v3, off
	s_waitcnt vmcnt(0)
	v_mul_f32_e32 v3, v8, v3
	global_store_dword v[4:5], v3, off offset:-4
.LBB142_60:                             ;   in Loop: Header=BB142_36 Depth=1
	s_or_b64 exec, exec, s[2:3]
	global_load_dword v16, v[6:7], off offset:8
	v_mov_b32_e32 v3, 0
	s_waitcnt vmcnt(0)
	v_cmp_eq_u32_e64 s[0:1], v14, v16
	v_cmp_ne_u32_e32 vcc, v14, v16
	s_and_saveexec_b64 s[2:3], vcc
	s_cbranch_execz .LBB142_66
; %bb.61:                               ;   in Loop: Header=BB142_36 Depth=1
	v_cmp_eq_u32_e64 s[8:9], v12, v16
	v_cmp_ne_u32_e32 vcc, v12, v16
	v_mov_b32_e32 v3, v9
	s_and_saveexec_b64 s[14:15], vcc
	s_cbranch_execz .LBB142_65
; %bb.62:                               ;   in Loop: Header=BB142_36 Depth=1
	v_cmp_eq_u32_e64 s[16:17], v13, v16
	v_cmp_ne_u32_e32 vcc, v13, v16
	v_mov_b32_e32 v3, v10
	s_and_saveexec_b64 s[18:19], vcc
; %bb.63:                               ;   in Loop: Header=BB142_36 Depth=1
	v_cmp_eq_u32_e32 vcc, v15, v16
	s_andn2_b64 s[16:17], s[16:17], exec
	s_and_b64 s[20:21], vcc, exec
	s_or_b64 s[16:17], s[16:17], s[20:21]
	v_mov_b32_e32 v3, v11
; %bb.64:                               ;   in Loop: Header=BB142_36 Depth=1
	s_or_b64 exec, exec, s[18:19]
	s_andn2_b64 s[8:9], s[8:9], exec
	s_and_b64 s[16:17], s[16:17], exec
	s_or_b64 s[8:9], s[8:9], s[16:17]
.LBB142_65:                             ;   in Loop: Header=BB142_36 Depth=1
	s_or_b64 exec, exec, s[14:15]
	s_andn2_b64 s[0:1], s[0:1], exec
	s_and_b64 s[8:9], s[8:9], exec
	s_or_b64 s[0:1], s[0:1], s[8:9]
.LBB142_66:                             ;   in Loop: Header=BB142_36 Depth=1
	s_or_b64 exec, exec, s[2:3]
	s_and_saveexec_b64 s[2:3], s[0:1]
	s_cbranch_execz .LBB142_35
; %bb.67:                               ;   in Loop: Header=BB142_36 Depth=1
	scratch_load_dword v3, v3, off
	s_waitcnt vmcnt(0)
	v_mul_f32_e32 v3, v8, v3
	global_store_dword v[4:5], v3, off
	s_branch .LBB142_35
.LBB142_68:
	s_and_b32 s14, s12, 3
	s_cmp_eq_u32 s14, 0
	s_mov_b32 s7, 0
	s_cbranch_scc1 .LBB142_79
; %bb.69:
	s_lshl_b64 s[0:1], s[6:7], 3
	s_add_u32 s0, s10, s0
	s_addc_u32 s1, s11, s1
	v_add_u32_e32 v2, s6, v2
	v_lshl_add_u64 v[0:1], v[0:1], 3, s[0:1]
	s_branch .LBB142_71
.LBB142_70:                             ;   in Loop: Header=BB142_71 Depth=1
	s_or_b64 exec, exec, s[2:3]
	s_add_i32 s14, s14, -1
	v_add_u32_e32 v2, 1, v2
	s_cmp_lg_u32 s14, 0
	v_lshl_add_u64 v[0:1], v[0:1], 0, 8
	s_cbranch_scc0 .LBB142_79
.LBB142_71:                             ; =>This Inner Loop Header: Depth=1
	global_load_dword v4, v[0:1], off
	v_mov_b32_e32 v3, 0
	s_waitcnt vmcnt(0)
	v_cmp_eq_u32_e64 s[0:1], v14, v4
	v_cmp_ne_u32_e32 vcc, v14, v4
	s_and_saveexec_b64 s[2:3], vcc
	s_cbranch_execz .LBB142_77
; %bb.72:                               ;   in Loop: Header=BB142_71 Depth=1
	v_cmp_eq_u32_e64 s[6:7], v12, v4
	v_cmp_ne_u32_e32 vcc, v12, v4
	v_mov_b32_e32 v3, v9
	s_and_saveexec_b64 s[8:9], vcc
	s_cbranch_execz .LBB142_76
; %bb.73:                               ;   in Loop: Header=BB142_71 Depth=1
	v_cmp_eq_u32_e64 s[10:11], v13, v4
	v_cmp_ne_u32_e32 vcc, v13, v4
	v_mov_b32_e32 v3, v10
	s_and_saveexec_b64 s[12:13], vcc
; %bb.74:                               ;   in Loop: Header=BB142_71 Depth=1
	v_cmp_eq_u32_e32 vcc, v15, v4
	s_andn2_b64 s[10:11], s[10:11], exec
	s_and_b64 s[16:17], vcc, exec
	s_or_b64 s[10:11], s[10:11], s[16:17]
	v_mov_b32_e32 v3, v11
; %bb.75:                               ;   in Loop: Header=BB142_71 Depth=1
	s_or_b64 exec, exec, s[12:13]
	s_andn2_b64 s[6:7], s[6:7], exec
	s_and_b64 s[10:11], s[10:11], exec
	s_or_b64 s[6:7], s[6:7], s[10:11]
.LBB142_76:                             ;   in Loop: Header=BB142_71 Depth=1
	s_or_b64 exec, exec, s[8:9]
	s_andn2_b64 s[0:1], s[0:1], exec
	s_and_b64 s[6:7], s[6:7], exec
	s_or_b64 s[0:1], s[0:1], s[6:7]
.LBB142_77:                             ;   in Loop: Header=BB142_71 Depth=1
	s_or_b64 exec, exec, s[2:3]
	s_and_saveexec_b64 s[2:3], s[0:1]
	s_cbranch_execz .LBB142_70
; %bb.78:                               ;   in Loop: Header=BB142_71 Depth=1
	scratch_load_dword v4, v3, off
	v_ashrrev_i32_e32 v3, 31, v2
	s_waitcnt vmcnt(0)
	v_mul_f32_e32 v6, v8, v4
	s_waitcnt lgkmcnt(0)
	v_lshl_add_u64 v[4:5], v[2:3], 2, s[4:5]
	global_store_dword v[4:5], v6, off
	s_branch .LBB142_70
.LBB142_79:
	s_endpgm
	.section	.rodata,"a",@progbits
	.p2align	6, 0x0
	.amdhsa_kernel _ZN4vllm3moe22topkGatingSoftplusSqrtILi4ELi32ELi4ELi16ELi32ELb1ElfEEvPKT6_PKbPfiPT5_PiiiibdPKfPKS8_SE_
		.amdhsa_group_segment_fixed_size 0
		.amdhsa_private_segment_fixed_size 32
		.amdhsa_kernarg_size 96
		.amdhsa_user_sgpr_count 2
		.amdhsa_user_sgpr_dispatch_ptr 0
		.amdhsa_user_sgpr_queue_ptr 0
		.amdhsa_user_sgpr_kernarg_segment_ptr 1
		.amdhsa_user_sgpr_dispatch_id 0
		.amdhsa_user_sgpr_kernarg_preload_length 0
		.amdhsa_user_sgpr_kernarg_preload_offset 0
		.amdhsa_user_sgpr_private_segment_size 0
		.amdhsa_uses_dynamic_stack 0
		.amdhsa_enable_private_segment 1
		.amdhsa_system_sgpr_workgroup_id_x 1
		.amdhsa_system_sgpr_workgroup_id_y 0
		.amdhsa_system_sgpr_workgroup_id_z 0
		.amdhsa_system_sgpr_workgroup_info 0
		.amdhsa_system_vgpr_workitem_id 1
		.amdhsa_next_free_vgpr 25
		.amdhsa_next_free_sgpr 22
		.amdhsa_accum_offset 28
		.amdhsa_reserve_vcc 1
		.amdhsa_float_round_mode_32 0
		.amdhsa_float_round_mode_16_64 0
		.amdhsa_float_denorm_mode_32 3
		.amdhsa_float_denorm_mode_16_64 3
		.amdhsa_dx10_clamp 1
		.amdhsa_ieee_mode 1
		.amdhsa_fp16_overflow 0
		.amdhsa_tg_split 0
		.amdhsa_exception_fp_ieee_invalid_op 0
		.amdhsa_exception_fp_denorm_src 0
		.amdhsa_exception_fp_ieee_div_zero 0
		.amdhsa_exception_fp_ieee_overflow 0
		.amdhsa_exception_fp_ieee_underflow 0
		.amdhsa_exception_fp_ieee_inexact 0
		.amdhsa_exception_int_div_zero 0
	.end_amdhsa_kernel
	.section	.text._ZN4vllm3moe22topkGatingSoftplusSqrtILi4ELi32ELi4ELi16ELi32ELb1ElfEEvPKT6_PKbPfiPT5_PiiiibdPKfPKS8_SE_,"axG",@progbits,_ZN4vllm3moe22topkGatingSoftplusSqrtILi4ELi32ELi4ELi16ELi32ELb1ElfEEvPKT6_PKbPfiPT5_PiiiibdPKfPKS8_SE_,comdat
.Lfunc_end142:
	.size	_ZN4vllm3moe22topkGatingSoftplusSqrtILi4ELi32ELi4ELi16ELi32ELb1ElfEEvPKT6_PKbPfiPT5_PiiiibdPKfPKS8_SE_, .Lfunc_end142-_ZN4vllm3moe22topkGatingSoftplusSqrtILi4ELi32ELi4ELi16ELi32ELb1ElfEEvPKT6_PKbPfiPT5_PiiiibdPKfPKS8_SE_
                                        ; -- End function
	.section	.AMDGPU.csdata,"",@progbits
; Kernel info:
; codeLenInByte = 3480
; NumSgprs: 28
; NumVgprs: 25
; NumAgprs: 0
; TotalNumVgprs: 25
; ScratchSize: 32
; MemoryBound: 0
; FloatMode: 240
; IeeeMode: 1
; LDSByteSize: 0 bytes/workgroup (compile time only)
; SGPRBlocks: 3
; VGPRBlocks: 3
; NumSGPRsForWavesPerEU: 28
; NumVGPRsForWavesPerEU: 25
; AccumOffset: 28
; Occupancy: 8
; WaveLimiterHint : 1
; COMPUTE_PGM_RSRC2:SCRATCH_EN: 1
; COMPUTE_PGM_RSRC2:USER_SGPR: 2
; COMPUTE_PGM_RSRC2:TRAP_HANDLER: 0
; COMPUTE_PGM_RSRC2:TGID_X_EN: 1
; COMPUTE_PGM_RSRC2:TGID_Y_EN: 0
; COMPUTE_PGM_RSRC2:TGID_Z_EN: 0
; COMPUTE_PGM_RSRC2:TIDIG_COMP_CNT: 1
; COMPUTE_PGM_RSRC3_GFX90A:ACCUM_OFFSET: 6
; COMPUTE_PGM_RSRC3_GFX90A:TG_SPLIT: 0
	.section	.text._ZN4vllm3moe22topkGatingSoftplusSqrtILi4ELi32ELi4ELi16ELi32ELb0ElfEEvPKT6_PKbPfiPT5_PiiiibdPKfPKS8_SE_,"axG",@progbits,_ZN4vllm3moe22topkGatingSoftplusSqrtILi4ELi32ELi4ELi16ELi32ELb0ElfEEvPKT6_PKbPfiPT5_PiiiibdPKfPKS8_SE_,comdat
	.protected	_ZN4vllm3moe22topkGatingSoftplusSqrtILi4ELi32ELi4ELi16ELi32ELb0ElfEEvPKT6_PKbPfiPT5_PiiiibdPKfPKS8_SE_ ; -- Begin function _ZN4vllm3moe22topkGatingSoftplusSqrtILi4ELi32ELi4ELi16ELi32ELb0ElfEEvPKT6_PKbPfiPT5_PiiiibdPKfPKS8_SE_
	.globl	_ZN4vllm3moe22topkGatingSoftplusSqrtILi4ELi32ELi4ELi16ELi32ELb0ElfEEvPKT6_PKbPfiPT5_PiiiibdPKfPKS8_SE_
	.p2align	8
	.type	_ZN4vllm3moe22topkGatingSoftplusSqrtILi4ELi32ELi4ELi16ELi32ELb0ElfEEvPKT6_PKbPfiPT5_PiiiibdPKfPKS8_SE_,@function
_ZN4vllm3moe22topkGatingSoftplusSqrtILi4ELi32ELi4ELi16ELi32ELb0ElfEEvPKT6_PKbPfiPT5_PiiiibdPKfPKS8_SE_: ; @_ZN4vllm3moe22topkGatingSoftplusSqrtILi4ELi32ELi4ELi16ELi32ELb0ElfEEvPKT6_PKbPfiPT5_PiiiibdPKfPKS8_SE_
; %bb.0:
	s_load_dword s30, s[2:3], 0x18
	v_and_b32_e32 v1, 0x3ff, v0
	v_bfe_u32 v4, v0, 10, 10
	s_lshl_b32 s4, s4, 4
	v_lshlrev_b32_e32 v2, 2, v4
	v_lshrrev_b32_e32 v3, 3, v1
	v_add3_u32 v2, s4, v2, v3
	s_waitcnt lgkmcnt(0)
	v_cmp_gt_i32_e32 vcc, s30, v2
	s_and_saveexec_b64 s[4:5], vcc
	s_cbranch_execz .LBB143_47
; %bb.1:
	s_load_dwordx4 s[4:7], s[2:3], 0x0
	s_load_dwordx2 s[20:21], s[2:3], 0x10
	s_waitcnt lgkmcnt(0)
	s_cmp_eq_u64 s[6:7], 0
	s_cbranch_scc1 .LBB143_3
; %bb.2:
	v_ashrrev_i32_e32 v3, 31, v2
	v_lshl_add_u64 v[6:7], s[6:7], 0, v[2:3]
	global_load_ubyte v3, v[6:7], off
	s_waitcnt vmcnt(0)
	v_and_b32_e32 v3, 1, v3
	v_cmp_eq_u32_e32 vcc, 1, v3
	s_xor_b64 s[6:7], vcc, -1
	s_orn2_b64 s[22:23], s[6:7], exec
	s_branch .LBB143_4
.LBB143_3:
	s_mov_b64 s[22:23], -1
.LBB143_4:
	v_lshlrev_b32_e32 v8, 5, v2
	v_mov_b32_e32 v6, s4
	v_mov_b32_e32 v7, s5
	v_ashrrev_i32_e32 v9, 31, v8
	v_and_b32_e32 v3, 7, v1
	v_lshl_add_u64 v[6:7], v[8:9], 2, v[6:7]
	v_mov_b32_e32 v9, 0
	v_lshlrev_b32_e32 v8, 4, v3
	v_lshl_add_u64 v[6:7], v[6:7], 0, v[8:9]
	global_load_dwordx4 v[6:9], v[6:7], off
	s_load_dwordx2 s[4:5], s[0:1], 0x4
	s_load_dwordx4 s[8:11], s[2:3], 0x40
	v_bfe_u32 v0, v0, 20, 10
	s_mov_b32 s16, 0x800000
	s_mov_b32 s13, 0x3f317217
	s_waitcnt lgkmcnt(0)
	s_lshr_b32 s0, s4, 16
	v_mul_u32_u24_e32 v4, s5, v4
	s_mul_i32 s0, s0, s5
	v_mad_u32_u24 v1, s0, v1, v4
	v_add_lshl_u32 v4, v1, v0, 4
	s_mov_b32 s14, 0x7f800000
	s_mov_b32 s12, 0x41a00000
	s_mov_b32 s15, 0xf800000
	s_cmp_lg_u64 s[10:11], 0
	v_mov_b32_e32 v1, 0x260
	s_cselect_b64 s[6:7], -1, 0
	s_and_b64 s[0:1], exec, s[6:7]
	s_waitcnt vmcnt(0)
	ds_write_b128 v4, v[6:9]
	ds_read_b32 v8, v4
	v_mov_b32_e32 v6, 0x4f800000
	v_mov_b32_e32 v7, 0x41b17218
	s_waitcnt lgkmcnt(0)
	v_mul_f32_e32 v0, 0x3fb8aa3b, v8
	v_exp_f32_e32 v0, v0
	s_nop 0
	v_add_f32_e32 v0, 1.0, v0
	v_cmp_gt_f32_e32 vcc, s16, v0
	s_nop 1
	v_cndmask_b32_e32 v5, 1.0, v6, vcc
	v_mul_f32_e32 v0, v0, v5
	v_log_f32_e32 v9, v0
	v_cndmask_b32_e32 v10, 0, v7, vcc
	v_lshlrev_b32_e32 v5, 2, v3
	v_lshlrev_b32_e32 v0, 2, v5
	v_mul_f32_e32 v11, 0x3f317217, v9
	v_fma_f32 v11, v9, s13, -v11
	v_fmac_f32_e32 v11, 0x3377d1cf, v9
	v_fmac_f32_e32 v11, 0x3f317217, v9
	v_cmp_lt_f32_e64 vcc, |v9|, s14
	s_nop 1
	v_cndmask_b32_e32 v9, v9, v11, vcc
	v_sub_f32_e32 v9, v9, v10
	v_cmp_lt_f32_e32 vcc, s12, v8
	s_nop 1
	v_cndmask_b32_e32 v8, v9, v8, vcc
	v_mul_f32_e32 v9, 0x4f800000, v8
	v_cmp_gt_f32_e32 vcc, s15, v8
	s_nop 1
	v_cndmask_b32_e32 v8, v8, v9, vcc
	v_sqrt_f32_e32 v9, v8
	s_nop 0
	v_add_u32_e32 v10, -1, v9
	v_add_u32_e32 v11, 1, v9
	v_fma_f32 v12, -v10, v9, v8
	v_fma_f32 v13, -v11, v9, v8
	v_cmp_ge_f32_e64 s[4:5], 0, v12
	s_nop 1
	v_cndmask_b32_e64 v9, v9, v10, s[4:5]
	v_cmp_lt_f32_e64 s[4:5], 0, v13
	s_nop 1
	v_cndmask_b32_e64 v9, v9, v11, s[4:5]
	v_mul_f32_e32 v10, 0x37800000, v9
	v_cndmask_b32_e32 v9, v9, v10, vcc
	v_cmp_class_f32_e32 vcc, v8, v1
	s_nop 1
	v_cndmask_b32_e32 v8, v9, v8, vcc
	s_mov_b64 vcc, s[0:1]
	s_cbranch_vccz .LBB143_6
; %bb.5:
	global_load_dword v9, v0, s[10:11]
	s_waitcnt vmcnt(0)
	v_add_f32_e32 v8, v8, v9
.LBB143_6:
	ds_read_b32 v9, v4 offset:4
	ds_write_b32 v4, v8
	s_waitcnt lgkmcnt(1)
	v_mul_f32_e32 v10, 0x3fb8aa3b, v9
	v_exp_f32_e32 v10, v10
	s_nop 0
	v_add_f32_e32 v10, 1.0, v10
	v_cmp_gt_f32_e32 vcc, s16, v10
	s_nop 1
	v_cndmask_b32_e32 v6, 1.0, v6, vcc
	v_mul_f32_e32 v6, v10, v6
	v_log_f32_e32 v6, v6
	v_cndmask_b32_e32 v7, 0, v7, vcc
	v_mul_f32_e32 v8, 0x3f317217, v6
	v_fma_f32 v8, v6, s13, -v8
	v_fmac_f32_e32 v8, 0x3377d1cf, v6
	v_fmac_f32_e32 v8, 0x3f317217, v6
	v_cmp_lt_f32_e64 vcc, |v6|, s14
	s_nop 1
	v_cndmask_b32_e32 v6, v6, v8, vcc
	v_sub_f32_e32 v6, v6, v7
	v_cmp_lt_f32_e32 vcc, s12, v9
	v_cndmask_b32_e64 v8, 0, 1, s[6:7]
	v_cmp_ne_u32_e64 s[0:1], 1, v8
	v_cndmask_b32_e32 v6, v6, v9, vcc
	v_mul_f32_e32 v7, 0x4f800000, v6
	v_cmp_gt_f32_e64 s[4:5], s15, v6
	s_andn2_b64 vcc, exec, s[6:7]
	s_nop 0
	v_cndmask_b32_e64 v6, v6, v7, s[4:5]
	v_sqrt_f32_e32 v7, v6
	s_nop 0
	v_add_u32_e32 v8, -1, v7
	v_add_u32_e32 v9, 1, v7
	v_fma_f32 v10, -v8, v7, v6
	v_fma_f32 v11, -v9, v7, v6
	v_cmp_ge_f32_e64 s[6:7], 0, v10
	s_nop 1
	v_cndmask_b32_e64 v7, v7, v8, s[6:7]
	v_cmp_lt_f32_e64 s[6:7], 0, v11
	s_nop 1
	v_cndmask_b32_e64 v7, v7, v9, s[6:7]
	v_mul_f32_e32 v8, 0x37800000, v7
	v_cndmask_b32_e64 v7, v7, v8, s[4:5]
	v_cmp_class_f32_e64 s[4:5], v6, v1
	s_nop 1
	v_cndmask_b32_e64 v1, v7, v6, s[4:5]
	s_cbranch_vccnz .LBB143_8
; %bb.7:
	global_load_dword v6, v0, s[10:11] offset:4
	s_waitcnt vmcnt(0)
	v_add_f32_e32 v1, v1, v6
.LBB143_8:
	ds_read_b32 v8, v4 offset:8
	s_mov_b32 s12, 0x800000
	s_mov_b32 s7, 0x3f317217
	;; [unrolled: 1-line block ×4, first 2 shown]
	s_waitcnt lgkmcnt(0)
	v_mul_f32_e32 v6, 0x3fb8aa3b, v8
	v_exp_f32_e32 v7, v6
	v_mov_b32_e32 v6, 0x4f800000
	s_mov_b32 s14, 0xf800000
	ds_write_b32 v4, v1 offset:4
	v_add_f32_e32 v7, 1.0, v7
	v_cmp_gt_f32_e32 vcc, s12, v7
	s_nop 1
	v_cndmask_b32_e32 v9, 1.0, v6, vcc
	v_mul_f32_e32 v7, v7, v9
	v_log_f32_e32 v9, v7
	v_mov_b32_e32 v7, 0x41b17218
	v_cndmask_b32_e32 v10, 0, v7, vcc
	v_mul_f32_e32 v11, 0x3f317217, v9
	v_fma_f32 v11, v9, s7, -v11
	v_fmac_f32_e32 v11, 0x3377d1cf, v9
	v_fmac_f32_e32 v11, 0x3f317217, v9
	v_cmp_lt_f32_e64 vcc, |v9|, s13
	s_nop 1
	v_cndmask_b32_e32 v9, v9, v11, vcc
	v_sub_f32_e32 v9, v9, v10
	v_cmp_lt_f32_e32 vcc, s6, v8
	s_nop 1
	v_cndmask_b32_e32 v8, v9, v8, vcc
	v_mul_f32_e32 v9, 0x4f800000, v8
	v_cmp_gt_f32_e32 vcc, s14, v8
	s_nop 1
	v_cndmask_b32_e32 v8, v8, v9, vcc
	v_sqrt_f32_e32 v9, v8
	s_nop 0
	v_add_u32_e32 v1, -1, v9
	v_fma_f32 v10, -v1, v9, v8
	v_cmp_ge_f32_e64 s[4:5], 0, v10
	v_add_u32_e32 v10, 1, v9
	s_nop 0
	v_cndmask_b32_e64 v1, v9, v1, s[4:5]
	v_fma_f32 v9, -v10, v9, v8
	v_cmp_lt_f32_e64 s[4:5], 0, v9
	s_nop 1
	v_cndmask_b32_e64 v1, v1, v10, s[4:5]
	v_mul_f32_e32 v9, 0x37800000, v1
	v_cndmask_b32_e32 v9, v1, v9, vcc
	v_mov_b32_e32 v1, 0x260
	v_cmp_class_f32_e64 s[4:5], v8, v1
	s_and_b64 vcc, exec, s[0:1]
	s_nop 0
	v_cndmask_b32_e64 v8, v9, v8, s[4:5]
	s_cbranch_vccnz .LBB143_10
; %bb.9:
	global_load_dword v9, v0, s[10:11] offset:8
	s_waitcnt vmcnt(0)
	v_add_f32_e32 v8, v8, v9
.LBB143_10:
	ds_read_b32 v9, v4 offset:12
	ds_write_b32 v4, v8 offset:8
	s_waitcnt lgkmcnt(1)
	v_mul_f32_e32 v10, 0x3fb8aa3b, v9
	v_exp_f32_e32 v10, v10
	s_nop 0
	v_add_f32_e32 v10, 1.0, v10
	v_cmp_gt_f32_e32 vcc, s12, v10
	s_nop 1
	v_cndmask_b32_e32 v6, 1.0, v6, vcc
	v_mul_f32_e32 v6, v10, v6
	v_log_f32_e32 v6, v6
	v_cndmask_b32_e32 v7, 0, v7, vcc
	v_mul_f32_e32 v10, 0x3f317217, v6
	v_fma_f32 v10, v6, s7, -v10
	v_fmac_f32_e32 v10, 0x3377d1cf, v6
	v_fmac_f32_e32 v10, 0x3f317217, v6
	v_cmp_lt_f32_e64 vcc, |v6|, s13
	s_nop 1
	v_cndmask_b32_e32 v6, v6, v10, vcc
	v_sub_f32_e32 v6, v6, v7
	v_cmp_lt_f32_e32 vcc, s6, v9
	s_nop 1
	v_cndmask_b32_e32 v6, v6, v9, vcc
	v_mul_f32_e32 v7, 0x4f800000, v6
	v_cmp_gt_f32_e64 s[4:5], s14, v6
	s_and_b64 vcc, exec, s[0:1]
	s_nop 0
	v_cndmask_b32_e64 v6, v6, v7, s[4:5]
	v_sqrt_f32_e32 v7, v6
	s_nop 0
	v_add_u32_e32 v8, -1, v7
	v_add_u32_e32 v9, 1, v7
	v_fma_f32 v10, -v8, v7, v6
	v_fma_f32 v11, -v9, v7, v6
	v_cmp_ge_f32_e64 s[6:7], 0, v10
	s_nop 1
	v_cndmask_b32_e64 v7, v7, v8, s[6:7]
	v_cmp_lt_f32_e64 s[6:7], 0, v11
	s_nop 1
	v_cndmask_b32_e64 v7, v7, v9, s[6:7]
	v_mul_f32_e32 v8, 0x37800000, v7
	v_cndmask_b32_e64 v7, v7, v8, s[4:5]
	v_cmp_class_f32_e64 s[4:5], v6, v1
	s_nop 1
	v_cndmask_b32_e64 v1, v7, v6, s[4:5]
	s_cbranch_vccnz .LBB143_12
; %bb.11:
	global_load_dword v0, v0, s[10:11] offset:12
	s_waitcnt vmcnt(0)
	v_add_f32_e32 v1, v1, v0
.LBB143_12:
	s_load_dwordx4 s[12:15], s[2:3], 0x30
	s_mov_b32 s31, 0
	v_cmp_eq_u32_e64 s[6:7], 0, v3
	ds_write_b32 v4, v1 offset:12
	s_waitcnt lgkmcnt(0)
	s_bitcmp1_b32 s15, 0
	s_cselect_b64 s[4:5], -1, 0
	s_cmp_gt_i32 s12, 0
	s_cselect_b64 s[24:25], -1, 0
	s_and_b64 vcc, exec, s[24:25]
	s_cbranch_vccz .LBB143_33
; %bb.13:
	v_mbcnt_lo_u32_b32 v0, -1, 0
	v_mbcnt_hi_u32_b32 v0, -1, v0
	v_and_b32_e32 v1, 0x78, v0
	v_add_u32_e32 v1, 8, v1
	v_xor_b32_e32 v6, 4, v0
	v_cmp_lt_i32_e32 vcc, v6, v1
	s_load_dwordx4 s[16:19], s[2:3], 0x20
	v_mul_lo_u32 v7, v2, s12
	v_cndmask_b32_e32 v6, v0, v6, vcc
	v_lshlrev_b32_e32 v8, 2, v6
	v_xor_b32_e32 v6, 2, v0
	v_cmp_lt_i32_e32 vcc, v6, v1
	v_mov_b32_e32 v11, 0xc61c4000
	v_mov_b32_e32 v12, v2
	v_cndmask_b32_e32 v6, v0, v6, vcc
	v_lshlrev_b32_e32 v9, 2, v6
	v_xor_b32_e32 v6, 1, v0
	v_cmp_lt_i32_e32 vcc, v6, v1
	s_nop 1
	v_cndmask_b32_e32 v0, v0, v6, vcc
	v_lshlrev_b32_e32 v10, 2, v0
	v_mov_b32_e32 v6, 0
	s_branch .LBB143_15
.LBB143_14:                             ;   in Loop: Header=BB143_15 Depth=1
	s_or_b64 exec, exec, s[2:3]
	s_cmp_eq_u32 s12, s31
	v_add_u32_e32 v12, s30, v12
	s_cbranch_scc1 .LBB143_34
.LBB143_15:                             ; =>This Inner Loop Header: Depth=1
	ds_read_b128 v[14:17], v4
	s_waitcnt lgkmcnt(0)
	v_cmp_gt_f32_e32 vcc, v15, v14
	s_nop 1
	v_cndmask_b32_e32 v1, v14, v15, vcc
	v_cndmask_b32_e64 v0, 0, 1, vcc
	v_cmp_gt_f32_e32 vcc, v16, v1
	s_nop 1
	v_cndmask_b32_e32 v1, v1, v16, vcc
	v_cndmask_b32_e64 v0, v0, 2, vcc
	v_cmp_gt_f32_e32 vcc, v17, v1
	s_nop 1
	v_cndmask_b32_e64 v0, v0, 3, vcc
	v_cndmask_b32_e32 v13, v1, v17, vcc
	ds_bpermute_b32 v1, v8, v13
	v_or_b32_e32 v0, v5, v0
	ds_bpermute_b32 v14, v8, v0
	s_waitcnt lgkmcnt(1)
	v_cmp_lt_f32_e64 s[26:27], v13, v1
	v_cmp_nlt_f32_e32 vcc, v13, v1
	s_and_saveexec_b64 s[28:29], vcc
	s_cbranch_execz .LBB143_17
; %bb.16:                               ;   in Loop: Header=BB143_15 Depth=1
	v_cmp_eq_f32_e32 vcc, v13, v1
	s_waitcnt lgkmcnt(0)
	v_cmp_lt_i32_e64 s[2:3], v14, v0
	s_and_b64 s[2:3], vcc, s[2:3]
	s_andn2_b64 s[26:27], s[26:27], exec
	s_and_b64 s[2:3], s[2:3], exec
	s_or_b64 s[26:27], s[26:27], s[2:3]
.LBB143_17:                             ;   in Loop: Header=BB143_15 Depth=1
	s_or_b64 exec, exec, s[28:29]
	s_and_saveexec_b64 s[2:3], s[26:27]
	s_cbranch_execz .LBB143_19
; %bb.18:                               ;   in Loop: Header=BB143_15 Depth=1
	v_mov_b32_e32 v13, v1
	s_waitcnt lgkmcnt(0)
	v_mov_b32_e32 v0, v14
.LBB143_19:                             ;   in Loop: Header=BB143_15 Depth=1
	s_or_b64 exec, exec, s[2:3]
	ds_bpermute_b32 v1, v9, v13
	s_waitcnt lgkmcnt(1)
	ds_bpermute_b32 v14, v9, v0
	s_waitcnt lgkmcnt(1)
	v_cmp_lt_f32_e64 s[26:27], v13, v1
	v_cmp_nlt_f32_e32 vcc, v13, v1
	s_and_saveexec_b64 s[28:29], vcc
	s_cbranch_execz .LBB143_21
; %bb.20:                               ;   in Loop: Header=BB143_15 Depth=1
	v_cmp_eq_f32_e32 vcc, v13, v1
	s_waitcnt lgkmcnt(0)
	v_cmp_lt_i32_e64 s[2:3], v14, v0
	s_and_b64 s[2:3], vcc, s[2:3]
	s_andn2_b64 s[26:27], s[26:27], exec
	s_and_b64 s[2:3], s[2:3], exec
	s_or_b64 s[26:27], s[26:27], s[2:3]
.LBB143_21:                             ;   in Loop: Header=BB143_15 Depth=1
	s_or_b64 exec, exec, s[28:29]
	s_and_saveexec_b64 s[2:3], s[26:27]
	s_cbranch_execz .LBB143_23
; %bb.22:                               ;   in Loop: Header=BB143_15 Depth=1
	v_mov_b32_e32 v13, v1
	s_waitcnt lgkmcnt(0)
	v_mov_b32_e32 v0, v14
.LBB143_23:                             ;   in Loop: Header=BB143_15 Depth=1
	s_or_b64 exec, exec, s[2:3]
	ds_bpermute_b32 v1, v10, v13
	s_waitcnt lgkmcnt(1)
	ds_bpermute_b32 v14, v10, v0
	s_waitcnt lgkmcnt(1)
	v_cmp_lt_f32_e64 s[26:27], v13, v1
	v_cmp_nlt_f32_e32 vcc, v13, v1
	s_and_saveexec_b64 s[28:29], vcc
	s_cbranch_execnz .LBB143_26
; %bb.24:                               ;   in Loop: Header=BB143_15 Depth=1
	s_or_b64 exec, exec, s[28:29]
	s_and_saveexec_b64 s[2:3], s[26:27]
	s_cbranch_execnz .LBB143_27
.LBB143_25:                             ;   in Loop: Header=BB143_15 Depth=1
	s_or_b64 exec, exec, s[2:3]
	s_and_saveexec_b64 s[26:27], s[6:7]
	s_cbranch_execnz .LBB143_28
	s_branch .LBB143_31
.LBB143_26:                             ;   in Loop: Header=BB143_15 Depth=1
	v_cmp_eq_f32_e32 vcc, v13, v1
	s_waitcnt lgkmcnt(0)
	v_cmp_lt_i32_e64 s[2:3], v14, v0
	s_and_b64 s[2:3], vcc, s[2:3]
	s_andn2_b64 s[26:27], s[26:27], exec
	s_and_b64 s[2:3], s[2:3], exec
	s_or_b64 s[26:27], s[26:27], s[2:3]
	s_or_b64 exec, exec, s[28:29]
	s_and_saveexec_b64 s[2:3], s[26:27]
	s_cbranch_execz .LBB143_25
.LBB143_27:                             ;   in Loop: Header=BB143_15 Depth=1
	s_waitcnt lgkmcnt(0)
	v_mov_b32_e32 v0, v14
	v_mov_b32_e32 v13, v1
	s_or_b64 exec, exec, s[2:3]
	s_and_saveexec_b64 s[26:27], s[6:7]
	s_cbranch_execz .LBB143_31
.LBB143_28:                             ;   in Loop: Header=BB143_15 Depth=1
	s_and_b64 vcc, exec, s[0:1]
	s_cbranch_vccnz .LBB143_30
; %bb.29:                               ;   in Loop: Header=BB143_15 Depth=1
	v_ashrrev_i32_e32 v1, 31, v0
	s_waitcnt lgkmcnt(0)
	v_lshl_add_u64 v[14:15], v[0:1], 2, s[10:11]
	global_load_dword v1, v[14:15], off
	s_waitcnt vmcnt(0)
	v_sub_f32_e32 v13, v13, v1
.LBB143_30:                             ;   in Loop: Header=BB143_15 Depth=1
	s_waitcnt lgkmcnt(0)
	v_add_u32_e32 v14, s31, v7
	v_ashrrev_i32_e32 v15, 31, v14
	v_cmp_le_i32_e32 vcc, s13, v0
	v_cmp_gt_i32_e64 s[2:3], s14, v0
	v_lshlrev_b64 v[16:17], 2, v[14:15]
	s_and_b64 s[2:3], vcc, s[2:3]
	v_lshl_add_u64 v[18:19], s[20:21], 0, v[16:17]
	v_subrev_u32_e32 v1, s13, v0
	global_store_dword v[18:19], v13, off
	v_ashrrev_i32_e32 v18, 31, v1
	s_and_b64 vcc, s[22:23], s[2:3]
	v_cndmask_b32_e32 v19, 0, v18, vcc
	v_cndmask_b32_e32 v18, 32, v1, vcc
	v_lshl_add_u64 v[14:15], v[14:15], 3, s[16:17]
	v_add_f32_e32 v1, v6, v13
	global_store_dwordx2 v[14:15], v[18:19], off
	v_lshl_add_u64 v[14:15], s[18:19], 0, v[16:17]
	v_cndmask_b32_e64 v6, v6, v1, s[4:5]
	global_store_dword v[14:15], v12, off
.LBB143_31:                             ;   in Loop: Header=BB143_15 Depth=1
	s_or_b64 exec, exec, s[26:27]
	v_ashrrev_i32_e32 v13, 31, v0
	v_lshrrev_b32_e32 v1, 30, v13
	v_add_u32_e32 v1, v0, v1
	v_ashrrev_i32_e32 v1, 2, v1
	s_waitcnt lgkmcnt(0)
	v_lshrrev_b32_e32 v14, 29, v1
	v_add_u32_e32 v14, v1, v14
	s_add_i32 s31, s31, 1
	v_and_b32_e32 v14, -8, v14
	s_cmp_lt_i32 s31, s12
	v_sub_u32_e32 v14, v1, v14
	s_cselect_b64 s[2:3], -1, 0
	v_cmp_eq_u32_e32 vcc, v3, v14
	s_and_b64 s[26:27], s[2:3], vcc
	s_and_saveexec_b64 s[2:3], s[26:27]
	s_cbranch_execz .LBB143_14
; %bb.32:                               ;   in Loop: Header=BB143_15 Depth=1
	v_lshrrev_b32_e32 v13, 27, v13
	v_add_u32_e32 v13, v0, v13
	v_lshlrev_b32_e32 v1, 2, v1
	v_ashrrev_i32_e32 v13, 5, v13
	v_sub_u32_e32 v0, v0, v1
	v_lshl_add_u32 v0, v13, 2, v0
	v_lshl_add_u32 v0, v0, 2, v4
	ds_write_b32 v0, v11
	s_branch .LBB143_14
.LBB143_33:
	v_mov_b32_e32 v6, 0
.LBB143_34:
	v_cmp_eq_u32_e32 vcc, 0, v3
	s_and_b64 exec, exec, vcc
	s_cbranch_execz .LBB143_47
; %bb.35:
	s_andn2_b64 vcc, exec, s[4:5]
	v_cvt_f32_f64_e32 v0, s[8:9]
	s_cbranch_vccnz .LBB143_37
; %bb.36:
	v_cmp_lt_f32_e32 vcc, 0, v6
	s_nop 1
	v_cndmask_b32_e32 v1, 1.0, v6, vcc
	v_div_scale_f32 v3, s[0:1], v1, v1, v0
	v_rcp_f32_e32 v4, v3
	s_nop 0
	v_fma_f32 v5, -v3, v4, 1.0
	v_fmac_f32_e32 v4, v5, v4
	v_div_scale_f32 v5, vcc, v0, v1, v0
	v_mul_f32_e32 v6, v5, v4
	v_fma_f32 v7, -v3, v6, v5
	v_fmac_f32_e32 v6, v7, v4
	v_fma_f32 v3, -v3, v6, v5
	v_div_fmas_f32 v3, v3, v4, v6
	v_div_fixup_f32 v0, v3, v1, v0
.LBB143_37:
	s_andn2_b64 vcc, exec, s[24:25]
	s_cbranch_vccnz .LBB143_47
; %bb.38:
	v_mul_lo_u32 v2, v2, s12
	s_cmp_gt_u32 s12, 3
	v_ashrrev_i32_e32 v3, 31, v2
	s_cbranch_scc0 .LBB143_42
; %bb.39:
	s_and_b32 s0, s12, 0x7ffffffc
	v_lshl_add_u64 v[4:5], v[2:3], 2, s[20:21]
	v_mov_b32_e32 v1, v0
	v_lshl_add_u64 v[4:5], v[4:5], 0, 8
	s_mov_b32 s1, s0
.LBB143_40:                             ; =>This Inner Loop Header: Depth=1
	global_load_dwordx4 v[6:9], v[4:5], off offset:-8
	s_add_i32 s1, s1, -4
	s_cmp_lg_u32 s1, 0
	s_waitcnt vmcnt(0)
	v_pk_mul_f32 v[6:7], v[0:1], v[6:7]
	v_pk_mul_f32 v[8:9], v[0:1], v[8:9]
	global_store_dwordx4 v[4:5], v[6:9], off offset:-8
	v_lshl_add_u64 v[4:5], v[4:5], 0, 16
	s_cbranch_scc1 .LBB143_40
; %bb.41:
	s_cmp_lg_u32 s0, s12
	s_cselect_b64 s[2:3], -1, 0
	s_branch .LBB143_44
.LBB143_42:
	s_mov_b64 s[2:3], 0
                                        ; implicit-def: $sgpr0
	s_cbranch_execz .LBB143_44
; %bb.43:
	s_mov_b64 s[2:3], -1
	s_mov_b32 s0, 0
.LBB143_44:
	s_andn2_b64 vcc, exec, s[2:3]
	s_cbranch_vccnz .LBB143_47
; %bb.45:
	s_mov_b32 s1, 0
	v_lshl_add_u64 v[2:3], v[2:3], 0, s[0:1]
	s_sub_i32 s2, s12, s0
	v_lshl_add_u64 v[2:3], v[2:3], 2, s[20:21]
.LBB143_46:                             ; =>This Inner Loop Header: Depth=1
	global_load_dword v1, v[2:3], off
	s_add_i32 s2, s2, -1
	s_cmp_lg_u32 s2, 0
	s_waitcnt vmcnt(0)
	v_mul_f32_e32 v1, v0, v1
	global_store_dword v[2:3], v1, off
	v_lshl_add_u64 v[2:3], v[2:3], 0, 4
	s_cbranch_scc1 .LBB143_46
.LBB143_47:
	s_endpgm
	.section	.rodata,"a",@progbits
	.p2align	6, 0x0
	.amdhsa_kernel _ZN4vllm3moe22topkGatingSoftplusSqrtILi4ELi32ELi4ELi16ELi32ELb0ElfEEvPKT6_PKbPfiPT5_PiiiibdPKfPKS8_SE_
		.amdhsa_group_segment_fixed_size 2048
		.amdhsa_private_segment_fixed_size 0
		.amdhsa_kernarg_size 96
		.amdhsa_user_sgpr_count 4
		.amdhsa_user_sgpr_dispatch_ptr 1
		.amdhsa_user_sgpr_queue_ptr 0
		.amdhsa_user_sgpr_kernarg_segment_ptr 1
		.amdhsa_user_sgpr_dispatch_id 0
		.amdhsa_user_sgpr_kernarg_preload_length 0
		.amdhsa_user_sgpr_kernarg_preload_offset 0
		.amdhsa_user_sgpr_private_segment_size 0
		.amdhsa_uses_dynamic_stack 0
		.amdhsa_enable_private_segment 0
		.amdhsa_system_sgpr_workgroup_id_x 1
		.amdhsa_system_sgpr_workgroup_id_y 0
		.amdhsa_system_sgpr_workgroup_id_z 0
		.amdhsa_system_sgpr_workgroup_info 0
		.amdhsa_system_vgpr_workitem_id 2
		.amdhsa_next_free_vgpr 20
		.amdhsa_next_free_sgpr 32
		.amdhsa_accum_offset 20
		.amdhsa_reserve_vcc 1
		.amdhsa_float_round_mode_32 0
		.amdhsa_float_round_mode_16_64 0
		.amdhsa_float_denorm_mode_32 3
		.amdhsa_float_denorm_mode_16_64 3
		.amdhsa_dx10_clamp 1
		.amdhsa_ieee_mode 1
		.amdhsa_fp16_overflow 0
		.amdhsa_tg_split 0
		.amdhsa_exception_fp_ieee_invalid_op 0
		.amdhsa_exception_fp_denorm_src 0
		.amdhsa_exception_fp_ieee_div_zero 0
		.amdhsa_exception_fp_ieee_overflow 0
		.amdhsa_exception_fp_ieee_underflow 0
		.amdhsa_exception_fp_ieee_inexact 0
		.amdhsa_exception_int_div_zero 0
	.end_amdhsa_kernel
	.section	.text._ZN4vllm3moe22topkGatingSoftplusSqrtILi4ELi32ELi4ELi16ELi32ELb0ElfEEvPKT6_PKbPfiPT5_PiiiibdPKfPKS8_SE_,"axG",@progbits,_ZN4vllm3moe22topkGatingSoftplusSqrtILi4ELi32ELi4ELi16ELi32ELb0ElfEEvPKT6_PKbPfiPT5_PiiiibdPKfPKS8_SE_,comdat
.Lfunc_end143:
	.size	_ZN4vllm3moe22topkGatingSoftplusSqrtILi4ELi32ELi4ELi16ELi32ELb0ElfEEvPKT6_PKbPfiPT5_PiiiibdPKfPKS8_SE_, .Lfunc_end143-_ZN4vllm3moe22topkGatingSoftplusSqrtILi4ELi32ELi4ELi16ELi32ELb0ElfEEvPKT6_PKbPfiPT5_PiiiibdPKfPKS8_SE_
                                        ; -- End function
	.section	.AMDGPU.csdata,"",@progbits
; Kernel info:
; codeLenInByte = 2744
; NumSgprs: 38
; NumVgprs: 20
; NumAgprs: 0
; TotalNumVgprs: 20
; ScratchSize: 0
; MemoryBound: 0
; FloatMode: 240
; IeeeMode: 1
; LDSByteSize: 2048 bytes/workgroup (compile time only)
; SGPRBlocks: 4
; VGPRBlocks: 2
; NumSGPRsForWavesPerEU: 38
; NumVGPRsForWavesPerEU: 20
; AccumOffset: 20
; Occupancy: 8
; WaveLimiterHint : 0
; COMPUTE_PGM_RSRC2:SCRATCH_EN: 0
; COMPUTE_PGM_RSRC2:USER_SGPR: 4
; COMPUTE_PGM_RSRC2:TRAP_HANDLER: 0
; COMPUTE_PGM_RSRC2:TGID_X_EN: 1
; COMPUTE_PGM_RSRC2:TGID_Y_EN: 0
; COMPUTE_PGM_RSRC2:TGID_Z_EN: 0
; COMPUTE_PGM_RSRC2:TIDIG_COMP_CNT: 2
; COMPUTE_PGM_RSRC3_GFX90A:ACCUM_OFFSET: 4
; COMPUTE_PGM_RSRC3_GFX90A:TG_SPLIT: 0
	.section	.text._ZN4vllm3moe22topkGatingSoftplusSqrtILi4ELi64ELi4ELi16ELi64ELb1ElfEEvPKT6_PKbPfiPT5_PiiiibdPKfPKS8_SE_,"axG",@progbits,_ZN4vllm3moe22topkGatingSoftplusSqrtILi4ELi64ELi4ELi16ELi64ELb1ElfEEvPKT6_PKbPfiPT5_PiiiibdPKfPKS8_SE_,comdat
	.protected	_ZN4vllm3moe22topkGatingSoftplusSqrtILi4ELi64ELi4ELi16ELi64ELb1ElfEEvPKT6_PKbPfiPT5_PiiiibdPKfPKS8_SE_ ; -- Begin function _ZN4vllm3moe22topkGatingSoftplusSqrtILi4ELi64ELi4ELi16ELi64ELb1ElfEEvPKT6_PKbPfiPT5_PiiiibdPKfPKS8_SE_
	.globl	_ZN4vllm3moe22topkGatingSoftplusSqrtILi4ELi64ELi4ELi16ELi64ELb1ElfEEvPKT6_PKbPfiPT5_PiiiibdPKfPKS8_SE_
	.p2align	8
	.type	_ZN4vllm3moe22topkGatingSoftplusSqrtILi4ELi64ELi4ELi16ELi64ELb1ElfEEvPKT6_PKbPfiPT5_PiiiibdPKfPKS8_SE_,@function
_ZN4vllm3moe22topkGatingSoftplusSqrtILi4ELi64ELi4ELi16ELi64ELb1ElfEEvPKT6_PKbPfiPT5_PiiiibdPKfPKS8_SE_: ; @_ZN4vllm3moe22topkGatingSoftplusSqrtILi4ELi64ELi4ELi16ELi64ELb1ElfEEvPKT6_PKbPfiPT5_PiiiibdPKfPKS8_SE_
; %bb.0:
	s_load_dword s3, s[0:1], 0x18
	v_bfe_u32 v1, v0, 10, 10
	v_and_b32_e32 v8, 0x3ff, v0
	s_lshl_b32 s2, s2, 4
	v_lshlrev_b32_e32 v1, 2, v1
	v_lshrrev_b32_e32 v0, 4, v8
	v_add3_u32 v2, s2, v1, v0
	s_waitcnt lgkmcnt(0)
	v_cmp_gt_i32_e32 vcc, s3, v2
	s_and_saveexec_b64 s[2:3], vcc
	s_cbranch_execz .LBB144_79
; %bb.1:
	s_load_dwordx4 s[8:11], s[0:1], 0x50
	s_load_dwordx2 s[2:3], s[0:1], 0x0
	s_load_dword s12, s[0:1], 0x30
	v_lshlrev_b32_e32 v0, 6, v2
	v_lshlrev_b32_e32 v3, 2, v8
	v_ashrrev_i32_e32 v1, 31, v0
	v_and_b32_e32 v14, 60, v3
	s_waitcnt lgkmcnt(0)
	v_lshl_add_u64 v[0:1], v[0:1], 2, s[2:3]
	v_lshlrev_b32_e32 v4, 2, v14
	v_mov_b32_e32 v5, 0
	v_lshl_add_u64 v[0:1], v[0:1], 0, v[4:5]
	global_load_dwordx4 v[10:13], v[0:1], off
	v_mov_b32_e32 v6, s8
	v_mov_b32_e32 v7, s9
	v_ashrrev_i32_e32 v3, 31, v2
	v_lshl_add_u64 v[6:7], v[2:3], 3, v[6:7]
	global_load_dwordx2 v[6:7], v[6:7], off
	s_ashr_i32 s13, s12, 31
	s_mov_b32 s6, 0x800000
	v_mov_b32_e32 v3, 0x4f800000
	s_mov_b32 s18, 0x3f317217
	s_mov_b32 s19, 0x7f800000
	v_mov_b32_e32 v4, 0x41b17218
	s_mov_b32 s15, 0x41a00000
	s_mov_b32 s20, 0xf800000
	v_mov_b32_e32 v9, 0x260
	v_cmp_lt_i64_e64 s[16:17], s[12:13], 1
	s_mov_b32 s14, 0
	v_cmp_gt_i64_e64 s[8:9], s[12:13], 0
	v_mul_lo_u32 v2, v2, s12
	s_waitcnt vmcnt(1)
	v_mul_f32_e32 v0, 0x3fb8aa3b, v10
	v_mul_f32_e32 v1, 0x3fb8aa3b, v11
	v_exp_f32_e32 v16, v0
	v_exp_f32_e32 v17, v1
	v_mul_f32_e32 v18, 0x3fb8aa3b, v12
	v_mul_f32_e32 v19, 0x3fb8aa3b, v13
	s_waitcnt vmcnt(0)
	v_mul_lo_u32 v7, v7, s12
	v_mul_lo_u32 v15, v6, s13
	v_exp_f32_e32 v18, v18
	v_exp_f32_e32 v19, v19
	v_mad_u64_u32 v[0:1], s[2:3], v6, s12, 0
	v_add3_u32 v1, v1, v15, v7
	v_pk_add_f32 v[6:7], v[16:17], 1.0 op_sel_hi:[1,0]
	v_pk_add_f32 v[16:17], v[18:19], 1.0 op_sel_hi:[1,0]
	v_cmp_gt_f32_e32 vcc, s6, v7
	v_cmp_gt_f32_e64 s[2:3], s6, v6
	v_cmp_gt_f32_e64 s[4:5], s6, v17
	v_cndmask_b32_e32 v15, 1.0, v3, vcc
	v_cndmask_b32_e64 v18, 1.0, v3, s[2:3]
	v_mul_f32_e32 v7, v7, v15
	v_mul_f32_e32 v6, v6, v18
	v_log_f32_e32 v7, v7
	v_log_f32_e32 v6, v6
	v_cndmask_b32_e64 v19, 1.0, v3, s[4:5]
	v_cmp_gt_f32_e64 s[6:7], s6, v16
	v_mul_f32_e32 v17, v17, v19
	v_mul_f32_e32 v20, 0x3f317217, v6
	v_cndmask_b32_e64 v3, 1.0, v3, s[6:7]
	v_mul_f32_e32 v3, v16, v3
	v_log_f32_e32 v16, v17
	v_mul_f32_e32 v17, 0x3f317217, v7
	v_fma_f32 v17, v7, s18, -v17
	v_fma_f32 v20, v6, s18, -v20
	v_fmac_f32_e32 v17, 0x3377d1cf, v7
	v_cndmask_b32_e32 v15, 0, v4, vcc
	v_fmac_f32_e32 v20, 0x3377d1cf, v6
	v_fmac_f32_e32 v17, 0x3f317217, v7
	v_cmp_lt_f32_e64 vcc, |v7|, s19
	v_fmac_f32_e32 v20, 0x3f317217, v6
	v_cndmask_b32_e64 v18, 0, v4, s[2:3]
	v_cndmask_b32_e32 v7, v7, v17, vcc
	v_cmp_lt_f32_e64 vcc, |v6|, s19
	v_sub_f32_e32 v7, v7, v15
	v_mul_f32_e32 v21, 0x3f317217, v16
	v_cndmask_b32_e32 v6, v6, v20, vcc
	v_sub_f32_e32 v6, v6, v18
	v_cmp_lt_f32_e32 vcc, s15, v10
	v_fma_f32 v21, v16, s18, -v21
	v_fmac_f32_e32 v21, 0x3377d1cf, v16
	v_cndmask_b32_e32 v6, v6, v10, vcc
	v_cmp_lt_f32_e32 vcc, s15, v11
	v_cmp_gt_f32_e64 s[2:3], s20, v6
	v_cndmask_b32_e64 v19, 0, v4, s[4:5]
	v_cndmask_b32_e32 v7, v7, v11, vcc
	v_mul_f32_e32 v10, 0x4f800000, v7
	v_cmp_gt_f32_e32 vcc, s20, v7
	v_mul_f32_e32 v11, 0x4f800000, v6
	v_cndmask_b32_e64 v6, v6, v11, s[2:3]
	v_cndmask_b32_e32 v7, v7, v10, vcc
	v_sqrt_f32_e32 v10, v7
	v_sqrt_f32_e32 v11, v6
	v_fmac_f32_e32 v21, 0x3f317217, v16
	v_cmp_lt_f32_e64 s[4:5], |v16|, s19
	v_add_u32_e32 v17, 1, v10
	v_add_u32_e32 v18, -1, v11
	v_cndmask_b32_e64 v15, v16, v21, s[4:5]
	v_add_u32_e32 v16, -1, v10
	v_fma_f32 v21, -v16, v10, v7
	v_fma_f32 v23, -v18, v11, v6
	v_cmp_ge_f32_e64 s[4:5], 0, v21
	v_add_u32_e32 v20, 1, v11
	v_fma_f32 v22, -v17, v10, v7
	v_cndmask_b32_e64 v10, v10, v16, s[4:5]
	v_cmp_ge_f32_e64 s[4:5], 0, v23
	v_log_f32_e32 v3, v3
	v_fma_f32 v24, -v20, v11, v6
	v_cndmask_b32_e64 v11, v11, v18, s[4:5]
	v_cmp_lt_f32_e64 s[4:5], 0, v22
	v_cndmask_b32_e64 v4, 0, v4, s[6:7]
	s_nop 0
	v_cndmask_b32_e64 v10, v10, v17, s[4:5]
	v_cmp_lt_f32_e64 s[4:5], 0, v24
	v_mul_f32_e32 v16, 0x37800000, v10
	v_cndmask_b32_e32 v10, v10, v16, vcc
	v_cndmask_b32_e64 v11, v11, v20, s[4:5]
	v_mul_f32_e32 v17, 0x37800000, v11
	v_cmp_class_f32_e32 vcc, v7, v9
	v_cndmask_b32_e64 v16, v11, v17, s[2:3]
	v_cmp_lt_f32_e64 s[2:3], s15, v12
	v_cndmask_b32_e32 v11, v10, v7, vcc
	v_mul_f32_e32 v7, 0x3f317217, v3
	v_fma_f32 v7, v3, s18, -v7
	v_cmp_class_f32_e32 vcc, v6, v9
	v_fmac_f32_e32 v7, 0x3377d1cf, v3
	v_fmac_f32_e32 v7, 0x3f317217, v3
	v_cndmask_b32_e32 v10, v16, v6, vcc
	v_cmp_lt_f32_e64 vcc, |v3|, s19
	v_sub_f32_e32 v6, v15, v19
	s_nop 0
	v_cndmask_b32_e32 v3, v3, v7, vcc
	v_cmp_lt_f32_e32 vcc, s15, v13
	v_sub_f32_e32 v3, v3, v4
	v_cndmask_b32_e64 v3, v3, v12, s[2:3]
	v_cndmask_b32_e32 v6, v6, v13, vcc
	v_mul_f32_e32 v7, 0x4f800000, v6
	v_cmp_gt_f32_e32 vcc, s20, v6
	s_nop 1
	v_cndmask_b32_e32 v6, v6, v7, vcc
	v_sqrt_f32_e32 v7, v6
	s_nop 0
	v_add_u32_e32 v4, -1, v7
	v_fma_f32 v12, -v4, v7, v6
	v_cmp_ge_f32_e64 s[2:3], 0, v12
	v_add_u32_e32 v12, 1, v7
	s_nop 0
	v_cndmask_b32_e64 v4, v7, v4, s[2:3]
	v_fma_f32 v7, -v12, v7, v6
	v_cmp_lt_f32_e64 s[2:3], 0, v7
	s_nop 1
	v_cndmask_b32_e64 v4, v4, v12, s[2:3]
	v_mul_f32_e32 v12, 0x4f800000, v3
	v_cmp_gt_f32_e64 s[2:3], s20, v3
	v_mul_f32_e32 v7, 0x37800000, v4
	v_cndmask_b32_e32 v4, v4, v7, vcc
	v_cndmask_b32_e64 v3, v3, v12, s[2:3]
	v_sqrt_f32_e32 v12, v3
	v_cmp_class_f32_e32 vcc, v6, v9
	s_nop 1
	v_cndmask_b32_e32 v13, v4, v6, vcc
	v_add_u32_e32 v4, -1, v12
	v_fma_f32 v6, -v4, v12, v3
	v_cmp_ge_f32_e32 vcc, 0, v6
	v_add_u32_e32 v6, 1, v12
	v_fma_f32 v7, -v6, v12, v3
	v_cndmask_b32_e32 v4, v12, v4, vcc
	v_cmp_lt_f32_e32 vcc, 0, v7
	s_nop 1
	v_cndmask_b32_e32 v4, v4, v6, vcc
	v_mul_f32_e32 v6, 0x37800000, v4
	v_cndmask_b32_e64 v4, v4, v6, s[2:3]
	v_cmp_class_f32_e32 vcc, v3, v9
	s_nop 1
	v_cndmask_b32_e32 v12, v4, v3, vcc
	s_and_b64 vcc, exec, s[16:17]
	scratch_store_dwordx4 off, v[10:13], off
	s_cbranch_vccnz .LBB144_28
; %bb.2:
	s_load_dwordx2 s[4:5], s[0:1], 0x20
	v_lshl_add_u64 v[6:7], v[0:1], 3, s[10:11]
	s_cmp_lt_u32 s12, 4
	v_and_b32_e32 v4, 15, v8
	s_cbranch_scc1 .LBB144_21
; %bb.3:
	v_lshlrev_b32_e32 v5, 2, v4
	s_mov_b32 s7, 0
	s_and_b32 s14, s12, 0x7ffffffc
	v_ashrrev_i32_e32 v3, 31, v2
	v_sub_u32_e32 v15, 0, v5
	v_mov_b32_e32 v5, 0
	s_mov_b32 s6, s7
	s_branch .LBB144_5
.LBB144_4:                              ;   in Loop: Header=BB144_5 Depth=1
	s_or_b64 exec, exec, s[16:17]
	s_add_i32 s6, s6, 4
	s_cmp_eq_u32 s6, s14
	s_cbranch_scc1 .LBB144_21
.LBB144_5:                              ; =>This Loop Header: Depth=1
                                        ;     Child Loop BB144_7 Depth 2
                                        ;     Child Loop BB144_11 Depth 2
	;; [unrolled: 1-line block ×4, first 2 shown]
	v_lshl_add_u64 v[8:9], s[6:7], 3, v[6:7]
	global_load_dwordx2 v[10:11], v[8:9], off
	v_add_u32_e32 v12, s6, v2
	v_ashrrev_i32_e32 v13, 31, v12
	v_mov_b32_e32 v16, 0
	s_mov_b64 s[16:17], 0
	s_waitcnt lgkmcnt(0)
	v_lshl_add_u64 v[12:13], v[12:13], 3, s[4:5]
	s_mov_b32 s13, 0
	s_waitcnt vmcnt(0)
	v_ashrrev_i32_e32 v11, 31, v10
	v_add_u32_e32 v17, v15, v10
	s_branch .LBB144_7
.LBB144_6:                              ;   in Loop: Header=BB144_7 Depth=2
	s_or_b64 exec, exec, s[18:19]
	s_add_i32 s15, s13, 1
	s_cmp_gt_u32 s13, 2
	s_cselect_b64 s[2:3], -1, 0
	s_xor_b64 s[18:19], vcc, -1
	s_or_b64 s[2:3], s[18:19], s[2:3]
	s_and_b64 s[2:3], exec, s[2:3]
	v_add_u32_e32 v16, 4, v16
	s_or_b64 s[16:17], s[2:3], s[16:17]
	s_mov_b32 s13, s15
	s_andn2_b64 exec, exec, s[16:17]
	s_cbranch_execz .LBB144_9
.LBB144_7:                              ;   Parent Loop BB144_5 Depth=1
                                        ; =>  This Inner Loop Header: Depth=2
	v_cmp_ne_u32_e32 vcc, s13, v17
	v_cmp_eq_u32_e64 s[2:3], s13, v17
	s_and_saveexec_b64 s[18:19], s[2:3]
	s_cbranch_execz .LBB144_6
; %bb.8:                                ;   in Loop: Header=BB144_7 Depth=2
	scratch_load_dword v18, v16, off
	s_waitcnt vmcnt(0)
	v_add_f32_e32 v5, v5, v18
	global_store_dwordx2 v[12:13], v[10:11], off
	s_branch .LBB144_6
.LBB144_9:                              ;   in Loop: Header=BB144_5 Depth=1
	s_or_b64 exec, exec, s[16:17]
	global_load_dwordx2 v[12:13], v[8:9], off offset:8
	s_ashr_i32 s3, s6, 31
	s_mov_b32 s2, s6
	v_lshl_add_u64 v[10:11], s[2:3], 0, v[2:3]
	v_mov_b32_e32 v16, 0
	s_mov_b32 s13, 0
	v_lshl_add_u64 v[10:11], v[10:11], 3, s[4:5]
	s_mov_b64 s[16:17], 0
	s_waitcnt vmcnt(0)
	v_ashrrev_i32_e32 v13, 31, v12
	v_add_u32_e32 v17, v15, v12
	s_branch .LBB144_11
.LBB144_10:                             ;   in Loop: Header=BB144_11 Depth=2
	s_or_b64 exec, exec, s[18:19]
	s_add_i32 s15, s13, 1
	s_cmp_gt_u32 s13, 2
	s_cselect_b64 s[2:3], -1, 0
	s_xor_b64 s[18:19], vcc, -1
	s_or_b64 s[2:3], s[18:19], s[2:3]
	s_and_b64 s[2:3], exec, s[2:3]
	v_add_u32_e32 v16, 4, v16
	s_or_b64 s[16:17], s[2:3], s[16:17]
	s_mov_b32 s13, s15
	s_andn2_b64 exec, exec, s[16:17]
	s_cbranch_execz .LBB144_13
.LBB144_11:                             ;   Parent Loop BB144_5 Depth=1
                                        ; =>  This Inner Loop Header: Depth=2
	v_cmp_ne_u32_e32 vcc, s13, v17
	v_cmp_eq_u32_e64 s[2:3], s13, v17
	s_and_saveexec_b64 s[18:19], s[2:3]
	s_cbranch_execz .LBB144_10
; %bb.12:                               ;   in Loop: Header=BB144_11 Depth=2
	scratch_load_dword v18, v16, off
	s_waitcnt vmcnt(0)
	v_add_f32_e32 v5, v5, v18
	global_store_dwordx2 v[10:11], v[12:13], off offset:8
	s_branch .LBB144_10
.LBB144_13:                             ;   in Loop: Header=BB144_5 Depth=1
	s_or_b64 exec, exec, s[16:17]
	global_load_dwordx2 v[12:13], v[8:9], off offset:16
	v_mov_b32_e32 v16, 0
	s_mov_b32 s13, 0
	s_mov_b64 s[16:17], 0
	s_waitcnt vmcnt(0)
	v_ashrrev_i32_e32 v13, 31, v12
	v_add_u32_e32 v17, v15, v12
	s_branch .LBB144_15
.LBB144_14:                             ;   in Loop: Header=BB144_15 Depth=2
	s_or_b64 exec, exec, s[18:19]
	s_add_i32 s15, s13, 1
	s_cmp_gt_u32 s13, 2
	s_cselect_b64 s[2:3], -1, 0
	s_xor_b64 s[18:19], vcc, -1
	s_or_b64 s[2:3], s[18:19], s[2:3]
	s_and_b64 s[2:3], exec, s[2:3]
	v_add_u32_e32 v16, 4, v16
	s_or_b64 s[16:17], s[2:3], s[16:17]
	s_mov_b32 s13, s15
	s_andn2_b64 exec, exec, s[16:17]
	s_cbranch_execz .LBB144_17
.LBB144_15:                             ;   Parent Loop BB144_5 Depth=1
                                        ; =>  This Inner Loop Header: Depth=2
	v_cmp_ne_u32_e32 vcc, s13, v17
	v_cmp_eq_u32_e64 s[2:3], s13, v17
	s_and_saveexec_b64 s[18:19], s[2:3]
	s_cbranch_execz .LBB144_14
; %bb.16:                               ;   in Loop: Header=BB144_15 Depth=2
	scratch_load_dword v18, v16, off
	s_waitcnt vmcnt(0)
	v_add_f32_e32 v5, v5, v18
	global_store_dwordx2 v[10:11], v[12:13], off offset:16
	s_branch .LBB144_14
.LBB144_17:                             ;   in Loop: Header=BB144_5 Depth=1
	s_or_b64 exec, exec, s[16:17]
	global_load_dwordx2 v[8:9], v[8:9], off offset:24
	v_mov_b32_e32 v12, 0
	s_mov_b32 s13, 0
	s_mov_b64 s[16:17], 0
	s_waitcnt vmcnt(0)
	v_ashrrev_i32_e32 v9, 31, v8
	v_add_u32_e32 v13, v15, v8
	s_branch .LBB144_19
.LBB144_18:                             ;   in Loop: Header=BB144_19 Depth=2
	s_or_b64 exec, exec, s[18:19]
	s_add_i32 s15, s13, 1
	s_cmp_gt_u32 s13, 2
	s_cselect_b64 s[2:3], -1, 0
	s_xor_b64 s[18:19], vcc, -1
	s_or_b64 s[2:3], s[18:19], s[2:3]
	s_and_b64 s[2:3], exec, s[2:3]
	v_add_u32_e32 v12, 4, v12
	s_or_b64 s[16:17], s[2:3], s[16:17]
	s_mov_b32 s13, s15
	s_andn2_b64 exec, exec, s[16:17]
	s_cbranch_execz .LBB144_4
.LBB144_19:                             ;   Parent Loop BB144_5 Depth=1
                                        ; =>  This Inner Loop Header: Depth=2
	v_cmp_ne_u32_e32 vcc, s13, v13
	v_cmp_eq_u32_e64 s[2:3], s13, v13
	s_and_saveexec_b64 s[18:19], s[2:3]
	s_cbranch_execz .LBB144_18
; %bb.20:                               ;   in Loop: Header=BB144_19 Depth=2
	scratch_load_dword v16, v12, off
	s_waitcnt vmcnt(0)
	v_add_f32_e32 v5, v5, v16
	global_store_dwordx2 v[10:11], v[8:9], off offset:24
	s_branch .LBB144_18
.LBB144_21:
	s_and_b32 s13, s12, 3
	s_cmp_eq_u32 s13, 0
	s_mov_b32 s15, 0
	s_cbranch_scc1 .LBB144_28
; %bb.22:
	v_lshlrev_b32_e32 v3, 2, v4
	v_sub_u32_e32 v3, 0, v3
	s_mov_b32 s18, s15
	s_branch .LBB144_24
.LBB144_23:                             ;   in Loop: Header=BB144_24 Depth=1
	s_or_b64 exec, exec, s[6:7]
	s_add_i32 s14, s14, 1
	s_add_i32 s18, s18, 1
	s_cmp_lg_u32 s18, s13
	s_cbranch_scc0 .LBB144_28
.LBB144_24:                             ; =>This Loop Header: Depth=1
                                        ;     Child Loop BB144_26 Depth 2
	v_lshl_add_u64 v[8:9], s[14:15], 3, v[6:7]
	global_load_dwordx2 v[8:9], v[8:9], off
	v_add_u32_e32 v10, s14, v2
	v_ashrrev_i32_e32 v11, 31, v10
	v_mov_b32_e32 v4, 0
	s_mov_b32 s19, 0
	s_waitcnt lgkmcnt(0)
	v_lshl_add_u64 v[10:11], v[10:11], 3, s[4:5]
	s_mov_b64 s[6:7], 0
	s_waitcnt vmcnt(0)
	v_ashrrev_i32_e32 v9, 31, v8
	v_add_u32_e32 v12, v3, v8
	s_branch .LBB144_26
.LBB144_25:                             ;   in Loop: Header=BB144_26 Depth=2
	s_or_b64 exec, exec, s[16:17]
	s_add_i32 s20, s19, 1
	s_cmp_gt_u32 s19, 2
	s_cselect_b64 s[2:3], -1, 0
	s_xor_b64 s[16:17], vcc, -1
	s_or_b64 s[2:3], s[16:17], s[2:3]
	s_and_b64 s[2:3], exec, s[2:3]
	v_add_u32_e32 v4, 4, v4
	s_or_b64 s[6:7], s[2:3], s[6:7]
	s_mov_b32 s19, s20
	s_andn2_b64 exec, exec, s[6:7]
	s_cbranch_execz .LBB144_23
.LBB144_26:                             ;   Parent Loop BB144_24 Depth=1
                                        ; =>  This Inner Loop Header: Depth=2
	v_cmp_ne_u32_e32 vcc, s19, v12
	v_cmp_eq_u32_e64 s[2:3], s19, v12
	s_and_saveexec_b64 s[16:17], s[2:3]
	s_cbranch_execz .LBB144_25
; %bb.27:                               ;   in Loop: Header=BB144_26 Depth=2
	scratch_load_dword v13, v4, off
	s_waitcnt vmcnt(0)
	v_add_f32_e32 v5, v5, v13
	global_store_dwordx2 v[10:11], v[8:9], off
	s_branch .LBB144_25
.LBB144_28:
	s_waitcnt lgkmcnt(0)
	s_load_dword s4, s[0:1], 0x3c
	s_waitcnt lgkmcnt(0)
	s_bitcmp1_b32 s4, 0
	s_cselect_b64 s[2:3], -1, 0
	s_bitcmp0_b32 s4, 0
	s_cbranch_scc0 .LBB144_31
; %bb.29:
	s_load_dwordx2 s[4:5], s[0:1], 0x40
	s_andn2_b64 vcc, exec, s[2:3]
	s_waitcnt lgkmcnt(0)
	v_cvt_f32_f64_e32 v8, s[4:5]
	s_cbranch_vccz .LBB144_32
.LBB144_30:
	s_andn2_b64 vcc, exec, s[8:9]
	s_cbranch_vccz .LBB144_33
	s_branch .LBB144_79
.LBB144_31:
	v_mbcnt_lo_u32_b32 v3, -1, 0
	v_mbcnt_hi_u32_b32 v3, -1, v3
	v_and_b32_e32 v4, 0x70, v3
	v_add_u32_e32 v4, 16, v4
	v_xor_b32_e32 v6, 8, v3
	v_cmp_lt_i32_e32 vcc, v6, v4
	v_xor_b32_e32 v7, 4, v3
	s_nop 0
	v_cndmask_b32_e32 v6, v3, v6, vcc
	v_lshlrev_b32_e32 v6, 2, v6
	ds_bpermute_b32 v6, v6, v5
	v_cmp_lt_i32_e32 vcc, v7, v4
	s_waitcnt lgkmcnt(0)
	v_add_f32_e32 v5, v5, v6
	v_cndmask_b32_e32 v6, v3, v7, vcc
	v_lshlrev_b32_e32 v6, 2, v6
	ds_bpermute_b32 v6, v6, v5
	v_xor_b32_e32 v7, 2, v3
	v_cmp_lt_i32_e32 vcc, v7, v4
	s_waitcnt lgkmcnt(0)
	v_add_f32_e32 v5, v5, v6
	v_cndmask_b32_e32 v6, v3, v7, vcc
	v_lshlrev_b32_e32 v6, 2, v6
	ds_bpermute_b32 v6, v6, v5
	v_xor_b32_e32 v7, 1, v3
	v_cmp_lt_i32_e32 vcc, v7, v4
	s_waitcnt lgkmcnt(0)
	v_add_f32_e32 v5, v5, v6
	v_cndmask_b32_e32 v3, v3, v7, vcc
	v_lshlrev_b32_e32 v3, 2, v3
	ds_bpermute_b32 v3, v3, v5
	s_waitcnt lgkmcnt(0)
	v_add_f32_e32 v5, v5, v3
	s_load_dwordx2 s[4:5], s[0:1], 0x40
	s_andn2_b64 vcc, exec, s[2:3]
	s_waitcnt lgkmcnt(0)
	v_cvt_f32_f64_e32 v8, s[4:5]
	s_cbranch_vccnz .LBB144_30
.LBB144_32:
	v_cmp_lt_f32_e32 vcc, 0, v5
	s_nop 1
	v_cndmask_b32_e32 v3, 1.0, v5, vcc
	v_div_scale_f32 v4, s[2:3], v3, v3, v8
	v_rcp_f32_e32 v5, v4
	s_nop 0
	v_fma_f32 v6, -v4, v5, 1.0
	v_fmac_f32_e32 v5, v6, v5
	v_div_scale_f32 v6, vcc, v8, v3, v8
	v_mul_f32_e32 v7, v6, v5
	v_fma_f32 v9, -v4, v7, v6
	v_fmac_f32_e32 v7, v9, v5
	v_fma_f32 v4, -v4, v7, v6
	v_div_fmas_f32 v4, v4, v5, v7
	v_div_fixup_f32 v8, v4, v3, v8
	s_andn2_b64 vcc, exec, s[8:9]
	s_cbranch_vccnz .LBB144_79
.LBB144_33:
	s_load_dwordx2 s[4:5], s[0:1], 0x10
	v_mov_b32_e32 v3, 0
	v_or_b32_e32 v9, 4, v3
	v_or_b32_e32 v10, 8, v3
	;; [unrolled: 1-line block ×6, first 2 shown]
	s_cmp_lt_u32 s12, 4
	s_mov_b32 s6, 0
	s_cbranch_scc1 .LBB144_68
; %bb.34:
	v_ashrrev_i32_e32 v3, 31, v2
	s_waitcnt lgkmcnt(0)
	v_lshl_add_u64 v[4:5], v[2:3], 2, s[4:5]
	v_lshl_add_u64 v[6:7], v[0:1], 3, s[10:11]
	s_and_b32 s6, s12, 0x7ffffffc
	v_lshl_add_u64 v[4:5], v[4:5], 0, 12
	v_lshl_add_u64 v[6:7], v[6:7], 0, 16
	s_mov_b32 s7, 0
	s_branch .LBB144_36
.LBB144_35:                             ;   in Loop: Header=BB144_36 Depth=1
	s_or_b64 exec, exec, s[2:3]
	s_add_i32 s7, s7, 4
	v_lshl_add_u64 v[4:5], v[4:5], 0, 16
	s_cmp_eq_u32 s6, s7
	v_lshl_add_u64 v[6:7], v[6:7], 0, 32
	s_cbranch_scc1 .LBB144_68
.LBB144_36:                             ; =>This Inner Loop Header: Depth=1
	global_load_dword v16, v[6:7], off offset:-16
	v_mov_b32_e32 v3, 0
	s_waitcnt vmcnt(0)
	v_cmp_eq_u32_e32 vcc, v14, v16
	v_cmp_ne_u32_e64 s[0:1], v14, v16
	s_and_saveexec_b64 s[8:9], s[0:1]
	s_cbranch_execz .LBB144_42
; %bb.37:                               ;   in Loop: Header=BB144_36 Depth=1
	v_cmp_eq_u32_e64 s[0:1], v12, v16
	v_cmp_ne_u32_e64 s[2:3], v12, v16
	v_mov_b32_e32 v3, v9
	s_and_saveexec_b64 s[14:15], s[2:3]
	s_cbranch_execz .LBB144_41
; %bb.38:                               ;   in Loop: Header=BB144_36 Depth=1
	v_cmp_eq_u32_e64 s[16:17], v13, v16
	v_cmp_ne_u32_e64 s[2:3], v13, v16
	v_mov_b32_e32 v3, v10
	s_and_saveexec_b64 s[18:19], s[2:3]
	s_xor_b64 s[18:19], exec, s[18:19]
; %bb.39:                               ;   in Loop: Header=BB144_36 Depth=1
	v_cmp_eq_u32_e64 s[2:3], v15, v16
	s_andn2_b64 s[16:17], s[16:17], exec
	s_and_b64 s[2:3], s[2:3], exec
	s_or_b64 s[16:17], s[16:17], s[2:3]
	v_mov_b32_e32 v3, v11
; %bb.40:                               ;   in Loop: Header=BB144_36 Depth=1
	s_or_b64 exec, exec, s[18:19]
	s_andn2_b64 s[0:1], s[0:1], exec
	s_and_b64 s[2:3], s[16:17], exec
	s_or_b64 s[0:1], s[0:1], s[2:3]
.LBB144_41:                             ;   in Loop: Header=BB144_36 Depth=1
	s_or_b64 exec, exec, s[14:15]
	s_andn2_b64 s[2:3], vcc, exec
	s_and_b64 s[0:1], s[0:1], exec
	s_or_b64 vcc, s[2:3], s[0:1]
.LBB144_42:                             ;   in Loop: Header=BB144_36 Depth=1
	s_or_b64 exec, exec, s[8:9]
	s_and_saveexec_b64 s[0:1], vcc
	s_cbranch_execz .LBB144_44
; %bb.43:                               ;   in Loop: Header=BB144_36 Depth=1
	scratch_load_dword v3, v3, off
	v_add_u32_e32 v16, s7, v2
	v_ashrrev_i32_e32 v17, 31, v16
	v_lshl_add_u64 v[16:17], v[16:17], 2, s[4:5]
	s_waitcnt vmcnt(0)
	v_mul_f32_e32 v3, v8, v3
	global_store_dword v[16:17], v3, off
.LBB144_44:                             ;   in Loop: Header=BB144_36 Depth=1
	s_or_b64 exec, exec, s[0:1]
	global_load_dword v16, v[6:7], off offset:-8
	v_mov_b32_e32 v3, 0
	s_waitcnt vmcnt(0)
	v_cmp_eq_u32_e64 s[0:1], v14, v16
	v_cmp_ne_u32_e32 vcc, v14, v16
	s_and_saveexec_b64 s[2:3], vcc
	s_cbranch_execz .LBB144_50
; %bb.45:                               ;   in Loop: Header=BB144_36 Depth=1
	v_cmp_eq_u32_e64 s[8:9], v12, v16
	v_cmp_ne_u32_e32 vcc, v12, v16
	v_mov_b32_e32 v3, v9
	s_and_saveexec_b64 s[14:15], vcc
	s_cbranch_execz .LBB144_49
; %bb.46:                               ;   in Loop: Header=BB144_36 Depth=1
	v_cmp_eq_u32_e64 s[16:17], v13, v16
	v_cmp_ne_u32_e32 vcc, v13, v16
	v_mov_b32_e32 v3, v10
	s_and_saveexec_b64 s[18:19], vcc
; %bb.47:                               ;   in Loop: Header=BB144_36 Depth=1
	v_cmp_eq_u32_e32 vcc, v15, v16
	s_andn2_b64 s[16:17], s[16:17], exec
	s_and_b64 s[20:21], vcc, exec
	s_or_b64 s[16:17], s[16:17], s[20:21]
	v_mov_b32_e32 v3, v11
; %bb.48:                               ;   in Loop: Header=BB144_36 Depth=1
	s_or_b64 exec, exec, s[18:19]
	s_andn2_b64 s[8:9], s[8:9], exec
	s_and_b64 s[16:17], s[16:17], exec
	s_or_b64 s[8:9], s[8:9], s[16:17]
.LBB144_49:                             ;   in Loop: Header=BB144_36 Depth=1
	s_or_b64 exec, exec, s[14:15]
	s_andn2_b64 s[0:1], s[0:1], exec
	s_and_b64 s[8:9], s[8:9], exec
	s_or_b64 s[0:1], s[0:1], s[8:9]
.LBB144_50:                             ;   in Loop: Header=BB144_36 Depth=1
	s_or_b64 exec, exec, s[2:3]
	s_and_saveexec_b64 s[2:3], s[0:1]
	s_cbranch_execz .LBB144_52
; %bb.51:                               ;   in Loop: Header=BB144_36 Depth=1
	scratch_load_dword v3, v3, off
	s_waitcnt vmcnt(0)
	v_mul_f32_e32 v3, v8, v3
	global_store_dword v[4:5], v3, off offset:-8
.LBB144_52:                             ;   in Loop: Header=BB144_36 Depth=1
	s_or_b64 exec, exec, s[2:3]
	global_load_dword v16, v[6:7], off
	v_mov_b32_e32 v3, 0
	s_waitcnt vmcnt(0)
	v_cmp_eq_u32_e64 s[0:1], v14, v16
	v_cmp_ne_u32_e32 vcc, v14, v16
	s_and_saveexec_b64 s[2:3], vcc
	s_cbranch_execz .LBB144_58
; %bb.53:                               ;   in Loop: Header=BB144_36 Depth=1
	v_cmp_eq_u32_e64 s[8:9], v12, v16
	v_cmp_ne_u32_e32 vcc, v12, v16
	v_mov_b32_e32 v3, v9
	s_and_saveexec_b64 s[14:15], vcc
	s_cbranch_execz .LBB144_57
; %bb.54:                               ;   in Loop: Header=BB144_36 Depth=1
	v_cmp_eq_u32_e64 s[16:17], v13, v16
	v_cmp_ne_u32_e32 vcc, v13, v16
	v_mov_b32_e32 v3, v10
	s_and_saveexec_b64 s[18:19], vcc
; %bb.55:                               ;   in Loop: Header=BB144_36 Depth=1
	v_cmp_eq_u32_e32 vcc, v15, v16
	s_andn2_b64 s[16:17], s[16:17], exec
	s_and_b64 s[20:21], vcc, exec
	s_or_b64 s[16:17], s[16:17], s[20:21]
	v_mov_b32_e32 v3, v11
; %bb.56:                               ;   in Loop: Header=BB144_36 Depth=1
	s_or_b64 exec, exec, s[18:19]
	s_andn2_b64 s[8:9], s[8:9], exec
	s_and_b64 s[16:17], s[16:17], exec
	s_or_b64 s[8:9], s[8:9], s[16:17]
.LBB144_57:                             ;   in Loop: Header=BB144_36 Depth=1
	s_or_b64 exec, exec, s[14:15]
	s_andn2_b64 s[0:1], s[0:1], exec
	s_and_b64 s[8:9], s[8:9], exec
	s_or_b64 s[0:1], s[0:1], s[8:9]
.LBB144_58:                             ;   in Loop: Header=BB144_36 Depth=1
	s_or_b64 exec, exec, s[2:3]
	s_and_saveexec_b64 s[2:3], s[0:1]
	s_cbranch_execz .LBB144_60
; %bb.59:                               ;   in Loop: Header=BB144_36 Depth=1
	scratch_load_dword v3, v3, off
	s_waitcnt vmcnt(0)
	v_mul_f32_e32 v3, v8, v3
	global_store_dword v[4:5], v3, off offset:-4
.LBB144_60:                             ;   in Loop: Header=BB144_36 Depth=1
	s_or_b64 exec, exec, s[2:3]
	global_load_dword v16, v[6:7], off offset:8
	v_mov_b32_e32 v3, 0
	s_waitcnt vmcnt(0)
	v_cmp_eq_u32_e64 s[0:1], v14, v16
	v_cmp_ne_u32_e32 vcc, v14, v16
	s_and_saveexec_b64 s[2:3], vcc
	s_cbranch_execz .LBB144_66
; %bb.61:                               ;   in Loop: Header=BB144_36 Depth=1
	v_cmp_eq_u32_e64 s[8:9], v12, v16
	v_cmp_ne_u32_e32 vcc, v12, v16
	v_mov_b32_e32 v3, v9
	s_and_saveexec_b64 s[14:15], vcc
	s_cbranch_execz .LBB144_65
; %bb.62:                               ;   in Loop: Header=BB144_36 Depth=1
	v_cmp_eq_u32_e64 s[16:17], v13, v16
	v_cmp_ne_u32_e32 vcc, v13, v16
	v_mov_b32_e32 v3, v10
	s_and_saveexec_b64 s[18:19], vcc
; %bb.63:                               ;   in Loop: Header=BB144_36 Depth=1
	v_cmp_eq_u32_e32 vcc, v15, v16
	s_andn2_b64 s[16:17], s[16:17], exec
	s_and_b64 s[20:21], vcc, exec
	s_or_b64 s[16:17], s[16:17], s[20:21]
	v_mov_b32_e32 v3, v11
; %bb.64:                               ;   in Loop: Header=BB144_36 Depth=1
	s_or_b64 exec, exec, s[18:19]
	s_andn2_b64 s[8:9], s[8:9], exec
	s_and_b64 s[16:17], s[16:17], exec
	s_or_b64 s[8:9], s[8:9], s[16:17]
.LBB144_65:                             ;   in Loop: Header=BB144_36 Depth=1
	s_or_b64 exec, exec, s[14:15]
	s_andn2_b64 s[0:1], s[0:1], exec
	s_and_b64 s[8:9], s[8:9], exec
	s_or_b64 s[0:1], s[0:1], s[8:9]
.LBB144_66:                             ;   in Loop: Header=BB144_36 Depth=1
	s_or_b64 exec, exec, s[2:3]
	s_and_saveexec_b64 s[2:3], s[0:1]
	s_cbranch_execz .LBB144_35
; %bb.67:                               ;   in Loop: Header=BB144_36 Depth=1
	scratch_load_dword v3, v3, off
	s_waitcnt vmcnt(0)
	v_mul_f32_e32 v3, v8, v3
	global_store_dword v[4:5], v3, off
	s_branch .LBB144_35
.LBB144_68:
	s_and_b32 s14, s12, 3
	s_cmp_eq_u32 s14, 0
	s_mov_b32 s7, 0
	s_cbranch_scc1 .LBB144_79
; %bb.69:
	s_lshl_b64 s[0:1], s[6:7], 3
	s_add_u32 s0, s10, s0
	s_addc_u32 s1, s11, s1
	v_add_u32_e32 v2, s6, v2
	v_lshl_add_u64 v[0:1], v[0:1], 3, s[0:1]
	s_branch .LBB144_71
.LBB144_70:                             ;   in Loop: Header=BB144_71 Depth=1
	s_or_b64 exec, exec, s[2:3]
	s_add_i32 s14, s14, -1
	v_add_u32_e32 v2, 1, v2
	s_cmp_lg_u32 s14, 0
	v_lshl_add_u64 v[0:1], v[0:1], 0, 8
	s_cbranch_scc0 .LBB144_79
.LBB144_71:                             ; =>This Inner Loop Header: Depth=1
	global_load_dword v4, v[0:1], off
	v_mov_b32_e32 v3, 0
	s_waitcnt vmcnt(0)
	v_cmp_eq_u32_e64 s[0:1], v14, v4
	v_cmp_ne_u32_e32 vcc, v14, v4
	s_and_saveexec_b64 s[2:3], vcc
	s_cbranch_execz .LBB144_77
; %bb.72:                               ;   in Loop: Header=BB144_71 Depth=1
	v_cmp_eq_u32_e64 s[6:7], v12, v4
	v_cmp_ne_u32_e32 vcc, v12, v4
	v_mov_b32_e32 v3, v9
	s_and_saveexec_b64 s[8:9], vcc
	s_cbranch_execz .LBB144_76
; %bb.73:                               ;   in Loop: Header=BB144_71 Depth=1
	v_cmp_eq_u32_e64 s[10:11], v13, v4
	v_cmp_ne_u32_e32 vcc, v13, v4
	v_mov_b32_e32 v3, v10
	s_and_saveexec_b64 s[12:13], vcc
; %bb.74:                               ;   in Loop: Header=BB144_71 Depth=1
	v_cmp_eq_u32_e32 vcc, v15, v4
	s_andn2_b64 s[10:11], s[10:11], exec
	s_and_b64 s[16:17], vcc, exec
	s_or_b64 s[10:11], s[10:11], s[16:17]
	v_mov_b32_e32 v3, v11
; %bb.75:                               ;   in Loop: Header=BB144_71 Depth=1
	s_or_b64 exec, exec, s[12:13]
	s_andn2_b64 s[6:7], s[6:7], exec
	s_and_b64 s[10:11], s[10:11], exec
	s_or_b64 s[6:7], s[6:7], s[10:11]
.LBB144_76:                             ;   in Loop: Header=BB144_71 Depth=1
	s_or_b64 exec, exec, s[8:9]
	s_andn2_b64 s[0:1], s[0:1], exec
	s_and_b64 s[6:7], s[6:7], exec
	s_or_b64 s[0:1], s[0:1], s[6:7]
.LBB144_77:                             ;   in Loop: Header=BB144_71 Depth=1
	s_or_b64 exec, exec, s[2:3]
	s_and_saveexec_b64 s[2:3], s[0:1]
	s_cbranch_execz .LBB144_70
; %bb.78:                               ;   in Loop: Header=BB144_71 Depth=1
	scratch_load_dword v4, v3, off
	v_ashrrev_i32_e32 v3, 31, v2
	s_waitcnt vmcnt(0)
	v_mul_f32_e32 v6, v8, v4
	s_waitcnt lgkmcnt(0)
	v_lshl_add_u64 v[4:5], v[2:3], 2, s[4:5]
	global_store_dword v[4:5], v6, off
	s_branch .LBB144_70
.LBB144_79:
	s_endpgm
	.section	.rodata,"a",@progbits
	.p2align	6, 0x0
	.amdhsa_kernel _ZN4vllm3moe22topkGatingSoftplusSqrtILi4ELi64ELi4ELi16ELi64ELb1ElfEEvPKT6_PKbPfiPT5_PiiiibdPKfPKS8_SE_
		.amdhsa_group_segment_fixed_size 0
		.amdhsa_private_segment_fixed_size 32
		.amdhsa_kernarg_size 96
		.amdhsa_user_sgpr_count 2
		.amdhsa_user_sgpr_dispatch_ptr 0
		.amdhsa_user_sgpr_queue_ptr 0
		.amdhsa_user_sgpr_kernarg_segment_ptr 1
		.amdhsa_user_sgpr_dispatch_id 0
		.amdhsa_user_sgpr_kernarg_preload_length 0
		.amdhsa_user_sgpr_kernarg_preload_offset 0
		.amdhsa_user_sgpr_private_segment_size 0
		.amdhsa_uses_dynamic_stack 0
		.amdhsa_enable_private_segment 1
		.amdhsa_system_sgpr_workgroup_id_x 1
		.amdhsa_system_sgpr_workgroup_id_y 0
		.amdhsa_system_sgpr_workgroup_id_z 0
		.amdhsa_system_sgpr_workgroup_info 0
		.amdhsa_system_vgpr_workitem_id 1
		.amdhsa_next_free_vgpr 25
		.amdhsa_next_free_sgpr 22
		.amdhsa_accum_offset 28
		.amdhsa_reserve_vcc 1
		.amdhsa_float_round_mode_32 0
		.amdhsa_float_round_mode_16_64 0
		.amdhsa_float_denorm_mode_32 3
		.amdhsa_float_denorm_mode_16_64 3
		.amdhsa_dx10_clamp 1
		.amdhsa_ieee_mode 1
		.amdhsa_fp16_overflow 0
		.amdhsa_tg_split 0
		.amdhsa_exception_fp_ieee_invalid_op 0
		.amdhsa_exception_fp_denorm_src 0
		.amdhsa_exception_fp_ieee_div_zero 0
		.amdhsa_exception_fp_ieee_overflow 0
		.amdhsa_exception_fp_ieee_underflow 0
		.amdhsa_exception_fp_ieee_inexact 0
		.amdhsa_exception_int_div_zero 0
	.end_amdhsa_kernel
	.section	.text._ZN4vllm3moe22topkGatingSoftplusSqrtILi4ELi64ELi4ELi16ELi64ELb1ElfEEvPKT6_PKbPfiPT5_PiiiibdPKfPKS8_SE_,"axG",@progbits,_ZN4vllm3moe22topkGatingSoftplusSqrtILi4ELi64ELi4ELi16ELi64ELb1ElfEEvPKT6_PKbPfiPT5_PiiiibdPKfPKS8_SE_,comdat
.Lfunc_end144:
	.size	_ZN4vllm3moe22topkGatingSoftplusSqrtILi4ELi64ELi4ELi16ELi64ELb1ElfEEvPKT6_PKbPfiPT5_PiiiibdPKfPKS8_SE_, .Lfunc_end144-_ZN4vllm3moe22topkGatingSoftplusSqrtILi4ELi64ELi4ELi16ELi64ELb1ElfEEvPKT6_PKbPfiPT5_PiiiibdPKfPKS8_SE_
                                        ; -- End function
	.section	.AMDGPU.csdata,"",@progbits
; Kernel info:
; codeLenInByte = 3512
; NumSgprs: 28
; NumVgprs: 25
; NumAgprs: 0
; TotalNumVgprs: 25
; ScratchSize: 32
; MemoryBound: 0
; FloatMode: 240
; IeeeMode: 1
; LDSByteSize: 0 bytes/workgroup (compile time only)
; SGPRBlocks: 3
; VGPRBlocks: 3
; NumSGPRsForWavesPerEU: 28
; NumVGPRsForWavesPerEU: 25
; AccumOffset: 28
; Occupancy: 8
; WaveLimiterHint : 1
; COMPUTE_PGM_RSRC2:SCRATCH_EN: 1
; COMPUTE_PGM_RSRC2:USER_SGPR: 2
; COMPUTE_PGM_RSRC2:TRAP_HANDLER: 0
; COMPUTE_PGM_RSRC2:TGID_X_EN: 1
; COMPUTE_PGM_RSRC2:TGID_Y_EN: 0
; COMPUTE_PGM_RSRC2:TGID_Z_EN: 0
; COMPUTE_PGM_RSRC2:TIDIG_COMP_CNT: 1
; COMPUTE_PGM_RSRC3_GFX90A:ACCUM_OFFSET: 6
; COMPUTE_PGM_RSRC3_GFX90A:TG_SPLIT: 0
	.section	.text._ZN4vllm3moe22topkGatingSoftplusSqrtILi4ELi64ELi4ELi16ELi64ELb0ElfEEvPKT6_PKbPfiPT5_PiiiibdPKfPKS8_SE_,"axG",@progbits,_ZN4vllm3moe22topkGatingSoftplusSqrtILi4ELi64ELi4ELi16ELi64ELb0ElfEEvPKT6_PKbPfiPT5_PiiiibdPKfPKS8_SE_,comdat
	.protected	_ZN4vllm3moe22topkGatingSoftplusSqrtILi4ELi64ELi4ELi16ELi64ELb0ElfEEvPKT6_PKbPfiPT5_PiiiibdPKfPKS8_SE_ ; -- Begin function _ZN4vllm3moe22topkGatingSoftplusSqrtILi4ELi64ELi4ELi16ELi64ELb0ElfEEvPKT6_PKbPfiPT5_PiiiibdPKfPKS8_SE_
	.globl	_ZN4vllm3moe22topkGatingSoftplusSqrtILi4ELi64ELi4ELi16ELi64ELb0ElfEEvPKT6_PKbPfiPT5_PiiiibdPKfPKS8_SE_
	.p2align	8
	.type	_ZN4vllm3moe22topkGatingSoftplusSqrtILi4ELi64ELi4ELi16ELi64ELb0ElfEEvPKT6_PKbPfiPT5_PiiiibdPKfPKS8_SE_,@function
_ZN4vllm3moe22topkGatingSoftplusSqrtILi4ELi64ELi4ELi16ELi64ELb0ElfEEvPKT6_PKbPfiPT5_PiiiibdPKfPKS8_SE_: ; @_ZN4vllm3moe22topkGatingSoftplusSqrtILi4ELi64ELi4ELi16ELi64ELb0ElfEEvPKT6_PKbPfiPT5_PiiiibdPKfPKS8_SE_
; %bb.0:
	s_load_dword s30, s[2:3], 0x18
	v_and_b32_e32 v1, 0x3ff, v0
	v_bfe_u32 v4, v0, 10, 10
	s_lshl_b32 s4, s4, 4
	v_lshlrev_b32_e32 v2, 2, v4
	v_lshrrev_b32_e32 v3, 4, v1
	v_add3_u32 v2, s4, v2, v3
	s_waitcnt lgkmcnt(0)
	v_cmp_gt_i32_e32 vcc, s30, v2
	s_and_saveexec_b64 s[4:5], vcc
	s_cbranch_execz .LBB145_51
; %bb.1:
	s_load_dwordx4 s[4:7], s[2:3], 0x0
	s_load_dwordx2 s[20:21], s[2:3], 0x10
	s_waitcnt lgkmcnt(0)
	s_cmp_eq_u64 s[6:7], 0
	s_cbranch_scc1 .LBB145_3
; %bb.2:
	v_ashrrev_i32_e32 v3, 31, v2
	v_lshl_add_u64 v[6:7], s[6:7], 0, v[2:3]
	global_load_ubyte v3, v[6:7], off
	s_waitcnt vmcnt(0)
	v_and_b32_e32 v3, 1, v3
	v_cmp_eq_u32_e32 vcc, 1, v3
	s_xor_b64 s[6:7], vcc, -1
	s_orn2_b64 s[22:23], s[6:7], exec
	s_branch .LBB145_4
.LBB145_3:
	s_mov_b64 s[22:23], -1
.LBB145_4:
	v_lshlrev_b32_e32 v8, 6, v2
	v_mov_b32_e32 v6, s4
	v_mov_b32_e32 v7, s5
	v_ashrrev_i32_e32 v9, 31, v8
	v_and_b32_e32 v3, 15, v1
	v_lshl_add_u64 v[6:7], v[8:9], 2, v[6:7]
	v_mov_b32_e32 v9, 0
	v_lshlrev_b32_e32 v8, 4, v3
	v_lshl_add_u64 v[6:7], v[6:7], 0, v[8:9]
	global_load_dwordx4 v[6:9], v[6:7], off
	s_load_dwordx2 s[4:5], s[0:1], 0x4
	s_load_dwordx4 s[8:11], s[2:3], 0x40
	v_bfe_u32 v0, v0, 20, 10
	s_mov_b32 s16, 0x800000
	s_mov_b32 s13, 0x3f317217
	s_waitcnt lgkmcnt(0)
	s_lshr_b32 s0, s4, 16
	s_mul_i32 s0, s0, s5
	v_mul_lo_u32 v1, s0, v1
	v_mad_u32_u24 v1, v4, s5, v1
	v_add_lshl_u32 v4, v1, v0, 4
	s_mov_b32 s14, 0x7f800000
	s_mov_b32 s12, 0x41a00000
	;; [unrolled: 1-line block ×3, first 2 shown]
	s_cmp_lg_u64 s[10:11], 0
	v_mov_b32_e32 v1, 0x260
	s_cselect_b64 s[6:7], -1, 0
	s_and_b64 s[0:1], exec, s[6:7]
	s_waitcnt vmcnt(0)
	ds_write_b128 v4, v[6:9]
	ds_read_b32 v8, v4
	v_mov_b32_e32 v6, 0x4f800000
	v_mov_b32_e32 v7, 0x41b17218
	s_waitcnt lgkmcnt(0)
	v_mul_f32_e32 v0, 0x3fb8aa3b, v8
	v_exp_f32_e32 v0, v0
	s_nop 0
	v_add_f32_e32 v0, 1.0, v0
	v_cmp_gt_f32_e32 vcc, s16, v0
	s_nop 1
	v_cndmask_b32_e32 v5, 1.0, v6, vcc
	v_mul_f32_e32 v0, v0, v5
	v_log_f32_e32 v9, v0
	v_cndmask_b32_e32 v10, 0, v7, vcc
	v_lshlrev_b32_e32 v5, 2, v3
	v_lshlrev_b32_e32 v0, 2, v5
	v_mul_f32_e32 v11, 0x3f317217, v9
	v_fma_f32 v11, v9, s13, -v11
	v_fmac_f32_e32 v11, 0x3377d1cf, v9
	v_fmac_f32_e32 v11, 0x3f317217, v9
	v_cmp_lt_f32_e64 vcc, |v9|, s14
	s_nop 1
	v_cndmask_b32_e32 v9, v9, v11, vcc
	v_sub_f32_e32 v9, v9, v10
	v_cmp_lt_f32_e32 vcc, s12, v8
	s_nop 1
	v_cndmask_b32_e32 v8, v9, v8, vcc
	v_mul_f32_e32 v9, 0x4f800000, v8
	v_cmp_gt_f32_e32 vcc, s15, v8
	s_nop 1
	v_cndmask_b32_e32 v8, v8, v9, vcc
	v_sqrt_f32_e32 v9, v8
	s_nop 0
	v_add_u32_e32 v10, -1, v9
	v_add_u32_e32 v11, 1, v9
	v_fma_f32 v12, -v10, v9, v8
	v_fma_f32 v13, -v11, v9, v8
	v_cmp_ge_f32_e64 s[4:5], 0, v12
	s_nop 1
	v_cndmask_b32_e64 v9, v9, v10, s[4:5]
	v_cmp_lt_f32_e64 s[4:5], 0, v13
	s_nop 1
	v_cndmask_b32_e64 v9, v9, v11, s[4:5]
	v_mul_f32_e32 v10, 0x37800000, v9
	v_cndmask_b32_e32 v9, v9, v10, vcc
	v_cmp_class_f32_e32 vcc, v8, v1
	s_nop 1
	v_cndmask_b32_e32 v8, v9, v8, vcc
	s_mov_b64 vcc, s[0:1]
	s_cbranch_vccz .LBB145_6
; %bb.5:
	global_load_dword v9, v0, s[10:11]
	s_waitcnt vmcnt(0)
	v_add_f32_e32 v8, v8, v9
.LBB145_6:
	ds_read_b32 v9, v4 offset:4
	ds_write_b32 v4, v8
	s_waitcnt lgkmcnt(1)
	v_mul_f32_e32 v10, 0x3fb8aa3b, v9
	v_exp_f32_e32 v10, v10
	s_nop 0
	v_add_f32_e32 v10, 1.0, v10
	v_cmp_gt_f32_e32 vcc, s16, v10
	s_nop 1
	v_cndmask_b32_e32 v6, 1.0, v6, vcc
	v_mul_f32_e32 v6, v10, v6
	v_log_f32_e32 v6, v6
	v_cndmask_b32_e32 v7, 0, v7, vcc
	v_mul_f32_e32 v8, 0x3f317217, v6
	v_fma_f32 v8, v6, s13, -v8
	v_fmac_f32_e32 v8, 0x3377d1cf, v6
	v_fmac_f32_e32 v8, 0x3f317217, v6
	v_cmp_lt_f32_e64 vcc, |v6|, s14
	s_nop 1
	v_cndmask_b32_e32 v6, v6, v8, vcc
	v_sub_f32_e32 v6, v6, v7
	v_cmp_lt_f32_e32 vcc, s12, v9
	v_cndmask_b32_e64 v8, 0, 1, s[6:7]
	v_cmp_ne_u32_e64 s[0:1], 1, v8
	v_cndmask_b32_e32 v6, v6, v9, vcc
	v_mul_f32_e32 v7, 0x4f800000, v6
	v_cmp_gt_f32_e64 s[4:5], s15, v6
	s_andn2_b64 vcc, exec, s[6:7]
	s_nop 0
	v_cndmask_b32_e64 v6, v6, v7, s[4:5]
	v_sqrt_f32_e32 v7, v6
	s_nop 0
	v_add_u32_e32 v8, -1, v7
	v_add_u32_e32 v9, 1, v7
	v_fma_f32 v10, -v8, v7, v6
	v_fma_f32 v11, -v9, v7, v6
	v_cmp_ge_f32_e64 s[6:7], 0, v10
	s_nop 1
	v_cndmask_b32_e64 v7, v7, v8, s[6:7]
	v_cmp_lt_f32_e64 s[6:7], 0, v11
	s_nop 1
	v_cndmask_b32_e64 v7, v7, v9, s[6:7]
	v_mul_f32_e32 v8, 0x37800000, v7
	v_cndmask_b32_e64 v7, v7, v8, s[4:5]
	v_cmp_class_f32_e64 s[4:5], v6, v1
	s_nop 1
	v_cndmask_b32_e64 v1, v7, v6, s[4:5]
	s_cbranch_vccnz .LBB145_8
; %bb.7:
	global_load_dword v6, v0, s[10:11] offset:4
	s_waitcnt vmcnt(0)
	v_add_f32_e32 v1, v1, v6
.LBB145_8:
	ds_read_b32 v8, v4 offset:8
	s_mov_b32 s12, 0x800000
	s_mov_b32 s7, 0x3f317217
	;; [unrolled: 1-line block ×4, first 2 shown]
	s_waitcnt lgkmcnt(0)
	v_mul_f32_e32 v6, 0x3fb8aa3b, v8
	v_exp_f32_e32 v7, v6
	v_mov_b32_e32 v6, 0x4f800000
	s_mov_b32 s14, 0xf800000
	ds_write_b32 v4, v1 offset:4
	v_add_f32_e32 v7, 1.0, v7
	v_cmp_gt_f32_e32 vcc, s12, v7
	s_nop 1
	v_cndmask_b32_e32 v9, 1.0, v6, vcc
	v_mul_f32_e32 v7, v7, v9
	v_log_f32_e32 v9, v7
	v_mov_b32_e32 v7, 0x41b17218
	v_cndmask_b32_e32 v10, 0, v7, vcc
	v_mul_f32_e32 v11, 0x3f317217, v9
	v_fma_f32 v11, v9, s7, -v11
	v_fmac_f32_e32 v11, 0x3377d1cf, v9
	v_fmac_f32_e32 v11, 0x3f317217, v9
	v_cmp_lt_f32_e64 vcc, |v9|, s13
	s_nop 1
	v_cndmask_b32_e32 v9, v9, v11, vcc
	v_sub_f32_e32 v9, v9, v10
	v_cmp_lt_f32_e32 vcc, s6, v8
	s_nop 1
	v_cndmask_b32_e32 v8, v9, v8, vcc
	v_mul_f32_e32 v9, 0x4f800000, v8
	v_cmp_gt_f32_e32 vcc, s14, v8
	s_nop 1
	v_cndmask_b32_e32 v8, v8, v9, vcc
	v_sqrt_f32_e32 v9, v8
	s_nop 0
	v_add_u32_e32 v1, -1, v9
	v_fma_f32 v10, -v1, v9, v8
	v_cmp_ge_f32_e64 s[4:5], 0, v10
	v_add_u32_e32 v10, 1, v9
	s_nop 0
	v_cndmask_b32_e64 v1, v9, v1, s[4:5]
	v_fma_f32 v9, -v10, v9, v8
	v_cmp_lt_f32_e64 s[4:5], 0, v9
	s_nop 1
	v_cndmask_b32_e64 v1, v1, v10, s[4:5]
	v_mul_f32_e32 v9, 0x37800000, v1
	v_cndmask_b32_e32 v9, v1, v9, vcc
	v_mov_b32_e32 v1, 0x260
	v_cmp_class_f32_e64 s[4:5], v8, v1
	s_and_b64 vcc, exec, s[0:1]
	s_nop 0
	v_cndmask_b32_e64 v8, v9, v8, s[4:5]
	s_cbranch_vccnz .LBB145_10
; %bb.9:
	global_load_dword v9, v0, s[10:11] offset:8
	s_waitcnt vmcnt(0)
	v_add_f32_e32 v8, v8, v9
.LBB145_10:
	ds_read_b32 v9, v4 offset:12
	ds_write_b32 v4, v8 offset:8
	s_waitcnt lgkmcnt(1)
	v_mul_f32_e32 v10, 0x3fb8aa3b, v9
	v_exp_f32_e32 v10, v10
	s_nop 0
	v_add_f32_e32 v10, 1.0, v10
	v_cmp_gt_f32_e32 vcc, s12, v10
	s_nop 1
	v_cndmask_b32_e32 v6, 1.0, v6, vcc
	v_mul_f32_e32 v6, v10, v6
	v_log_f32_e32 v6, v6
	v_cndmask_b32_e32 v7, 0, v7, vcc
	v_mul_f32_e32 v10, 0x3f317217, v6
	v_fma_f32 v10, v6, s7, -v10
	v_fmac_f32_e32 v10, 0x3377d1cf, v6
	v_fmac_f32_e32 v10, 0x3f317217, v6
	v_cmp_lt_f32_e64 vcc, |v6|, s13
	s_nop 1
	v_cndmask_b32_e32 v6, v6, v10, vcc
	v_sub_f32_e32 v6, v6, v7
	v_cmp_lt_f32_e32 vcc, s6, v9
	s_nop 1
	v_cndmask_b32_e32 v6, v6, v9, vcc
	v_mul_f32_e32 v7, 0x4f800000, v6
	v_cmp_gt_f32_e64 s[4:5], s14, v6
	s_and_b64 vcc, exec, s[0:1]
	s_nop 0
	v_cndmask_b32_e64 v6, v6, v7, s[4:5]
	v_sqrt_f32_e32 v7, v6
	s_nop 0
	v_add_u32_e32 v8, -1, v7
	v_add_u32_e32 v9, 1, v7
	v_fma_f32 v10, -v8, v7, v6
	v_fma_f32 v11, -v9, v7, v6
	v_cmp_ge_f32_e64 s[6:7], 0, v10
	s_nop 1
	v_cndmask_b32_e64 v7, v7, v8, s[6:7]
	v_cmp_lt_f32_e64 s[6:7], 0, v11
	s_nop 1
	v_cndmask_b32_e64 v7, v7, v9, s[6:7]
	v_mul_f32_e32 v8, 0x37800000, v7
	v_cndmask_b32_e64 v7, v7, v8, s[4:5]
	v_cmp_class_f32_e64 s[4:5], v6, v1
	s_nop 1
	v_cndmask_b32_e64 v1, v7, v6, s[4:5]
	s_cbranch_vccnz .LBB145_12
; %bb.11:
	global_load_dword v0, v0, s[10:11] offset:12
	s_waitcnt vmcnt(0)
	v_add_f32_e32 v1, v1, v0
.LBB145_12:
	s_load_dwordx4 s[12:15], s[2:3], 0x30
	s_mov_b32 s31, 0
	v_cmp_eq_u32_e64 s[6:7], 0, v3
	ds_write_b32 v4, v1 offset:12
	s_waitcnt lgkmcnt(0)
	s_bitcmp1_b32 s15, 0
	s_cselect_b64 s[4:5], -1, 0
	s_cmp_gt_i32 s12, 0
	s_cselect_b64 s[24:25], -1, 0
	s_and_b64 vcc, exec, s[24:25]
	s_cbranch_vccz .LBB145_37
; %bb.13:
	v_mbcnt_lo_u32_b32 v0, -1, 0
	v_mbcnt_hi_u32_b32 v0, -1, v0
	v_and_b32_e32 v1, 0x70, v0
	v_add_u32_e32 v1, 16, v1
	v_xor_b32_e32 v6, 8, v0
	v_cmp_lt_i32_e32 vcc, v6, v1
	s_load_dwordx4 s[16:19], s[2:3], 0x20
	v_mul_lo_u32 v7, v2, s12
	v_cndmask_b32_e32 v6, v0, v6, vcc
	v_lshlrev_b32_e32 v8, 2, v6
	v_xor_b32_e32 v6, 4, v0
	v_cmp_lt_i32_e32 vcc, v6, v1
	v_mov_b32_e32 v12, 0xc61c4000
	v_mov_b32_e32 v13, v2
	v_cndmask_b32_e32 v6, v0, v6, vcc
	v_lshlrev_b32_e32 v9, 2, v6
	v_xor_b32_e32 v6, 2, v0
	v_cmp_lt_i32_e32 vcc, v6, v1
	s_nop 1
	v_cndmask_b32_e32 v6, v0, v6, vcc
	v_lshlrev_b32_e32 v10, 2, v6
	v_xor_b32_e32 v6, 1, v0
	v_cmp_lt_i32_e32 vcc, v6, v1
	s_nop 1
	v_cndmask_b32_e32 v0, v0, v6, vcc
	v_lshlrev_b32_e32 v11, 2, v0
	v_mov_b32_e32 v6, 0
	s_branch .LBB145_15
.LBB145_14:                             ;   in Loop: Header=BB145_15 Depth=1
	s_or_b64 exec, exec, s[2:3]
	s_cmp_eq_u32 s12, s31
	v_add_u32_e32 v13, s30, v13
	s_cbranch_scc1 .LBB145_38
.LBB145_15:                             ; =>This Inner Loop Header: Depth=1
	ds_read_b128 v[14:17], v4
	s_waitcnt lgkmcnt(0)
	v_cmp_gt_f32_e32 vcc, v15, v14
	s_nop 1
	v_cndmask_b32_e32 v1, v14, v15, vcc
	v_cndmask_b32_e64 v0, 0, 1, vcc
	v_cmp_gt_f32_e32 vcc, v16, v1
	s_nop 1
	v_cndmask_b32_e32 v1, v1, v16, vcc
	v_cndmask_b32_e64 v0, v0, 2, vcc
	v_cmp_gt_f32_e32 vcc, v17, v1
	s_nop 1
	v_cndmask_b32_e64 v0, v0, 3, vcc
	v_cndmask_b32_e32 v14, v1, v17, vcc
	ds_bpermute_b32 v1, v8, v14
	v_or_b32_e32 v0, v5, v0
	ds_bpermute_b32 v15, v8, v0
	s_waitcnt lgkmcnt(1)
	v_cmp_lt_f32_e64 s[26:27], v14, v1
	v_cmp_nlt_f32_e32 vcc, v14, v1
	s_and_saveexec_b64 s[28:29], vcc
	s_cbranch_execz .LBB145_17
; %bb.16:                               ;   in Loop: Header=BB145_15 Depth=1
	v_cmp_eq_f32_e32 vcc, v14, v1
	s_waitcnt lgkmcnt(0)
	v_cmp_lt_i32_e64 s[2:3], v15, v0
	s_and_b64 s[2:3], vcc, s[2:3]
	s_andn2_b64 s[26:27], s[26:27], exec
	s_and_b64 s[2:3], s[2:3], exec
	s_or_b64 s[26:27], s[26:27], s[2:3]
.LBB145_17:                             ;   in Loop: Header=BB145_15 Depth=1
	s_or_b64 exec, exec, s[28:29]
	s_and_saveexec_b64 s[2:3], s[26:27]
	s_cbranch_execz .LBB145_19
; %bb.18:                               ;   in Loop: Header=BB145_15 Depth=1
	v_mov_b32_e32 v14, v1
	s_waitcnt lgkmcnt(0)
	v_mov_b32_e32 v0, v15
.LBB145_19:                             ;   in Loop: Header=BB145_15 Depth=1
	s_or_b64 exec, exec, s[2:3]
	ds_bpermute_b32 v1, v9, v14
	s_waitcnt lgkmcnt(1)
	ds_bpermute_b32 v15, v9, v0
	s_waitcnt lgkmcnt(1)
	v_cmp_lt_f32_e64 s[26:27], v14, v1
	v_cmp_nlt_f32_e32 vcc, v14, v1
	s_and_saveexec_b64 s[28:29], vcc
	s_cbranch_execz .LBB145_21
; %bb.20:                               ;   in Loop: Header=BB145_15 Depth=1
	v_cmp_eq_f32_e32 vcc, v14, v1
	s_waitcnt lgkmcnt(0)
	v_cmp_lt_i32_e64 s[2:3], v15, v0
	s_and_b64 s[2:3], vcc, s[2:3]
	s_andn2_b64 s[26:27], s[26:27], exec
	s_and_b64 s[2:3], s[2:3], exec
	s_or_b64 s[26:27], s[26:27], s[2:3]
.LBB145_21:                             ;   in Loop: Header=BB145_15 Depth=1
	s_or_b64 exec, exec, s[28:29]
	s_and_saveexec_b64 s[2:3], s[26:27]
	s_cbranch_execz .LBB145_23
; %bb.22:                               ;   in Loop: Header=BB145_15 Depth=1
	v_mov_b32_e32 v14, v1
	s_waitcnt lgkmcnt(0)
	v_mov_b32_e32 v0, v15
.LBB145_23:                             ;   in Loop: Header=BB145_15 Depth=1
	s_or_b64 exec, exec, s[2:3]
	ds_bpermute_b32 v1, v10, v14
	s_waitcnt lgkmcnt(1)
	;; [unrolled: 26-line block ×3, first 2 shown]
	ds_bpermute_b32 v15, v11, v0
	s_waitcnt lgkmcnt(1)
	v_cmp_lt_f32_e64 s[26:27], v14, v1
	v_cmp_nlt_f32_e32 vcc, v14, v1
	s_and_saveexec_b64 s[28:29], vcc
	s_cbranch_execnz .LBB145_30
; %bb.28:                               ;   in Loop: Header=BB145_15 Depth=1
	s_or_b64 exec, exec, s[28:29]
	s_and_saveexec_b64 s[2:3], s[26:27]
	s_cbranch_execnz .LBB145_31
.LBB145_29:                             ;   in Loop: Header=BB145_15 Depth=1
	s_or_b64 exec, exec, s[2:3]
	s_and_saveexec_b64 s[26:27], s[6:7]
	s_cbranch_execnz .LBB145_32
	s_branch .LBB145_35
.LBB145_30:                             ;   in Loop: Header=BB145_15 Depth=1
	v_cmp_eq_f32_e32 vcc, v14, v1
	s_waitcnt lgkmcnt(0)
	v_cmp_lt_i32_e64 s[2:3], v15, v0
	s_and_b64 s[2:3], vcc, s[2:3]
	s_andn2_b64 s[26:27], s[26:27], exec
	s_and_b64 s[2:3], s[2:3], exec
	s_or_b64 s[26:27], s[26:27], s[2:3]
	s_or_b64 exec, exec, s[28:29]
	s_and_saveexec_b64 s[2:3], s[26:27]
	s_cbranch_execz .LBB145_29
.LBB145_31:                             ;   in Loop: Header=BB145_15 Depth=1
	s_waitcnt lgkmcnt(0)
	v_mov_b32_e32 v0, v15
	v_mov_b32_e32 v14, v1
	s_or_b64 exec, exec, s[2:3]
	s_and_saveexec_b64 s[26:27], s[6:7]
	s_cbranch_execz .LBB145_35
.LBB145_32:                             ;   in Loop: Header=BB145_15 Depth=1
	s_and_b64 vcc, exec, s[0:1]
	s_cbranch_vccnz .LBB145_34
; %bb.33:                               ;   in Loop: Header=BB145_15 Depth=1
	v_ashrrev_i32_e32 v1, 31, v0
	v_lshl_add_u64 v[16:17], v[0:1], 2, s[10:11]
	global_load_dword v1, v[16:17], off
	s_waitcnt vmcnt(0)
	v_sub_f32_e32 v14, v14, v1
.LBB145_34:                             ;   in Loop: Header=BB145_15 Depth=1
	v_add_u32_e32 v16, s31, v7
	v_cmp_le_i32_e32 vcc, s13, v0
	v_cmp_gt_i32_e64 s[2:3], s14, v0
	v_ashrrev_i32_e32 v17, 31, v16
	s_and_b64 s[2:3], vcc, s[2:3]
	v_lshlrev_b64 v[18:19], 2, v[16:17]
	v_subrev_u32_e32 v1, s13, v0
	v_lshl_add_u64 v[20:21], s[20:21], 0, v[18:19]
	s_waitcnt lgkmcnt(0)
	v_ashrrev_i32_e32 v15, 31, v1
	s_and_b64 vcc, s[22:23], s[2:3]
	global_store_dword v[20:21], v14, off
	v_cndmask_b32_e32 v21, 0, v15, vcc
	v_cndmask_b32_e32 v20, 64, v1, vcc
	v_lshl_add_u64 v[16:17], v[16:17], 3, s[16:17]
	v_add_f32_e32 v1, v6, v14
	global_store_dwordx2 v[16:17], v[20:21], off
	v_lshl_add_u64 v[16:17], s[18:19], 0, v[18:19]
	v_cndmask_b32_e64 v6, v6, v1, s[4:5]
	global_store_dword v[16:17], v13, off
.LBB145_35:                             ;   in Loop: Header=BB145_15 Depth=1
	s_or_b64 exec, exec, s[26:27]
	v_ashrrev_i32_e32 v14, 31, v0
	v_lshrrev_b32_e32 v1, 30, v14
	s_waitcnt lgkmcnt(0)
	v_add_u32_e32 v15, v0, v1
	v_ashrrev_i32_e32 v1, 2, v15
	v_ashrrev_i32_e32 v15, 31, v15
	v_lshrrev_b32_e32 v15, 28, v15
	v_add_u32_e32 v15, v1, v15
	s_add_i32 s31, s31, 1
	v_and_b32_e32 v15, -16, v15
	s_cmp_lt_i32 s31, s12
	v_sub_u32_e32 v15, v1, v15
	s_cselect_b64 s[2:3], -1, 0
	v_cmp_eq_u32_e32 vcc, v3, v15
	s_and_b64 s[26:27], s[2:3], vcc
	s_and_saveexec_b64 s[2:3], s[26:27]
	s_cbranch_execz .LBB145_14
; %bb.36:                               ;   in Loop: Header=BB145_15 Depth=1
	v_lshrrev_b32_e32 v14, 26, v14
	v_add_u32_e32 v14, v0, v14
	v_lshlrev_b32_e32 v1, 2, v1
	v_ashrrev_i32_e32 v14, 6, v14
	v_sub_u32_e32 v0, v0, v1
	v_lshl_add_u32 v0, v14, 2, v0
	v_lshl_add_u32 v0, v0, 2, v4
	ds_write_b32 v0, v12
	s_branch .LBB145_14
.LBB145_37:
	v_mov_b32_e32 v6, 0
.LBB145_38:
	v_cmp_eq_u32_e32 vcc, 0, v3
	s_and_b64 exec, exec, vcc
	s_cbranch_execz .LBB145_51
; %bb.39:
	s_andn2_b64 vcc, exec, s[4:5]
	v_cvt_f32_f64_e32 v0, s[8:9]
	s_cbranch_vccnz .LBB145_41
; %bb.40:
	v_cmp_lt_f32_e32 vcc, 0, v6
	s_nop 1
	v_cndmask_b32_e32 v1, 1.0, v6, vcc
	v_div_scale_f32 v3, s[0:1], v1, v1, v0
	v_rcp_f32_e32 v4, v3
	s_nop 0
	v_fma_f32 v5, -v3, v4, 1.0
	v_fmac_f32_e32 v4, v5, v4
	v_div_scale_f32 v5, vcc, v0, v1, v0
	v_mul_f32_e32 v6, v5, v4
	v_fma_f32 v7, -v3, v6, v5
	v_fmac_f32_e32 v6, v7, v4
	v_fma_f32 v3, -v3, v6, v5
	v_div_fmas_f32 v3, v3, v4, v6
	v_div_fixup_f32 v0, v3, v1, v0
.LBB145_41:
	s_andn2_b64 vcc, exec, s[24:25]
	s_cbranch_vccnz .LBB145_51
; %bb.42:
	v_mul_lo_u32 v2, v2, s12
	s_cmp_gt_u32 s12, 3
	v_ashrrev_i32_e32 v3, 31, v2
	s_cbranch_scc0 .LBB145_46
; %bb.43:
	s_and_b32 s0, s12, 0x7ffffffc
	v_lshl_add_u64 v[4:5], v[2:3], 2, s[20:21]
	v_mov_b32_e32 v1, v0
	v_lshl_add_u64 v[4:5], v[4:5], 0, 8
	s_mov_b32 s1, s0
.LBB145_44:                             ; =>This Inner Loop Header: Depth=1
	global_load_dwordx4 v[6:9], v[4:5], off offset:-8
	s_add_i32 s1, s1, -4
	s_cmp_lg_u32 s1, 0
	s_waitcnt vmcnt(0)
	v_pk_mul_f32 v[6:7], v[0:1], v[6:7]
	v_pk_mul_f32 v[8:9], v[0:1], v[8:9]
	global_store_dwordx4 v[4:5], v[6:9], off offset:-8
	v_lshl_add_u64 v[4:5], v[4:5], 0, 16
	s_cbranch_scc1 .LBB145_44
; %bb.45:
	s_cmp_lg_u32 s0, s12
	s_cselect_b64 s[2:3], -1, 0
	s_branch .LBB145_48
.LBB145_46:
	s_mov_b64 s[2:3], 0
                                        ; implicit-def: $sgpr0
	s_cbranch_execz .LBB145_48
; %bb.47:
	s_mov_b64 s[2:3], -1
	s_mov_b32 s0, 0
.LBB145_48:
	s_andn2_b64 vcc, exec, s[2:3]
	s_cbranch_vccnz .LBB145_51
; %bb.49:
	s_mov_b32 s1, 0
	v_lshl_add_u64 v[2:3], v[2:3], 0, s[0:1]
	s_sub_i32 s2, s12, s0
	v_lshl_add_u64 v[2:3], v[2:3], 2, s[20:21]
.LBB145_50:                             ; =>This Inner Loop Header: Depth=1
	global_load_dword v1, v[2:3], off
	s_add_i32 s2, s2, -1
	s_cmp_lg_u32 s2, 0
	s_waitcnt vmcnt(0)
	v_mul_f32_e32 v1, v0, v1
	global_store_dword v[2:3], v1, off
	v_lshl_add_u64 v[2:3], v[2:3], 0, 4
	s_cbranch_scc1 .LBB145_50
.LBB145_51:
	s_endpgm
	.section	.rodata,"a",@progbits
	.p2align	6, 0x0
	.amdhsa_kernel _ZN4vllm3moe22topkGatingSoftplusSqrtILi4ELi64ELi4ELi16ELi64ELb0ElfEEvPKT6_PKbPfiPT5_PiiiibdPKfPKS8_SE_
		.amdhsa_group_segment_fixed_size 4096
		.amdhsa_private_segment_fixed_size 0
		.amdhsa_kernarg_size 96
		.amdhsa_user_sgpr_count 4
		.amdhsa_user_sgpr_dispatch_ptr 1
		.amdhsa_user_sgpr_queue_ptr 0
		.amdhsa_user_sgpr_kernarg_segment_ptr 1
		.amdhsa_user_sgpr_dispatch_id 0
		.amdhsa_user_sgpr_kernarg_preload_length 0
		.amdhsa_user_sgpr_kernarg_preload_offset 0
		.amdhsa_user_sgpr_private_segment_size 0
		.amdhsa_uses_dynamic_stack 0
		.amdhsa_enable_private_segment 0
		.amdhsa_system_sgpr_workgroup_id_x 1
		.amdhsa_system_sgpr_workgroup_id_y 0
		.amdhsa_system_sgpr_workgroup_id_z 0
		.amdhsa_system_sgpr_workgroup_info 0
		.amdhsa_system_vgpr_workitem_id 2
		.amdhsa_next_free_vgpr 22
		.amdhsa_next_free_sgpr 32
		.amdhsa_accum_offset 24
		.amdhsa_reserve_vcc 1
		.amdhsa_float_round_mode_32 0
		.amdhsa_float_round_mode_16_64 0
		.amdhsa_float_denorm_mode_32 3
		.amdhsa_float_denorm_mode_16_64 3
		.amdhsa_dx10_clamp 1
		.amdhsa_ieee_mode 1
		.amdhsa_fp16_overflow 0
		.amdhsa_tg_split 0
		.amdhsa_exception_fp_ieee_invalid_op 0
		.amdhsa_exception_fp_denorm_src 0
		.amdhsa_exception_fp_ieee_div_zero 0
		.amdhsa_exception_fp_ieee_overflow 0
		.amdhsa_exception_fp_ieee_underflow 0
		.amdhsa_exception_fp_ieee_inexact 0
		.amdhsa_exception_int_div_zero 0
	.end_amdhsa_kernel
	.section	.text._ZN4vllm3moe22topkGatingSoftplusSqrtILi4ELi64ELi4ELi16ELi64ELb0ElfEEvPKT6_PKbPfiPT5_PiiiibdPKfPKS8_SE_,"axG",@progbits,_ZN4vllm3moe22topkGatingSoftplusSqrtILi4ELi64ELi4ELi16ELi64ELb0ElfEEvPKT6_PKbPfiPT5_PiiiibdPKfPKS8_SE_,comdat
.Lfunc_end145:
	.size	_ZN4vllm3moe22topkGatingSoftplusSqrtILi4ELi64ELi4ELi16ELi64ELb0ElfEEvPKT6_PKbPfiPT5_PiiiibdPKfPKS8_SE_, .Lfunc_end145-_ZN4vllm3moe22topkGatingSoftplusSqrtILi4ELi64ELi4ELi16ELi64ELb0ElfEEvPKT6_PKbPfiPT5_PiiiibdPKfPKS8_SE_
                                        ; -- End function
	.section	.AMDGPU.csdata,"",@progbits
; Kernel info:
; codeLenInByte = 2872
; NumSgprs: 38
; NumVgprs: 22
; NumAgprs: 0
; TotalNumVgprs: 22
; ScratchSize: 0
; MemoryBound: 0
; FloatMode: 240
; IeeeMode: 1
; LDSByteSize: 4096 bytes/workgroup (compile time only)
; SGPRBlocks: 4
; VGPRBlocks: 2
; NumSGPRsForWavesPerEU: 38
; NumVGPRsForWavesPerEU: 22
; AccumOffset: 24
; Occupancy: 8
; WaveLimiterHint : 0
; COMPUTE_PGM_RSRC2:SCRATCH_EN: 0
; COMPUTE_PGM_RSRC2:USER_SGPR: 4
; COMPUTE_PGM_RSRC2:TRAP_HANDLER: 0
; COMPUTE_PGM_RSRC2:TGID_X_EN: 1
; COMPUTE_PGM_RSRC2:TGID_Y_EN: 0
; COMPUTE_PGM_RSRC2:TGID_Z_EN: 0
; COMPUTE_PGM_RSRC2:TIDIG_COMP_CNT: 2
; COMPUTE_PGM_RSRC3_GFX90A:ACCUM_OFFSET: 5
; COMPUTE_PGM_RSRC3_GFX90A:TG_SPLIT: 0
	.section	.text._ZN4vllm3moe22topkGatingSoftplusSqrtILi4ELi64ELi4ELi16ELi32ELb1ElfEEvPKT6_PKbPfiPT5_PiiiibdPKfPKS8_SE_,"axG",@progbits,_ZN4vllm3moe22topkGatingSoftplusSqrtILi4ELi64ELi4ELi16ELi32ELb1ElfEEvPKT6_PKbPfiPT5_PiiiibdPKfPKS8_SE_,comdat
	.protected	_ZN4vllm3moe22topkGatingSoftplusSqrtILi4ELi64ELi4ELi16ELi32ELb1ElfEEvPKT6_PKbPfiPT5_PiiiibdPKfPKS8_SE_ ; -- Begin function _ZN4vllm3moe22topkGatingSoftplusSqrtILi4ELi64ELi4ELi16ELi32ELb1ElfEEvPKT6_PKbPfiPT5_PiiiibdPKfPKS8_SE_
	.globl	_ZN4vllm3moe22topkGatingSoftplusSqrtILi4ELi64ELi4ELi16ELi32ELb1ElfEEvPKT6_PKbPfiPT5_PiiiibdPKfPKS8_SE_
	.p2align	8
	.type	_ZN4vllm3moe22topkGatingSoftplusSqrtILi4ELi64ELi4ELi16ELi32ELb1ElfEEvPKT6_PKbPfiPT5_PiiiibdPKfPKS8_SE_,@function
_ZN4vllm3moe22topkGatingSoftplusSqrtILi4ELi64ELi4ELi16ELi32ELb1ElfEEvPKT6_PKbPfiPT5_PiiiibdPKfPKS8_SE_: ; @_ZN4vllm3moe22topkGatingSoftplusSqrtILi4ELi64ELi4ELi16ELi32ELb1ElfEEvPKT6_PKbPfiPT5_PiiiibdPKfPKS8_SE_
; %bb.0:
	s_load_dword s3, s[0:1], 0x18
	v_bfe_u32 v1, v0, 10, 10
	v_and_b32_e32 v8, 0x3ff, v0
	s_lshl_b32 s2, s2, 3
	v_lshlrev_b32_e32 v1, 1, v1
	v_lshrrev_b32_e32 v0, 4, v8
	v_add3_u32 v2, s2, v1, v0
	s_waitcnt lgkmcnt(0)
	v_cmp_gt_i32_e32 vcc, s3, v2
	s_and_saveexec_b64 s[2:3], vcc
	s_cbranch_execz .LBB146_79
; %bb.1:
	s_load_dwordx4 s[8:11], s[0:1], 0x50
	s_load_dwordx2 s[2:3], s[0:1], 0x0
	s_load_dword s12, s[0:1], 0x30
	v_lshlrev_b32_e32 v0, 6, v2
	v_lshlrev_b32_e32 v3, 2, v8
	v_ashrrev_i32_e32 v1, 31, v0
	v_and_b32_e32 v14, 60, v3
	s_waitcnt lgkmcnt(0)
	v_lshl_add_u64 v[0:1], v[0:1], 2, s[2:3]
	v_lshlrev_b32_e32 v4, 2, v14
	v_mov_b32_e32 v5, 0
	v_lshl_add_u64 v[0:1], v[0:1], 0, v[4:5]
	global_load_dwordx4 v[10:13], v[0:1], off
	v_mov_b32_e32 v6, s8
	v_mov_b32_e32 v7, s9
	v_ashrrev_i32_e32 v3, 31, v2
	v_lshl_add_u64 v[6:7], v[2:3], 3, v[6:7]
	global_load_dwordx2 v[6:7], v[6:7], off
	s_ashr_i32 s13, s12, 31
	s_mov_b32 s6, 0x800000
	v_mov_b32_e32 v3, 0x4f800000
	s_mov_b32 s18, 0x3f317217
	s_mov_b32 s19, 0x7f800000
	v_mov_b32_e32 v4, 0x41b17218
	s_mov_b32 s15, 0x41a00000
	s_mov_b32 s20, 0xf800000
	v_mov_b32_e32 v9, 0x260
	v_cmp_lt_i64_e64 s[16:17], s[12:13], 1
	s_mov_b32 s14, 0
	v_cmp_gt_i64_e64 s[8:9], s[12:13], 0
	v_mul_lo_u32 v2, v2, s12
	s_waitcnt vmcnt(1)
	v_mul_f32_e32 v0, 0x3fb8aa3b, v10
	v_mul_f32_e32 v1, 0x3fb8aa3b, v11
	v_exp_f32_e32 v16, v0
	v_exp_f32_e32 v17, v1
	v_mul_f32_e32 v18, 0x3fb8aa3b, v12
	v_mul_f32_e32 v19, 0x3fb8aa3b, v13
	s_waitcnt vmcnt(0)
	v_mul_lo_u32 v7, v7, s12
	v_mul_lo_u32 v15, v6, s13
	v_exp_f32_e32 v18, v18
	v_exp_f32_e32 v19, v19
	v_mad_u64_u32 v[0:1], s[2:3], v6, s12, 0
	v_add3_u32 v1, v1, v15, v7
	v_pk_add_f32 v[6:7], v[16:17], 1.0 op_sel_hi:[1,0]
	v_pk_add_f32 v[16:17], v[18:19], 1.0 op_sel_hi:[1,0]
	v_cmp_gt_f32_e32 vcc, s6, v7
	v_cmp_gt_f32_e64 s[2:3], s6, v6
	v_cmp_gt_f32_e64 s[4:5], s6, v17
	v_cndmask_b32_e32 v15, 1.0, v3, vcc
	v_cndmask_b32_e64 v18, 1.0, v3, s[2:3]
	v_mul_f32_e32 v7, v7, v15
	v_mul_f32_e32 v6, v6, v18
	v_log_f32_e32 v7, v7
	v_log_f32_e32 v6, v6
	v_cndmask_b32_e64 v19, 1.0, v3, s[4:5]
	v_cmp_gt_f32_e64 s[6:7], s6, v16
	v_mul_f32_e32 v17, v17, v19
	v_mul_f32_e32 v20, 0x3f317217, v6
	v_cndmask_b32_e64 v3, 1.0, v3, s[6:7]
	v_mul_f32_e32 v3, v16, v3
	v_log_f32_e32 v16, v17
	v_mul_f32_e32 v17, 0x3f317217, v7
	v_fma_f32 v17, v7, s18, -v17
	v_fma_f32 v20, v6, s18, -v20
	v_fmac_f32_e32 v17, 0x3377d1cf, v7
	v_cndmask_b32_e32 v15, 0, v4, vcc
	v_fmac_f32_e32 v20, 0x3377d1cf, v6
	v_fmac_f32_e32 v17, 0x3f317217, v7
	v_cmp_lt_f32_e64 vcc, |v7|, s19
	v_fmac_f32_e32 v20, 0x3f317217, v6
	v_cndmask_b32_e64 v18, 0, v4, s[2:3]
	v_cndmask_b32_e32 v7, v7, v17, vcc
	v_cmp_lt_f32_e64 vcc, |v6|, s19
	v_sub_f32_e32 v7, v7, v15
	v_mul_f32_e32 v21, 0x3f317217, v16
	v_cndmask_b32_e32 v6, v6, v20, vcc
	v_sub_f32_e32 v6, v6, v18
	v_cmp_lt_f32_e32 vcc, s15, v10
	v_fma_f32 v21, v16, s18, -v21
	v_fmac_f32_e32 v21, 0x3377d1cf, v16
	v_cndmask_b32_e32 v6, v6, v10, vcc
	v_cmp_lt_f32_e32 vcc, s15, v11
	v_cmp_gt_f32_e64 s[2:3], s20, v6
	v_cndmask_b32_e64 v19, 0, v4, s[4:5]
	v_cndmask_b32_e32 v7, v7, v11, vcc
	v_mul_f32_e32 v10, 0x4f800000, v7
	v_cmp_gt_f32_e32 vcc, s20, v7
	v_mul_f32_e32 v11, 0x4f800000, v6
	v_cndmask_b32_e64 v6, v6, v11, s[2:3]
	v_cndmask_b32_e32 v7, v7, v10, vcc
	v_sqrt_f32_e32 v10, v7
	v_sqrt_f32_e32 v11, v6
	v_fmac_f32_e32 v21, 0x3f317217, v16
	v_cmp_lt_f32_e64 s[4:5], |v16|, s19
	v_add_u32_e32 v17, 1, v10
	v_add_u32_e32 v18, -1, v11
	v_cndmask_b32_e64 v15, v16, v21, s[4:5]
	v_add_u32_e32 v16, -1, v10
	v_fma_f32 v21, -v16, v10, v7
	v_fma_f32 v23, -v18, v11, v6
	v_cmp_ge_f32_e64 s[4:5], 0, v21
	v_add_u32_e32 v20, 1, v11
	v_fma_f32 v22, -v17, v10, v7
	v_cndmask_b32_e64 v10, v10, v16, s[4:5]
	v_cmp_ge_f32_e64 s[4:5], 0, v23
	v_log_f32_e32 v3, v3
	v_fma_f32 v24, -v20, v11, v6
	v_cndmask_b32_e64 v11, v11, v18, s[4:5]
	v_cmp_lt_f32_e64 s[4:5], 0, v22
	v_cndmask_b32_e64 v4, 0, v4, s[6:7]
	s_nop 0
	v_cndmask_b32_e64 v10, v10, v17, s[4:5]
	v_cmp_lt_f32_e64 s[4:5], 0, v24
	v_mul_f32_e32 v16, 0x37800000, v10
	v_cndmask_b32_e32 v10, v10, v16, vcc
	v_cndmask_b32_e64 v11, v11, v20, s[4:5]
	v_mul_f32_e32 v17, 0x37800000, v11
	v_cmp_class_f32_e32 vcc, v7, v9
	v_cndmask_b32_e64 v16, v11, v17, s[2:3]
	v_cmp_lt_f32_e64 s[2:3], s15, v12
	v_cndmask_b32_e32 v11, v10, v7, vcc
	v_mul_f32_e32 v7, 0x3f317217, v3
	v_fma_f32 v7, v3, s18, -v7
	v_cmp_class_f32_e32 vcc, v6, v9
	v_fmac_f32_e32 v7, 0x3377d1cf, v3
	v_fmac_f32_e32 v7, 0x3f317217, v3
	v_cndmask_b32_e32 v10, v16, v6, vcc
	v_cmp_lt_f32_e64 vcc, |v3|, s19
	v_sub_f32_e32 v6, v15, v19
	s_nop 0
	v_cndmask_b32_e32 v3, v3, v7, vcc
	v_cmp_lt_f32_e32 vcc, s15, v13
	v_sub_f32_e32 v3, v3, v4
	v_cndmask_b32_e64 v3, v3, v12, s[2:3]
	v_cndmask_b32_e32 v6, v6, v13, vcc
	v_mul_f32_e32 v7, 0x4f800000, v6
	v_cmp_gt_f32_e32 vcc, s20, v6
	s_nop 1
	v_cndmask_b32_e32 v6, v6, v7, vcc
	v_sqrt_f32_e32 v7, v6
	s_nop 0
	v_add_u32_e32 v4, -1, v7
	v_fma_f32 v12, -v4, v7, v6
	v_cmp_ge_f32_e64 s[2:3], 0, v12
	v_add_u32_e32 v12, 1, v7
	s_nop 0
	v_cndmask_b32_e64 v4, v7, v4, s[2:3]
	v_fma_f32 v7, -v12, v7, v6
	v_cmp_lt_f32_e64 s[2:3], 0, v7
	s_nop 1
	v_cndmask_b32_e64 v4, v4, v12, s[2:3]
	v_mul_f32_e32 v12, 0x4f800000, v3
	v_cmp_gt_f32_e64 s[2:3], s20, v3
	v_mul_f32_e32 v7, 0x37800000, v4
	v_cndmask_b32_e32 v4, v4, v7, vcc
	v_cndmask_b32_e64 v3, v3, v12, s[2:3]
	v_sqrt_f32_e32 v12, v3
	v_cmp_class_f32_e32 vcc, v6, v9
	s_nop 1
	v_cndmask_b32_e32 v13, v4, v6, vcc
	v_add_u32_e32 v4, -1, v12
	v_fma_f32 v6, -v4, v12, v3
	v_cmp_ge_f32_e32 vcc, 0, v6
	v_add_u32_e32 v6, 1, v12
	v_fma_f32 v7, -v6, v12, v3
	v_cndmask_b32_e32 v4, v12, v4, vcc
	v_cmp_lt_f32_e32 vcc, 0, v7
	s_nop 1
	v_cndmask_b32_e32 v4, v4, v6, vcc
	v_mul_f32_e32 v6, 0x37800000, v4
	v_cndmask_b32_e64 v4, v4, v6, s[2:3]
	v_cmp_class_f32_e32 vcc, v3, v9
	s_nop 1
	v_cndmask_b32_e32 v12, v4, v3, vcc
	s_and_b64 vcc, exec, s[16:17]
	scratch_store_dwordx4 off, v[10:13], off
	s_cbranch_vccnz .LBB146_28
; %bb.2:
	s_load_dwordx2 s[4:5], s[0:1], 0x20
	v_lshl_add_u64 v[6:7], v[0:1], 3, s[10:11]
	s_cmp_lt_u32 s12, 4
	v_and_b32_e32 v4, 15, v8
	s_cbranch_scc1 .LBB146_21
; %bb.3:
	v_lshlrev_b32_e32 v5, 2, v4
	s_mov_b32 s7, 0
	s_and_b32 s14, s12, 0x7ffffffc
	v_ashrrev_i32_e32 v3, 31, v2
	v_sub_u32_e32 v15, 0, v5
	v_mov_b32_e32 v5, 0
	s_mov_b32 s6, s7
	s_branch .LBB146_5
.LBB146_4:                              ;   in Loop: Header=BB146_5 Depth=1
	s_or_b64 exec, exec, s[16:17]
	s_add_i32 s6, s6, 4
	s_cmp_eq_u32 s6, s14
	s_cbranch_scc1 .LBB146_21
.LBB146_5:                              ; =>This Loop Header: Depth=1
                                        ;     Child Loop BB146_7 Depth 2
                                        ;     Child Loop BB146_11 Depth 2
	;; [unrolled: 1-line block ×4, first 2 shown]
	v_lshl_add_u64 v[8:9], s[6:7], 3, v[6:7]
	global_load_dwordx2 v[10:11], v[8:9], off
	v_add_u32_e32 v12, s6, v2
	v_ashrrev_i32_e32 v13, 31, v12
	v_mov_b32_e32 v16, 0
	s_mov_b64 s[16:17], 0
	s_waitcnt lgkmcnt(0)
	v_lshl_add_u64 v[12:13], v[12:13], 3, s[4:5]
	s_mov_b32 s13, 0
	s_waitcnt vmcnt(0)
	v_ashrrev_i32_e32 v11, 31, v10
	v_add_u32_e32 v17, v15, v10
	s_branch .LBB146_7
.LBB146_6:                              ;   in Loop: Header=BB146_7 Depth=2
	s_or_b64 exec, exec, s[18:19]
	s_add_i32 s15, s13, 1
	s_cmp_gt_u32 s13, 2
	s_cselect_b64 s[2:3], -1, 0
	s_xor_b64 s[18:19], vcc, -1
	s_or_b64 s[2:3], s[18:19], s[2:3]
	s_and_b64 s[2:3], exec, s[2:3]
	v_add_u32_e32 v16, 4, v16
	s_or_b64 s[16:17], s[2:3], s[16:17]
	s_mov_b32 s13, s15
	s_andn2_b64 exec, exec, s[16:17]
	s_cbranch_execz .LBB146_9
.LBB146_7:                              ;   Parent Loop BB146_5 Depth=1
                                        ; =>  This Inner Loop Header: Depth=2
	v_cmp_ne_u32_e32 vcc, s13, v17
	v_cmp_eq_u32_e64 s[2:3], s13, v17
	s_and_saveexec_b64 s[18:19], s[2:3]
	s_cbranch_execz .LBB146_6
; %bb.8:                                ;   in Loop: Header=BB146_7 Depth=2
	scratch_load_dword v18, v16, off
	s_waitcnt vmcnt(0)
	v_add_f32_e32 v5, v5, v18
	global_store_dwordx2 v[12:13], v[10:11], off
	s_branch .LBB146_6
.LBB146_9:                              ;   in Loop: Header=BB146_5 Depth=1
	s_or_b64 exec, exec, s[16:17]
	global_load_dwordx2 v[12:13], v[8:9], off offset:8
	s_ashr_i32 s3, s6, 31
	s_mov_b32 s2, s6
	v_lshl_add_u64 v[10:11], s[2:3], 0, v[2:3]
	v_mov_b32_e32 v16, 0
	s_mov_b32 s13, 0
	v_lshl_add_u64 v[10:11], v[10:11], 3, s[4:5]
	s_mov_b64 s[16:17], 0
	s_waitcnt vmcnt(0)
	v_ashrrev_i32_e32 v13, 31, v12
	v_add_u32_e32 v17, v15, v12
	s_branch .LBB146_11
.LBB146_10:                             ;   in Loop: Header=BB146_11 Depth=2
	s_or_b64 exec, exec, s[18:19]
	s_add_i32 s15, s13, 1
	s_cmp_gt_u32 s13, 2
	s_cselect_b64 s[2:3], -1, 0
	s_xor_b64 s[18:19], vcc, -1
	s_or_b64 s[2:3], s[18:19], s[2:3]
	s_and_b64 s[2:3], exec, s[2:3]
	v_add_u32_e32 v16, 4, v16
	s_or_b64 s[16:17], s[2:3], s[16:17]
	s_mov_b32 s13, s15
	s_andn2_b64 exec, exec, s[16:17]
	s_cbranch_execz .LBB146_13
.LBB146_11:                             ;   Parent Loop BB146_5 Depth=1
                                        ; =>  This Inner Loop Header: Depth=2
	v_cmp_ne_u32_e32 vcc, s13, v17
	v_cmp_eq_u32_e64 s[2:3], s13, v17
	s_and_saveexec_b64 s[18:19], s[2:3]
	s_cbranch_execz .LBB146_10
; %bb.12:                               ;   in Loop: Header=BB146_11 Depth=2
	scratch_load_dword v18, v16, off
	s_waitcnt vmcnt(0)
	v_add_f32_e32 v5, v5, v18
	global_store_dwordx2 v[10:11], v[12:13], off offset:8
	s_branch .LBB146_10
.LBB146_13:                             ;   in Loop: Header=BB146_5 Depth=1
	s_or_b64 exec, exec, s[16:17]
	global_load_dwordx2 v[12:13], v[8:9], off offset:16
	v_mov_b32_e32 v16, 0
	s_mov_b32 s13, 0
	s_mov_b64 s[16:17], 0
	s_waitcnt vmcnt(0)
	v_ashrrev_i32_e32 v13, 31, v12
	v_add_u32_e32 v17, v15, v12
	s_branch .LBB146_15
.LBB146_14:                             ;   in Loop: Header=BB146_15 Depth=2
	s_or_b64 exec, exec, s[18:19]
	s_add_i32 s15, s13, 1
	s_cmp_gt_u32 s13, 2
	s_cselect_b64 s[2:3], -1, 0
	s_xor_b64 s[18:19], vcc, -1
	s_or_b64 s[2:3], s[18:19], s[2:3]
	s_and_b64 s[2:3], exec, s[2:3]
	v_add_u32_e32 v16, 4, v16
	s_or_b64 s[16:17], s[2:3], s[16:17]
	s_mov_b32 s13, s15
	s_andn2_b64 exec, exec, s[16:17]
	s_cbranch_execz .LBB146_17
.LBB146_15:                             ;   Parent Loop BB146_5 Depth=1
                                        ; =>  This Inner Loop Header: Depth=2
	v_cmp_ne_u32_e32 vcc, s13, v17
	v_cmp_eq_u32_e64 s[2:3], s13, v17
	s_and_saveexec_b64 s[18:19], s[2:3]
	s_cbranch_execz .LBB146_14
; %bb.16:                               ;   in Loop: Header=BB146_15 Depth=2
	scratch_load_dword v18, v16, off
	s_waitcnt vmcnt(0)
	v_add_f32_e32 v5, v5, v18
	global_store_dwordx2 v[10:11], v[12:13], off offset:16
	s_branch .LBB146_14
.LBB146_17:                             ;   in Loop: Header=BB146_5 Depth=1
	s_or_b64 exec, exec, s[16:17]
	global_load_dwordx2 v[8:9], v[8:9], off offset:24
	v_mov_b32_e32 v12, 0
	s_mov_b32 s13, 0
	s_mov_b64 s[16:17], 0
	s_waitcnt vmcnt(0)
	v_ashrrev_i32_e32 v9, 31, v8
	v_add_u32_e32 v13, v15, v8
	s_branch .LBB146_19
.LBB146_18:                             ;   in Loop: Header=BB146_19 Depth=2
	s_or_b64 exec, exec, s[18:19]
	s_add_i32 s15, s13, 1
	s_cmp_gt_u32 s13, 2
	s_cselect_b64 s[2:3], -1, 0
	s_xor_b64 s[18:19], vcc, -1
	s_or_b64 s[2:3], s[18:19], s[2:3]
	s_and_b64 s[2:3], exec, s[2:3]
	v_add_u32_e32 v12, 4, v12
	s_or_b64 s[16:17], s[2:3], s[16:17]
	s_mov_b32 s13, s15
	s_andn2_b64 exec, exec, s[16:17]
	s_cbranch_execz .LBB146_4
.LBB146_19:                             ;   Parent Loop BB146_5 Depth=1
                                        ; =>  This Inner Loop Header: Depth=2
	v_cmp_ne_u32_e32 vcc, s13, v13
	v_cmp_eq_u32_e64 s[2:3], s13, v13
	s_and_saveexec_b64 s[18:19], s[2:3]
	s_cbranch_execz .LBB146_18
; %bb.20:                               ;   in Loop: Header=BB146_19 Depth=2
	scratch_load_dword v16, v12, off
	s_waitcnt vmcnt(0)
	v_add_f32_e32 v5, v5, v16
	global_store_dwordx2 v[10:11], v[8:9], off offset:24
	s_branch .LBB146_18
.LBB146_21:
	s_and_b32 s13, s12, 3
	s_cmp_eq_u32 s13, 0
	s_mov_b32 s15, 0
	s_cbranch_scc1 .LBB146_28
; %bb.22:
	v_lshlrev_b32_e32 v3, 2, v4
	v_sub_u32_e32 v3, 0, v3
	s_mov_b32 s18, s15
	s_branch .LBB146_24
.LBB146_23:                             ;   in Loop: Header=BB146_24 Depth=1
	s_or_b64 exec, exec, s[6:7]
	s_add_i32 s14, s14, 1
	s_add_i32 s18, s18, 1
	s_cmp_lg_u32 s18, s13
	s_cbranch_scc0 .LBB146_28
.LBB146_24:                             ; =>This Loop Header: Depth=1
                                        ;     Child Loop BB146_26 Depth 2
	v_lshl_add_u64 v[8:9], s[14:15], 3, v[6:7]
	global_load_dwordx2 v[8:9], v[8:9], off
	v_add_u32_e32 v10, s14, v2
	v_ashrrev_i32_e32 v11, 31, v10
	v_mov_b32_e32 v4, 0
	s_mov_b32 s19, 0
	s_waitcnt lgkmcnt(0)
	v_lshl_add_u64 v[10:11], v[10:11], 3, s[4:5]
	s_mov_b64 s[6:7], 0
	s_waitcnt vmcnt(0)
	v_ashrrev_i32_e32 v9, 31, v8
	v_add_u32_e32 v12, v3, v8
	s_branch .LBB146_26
.LBB146_25:                             ;   in Loop: Header=BB146_26 Depth=2
	s_or_b64 exec, exec, s[16:17]
	s_add_i32 s20, s19, 1
	s_cmp_gt_u32 s19, 2
	s_cselect_b64 s[2:3], -1, 0
	s_xor_b64 s[16:17], vcc, -1
	s_or_b64 s[2:3], s[16:17], s[2:3]
	s_and_b64 s[2:3], exec, s[2:3]
	v_add_u32_e32 v4, 4, v4
	s_or_b64 s[6:7], s[2:3], s[6:7]
	s_mov_b32 s19, s20
	s_andn2_b64 exec, exec, s[6:7]
	s_cbranch_execz .LBB146_23
.LBB146_26:                             ;   Parent Loop BB146_24 Depth=1
                                        ; =>  This Inner Loop Header: Depth=2
	v_cmp_ne_u32_e32 vcc, s19, v12
	v_cmp_eq_u32_e64 s[2:3], s19, v12
	s_and_saveexec_b64 s[16:17], s[2:3]
	s_cbranch_execz .LBB146_25
; %bb.27:                               ;   in Loop: Header=BB146_26 Depth=2
	scratch_load_dword v13, v4, off
	s_waitcnt vmcnt(0)
	v_add_f32_e32 v5, v5, v13
	global_store_dwordx2 v[10:11], v[8:9], off
	s_branch .LBB146_25
.LBB146_28:
	s_waitcnt lgkmcnt(0)
	s_load_dword s4, s[0:1], 0x3c
	s_waitcnt lgkmcnt(0)
	s_bitcmp1_b32 s4, 0
	s_cselect_b64 s[2:3], -1, 0
	s_bitcmp0_b32 s4, 0
	s_cbranch_scc0 .LBB146_31
; %bb.29:
	s_load_dwordx2 s[4:5], s[0:1], 0x40
	s_andn2_b64 vcc, exec, s[2:3]
	s_waitcnt lgkmcnt(0)
	v_cvt_f32_f64_e32 v8, s[4:5]
	s_cbranch_vccz .LBB146_32
.LBB146_30:
	s_andn2_b64 vcc, exec, s[8:9]
	s_cbranch_vccz .LBB146_33
	s_branch .LBB146_79
.LBB146_31:
	v_mbcnt_lo_u32_b32 v3, -1, 0
	v_mbcnt_hi_u32_b32 v3, -1, v3
	v_and_b32_e32 v4, 0x70, v3
	v_add_u32_e32 v4, 16, v4
	v_xor_b32_e32 v6, 8, v3
	v_cmp_lt_i32_e32 vcc, v6, v4
	v_xor_b32_e32 v7, 4, v3
	s_nop 0
	v_cndmask_b32_e32 v6, v3, v6, vcc
	v_lshlrev_b32_e32 v6, 2, v6
	ds_bpermute_b32 v6, v6, v5
	v_cmp_lt_i32_e32 vcc, v7, v4
	s_waitcnt lgkmcnt(0)
	v_add_f32_e32 v5, v5, v6
	v_cndmask_b32_e32 v6, v3, v7, vcc
	v_lshlrev_b32_e32 v6, 2, v6
	ds_bpermute_b32 v6, v6, v5
	v_xor_b32_e32 v7, 2, v3
	v_cmp_lt_i32_e32 vcc, v7, v4
	s_waitcnt lgkmcnt(0)
	v_add_f32_e32 v5, v5, v6
	v_cndmask_b32_e32 v6, v3, v7, vcc
	v_lshlrev_b32_e32 v6, 2, v6
	ds_bpermute_b32 v6, v6, v5
	v_xor_b32_e32 v7, 1, v3
	v_cmp_lt_i32_e32 vcc, v7, v4
	s_waitcnt lgkmcnt(0)
	v_add_f32_e32 v5, v5, v6
	v_cndmask_b32_e32 v3, v3, v7, vcc
	v_lshlrev_b32_e32 v3, 2, v3
	ds_bpermute_b32 v3, v3, v5
	s_waitcnt lgkmcnt(0)
	v_add_f32_e32 v5, v5, v3
	s_load_dwordx2 s[4:5], s[0:1], 0x40
	s_andn2_b64 vcc, exec, s[2:3]
	s_waitcnt lgkmcnt(0)
	v_cvt_f32_f64_e32 v8, s[4:5]
	s_cbranch_vccnz .LBB146_30
.LBB146_32:
	v_cmp_lt_f32_e32 vcc, 0, v5
	s_nop 1
	v_cndmask_b32_e32 v3, 1.0, v5, vcc
	v_div_scale_f32 v4, s[2:3], v3, v3, v8
	v_rcp_f32_e32 v5, v4
	s_nop 0
	v_fma_f32 v6, -v4, v5, 1.0
	v_fmac_f32_e32 v5, v6, v5
	v_div_scale_f32 v6, vcc, v8, v3, v8
	v_mul_f32_e32 v7, v6, v5
	v_fma_f32 v9, -v4, v7, v6
	v_fmac_f32_e32 v7, v9, v5
	v_fma_f32 v4, -v4, v7, v6
	v_div_fmas_f32 v4, v4, v5, v7
	v_div_fixup_f32 v8, v4, v3, v8
	s_andn2_b64 vcc, exec, s[8:9]
	s_cbranch_vccnz .LBB146_79
.LBB146_33:
	s_load_dwordx2 s[4:5], s[0:1], 0x10
	v_mov_b32_e32 v3, 0
	v_or_b32_e32 v9, 4, v3
	v_or_b32_e32 v10, 8, v3
	v_or_b32_e32 v11, 12, v3
	v_or_b32_e32 v12, 1, v14
	v_or_b32_e32 v13, 2, v14
	v_or_b32_e32 v15, 3, v14
	s_cmp_lt_u32 s12, 4
	s_mov_b32 s6, 0
	s_cbranch_scc1 .LBB146_68
; %bb.34:
	v_ashrrev_i32_e32 v3, 31, v2
	s_waitcnt lgkmcnt(0)
	v_lshl_add_u64 v[4:5], v[2:3], 2, s[4:5]
	v_lshl_add_u64 v[6:7], v[0:1], 3, s[10:11]
	s_and_b32 s6, s12, 0x7ffffffc
	v_lshl_add_u64 v[4:5], v[4:5], 0, 12
	v_lshl_add_u64 v[6:7], v[6:7], 0, 16
	s_mov_b32 s7, 0
	s_branch .LBB146_36
.LBB146_35:                             ;   in Loop: Header=BB146_36 Depth=1
	s_or_b64 exec, exec, s[2:3]
	s_add_i32 s7, s7, 4
	v_lshl_add_u64 v[4:5], v[4:5], 0, 16
	s_cmp_eq_u32 s6, s7
	v_lshl_add_u64 v[6:7], v[6:7], 0, 32
	s_cbranch_scc1 .LBB146_68
.LBB146_36:                             ; =>This Inner Loop Header: Depth=1
	global_load_dword v16, v[6:7], off offset:-16
	v_mov_b32_e32 v3, 0
	s_waitcnt vmcnt(0)
	v_cmp_eq_u32_e32 vcc, v14, v16
	v_cmp_ne_u32_e64 s[0:1], v14, v16
	s_and_saveexec_b64 s[8:9], s[0:1]
	s_cbranch_execz .LBB146_42
; %bb.37:                               ;   in Loop: Header=BB146_36 Depth=1
	v_cmp_eq_u32_e64 s[0:1], v12, v16
	v_cmp_ne_u32_e64 s[2:3], v12, v16
	v_mov_b32_e32 v3, v9
	s_and_saveexec_b64 s[14:15], s[2:3]
	s_cbranch_execz .LBB146_41
; %bb.38:                               ;   in Loop: Header=BB146_36 Depth=1
	v_cmp_eq_u32_e64 s[16:17], v13, v16
	v_cmp_ne_u32_e64 s[2:3], v13, v16
	v_mov_b32_e32 v3, v10
	s_and_saveexec_b64 s[18:19], s[2:3]
	s_xor_b64 s[18:19], exec, s[18:19]
; %bb.39:                               ;   in Loop: Header=BB146_36 Depth=1
	v_cmp_eq_u32_e64 s[2:3], v15, v16
	s_andn2_b64 s[16:17], s[16:17], exec
	s_and_b64 s[2:3], s[2:3], exec
	s_or_b64 s[16:17], s[16:17], s[2:3]
	v_mov_b32_e32 v3, v11
; %bb.40:                               ;   in Loop: Header=BB146_36 Depth=1
	s_or_b64 exec, exec, s[18:19]
	s_andn2_b64 s[0:1], s[0:1], exec
	s_and_b64 s[2:3], s[16:17], exec
	s_or_b64 s[0:1], s[0:1], s[2:3]
.LBB146_41:                             ;   in Loop: Header=BB146_36 Depth=1
	s_or_b64 exec, exec, s[14:15]
	s_andn2_b64 s[2:3], vcc, exec
	s_and_b64 s[0:1], s[0:1], exec
	s_or_b64 vcc, s[2:3], s[0:1]
.LBB146_42:                             ;   in Loop: Header=BB146_36 Depth=1
	s_or_b64 exec, exec, s[8:9]
	s_and_saveexec_b64 s[0:1], vcc
	s_cbranch_execz .LBB146_44
; %bb.43:                               ;   in Loop: Header=BB146_36 Depth=1
	scratch_load_dword v3, v3, off
	v_add_u32_e32 v16, s7, v2
	v_ashrrev_i32_e32 v17, 31, v16
	v_lshl_add_u64 v[16:17], v[16:17], 2, s[4:5]
	s_waitcnt vmcnt(0)
	v_mul_f32_e32 v3, v8, v3
	global_store_dword v[16:17], v3, off
.LBB146_44:                             ;   in Loop: Header=BB146_36 Depth=1
	s_or_b64 exec, exec, s[0:1]
	global_load_dword v16, v[6:7], off offset:-8
	v_mov_b32_e32 v3, 0
	s_waitcnt vmcnt(0)
	v_cmp_eq_u32_e64 s[0:1], v14, v16
	v_cmp_ne_u32_e32 vcc, v14, v16
	s_and_saveexec_b64 s[2:3], vcc
	s_cbranch_execz .LBB146_50
; %bb.45:                               ;   in Loop: Header=BB146_36 Depth=1
	v_cmp_eq_u32_e64 s[8:9], v12, v16
	v_cmp_ne_u32_e32 vcc, v12, v16
	v_mov_b32_e32 v3, v9
	s_and_saveexec_b64 s[14:15], vcc
	s_cbranch_execz .LBB146_49
; %bb.46:                               ;   in Loop: Header=BB146_36 Depth=1
	v_cmp_eq_u32_e64 s[16:17], v13, v16
	v_cmp_ne_u32_e32 vcc, v13, v16
	v_mov_b32_e32 v3, v10
	s_and_saveexec_b64 s[18:19], vcc
; %bb.47:                               ;   in Loop: Header=BB146_36 Depth=1
	v_cmp_eq_u32_e32 vcc, v15, v16
	s_andn2_b64 s[16:17], s[16:17], exec
	s_and_b64 s[20:21], vcc, exec
	s_or_b64 s[16:17], s[16:17], s[20:21]
	v_mov_b32_e32 v3, v11
; %bb.48:                               ;   in Loop: Header=BB146_36 Depth=1
	s_or_b64 exec, exec, s[18:19]
	s_andn2_b64 s[8:9], s[8:9], exec
	s_and_b64 s[16:17], s[16:17], exec
	s_or_b64 s[8:9], s[8:9], s[16:17]
.LBB146_49:                             ;   in Loop: Header=BB146_36 Depth=1
	s_or_b64 exec, exec, s[14:15]
	s_andn2_b64 s[0:1], s[0:1], exec
	s_and_b64 s[8:9], s[8:9], exec
	s_or_b64 s[0:1], s[0:1], s[8:9]
.LBB146_50:                             ;   in Loop: Header=BB146_36 Depth=1
	s_or_b64 exec, exec, s[2:3]
	s_and_saveexec_b64 s[2:3], s[0:1]
	s_cbranch_execz .LBB146_52
; %bb.51:                               ;   in Loop: Header=BB146_36 Depth=1
	scratch_load_dword v3, v3, off
	s_waitcnt vmcnt(0)
	v_mul_f32_e32 v3, v8, v3
	global_store_dword v[4:5], v3, off offset:-8
.LBB146_52:                             ;   in Loop: Header=BB146_36 Depth=1
	s_or_b64 exec, exec, s[2:3]
	global_load_dword v16, v[6:7], off
	v_mov_b32_e32 v3, 0
	s_waitcnt vmcnt(0)
	v_cmp_eq_u32_e64 s[0:1], v14, v16
	v_cmp_ne_u32_e32 vcc, v14, v16
	s_and_saveexec_b64 s[2:3], vcc
	s_cbranch_execz .LBB146_58
; %bb.53:                               ;   in Loop: Header=BB146_36 Depth=1
	v_cmp_eq_u32_e64 s[8:9], v12, v16
	v_cmp_ne_u32_e32 vcc, v12, v16
	v_mov_b32_e32 v3, v9
	s_and_saveexec_b64 s[14:15], vcc
	s_cbranch_execz .LBB146_57
; %bb.54:                               ;   in Loop: Header=BB146_36 Depth=1
	v_cmp_eq_u32_e64 s[16:17], v13, v16
	v_cmp_ne_u32_e32 vcc, v13, v16
	v_mov_b32_e32 v3, v10
	s_and_saveexec_b64 s[18:19], vcc
; %bb.55:                               ;   in Loop: Header=BB146_36 Depth=1
	v_cmp_eq_u32_e32 vcc, v15, v16
	s_andn2_b64 s[16:17], s[16:17], exec
	s_and_b64 s[20:21], vcc, exec
	s_or_b64 s[16:17], s[16:17], s[20:21]
	v_mov_b32_e32 v3, v11
; %bb.56:                               ;   in Loop: Header=BB146_36 Depth=1
	s_or_b64 exec, exec, s[18:19]
	s_andn2_b64 s[8:9], s[8:9], exec
	s_and_b64 s[16:17], s[16:17], exec
	s_or_b64 s[8:9], s[8:9], s[16:17]
.LBB146_57:                             ;   in Loop: Header=BB146_36 Depth=1
	s_or_b64 exec, exec, s[14:15]
	s_andn2_b64 s[0:1], s[0:1], exec
	s_and_b64 s[8:9], s[8:9], exec
	s_or_b64 s[0:1], s[0:1], s[8:9]
.LBB146_58:                             ;   in Loop: Header=BB146_36 Depth=1
	s_or_b64 exec, exec, s[2:3]
	s_and_saveexec_b64 s[2:3], s[0:1]
	s_cbranch_execz .LBB146_60
; %bb.59:                               ;   in Loop: Header=BB146_36 Depth=1
	scratch_load_dword v3, v3, off
	s_waitcnt vmcnt(0)
	v_mul_f32_e32 v3, v8, v3
	global_store_dword v[4:5], v3, off offset:-4
.LBB146_60:                             ;   in Loop: Header=BB146_36 Depth=1
	s_or_b64 exec, exec, s[2:3]
	global_load_dword v16, v[6:7], off offset:8
	v_mov_b32_e32 v3, 0
	s_waitcnt vmcnt(0)
	v_cmp_eq_u32_e64 s[0:1], v14, v16
	v_cmp_ne_u32_e32 vcc, v14, v16
	s_and_saveexec_b64 s[2:3], vcc
	s_cbranch_execz .LBB146_66
; %bb.61:                               ;   in Loop: Header=BB146_36 Depth=1
	v_cmp_eq_u32_e64 s[8:9], v12, v16
	v_cmp_ne_u32_e32 vcc, v12, v16
	v_mov_b32_e32 v3, v9
	s_and_saveexec_b64 s[14:15], vcc
	s_cbranch_execz .LBB146_65
; %bb.62:                               ;   in Loop: Header=BB146_36 Depth=1
	v_cmp_eq_u32_e64 s[16:17], v13, v16
	v_cmp_ne_u32_e32 vcc, v13, v16
	v_mov_b32_e32 v3, v10
	s_and_saveexec_b64 s[18:19], vcc
; %bb.63:                               ;   in Loop: Header=BB146_36 Depth=1
	v_cmp_eq_u32_e32 vcc, v15, v16
	s_andn2_b64 s[16:17], s[16:17], exec
	s_and_b64 s[20:21], vcc, exec
	s_or_b64 s[16:17], s[16:17], s[20:21]
	v_mov_b32_e32 v3, v11
; %bb.64:                               ;   in Loop: Header=BB146_36 Depth=1
	s_or_b64 exec, exec, s[18:19]
	s_andn2_b64 s[8:9], s[8:9], exec
	s_and_b64 s[16:17], s[16:17], exec
	s_or_b64 s[8:9], s[8:9], s[16:17]
.LBB146_65:                             ;   in Loop: Header=BB146_36 Depth=1
	s_or_b64 exec, exec, s[14:15]
	s_andn2_b64 s[0:1], s[0:1], exec
	s_and_b64 s[8:9], s[8:9], exec
	s_or_b64 s[0:1], s[0:1], s[8:9]
.LBB146_66:                             ;   in Loop: Header=BB146_36 Depth=1
	s_or_b64 exec, exec, s[2:3]
	s_and_saveexec_b64 s[2:3], s[0:1]
	s_cbranch_execz .LBB146_35
; %bb.67:                               ;   in Loop: Header=BB146_36 Depth=1
	scratch_load_dword v3, v3, off
	s_waitcnt vmcnt(0)
	v_mul_f32_e32 v3, v8, v3
	global_store_dword v[4:5], v3, off
	s_branch .LBB146_35
.LBB146_68:
	s_and_b32 s14, s12, 3
	s_cmp_eq_u32 s14, 0
	s_mov_b32 s7, 0
	s_cbranch_scc1 .LBB146_79
; %bb.69:
	s_lshl_b64 s[0:1], s[6:7], 3
	s_add_u32 s0, s10, s0
	s_addc_u32 s1, s11, s1
	v_add_u32_e32 v2, s6, v2
	v_lshl_add_u64 v[0:1], v[0:1], 3, s[0:1]
	s_branch .LBB146_71
.LBB146_70:                             ;   in Loop: Header=BB146_71 Depth=1
	s_or_b64 exec, exec, s[2:3]
	s_add_i32 s14, s14, -1
	v_add_u32_e32 v2, 1, v2
	s_cmp_lg_u32 s14, 0
	v_lshl_add_u64 v[0:1], v[0:1], 0, 8
	s_cbranch_scc0 .LBB146_79
.LBB146_71:                             ; =>This Inner Loop Header: Depth=1
	global_load_dword v4, v[0:1], off
	v_mov_b32_e32 v3, 0
	s_waitcnt vmcnt(0)
	v_cmp_eq_u32_e64 s[0:1], v14, v4
	v_cmp_ne_u32_e32 vcc, v14, v4
	s_and_saveexec_b64 s[2:3], vcc
	s_cbranch_execz .LBB146_77
; %bb.72:                               ;   in Loop: Header=BB146_71 Depth=1
	v_cmp_eq_u32_e64 s[6:7], v12, v4
	v_cmp_ne_u32_e32 vcc, v12, v4
	v_mov_b32_e32 v3, v9
	s_and_saveexec_b64 s[8:9], vcc
	s_cbranch_execz .LBB146_76
; %bb.73:                               ;   in Loop: Header=BB146_71 Depth=1
	v_cmp_eq_u32_e64 s[10:11], v13, v4
	v_cmp_ne_u32_e32 vcc, v13, v4
	v_mov_b32_e32 v3, v10
	s_and_saveexec_b64 s[12:13], vcc
; %bb.74:                               ;   in Loop: Header=BB146_71 Depth=1
	v_cmp_eq_u32_e32 vcc, v15, v4
	s_andn2_b64 s[10:11], s[10:11], exec
	s_and_b64 s[16:17], vcc, exec
	s_or_b64 s[10:11], s[10:11], s[16:17]
	v_mov_b32_e32 v3, v11
; %bb.75:                               ;   in Loop: Header=BB146_71 Depth=1
	s_or_b64 exec, exec, s[12:13]
	s_andn2_b64 s[6:7], s[6:7], exec
	s_and_b64 s[10:11], s[10:11], exec
	s_or_b64 s[6:7], s[6:7], s[10:11]
.LBB146_76:                             ;   in Loop: Header=BB146_71 Depth=1
	s_or_b64 exec, exec, s[8:9]
	s_andn2_b64 s[0:1], s[0:1], exec
	s_and_b64 s[6:7], s[6:7], exec
	s_or_b64 s[0:1], s[0:1], s[6:7]
.LBB146_77:                             ;   in Loop: Header=BB146_71 Depth=1
	s_or_b64 exec, exec, s[2:3]
	s_and_saveexec_b64 s[2:3], s[0:1]
	s_cbranch_execz .LBB146_70
; %bb.78:                               ;   in Loop: Header=BB146_71 Depth=1
	scratch_load_dword v4, v3, off
	v_ashrrev_i32_e32 v3, 31, v2
	s_waitcnt vmcnt(0)
	v_mul_f32_e32 v6, v8, v4
	s_waitcnt lgkmcnt(0)
	v_lshl_add_u64 v[4:5], v[2:3], 2, s[4:5]
	global_store_dword v[4:5], v6, off
	s_branch .LBB146_70
.LBB146_79:
	s_endpgm
	.section	.rodata,"a",@progbits
	.p2align	6, 0x0
	.amdhsa_kernel _ZN4vllm3moe22topkGatingSoftplusSqrtILi4ELi64ELi4ELi16ELi32ELb1ElfEEvPKT6_PKbPfiPT5_PiiiibdPKfPKS8_SE_
		.amdhsa_group_segment_fixed_size 0
		.amdhsa_private_segment_fixed_size 32
		.amdhsa_kernarg_size 96
		.amdhsa_user_sgpr_count 2
		.amdhsa_user_sgpr_dispatch_ptr 0
		.amdhsa_user_sgpr_queue_ptr 0
		.amdhsa_user_sgpr_kernarg_segment_ptr 1
		.amdhsa_user_sgpr_dispatch_id 0
		.amdhsa_user_sgpr_kernarg_preload_length 0
		.amdhsa_user_sgpr_kernarg_preload_offset 0
		.amdhsa_user_sgpr_private_segment_size 0
		.amdhsa_uses_dynamic_stack 0
		.amdhsa_enable_private_segment 1
		.amdhsa_system_sgpr_workgroup_id_x 1
		.amdhsa_system_sgpr_workgroup_id_y 0
		.amdhsa_system_sgpr_workgroup_id_z 0
		.amdhsa_system_sgpr_workgroup_info 0
		.amdhsa_system_vgpr_workitem_id 1
		.amdhsa_next_free_vgpr 25
		.amdhsa_next_free_sgpr 22
		.amdhsa_accum_offset 28
		.amdhsa_reserve_vcc 1
		.amdhsa_float_round_mode_32 0
		.amdhsa_float_round_mode_16_64 0
		.amdhsa_float_denorm_mode_32 3
		.amdhsa_float_denorm_mode_16_64 3
		.amdhsa_dx10_clamp 1
		.amdhsa_ieee_mode 1
		.amdhsa_fp16_overflow 0
		.amdhsa_tg_split 0
		.amdhsa_exception_fp_ieee_invalid_op 0
		.amdhsa_exception_fp_denorm_src 0
		.amdhsa_exception_fp_ieee_div_zero 0
		.amdhsa_exception_fp_ieee_overflow 0
		.amdhsa_exception_fp_ieee_underflow 0
		.amdhsa_exception_fp_ieee_inexact 0
		.amdhsa_exception_int_div_zero 0
	.end_amdhsa_kernel
	.section	.text._ZN4vllm3moe22topkGatingSoftplusSqrtILi4ELi64ELi4ELi16ELi32ELb1ElfEEvPKT6_PKbPfiPT5_PiiiibdPKfPKS8_SE_,"axG",@progbits,_ZN4vllm3moe22topkGatingSoftplusSqrtILi4ELi64ELi4ELi16ELi32ELb1ElfEEvPKT6_PKbPfiPT5_PiiiibdPKfPKS8_SE_,comdat
.Lfunc_end146:
	.size	_ZN4vllm3moe22topkGatingSoftplusSqrtILi4ELi64ELi4ELi16ELi32ELb1ElfEEvPKT6_PKbPfiPT5_PiiiibdPKfPKS8_SE_, .Lfunc_end146-_ZN4vllm3moe22topkGatingSoftplusSqrtILi4ELi64ELi4ELi16ELi32ELb1ElfEEvPKT6_PKbPfiPT5_PiiiibdPKfPKS8_SE_
                                        ; -- End function
	.section	.AMDGPU.csdata,"",@progbits
; Kernel info:
; codeLenInByte = 3512
; NumSgprs: 28
; NumVgprs: 25
; NumAgprs: 0
; TotalNumVgprs: 25
; ScratchSize: 32
; MemoryBound: 0
; FloatMode: 240
; IeeeMode: 1
; LDSByteSize: 0 bytes/workgroup (compile time only)
; SGPRBlocks: 3
; VGPRBlocks: 3
; NumSGPRsForWavesPerEU: 28
; NumVGPRsForWavesPerEU: 25
; AccumOffset: 28
; Occupancy: 8
; WaveLimiterHint : 1
; COMPUTE_PGM_RSRC2:SCRATCH_EN: 1
; COMPUTE_PGM_RSRC2:USER_SGPR: 2
; COMPUTE_PGM_RSRC2:TRAP_HANDLER: 0
; COMPUTE_PGM_RSRC2:TGID_X_EN: 1
; COMPUTE_PGM_RSRC2:TGID_Y_EN: 0
; COMPUTE_PGM_RSRC2:TGID_Z_EN: 0
; COMPUTE_PGM_RSRC2:TIDIG_COMP_CNT: 1
; COMPUTE_PGM_RSRC3_GFX90A:ACCUM_OFFSET: 6
; COMPUTE_PGM_RSRC3_GFX90A:TG_SPLIT: 0
	.section	.text._ZN4vllm3moe22topkGatingSoftplusSqrtILi4ELi64ELi4ELi16ELi32ELb0ElfEEvPKT6_PKbPfiPT5_PiiiibdPKfPKS8_SE_,"axG",@progbits,_ZN4vllm3moe22topkGatingSoftplusSqrtILi4ELi64ELi4ELi16ELi32ELb0ElfEEvPKT6_PKbPfiPT5_PiiiibdPKfPKS8_SE_,comdat
	.protected	_ZN4vllm3moe22topkGatingSoftplusSqrtILi4ELi64ELi4ELi16ELi32ELb0ElfEEvPKT6_PKbPfiPT5_PiiiibdPKfPKS8_SE_ ; -- Begin function _ZN4vllm3moe22topkGatingSoftplusSqrtILi4ELi64ELi4ELi16ELi32ELb0ElfEEvPKT6_PKbPfiPT5_PiiiibdPKfPKS8_SE_
	.globl	_ZN4vllm3moe22topkGatingSoftplusSqrtILi4ELi64ELi4ELi16ELi32ELb0ElfEEvPKT6_PKbPfiPT5_PiiiibdPKfPKS8_SE_
	.p2align	8
	.type	_ZN4vllm3moe22topkGatingSoftplusSqrtILi4ELi64ELi4ELi16ELi32ELb0ElfEEvPKT6_PKbPfiPT5_PiiiibdPKfPKS8_SE_,@function
_ZN4vllm3moe22topkGatingSoftplusSqrtILi4ELi64ELi4ELi16ELi32ELb0ElfEEvPKT6_PKbPfiPT5_PiiiibdPKfPKS8_SE_: ; @_ZN4vllm3moe22topkGatingSoftplusSqrtILi4ELi64ELi4ELi16ELi32ELb0ElfEEvPKT6_PKbPfiPT5_PiiiibdPKfPKS8_SE_
; %bb.0:
	s_load_dword s30, s[2:3], 0x18
	v_and_b32_e32 v1, 0x3ff, v0
	v_bfe_u32 v4, v0, 10, 10
	s_lshl_b32 s4, s4, 3
	v_lshlrev_b32_e32 v2, 1, v4
	v_lshrrev_b32_e32 v3, 4, v1
	v_add3_u32 v2, s4, v2, v3
	s_waitcnt lgkmcnt(0)
	v_cmp_gt_i32_e32 vcc, s30, v2
	s_and_saveexec_b64 s[4:5], vcc
	s_cbranch_execz .LBB147_51
; %bb.1:
	s_load_dwordx4 s[4:7], s[2:3], 0x0
	s_load_dwordx2 s[20:21], s[2:3], 0x10
	s_waitcnt lgkmcnt(0)
	s_cmp_eq_u64 s[6:7], 0
	s_cbranch_scc1 .LBB147_3
; %bb.2:
	v_ashrrev_i32_e32 v3, 31, v2
	v_lshl_add_u64 v[6:7], s[6:7], 0, v[2:3]
	global_load_ubyte v3, v[6:7], off
	s_waitcnt vmcnt(0)
	v_and_b32_e32 v3, 1, v3
	v_cmp_eq_u32_e32 vcc, 1, v3
	s_xor_b64 s[6:7], vcc, -1
	s_orn2_b64 s[22:23], s[6:7], exec
	s_branch .LBB147_4
.LBB147_3:
	s_mov_b64 s[22:23], -1
.LBB147_4:
	v_lshlrev_b32_e32 v8, 6, v2
	v_mov_b32_e32 v6, s4
	v_mov_b32_e32 v7, s5
	v_ashrrev_i32_e32 v9, 31, v8
	v_and_b32_e32 v3, 15, v1
	v_lshl_add_u64 v[6:7], v[8:9], 2, v[6:7]
	v_mov_b32_e32 v9, 0
	v_lshlrev_b32_e32 v8, 4, v3
	v_lshl_add_u64 v[6:7], v[6:7], 0, v[8:9]
	global_load_dwordx4 v[6:9], v[6:7], off
	s_load_dwordx2 s[4:5], s[0:1], 0x4
	s_load_dwordx4 s[8:11], s[2:3], 0x40
	v_bfe_u32 v0, v0, 20, 10
	s_mov_b32 s16, 0x800000
	s_mov_b32 s13, 0x3f317217
	s_waitcnt lgkmcnt(0)
	s_lshr_b32 s0, s4, 16
	v_mul_u32_u24_e32 v4, s5, v4
	s_mul_i32 s0, s0, s5
	v_mad_u32_u24 v1, s0, v1, v4
	v_add_lshl_u32 v4, v1, v0, 4
	s_mov_b32 s14, 0x7f800000
	s_mov_b32 s12, 0x41a00000
	;; [unrolled: 1-line block ×3, first 2 shown]
	s_cmp_lg_u64 s[10:11], 0
	v_mov_b32_e32 v1, 0x260
	s_cselect_b64 s[6:7], -1, 0
	s_and_b64 s[0:1], exec, s[6:7]
	s_waitcnt vmcnt(0)
	ds_write_b128 v4, v[6:9]
	ds_read_b32 v8, v4
	v_mov_b32_e32 v6, 0x4f800000
	v_mov_b32_e32 v7, 0x41b17218
	s_waitcnt lgkmcnt(0)
	v_mul_f32_e32 v0, 0x3fb8aa3b, v8
	v_exp_f32_e32 v0, v0
	s_nop 0
	v_add_f32_e32 v0, 1.0, v0
	v_cmp_gt_f32_e32 vcc, s16, v0
	s_nop 1
	v_cndmask_b32_e32 v5, 1.0, v6, vcc
	v_mul_f32_e32 v0, v0, v5
	v_log_f32_e32 v9, v0
	v_cndmask_b32_e32 v10, 0, v7, vcc
	v_lshlrev_b32_e32 v5, 2, v3
	v_lshlrev_b32_e32 v0, 2, v5
	v_mul_f32_e32 v11, 0x3f317217, v9
	v_fma_f32 v11, v9, s13, -v11
	v_fmac_f32_e32 v11, 0x3377d1cf, v9
	v_fmac_f32_e32 v11, 0x3f317217, v9
	v_cmp_lt_f32_e64 vcc, |v9|, s14
	s_nop 1
	v_cndmask_b32_e32 v9, v9, v11, vcc
	v_sub_f32_e32 v9, v9, v10
	v_cmp_lt_f32_e32 vcc, s12, v8
	s_nop 1
	v_cndmask_b32_e32 v8, v9, v8, vcc
	v_mul_f32_e32 v9, 0x4f800000, v8
	v_cmp_gt_f32_e32 vcc, s15, v8
	s_nop 1
	v_cndmask_b32_e32 v8, v8, v9, vcc
	v_sqrt_f32_e32 v9, v8
	s_nop 0
	v_add_u32_e32 v10, -1, v9
	v_add_u32_e32 v11, 1, v9
	v_fma_f32 v12, -v10, v9, v8
	v_fma_f32 v13, -v11, v9, v8
	v_cmp_ge_f32_e64 s[4:5], 0, v12
	s_nop 1
	v_cndmask_b32_e64 v9, v9, v10, s[4:5]
	v_cmp_lt_f32_e64 s[4:5], 0, v13
	s_nop 1
	v_cndmask_b32_e64 v9, v9, v11, s[4:5]
	v_mul_f32_e32 v10, 0x37800000, v9
	v_cndmask_b32_e32 v9, v9, v10, vcc
	v_cmp_class_f32_e32 vcc, v8, v1
	s_nop 1
	v_cndmask_b32_e32 v8, v9, v8, vcc
	s_mov_b64 vcc, s[0:1]
	s_cbranch_vccz .LBB147_6
; %bb.5:
	global_load_dword v9, v0, s[10:11]
	s_waitcnt vmcnt(0)
	v_add_f32_e32 v8, v8, v9
.LBB147_6:
	ds_read_b32 v9, v4 offset:4
	ds_write_b32 v4, v8
	s_waitcnt lgkmcnt(1)
	v_mul_f32_e32 v10, 0x3fb8aa3b, v9
	v_exp_f32_e32 v10, v10
	s_nop 0
	v_add_f32_e32 v10, 1.0, v10
	v_cmp_gt_f32_e32 vcc, s16, v10
	s_nop 1
	v_cndmask_b32_e32 v6, 1.0, v6, vcc
	v_mul_f32_e32 v6, v10, v6
	v_log_f32_e32 v6, v6
	v_cndmask_b32_e32 v7, 0, v7, vcc
	v_mul_f32_e32 v8, 0x3f317217, v6
	v_fma_f32 v8, v6, s13, -v8
	v_fmac_f32_e32 v8, 0x3377d1cf, v6
	v_fmac_f32_e32 v8, 0x3f317217, v6
	v_cmp_lt_f32_e64 vcc, |v6|, s14
	s_nop 1
	v_cndmask_b32_e32 v6, v6, v8, vcc
	v_sub_f32_e32 v6, v6, v7
	v_cmp_lt_f32_e32 vcc, s12, v9
	v_cndmask_b32_e64 v8, 0, 1, s[6:7]
	v_cmp_ne_u32_e64 s[0:1], 1, v8
	v_cndmask_b32_e32 v6, v6, v9, vcc
	v_mul_f32_e32 v7, 0x4f800000, v6
	v_cmp_gt_f32_e64 s[4:5], s15, v6
	s_andn2_b64 vcc, exec, s[6:7]
	s_nop 0
	v_cndmask_b32_e64 v6, v6, v7, s[4:5]
	v_sqrt_f32_e32 v7, v6
	s_nop 0
	v_add_u32_e32 v8, -1, v7
	v_add_u32_e32 v9, 1, v7
	v_fma_f32 v10, -v8, v7, v6
	v_fma_f32 v11, -v9, v7, v6
	v_cmp_ge_f32_e64 s[6:7], 0, v10
	s_nop 1
	v_cndmask_b32_e64 v7, v7, v8, s[6:7]
	v_cmp_lt_f32_e64 s[6:7], 0, v11
	s_nop 1
	v_cndmask_b32_e64 v7, v7, v9, s[6:7]
	v_mul_f32_e32 v8, 0x37800000, v7
	v_cndmask_b32_e64 v7, v7, v8, s[4:5]
	v_cmp_class_f32_e64 s[4:5], v6, v1
	s_nop 1
	v_cndmask_b32_e64 v1, v7, v6, s[4:5]
	s_cbranch_vccnz .LBB147_8
; %bb.7:
	global_load_dword v6, v0, s[10:11] offset:4
	s_waitcnt vmcnt(0)
	v_add_f32_e32 v1, v1, v6
.LBB147_8:
	ds_read_b32 v8, v4 offset:8
	s_mov_b32 s12, 0x800000
	s_mov_b32 s7, 0x3f317217
	;; [unrolled: 1-line block ×4, first 2 shown]
	s_waitcnt lgkmcnt(0)
	v_mul_f32_e32 v6, 0x3fb8aa3b, v8
	v_exp_f32_e32 v7, v6
	v_mov_b32_e32 v6, 0x4f800000
	s_mov_b32 s14, 0xf800000
	ds_write_b32 v4, v1 offset:4
	v_add_f32_e32 v7, 1.0, v7
	v_cmp_gt_f32_e32 vcc, s12, v7
	s_nop 1
	v_cndmask_b32_e32 v9, 1.0, v6, vcc
	v_mul_f32_e32 v7, v7, v9
	v_log_f32_e32 v9, v7
	v_mov_b32_e32 v7, 0x41b17218
	v_cndmask_b32_e32 v10, 0, v7, vcc
	v_mul_f32_e32 v11, 0x3f317217, v9
	v_fma_f32 v11, v9, s7, -v11
	v_fmac_f32_e32 v11, 0x3377d1cf, v9
	v_fmac_f32_e32 v11, 0x3f317217, v9
	v_cmp_lt_f32_e64 vcc, |v9|, s13
	s_nop 1
	v_cndmask_b32_e32 v9, v9, v11, vcc
	v_sub_f32_e32 v9, v9, v10
	v_cmp_lt_f32_e32 vcc, s6, v8
	s_nop 1
	v_cndmask_b32_e32 v8, v9, v8, vcc
	v_mul_f32_e32 v9, 0x4f800000, v8
	v_cmp_gt_f32_e32 vcc, s14, v8
	s_nop 1
	v_cndmask_b32_e32 v8, v8, v9, vcc
	v_sqrt_f32_e32 v9, v8
	s_nop 0
	v_add_u32_e32 v1, -1, v9
	v_fma_f32 v10, -v1, v9, v8
	v_cmp_ge_f32_e64 s[4:5], 0, v10
	v_add_u32_e32 v10, 1, v9
	s_nop 0
	v_cndmask_b32_e64 v1, v9, v1, s[4:5]
	v_fma_f32 v9, -v10, v9, v8
	v_cmp_lt_f32_e64 s[4:5], 0, v9
	s_nop 1
	v_cndmask_b32_e64 v1, v1, v10, s[4:5]
	v_mul_f32_e32 v9, 0x37800000, v1
	v_cndmask_b32_e32 v9, v1, v9, vcc
	v_mov_b32_e32 v1, 0x260
	v_cmp_class_f32_e64 s[4:5], v8, v1
	s_and_b64 vcc, exec, s[0:1]
	s_nop 0
	v_cndmask_b32_e64 v8, v9, v8, s[4:5]
	s_cbranch_vccnz .LBB147_10
; %bb.9:
	global_load_dword v9, v0, s[10:11] offset:8
	s_waitcnt vmcnt(0)
	v_add_f32_e32 v8, v8, v9
.LBB147_10:
	ds_read_b32 v9, v4 offset:12
	ds_write_b32 v4, v8 offset:8
	s_waitcnt lgkmcnt(1)
	v_mul_f32_e32 v10, 0x3fb8aa3b, v9
	v_exp_f32_e32 v10, v10
	s_nop 0
	v_add_f32_e32 v10, 1.0, v10
	v_cmp_gt_f32_e32 vcc, s12, v10
	s_nop 1
	v_cndmask_b32_e32 v6, 1.0, v6, vcc
	v_mul_f32_e32 v6, v10, v6
	v_log_f32_e32 v6, v6
	v_cndmask_b32_e32 v7, 0, v7, vcc
	v_mul_f32_e32 v10, 0x3f317217, v6
	v_fma_f32 v10, v6, s7, -v10
	v_fmac_f32_e32 v10, 0x3377d1cf, v6
	v_fmac_f32_e32 v10, 0x3f317217, v6
	v_cmp_lt_f32_e64 vcc, |v6|, s13
	s_nop 1
	v_cndmask_b32_e32 v6, v6, v10, vcc
	v_sub_f32_e32 v6, v6, v7
	v_cmp_lt_f32_e32 vcc, s6, v9
	s_nop 1
	v_cndmask_b32_e32 v6, v6, v9, vcc
	v_mul_f32_e32 v7, 0x4f800000, v6
	v_cmp_gt_f32_e64 s[4:5], s14, v6
	s_and_b64 vcc, exec, s[0:1]
	s_nop 0
	v_cndmask_b32_e64 v6, v6, v7, s[4:5]
	v_sqrt_f32_e32 v7, v6
	s_nop 0
	v_add_u32_e32 v8, -1, v7
	v_add_u32_e32 v9, 1, v7
	v_fma_f32 v10, -v8, v7, v6
	v_fma_f32 v11, -v9, v7, v6
	v_cmp_ge_f32_e64 s[6:7], 0, v10
	s_nop 1
	v_cndmask_b32_e64 v7, v7, v8, s[6:7]
	v_cmp_lt_f32_e64 s[6:7], 0, v11
	s_nop 1
	v_cndmask_b32_e64 v7, v7, v9, s[6:7]
	v_mul_f32_e32 v8, 0x37800000, v7
	v_cndmask_b32_e64 v7, v7, v8, s[4:5]
	v_cmp_class_f32_e64 s[4:5], v6, v1
	s_nop 1
	v_cndmask_b32_e64 v1, v7, v6, s[4:5]
	s_cbranch_vccnz .LBB147_12
; %bb.11:
	global_load_dword v0, v0, s[10:11] offset:12
	s_waitcnt vmcnt(0)
	v_add_f32_e32 v1, v1, v0
.LBB147_12:
	s_load_dwordx4 s[12:15], s[2:3], 0x30
	s_mov_b32 s31, 0
	v_cmp_eq_u32_e64 s[6:7], 0, v3
	ds_write_b32 v4, v1 offset:12
	s_waitcnt lgkmcnt(0)
	s_bitcmp1_b32 s15, 0
	s_cselect_b64 s[4:5], -1, 0
	s_cmp_gt_i32 s12, 0
	s_cselect_b64 s[24:25], -1, 0
	s_and_b64 vcc, exec, s[24:25]
	s_cbranch_vccz .LBB147_37
; %bb.13:
	v_mbcnt_lo_u32_b32 v0, -1, 0
	v_mbcnt_hi_u32_b32 v0, -1, v0
	v_and_b32_e32 v1, 0x70, v0
	v_add_u32_e32 v1, 16, v1
	v_xor_b32_e32 v6, 8, v0
	v_cmp_lt_i32_e32 vcc, v6, v1
	s_load_dwordx4 s[16:19], s[2:3], 0x20
	v_mul_lo_u32 v7, v2, s12
	v_cndmask_b32_e32 v6, v0, v6, vcc
	v_lshlrev_b32_e32 v8, 2, v6
	v_xor_b32_e32 v6, 4, v0
	v_cmp_lt_i32_e32 vcc, v6, v1
	v_mov_b32_e32 v12, 0xc61c4000
	v_mov_b32_e32 v13, v2
	v_cndmask_b32_e32 v6, v0, v6, vcc
	v_lshlrev_b32_e32 v9, 2, v6
	v_xor_b32_e32 v6, 2, v0
	v_cmp_lt_i32_e32 vcc, v6, v1
	s_nop 1
	v_cndmask_b32_e32 v6, v0, v6, vcc
	v_lshlrev_b32_e32 v10, 2, v6
	v_xor_b32_e32 v6, 1, v0
	v_cmp_lt_i32_e32 vcc, v6, v1
	s_nop 1
	v_cndmask_b32_e32 v0, v0, v6, vcc
	v_lshlrev_b32_e32 v11, 2, v0
	v_mov_b32_e32 v6, 0
	s_branch .LBB147_15
.LBB147_14:                             ;   in Loop: Header=BB147_15 Depth=1
	s_or_b64 exec, exec, s[2:3]
	s_cmp_eq_u32 s12, s31
	v_add_u32_e32 v13, s30, v13
	s_cbranch_scc1 .LBB147_38
.LBB147_15:                             ; =>This Inner Loop Header: Depth=1
	ds_read_b128 v[14:17], v4
	s_waitcnt lgkmcnt(0)
	v_cmp_gt_f32_e32 vcc, v15, v14
	s_nop 1
	v_cndmask_b32_e32 v1, v14, v15, vcc
	v_cndmask_b32_e64 v0, 0, 1, vcc
	v_cmp_gt_f32_e32 vcc, v16, v1
	s_nop 1
	v_cndmask_b32_e32 v1, v1, v16, vcc
	v_cndmask_b32_e64 v0, v0, 2, vcc
	v_cmp_gt_f32_e32 vcc, v17, v1
	s_nop 1
	v_cndmask_b32_e64 v0, v0, 3, vcc
	v_cndmask_b32_e32 v14, v1, v17, vcc
	ds_bpermute_b32 v1, v8, v14
	v_or_b32_e32 v0, v5, v0
	ds_bpermute_b32 v15, v8, v0
	s_waitcnt lgkmcnt(1)
	v_cmp_lt_f32_e64 s[26:27], v14, v1
	v_cmp_nlt_f32_e32 vcc, v14, v1
	s_and_saveexec_b64 s[28:29], vcc
	s_cbranch_execz .LBB147_17
; %bb.16:                               ;   in Loop: Header=BB147_15 Depth=1
	v_cmp_eq_f32_e32 vcc, v14, v1
	s_waitcnt lgkmcnt(0)
	v_cmp_lt_i32_e64 s[2:3], v15, v0
	s_and_b64 s[2:3], vcc, s[2:3]
	s_andn2_b64 s[26:27], s[26:27], exec
	s_and_b64 s[2:3], s[2:3], exec
	s_or_b64 s[26:27], s[26:27], s[2:3]
.LBB147_17:                             ;   in Loop: Header=BB147_15 Depth=1
	s_or_b64 exec, exec, s[28:29]
	s_and_saveexec_b64 s[2:3], s[26:27]
	s_cbranch_execz .LBB147_19
; %bb.18:                               ;   in Loop: Header=BB147_15 Depth=1
	v_mov_b32_e32 v14, v1
	s_waitcnt lgkmcnt(0)
	v_mov_b32_e32 v0, v15
.LBB147_19:                             ;   in Loop: Header=BB147_15 Depth=1
	s_or_b64 exec, exec, s[2:3]
	ds_bpermute_b32 v1, v9, v14
	s_waitcnt lgkmcnt(1)
	ds_bpermute_b32 v15, v9, v0
	s_waitcnt lgkmcnt(1)
	v_cmp_lt_f32_e64 s[26:27], v14, v1
	v_cmp_nlt_f32_e32 vcc, v14, v1
	s_and_saveexec_b64 s[28:29], vcc
	s_cbranch_execz .LBB147_21
; %bb.20:                               ;   in Loop: Header=BB147_15 Depth=1
	v_cmp_eq_f32_e32 vcc, v14, v1
	s_waitcnt lgkmcnt(0)
	v_cmp_lt_i32_e64 s[2:3], v15, v0
	s_and_b64 s[2:3], vcc, s[2:3]
	s_andn2_b64 s[26:27], s[26:27], exec
	s_and_b64 s[2:3], s[2:3], exec
	s_or_b64 s[26:27], s[26:27], s[2:3]
.LBB147_21:                             ;   in Loop: Header=BB147_15 Depth=1
	s_or_b64 exec, exec, s[28:29]
	s_and_saveexec_b64 s[2:3], s[26:27]
	s_cbranch_execz .LBB147_23
; %bb.22:                               ;   in Loop: Header=BB147_15 Depth=1
	v_mov_b32_e32 v14, v1
	s_waitcnt lgkmcnt(0)
	v_mov_b32_e32 v0, v15
.LBB147_23:                             ;   in Loop: Header=BB147_15 Depth=1
	s_or_b64 exec, exec, s[2:3]
	ds_bpermute_b32 v1, v10, v14
	s_waitcnt lgkmcnt(1)
	;; [unrolled: 26-line block ×3, first 2 shown]
	ds_bpermute_b32 v15, v11, v0
	s_waitcnt lgkmcnt(1)
	v_cmp_lt_f32_e64 s[26:27], v14, v1
	v_cmp_nlt_f32_e32 vcc, v14, v1
	s_and_saveexec_b64 s[28:29], vcc
	s_cbranch_execnz .LBB147_30
; %bb.28:                               ;   in Loop: Header=BB147_15 Depth=1
	s_or_b64 exec, exec, s[28:29]
	s_and_saveexec_b64 s[2:3], s[26:27]
	s_cbranch_execnz .LBB147_31
.LBB147_29:                             ;   in Loop: Header=BB147_15 Depth=1
	s_or_b64 exec, exec, s[2:3]
	s_and_saveexec_b64 s[26:27], s[6:7]
	s_cbranch_execnz .LBB147_32
	s_branch .LBB147_35
.LBB147_30:                             ;   in Loop: Header=BB147_15 Depth=1
	v_cmp_eq_f32_e32 vcc, v14, v1
	s_waitcnt lgkmcnt(0)
	v_cmp_lt_i32_e64 s[2:3], v15, v0
	s_and_b64 s[2:3], vcc, s[2:3]
	s_andn2_b64 s[26:27], s[26:27], exec
	s_and_b64 s[2:3], s[2:3], exec
	s_or_b64 s[26:27], s[26:27], s[2:3]
	s_or_b64 exec, exec, s[28:29]
	s_and_saveexec_b64 s[2:3], s[26:27]
	s_cbranch_execz .LBB147_29
.LBB147_31:                             ;   in Loop: Header=BB147_15 Depth=1
	s_waitcnt lgkmcnt(0)
	v_mov_b32_e32 v0, v15
	v_mov_b32_e32 v14, v1
	s_or_b64 exec, exec, s[2:3]
	s_and_saveexec_b64 s[26:27], s[6:7]
	s_cbranch_execz .LBB147_35
.LBB147_32:                             ;   in Loop: Header=BB147_15 Depth=1
	s_and_b64 vcc, exec, s[0:1]
	s_cbranch_vccnz .LBB147_34
; %bb.33:                               ;   in Loop: Header=BB147_15 Depth=1
	v_ashrrev_i32_e32 v1, 31, v0
	v_lshl_add_u64 v[16:17], v[0:1], 2, s[10:11]
	global_load_dword v1, v[16:17], off
	s_waitcnt vmcnt(0)
	v_sub_f32_e32 v14, v14, v1
.LBB147_34:                             ;   in Loop: Header=BB147_15 Depth=1
	v_add_u32_e32 v16, s31, v7
	v_cmp_le_i32_e32 vcc, s13, v0
	v_cmp_gt_i32_e64 s[2:3], s14, v0
	v_ashrrev_i32_e32 v17, 31, v16
	s_and_b64 s[2:3], vcc, s[2:3]
	v_lshlrev_b64 v[18:19], 2, v[16:17]
	v_subrev_u32_e32 v1, s13, v0
	v_lshl_add_u64 v[20:21], s[20:21], 0, v[18:19]
	s_waitcnt lgkmcnt(0)
	v_ashrrev_i32_e32 v15, 31, v1
	s_and_b64 vcc, s[22:23], s[2:3]
	global_store_dword v[20:21], v14, off
	v_cndmask_b32_e32 v21, 0, v15, vcc
	v_cndmask_b32_e32 v20, 64, v1, vcc
	v_lshl_add_u64 v[16:17], v[16:17], 3, s[16:17]
	v_add_f32_e32 v1, v6, v14
	global_store_dwordx2 v[16:17], v[20:21], off
	v_lshl_add_u64 v[16:17], s[18:19], 0, v[18:19]
	v_cndmask_b32_e64 v6, v6, v1, s[4:5]
	global_store_dword v[16:17], v13, off
.LBB147_35:                             ;   in Loop: Header=BB147_15 Depth=1
	s_or_b64 exec, exec, s[26:27]
	v_ashrrev_i32_e32 v14, 31, v0
	v_lshrrev_b32_e32 v1, 30, v14
	s_waitcnt lgkmcnt(0)
	v_add_u32_e32 v15, v0, v1
	v_ashrrev_i32_e32 v1, 2, v15
	v_ashrrev_i32_e32 v15, 31, v15
	v_lshrrev_b32_e32 v15, 28, v15
	v_add_u32_e32 v15, v1, v15
	s_add_i32 s31, s31, 1
	v_and_b32_e32 v15, -16, v15
	s_cmp_lt_i32 s31, s12
	v_sub_u32_e32 v15, v1, v15
	s_cselect_b64 s[2:3], -1, 0
	v_cmp_eq_u32_e32 vcc, v3, v15
	s_and_b64 s[26:27], s[2:3], vcc
	s_and_saveexec_b64 s[2:3], s[26:27]
	s_cbranch_execz .LBB147_14
; %bb.36:                               ;   in Loop: Header=BB147_15 Depth=1
	v_lshrrev_b32_e32 v14, 26, v14
	v_add_u32_e32 v14, v0, v14
	v_lshlrev_b32_e32 v1, 2, v1
	v_ashrrev_i32_e32 v14, 6, v14
	v_sub_u32_e32 v0, v0, v1
	v_lshl_add_u32 v0, v14, 2, v0
	v_lshl_add_u32 v0, v0, 2, v4
	ds_write_b32 v0, v12
	s_branch .LBB147_14
.LBB147_37:
	v_mov_b32_e32 v6, 0
.LBB147_38:
	v_cmp_eq_u32_e32 vcc, 0, v3
	s_and_b64 exec, exec, vcc
	s_cbranch_execz .LBB147_51
; %bb.39:
	s_andn2_b64 vcc, exec, s[4:5]
	v_cvt_f32_f64_e32 v0, s[8:9]
	s_cbranch_vccnz .LBB147_41
; %bb.40:
	v_cmp_lt_f32_e32 vcc, 0, v6
	s_nop 1
	v_cndmask_b32_e32 v1, 1.0, v6, vcc
	v_div_scale_f32 v3, s[0:1], v1, v1, v0
	v_rcp_f32_e32 v4, v3
	s_nop 0
	v_fma_f32 v5, -v3, v4, 1.0
	v_fmac_f32_e32 v4, v5, v4
	v_div_scale_f32 v5, vcc, v0, v1, v0
	v_mul_f32_e32 v6, v5, v4
	v_fma_f32 v7, -v3, v6, v5
	v_fmac_f32_e32 v6, v7, v4
	v_fma_f32 v3, -v3, v6, v5
	v_div_fmas_f32 v3, v3, v4, v6
	v_div_fixup_f32 v0, v3, v1, v0
.LBB147_41:
	s_andn2_b64 vcc, exec, s[24:25]
	s_cbranch_vccnz .LBB147_51
; %bb.42:
	v_mul_lo_u32 v2, v2, s12
	s_cmp_gt_u32 s12, 3
	v_ashrrev_i32_e32 v3, 31, v2
	s_cbranch_scc0 .LBB147_46
; %bb.43:
	s_and_b32 s0, s12, 0x7ffffffc
	v_lshl_add_u64 v[4:5], v[2:3], 2, s[20:21]
	v_mov_b32_e32 v1, v0
	v_lshl_add_u64 v[4:5], v[4:5], 0, 8
	s_mov_b32 s1, s0
.LBB147_44:                             ; =>This Inner Loop Header: Depth=1
	global_load_dwordx4 v[6:9], v[4:5], off offset:-8
	s_add_i32 s1, s1, -4
	s_cmp_lg_u32 s1, 0
	s_waitcnt vmcnt(0)
	v_pk_mul_f32 v[6:7], v[0:1], v[6:7]
	v_pk_mul_f32 v[8:9], v[0:1], v[8:9]
	global_store_dwordx4 v[4:5], v[6:9], off offset:-8
	v_lshl_add_u64 v[4:5], v[4:5], 0, 16
	s_cbranch_scc1 .LBB147_44
; %bb.45:
	s_cmp_lg_u32 s0, s12
	s_cselect_b64 s[2:3], -1, 0
	s_branch .LBB147_48
.LBB147_46:
	s_mov_b64 s[2:3], 0
                                        ; implicit-def: $sgpr0
	s_cbranch_execz .LBB147_48
; %bb.47:
	s_mov_b64 s[2:3], -1
	s_mov_b32 s0, 0
.LBB147_48:
	s_andn2_b64 vcc, exec, s[2:3]
	s_cbranch_vccnz .LBB147_51
; %bb.49:
	s_mov_b32 s1, 0
	v_lshl_add_u64 v[2:3], v[2:3], 0, s[0:1]
	s_sub_i32 s2, s12, s0
	v_lshl_add_u64 v[2:3], v[2:3], 2, s[20:21]
.LBB147_50:                             ; =>This Inner Loop Header: Depth=1
	global_load_dword v1, v[2:3], off
	s_add_i32 s2, s2, -1
	s_cmp_lg_u32 s2, 0
	s_waitcnt vmcnt(0)
	v_mul_f32_e32 v1, v0, v1
	global_store_dword v[2:3], v1, off
	v_lshl_add_u64 v[2:3], v[2:3], 0, 4
	s_cbranch_scc1 .LBB147_50
.LBB147_51:
	s_endpgm
	.section	.rodata,"a",@progbits
	.p2align	6, 0x0
	.amdhsa_kernel _ZN4vllm3moe22topkGatingSoftplusSqrtILi4ELi64ELi4ELi16ELi32ELb0ElfEEvPKT6_PKbPfiPT5_PiiiibdPKfPKS8_SE_
		.amdhsa_group_segment_fixed_size 2048
		.amdhsa_private_segment_fixed_size 0
		.amdhsa_kernarg_size 96
		.amdhsa_user_sgpr_count 4
		.amdhsa_user_sgpr_dispatch_ptr 1
		.amdhsa_user_sgpr_queue_ptr 0
		.amdhsa_user_sgpr_kernarg_segment_ptr 1
		.amdhsa_user_sgpr_dispatch_id 0
		.amdhsa_user_sgpr_kernarg_preload_length 0
		.amdhsa_user_sgpr_kernarg_preload_offset 0
		.amdhsa_user_sgpr_private_segment_size 0
		.amdhsa_uses_dynamic_stack 0
		.amdhsa_enable_private_segment 0
		.amdhsa_system_sgpr_workgroup_id_x 1
		.amdhsa_system_sgpr_workgroup_id_y 0
		.amdhsa_system_sgpr_workgroup_id_z 0
		.amdhsa_system_sgpr_workgroup_info 0
		.amdhsa_system_vgpr_workitem_id 2
		.amdhsa_next_free_vgpr 22
		.amdhsa_next_free_sgpr 32
		.amdhsa_accum_offset 24
		.amdhsa_reserve_vcc 1
		.amdhsa_float_round_mode_32 0
		.amdhsa_float_round_mode_16_64 0
		.amdhsa_float_denorm_mode_32 3
		.amdhsa_float_denorm_mode_16_64 3
		.amdhsa_dx10_clamp 1
		.amdhsa_ieee_mode 1
		.amdhsa_fp16_overflow 0
		.amdhsa_tg_split 0
		.amdhsa_exception_fp_ieee_invalid_op 0
		.amdhsa_exception_fp_denorm_src 0
		.amdhsa_exception_fp_ieee_div_zero 0
		.amdhsa_exception_fp_ieee_overflow 0
		.amdhsa_exception_fp_ieee_underflow 0
		.amdhsa_exception_fp_ieee_inexact 0
		.amdhsa_exception_int_div_zero 0
	.end_amdhsa_kernel
	.section	.text._ZN4vllm3moe22topkGatingSoftplusSqrtILi4ELi64ELi4ELi16ELi32ELb0ElfEEvPKT6_PKbPfiPT5_PiiiibdPKfPKS8_SE_,"axG",@progbits,_ZN4vllm3moe22topkGatingSoftplusSqrtILi4ELi64ELi4ELi16ELi32ELb0ElfEEvPKT6_PKbPfiPT5_PiiiibdPKfPKS8_SE_,comdat
.Lfunc_end147:
	.size	_ZN4vllm3moe22topkGatingSoftplusSqrtILi4ELi64ELi4ELi16ELi32ELb0ElfEEvPKT6_PKbPfiPT5_PiiiibdPKfPKS8_SE_, .Lfunc_end147-_ZN4vllm3moe22topkGatingSoftplusSqrtILi4ELi64ELi4ELi16ELi32ELb0ElfEEvPKT6_PKbPfiPT5_PiiiibdPKfPKS8_SE_
                                        ; -- End function
	.section	.AMDGPU.csdata,"",@progbits
; Kernel info:
; codeLenInByte = 2868
; NumSgprs: 38
; NumVgprs: 22
; NumAgprs: 0
; TotalNumVgprs: 22
; ScratchSize: 0
; MemoryBound: 0
; FloatMode: 240
; IeeeMode: 1
; LDSByteSize: 2048 bytes/workgroup (compile time only)
; SGPRBlocks: 4
; VGPRBlocks: 2
; NumSGPRsForWavesPerEU: 38
; NumVGPRsForWavesPerEU: 22
; AccumOffset: 24
; Occupancy: 8
; WaveLimiterHint : 0
; COMPUTE_PGM_RSRC2:SCRATCH_EN: 0
; COMPUTE_PGM_RSRC2:USER_SGPR: 4
; COMPUTE_PGM_RSRC2:TRAP_HANDLER: 0
; COMPUTE_PGM_RSRC2:TGID_X_EN: 1
; COMPUTE_PGM_RSRC2:TGID_Y_EN: 0
; COMPUTE_PGM_RSRC2:TGID_Z_EN: 0
; COMPUTE_PGM_RSRC2:TIDIG_COMP_CNT: 2
; COMPUTE_PGM_RSRC3_GFX90A:ACCUM_OFFSET: 5
; COMPUTE_PGM_RSRC3_GFX90A:TG_SPLIT: 0
	.section	.text._ZN4vllm3moe22topkGatingSoftplusSqrtILi4ELi128ELi4ELi16ELi64ELb1ElfEEvPKT6_PKbPfiPT5_PiiiibdPKfPKS8_SE_,"axG",@progbits,_ZN4vllm3moe22topkGatingSoftplusSqrtILi4ELi128ELi4ELi16ELi64ELb1ElfEEvPKT6_PKbPfiPT5_PiiiibdPKfPKS8_SE_,comdat
	.protected	_ZN4vllm3moe22topkGatingSoftplusSqrtILi4ELi128ELi4ELi16ELi64ELb1ElfEEvPKT6_PKbPfiPT5_PiiiibdPKfPKS8_SE_ ; -- Begin function _ZN4vllm3moe22topkGatingSoftplusSqrtILi4ELi128ELi4ELi16ELi64ELb1ElfEEvPKT6_PKbPfiPT5_PiiiibdPKfPKS8_SE_
	.globl	_ZN4vllm3moe22topkGatingSoftplusSqrtILi4ELi128ELi4ELi16ELi64ELb1ElfEEvPKT6_PKbPfiPT5_PiiiibdPKfPKS8_SE_
	.p2align	8
	.type	_ZN4vllm3moe22topkGatingSoftplusSqrtILi4ELi128ELi4ELi16ELi64ELb1ElfEEvPKT6_PKbPfiPT5_PiiiibdPKfPKS8_SE_,@function
_ZN4vllm3moe22topkGatingSoftplusSqrtILi4ELi128ELi4ELi16ELi64ELb1ElfEEvPKT6_PKbPfiPT5_PiiiibdPKfPKS8_SE_: ; @_ZN4vllm3moe22topkGatingSoftplusSqrtILi4ELi128ELi4ELi16ELi64ELb1ElfEEvPKT6_PKbPfiPT5_PiiiibdPKfPKS8_SE_
; %bb.0:
	s_load_dword s3, s[0:1], 0x18
	v_bfe_u32 v1, v0, 10, 10
	v_and_b32_e32 v8, 0x3ff, v0
	s_lshl_b32 s2, s2, 3
	v_lshlrev_b32_e32 v1, 1, v1
	v_lshrrev_b32_e32 v0, 5, v8
	v_add3_u32 v2, s2, v1, v0
	s_waitcnt lgkmcnt(0)
	v_cmp_gt_i32_e32 vcc, s3, v2
	s_and_saveexec_b64 s[2:3], vcc
	s_cbranch_execz .LBB148_79
; %bb.1:
	s_load_dwordx4 s[8:11], s[0:1], 0x50
	s_load_dwordx2 s[2:3], s[0:1], 0x0
	s_load_dword s12, s[0:1], 0x30
	v_lshlrev_b32_e32 v0, 7, v2
	v_lshlrev_b32_e32 v3, 2, v8
	v_ashrrev_i32_e32 v1, 31, v0
	v_and_b32_e32 v14, 0x7c, v3
	s_waitcnt lgkmcnt(0)
	v_lshl_add_u64 v[0:1], v[0:1], 2, s[2:3]
	v_lshlrev_b32_e32 v4, 2, v14
	v_mov_b32_e32 v5, 0
	v_lshl_add_u64 v[0:1], v[0:1], 0, v[4:5]
	global_load_dwordx4 v[10:13], v[0:1], off
	v_mov_b32_e32 v6, s8
	v_mov_b32_e32 v7, s9
	v_ashrrev_i32_e32 v3, 31, v2
	v_lshl_add_u64 v[6:7], v[2:3], 3, v[6:7]
	global_load_dwordx2 v[6:7], v[6:7], off
	s_ashr_i32 s13, s12, 31
	s_mov_b32 s6, 0x800000
	v_mov_b32_e32 v3, 0x4f800000
	s_mov_b32 s18, 0x3f317217
	s_mov_b32 s19, 0x7f800000
	v_mov_b32_e32 v4, 0x41b17218
	s_mov_b32 s15, 0x41a00000
	s_mov_b32 s20, 0xf800000
	v_mov_b32_e32 v9, 0x260
	v_cmp_lt_i64_e64 s[16:17], s[12:13], 1
	s_mov_b32 s14, 0
	v_cmp_gt_i64_e64 s[8:9], s[12:13], 0
	v_mul_lo_u32 v2, v2, s12
	s_waitcnt vmcnt(1)
	v_mul_f32_e32 v0, 0x3fb8aa3b, v10
	v_mul_f32_e32 v1, 0x3fb8aa3b, v11
	v_exp_f32_e32 v16, v0
	v_exp_f32_e32 v17, v1
	v_mul_f32_e32 v18, 0x3fb8aa3b, v12
	v_mul_f32_e32 v19, 0x3fb8aa3b, v13
	s_waitcnt vmcnt(0)
	v_mul_lo_u32 v7, v7, s12
	v_mul_lo_u32 v15, v6, s13
	v_exp_f32_e32 v18, v18
	v_exp_f32_e32 v19, v19
	v_mad_u64_u32 v[0:1], s[2:3], v6, s12, 0
	v_add3_u32 v1, v1, v15, v7
	v_pk_add_f32 v[6:7], v[16:17], 1.0 op_sel_hi:[1,0]
	v_pk_add_f32 v[16:17], v[18:19], 1.0 op_sel_hi:[1,0]
	v_cmp_gt_f32_e32 vcc, s6, v7
	v_cmp_gt_f32_e64 s[2:3], s6, v6
	v_cmp_gt_f32_e64 s[4:5], s6, v17
	v_cndmask_b32_e32 v15, 1.0, v3, vcc
	v_cndmask_b32_e64 v18, 1.0, v3, s[2:3]
	v_mul_f32_e32 v7, v7, v15
	v_mul_f32_e32 v6, v6, v18
	v_log_f32_e32 v7, v7
	v_log_f32_e32 v6, v6
	v_cndmask_b32_e64 v19, 1.0, v3, s[4:5]
	v_cmp_gt_f32_e64 s[6:7], s6, v16
	v_mul_f32_e32 v17, v17, v19
	v_mul_f32_e32 v20, 0x3f317217, v6
	v_cndmask_b32_e64 v3, 1.0, v3, s[6:7]
	v_mul_f32_e32 v3, v16, v3
	v_log_f32_e32 v16, v17
	v_mul_f32_e32 v17, 0x3f317217, v7
	v_fma_f32 v17, v7, s18, -v17
	v_fma_f32 v20, v6, s18, -v20
	v_fmac_f32_e32 v17, 0x3377d1cf, v7
	v_cndmask_b32_e32 v15, 0, v4, vcc
	v_fmac_f32_e32 v20, 0x3377d1cf, v6
	v_fmac_f32_e32 v17, 0x3f317217, v7
	v_cmp_lt_f32_e64 vcc, |v7|, s19
	v_fmac_f32_e32 v20, 0x3f317217, v6
	v_cndmask_b32_e64 v18, 0, v4, s[2:3]
	v_cndmask_b32_e32 v7, v7, v17, vcc
	v_cmp_lt_f32_e64 vcc, |v6|, s19
	v_sub_f32_e32 v7, v7, v15
	v_mul_f32_e32 v21, 0x3f317217, v16
	v_cndmask_b32_e32 v6, v6, v20, vcc
	v_sub_f32_e32 v6, v6, v18
	v_cmp_lt_f32_e32 vcc, s15, v10
	v_fma_f32 v21, v16, s18, -v21
	v_fmac_f32_e32 v21, 0x3377d1cf, v16
	v_cndmask_b32_e32 v6, v6, v10, vcc
	v_cmp_lt_f32_e32 vcc, s15, v11
	v_cmp_gt_f32_e64 s[2:3], s20, v6
	v_cndmask_b32_e64 v19, 0, v4, s[4:5]
	v_cndmask_b32_e32 v7, v7, v11, vcc
	v_mul_f32_e32 v10, 0x4f800000, v7
	v_cmp_gt_f32_e32 vcc, s20, v7
	v_mul_f32_e32 v11, 0x4f800000, v6
	v_cndmask_b32_e64 v6, v6, v11, s[2:3]
	v_cndmask_b32_e32 v7, v7, v10, vcc
	v_sqrt_f32_e32 v10, v7
	v_sqrt_f32_e32 v11, v6
	v_fmac_f32_e32 v21, 0x3f317217, v16
	v_cmp_lt_f32_e64 s[4:5], |v16|, s19
	v_add_u32_e32 v17, 1, v10
	v_add_u32_e32 v18, -1, v11
	v_cndmask_b32_e64 v15, v16, v21, s[4:5]
	v_add_u32_e32 v16, -1, v10
	v_fma_f32 v21, -v16, v10, v7
	v_fma_f32 v23, -v18, v11, v6
	v_cmp_ge_f32_e64 s[4:5], 0, v21
	v_add_u32_e32 v20, 1, v11
	v_fma_f32 v22, -v17, v10, v7
	v_cndmask_b32_e64 v10, v10, v16, s[4:5]
	v_cmp_ge_f32_e64 s[4:5], 0, v23
	v_log_f32_e32 v3, v3
	v_fma_f32 v24, -v20, v11, v6
	v_cndmask_b32_e64 v11, v11, v18, s[4:5]
	v_cmp_lt_f32_e64 s[4:5], 0, v22
	v_cndmask_b32_e64 v4, 0, v4, s[6:7]
	s_nop 0
	v_cndmask_b32_e64 v10, v10, v17, s[4:5]
	v_cmp_lt_f32_e64 s[4:5], 0, v24
	v_mul_f32_e32 v16, 0x37800000, v10
	v_cndmask_b32_e32 v10, v10, v16, vcc
	v_cndmask_b32_e64 v11, v11, v20, s[4:5]
	v_mul_f32_e32 v17, 0x37800000, v11
	v_cmp_class_f32_e32 vcc, v7, v9
	v_cndmask_b32_e64 v16, v11, v17, s[2:3]
	v_cmp_lt_f32_e64 s[2:3], s15, v12
	v_cndmask_b32_e32 v11, v10, v7, vcc
	v_mul_f32_e32 v7, 0x3f317217, v3
	v_fma_f32 v7, v3, s18, -v7
	v_cmp_class_f32_e32 vcc, v6, v9
	v_fmac_f32_e32 v7, 0x3377d1cf, v3
	v_fmac_f32_e32 v7, 0x3f317217, v3
	v_cndmask_b32_e32 v10, v16, v6, vcc
	v_cmp_lt_f32_e64 vcc, |v3|, s19
	v_sub_f32_e32 v6, v15, v19
	s_nop 0
	v_cndmask_b32_e32 v3, v3, v7, vcc
	v_cmp_lt_f32_e32 vcc, s15, v13
	v_sub_f32_e32 v3, v3, v4
	v_cndmask_b32_e64 v3, v3, v12, s[2:3]
	v_cndmask_b32_e32 v6, v6, v13, vcc
	v_mul_f32_e32 v7, 0x4f800000, v6
	v_cmp_gt_f32_e32 vcc, s20, v6
	s_nop 1
	v_cndmask_b32_e32 v6, v6, v7, vcc
	v_sqrt_f32_e32 v7, v6
	s_nop 0
	v_add_u32_e32 v4, -1, v7
	v_fma_f32 v12, -v4, v7, v6
	v_cmp_ge_f32_e64 s[2:3], 0, v12
	v_add_u32_e32 v12, 1, v7
	s_nop 0
	v_cndmask_b32_e64 v4, v7, v4, s[2:3]
	v_fma_f32 v7, -v12, v7, v6
	v_cmp_lt_f32_e64 s[2:3], 0, v7
	s_nop 1
	v_cndmask_b32_e64 v4, v4, v12, s[2:3]
	v_mul_f32_e32 v12, 0x4f800000, v3
	v_cmp_gt_f32_e64 s[2:3], s20, v3
	v_mul_f32_e32 v7, 0x37800000, v4
	v_cndmask_b32_e32 v4, v4, v7, vcc
	v_cndmask_b32_e64 v3, v3, v12, s[2:3]
	v_sqrt_f32_e32 v12, v3
	v_cmp_class_f32_e32 vcc, v6, v9
	s_nop 1
	v_cndmask_b32_e32 v13, v4, v6, vcc
	v_add_u32_e32 v4, -1, v12
	v_fma_f32 v6, -v4, v12, v3
	v_cmp_ge_f32_e32 vcc, 0, v6
	v_add_u32_e32 v6, 1, v12
	v_fma_f32 v7, -v6, v12, v3
	v_cndmask_b32_e32 v4, v12, v4, vcc
	v_cmp_lt_f32_e32 vcc, 0, v7
	s_nop 1
	v_cndmask_b32_e32 v4, v4, v6, vcc
	v_mul_f32_e32 v6, 0x37800000, v4
	v_cndmask_b32_e64 v4, v4, v6, s[2:3]
	v_cmp_class_f32_e32 vcc, v3, v9
	s_nop 1
	v_cndmask_b32_e32 v12, v4, v3, vcc
	s_and_b64 vcc, exec, s[16:17]
	scratch_store_dwordx4 off, v[10:13], off
	s_cbranch_vccnz .LBB148_28
; %bb.2:
	s_load_dwordx2 s[4:5], s[0:1], 0x20
	v_lshl_add_u64 v[6:7], v[0:1], 3, s[10:11]
	s_cmp_lt_u32 s12, 4
	v_and_b32_e32 v4, 31, v8
	s_cbranch_scc1 .LBB148_21
; %bb.3:
	v_lshlrev_b32_e32 v5, 2, v4
	s_mov_b32 s7, 0
	s_and_b32 s14, s12, 0x7ffffffc
	v_ashrrev_i32_e32 v3, 31, v2
	v_sub_u32_e32 v15, 0, v5
	v_mov_b32_e32 v5, 0
	s_mov_b32 s6, s7
	s_branch .LBB148_5
.LBB148_4:                              ;   in Loop: Header=BB148_5 Depth=1
	s_or_b64 exec, exec, s[16:17]
	s_add_i32 s6, s6, 4
	s_cmp_eq_u32 s6, s14
	s_cbranch_scc1 .LBB148_21
.LBB148_5:                              ; =>This Loop Header: Depth=1
                                        ;     Child Loop BB148_7 Depth 2
                                        ;     Child Loop BB148_11 Depth 2
	;; [unrolled: 1-line block ×4, first 2 shown]
	v_lshl_add_u64 v[8:9], s[6:7], 3, v[6:7]
	global_load_dwordx2 v[10:11], v[8:9], off
	v_add_u32_e32 v12, s6, v2
	v_ashrrev_i32_e32 v13, 31, v12
	v_mov_b32_e32 v16, 0
	s_mov_b64 s[16:17], 0
	s_waitcnt lgkmcnt(0)
	v_lshl_add_u64 v[12:13], v[12:13], 3, s[4:5]
	s_mov_b32 s13, 0
	s_waitcnt vmcnt(0)
	v_ashrrev_i32_e32 v11, 31, v10
	v_add_u32_e32 v17, v15, v10
	s_branch .LBB148_7
.LBB148_6:                              ;   in Loop: Header=BB148_7 Depth=2
	s_or_b64 exec, exec, s[18:19]
	s_add_i32 s15, s13, 1
	s_cmp_gt_u32 s13, 2
	s_cselect_b64 s[2:3], -1, 0
	s_xor_b64 s[18:19], vcc, -1
	s_or_b64 s[2:3], s[18:19], s[2:3]
	s_and_b64 s[2:3], exec, s[2:3]
	v_add_u32_e32 v16, 4, v16
	s_or_b64 s[16:17], s[2:3], s[16:17]
	s_mov_b32 s13, s15
	s_andn2_b64 exec, exec, s[16:17]
	s_cbranch_execz .LBB148_9
.LBB148_7:                              ;   Parent Loop BB148_5 Depth=1
                                        ; =>  This Inner Loop Header: Depth=2
	v_cmp_ne_u32_e32 vcc, s13, v17
	v_cmp_eq_u32_e64 s[2:3], s13, v17
	s_and_saveexec_b64 s[18:19], s[2:3]
	s_cbranch_execz .LBB148_6
; %bb.8:                                ;   in Loop: Header=BB148_7 Depth=2
	scratch_load_dword v18, v16, off
	s_waitcnt vmcnt(0)
	v_add_f32_e32 v5, v5, v18
	global_store_dwordx2 v[12:13], v[10:11], off
	s_branch .LBB148_6
.LBB148_9:                              ;   in Loop: Header=BB148_5 Depth=1
	s_or_b64 exec, exec, s[16:17]
	global_load_dwordx2 v[12:13], v[8:9], off offset:8
	s_ashr_i32 s3, s6, 31
	s_mov_b32 s2, s6
	v_lshl_add_u64 v[10:11], s[2:3], 0, v[2:3]
	v_mov_b32_e32 v16, 0
	s_mov_b32 s13, 0
	v_lshl_add_u64 v[10:11], v[10:11], 3, s[4:5]
	s_mov_b64 s[16:17], 0
	s_waitcnt vmcnt(0)
	v_ashrrev_i32_e32 v13, 31, v12
	v_add_u32_e32 v17, v15, v12
	s_branch .LBB148_11
.LBB148_10:                             ;   in Loop: Header=BB148_11 Depth=2
	s_or_b64 exec, exec, s[18:19]
	s_add_i32 s15, s13, 1
	s_cmp_gt_u32 s13, 2
	s_cselect_b64 s[2:3], -1, 0
	s_xor_b64 s[18:19], vcc, -1
	s_or_b64 s[2:3], s[18:19], s[2:3]
	s_and_b64 s[2:3], exec, s[2:3]
	v_add_u32_e32 v16, 4, v16
	s_or_b64 s[16:17], s[2:3], s[16:17]
	s_mov_b32 s13, s15
	s_andn2_b64 exec, exec, s[16:17]
	s_cbranch_execz .LBB148_13
.LBB148_11:                             ;   Parent Loop BB148_5 Depth=1
                                        ; =>  This Inner Loop Header: Depth=2
	v_cmp_ne_u32_e32 vcc, s13, v17
	v_cmp_eq_u32_e64 s[2:3], s13, v17
	s_and_saveexec_b64 s[18:19], s[2:3]
	s_cbranch_execz .LBB148_10
; %bb.12:                               ;   in Loop: Header=BB148_11 Depth=2
	scratch_load_dword v18, v16, off
	s_waitcnt vmcnt(0)
	v_add_f32_e32 v5, v5, v18
	global_store_dwordx2 v[10:11], v[12:13], off offset:8
	s_branch .LBB148_10
.LBB148_13:                             ;   in Loop: Header=BB148_5 Depth=1
	s_or_b64 exec, exec, s[16:17]
	global_load_dwordx2 v[12:13], v[8:9], off offset:16
	v_mov_b32_e32 v16, 0
	s_mov_b32 s13, 0
	s_mov_b64 s[16:17], 0
	s_waitcnt vmcnt(0)
	v_ashrrev_i32_e32 v13, 31, v12
	v_add_u32_e32 v17, v15, v12
	s_branch .LBB148_15
.LBB148_14:                             ;   in Loop: Header=BB148_15 Depth=2
	s_or_b64 exec, exec, s[18:19]
	s_add_i32 s15, s13, 1
	s_cmp_gt_u32 s13, 2
	s_cselect_b64 s[2:3], -1, 0
	s_xor_b64 s[18:19], vcc, -1
	s_or_b64 s[2:3], s[18:19], s[2:3]
	s_and_b64 s[2:3], exec, s[2:3]
	v_add_u32_e32 v16, 4, v16
	s_or_b64 s[16:17], s[2:3], s[16:17]
	s_mov_b32 s13, s15
	s_andn2_b64 exec, exec, s[16:17]
	s_cbranch_execz .LBB148_17
.LBB148_15:                             ;   Parent Loop BB148_5 Depth=1
                                        ; =>  This Inner Loop Header: Depth=2
	v_cmp_ne_u32_e32 vcc, s13, v17
	v_cmp_eq_u32_e64 s[2:3], s13, v17
	s_and_saveexec_b64 s[18:19], s[2:3]
	s_cbranch_execz .LBB148_14
; %bb.16:                               ;   in Loop: Header=BB148_15 Depth=2
	scratch_load_dword v18, v16, off
	s_waitcnt vmcnt(0)
	v_add_f32_e32 v5, v5, v18
	global_store_dwordx2 v[10:11], v[12:13], off offset:16
	s_branch .LBB148_14
.LBB148_17:                             ;   in Loop: Header=BB148_5 Depth=1
	s_or_b64 exec, exec, s[16:17]
	global_load_dwordx2 v[8:9], v[8:9], off offset:24
	v_mov_b32_e32 v12, 0
	s_mov_b32 s13, 0
	s_mov_b64 s[16:17], 0
	s_waitcnt vmcnt(0)
	v_ashrrev_i32_e32 v9, 31, v8
	v_add_u32_e32 v13, v15, v8
	s_branch .LBB148_19
.LBB148_18:                             ;   in Loop: Header=BB148_19 Depth=2
	s_or_b64 exec, exec, s[18:19]
	s_add_i32 s15, s13, 1
	s_cmp_gt_u32 s13, 2
	s_cselect_b64 s[2:3], -1, 0
	s_xor_b64 s[18:19], vcc, -1
	s_or_b64 s[2:3], s[18:19], s[2:3]
	s_and_b64 s[2:3], exec, s[2:3]
	v_add_u32_e32 v12, 4, v12
	s_or_b64 s[16:17], s[2:3], s[16:17]
	s_mov_b32 s13, s15
	s_andn2_b64 exec, exec, s[16:17]
	s_cbranch_execz .LBB148_4
.LBB148_19:                             ;   Parent Loop BB148_5 Depth=1
                                        ; =>  This Inner Loop Header: Depth=2
	v_cmp_ne_u32_e32 vcc, s13, v13
	v_cmp_eq_u32_e64 s[2:3], s13, v13
	s_and_saveexec_b64 s[18:19], s[2:3]
	s_cbranch_execz .LBB148_18
; %bb.20:                               ;   in Loop: Header=BB148_19 Depth=2
	scratch_load_dword v16, v12, off
	s_waitcnt vmcnt(0)
	v_add_f32_e32 v5, v5, v16
	global_store_dwordx2 v[10:11], v[8:9], off offset:24
	s_branch .LBB148_18
.LBB148_21:
	s_and_b32 s13, s12, 3
	s_cmp_eq_u32 s13, 0
	s_mov_b32 s15, 0
	s_cbranch_scc1 .LBB148_28
; %bb.22:
	v_lshlrev_b32_e32 v3, 2, v4
	v_sub_u32_e32 v3, 0, v3
	s_mov_b32 s18, s15
	s_branch .LBB148_24
.LBB148_23:                             ;   in Loop: Header=BB148_24 Depth=1
	s_or_b64 exec, exec, s[6:7]
	s_add_i32 s14, s14, 1
	s_add_i32 s18, s18, 1
	s_cmp_lg_u32 s18, s13
	s_cbranch_scc0 .LBB148_28
.LBB148_24:                             ; =>This Loop Header: Depth=1
                                        ;     Child Loop BB148_26 Depth 2
	v_lshl_add_u64 v[8:9], s[14:15], 3, v[6:7]
	global_load_dwordx2 v[8:9], v[8:9], off
	v_add_u32_e32 v10, s14, v2
	v_ashrrev_i32_e32 v11, 31, v10
	v_mov_b32_e32 v4, 0
	s_mov_b32 s19, 0
	s_waitcnt lgkmcnt(0)
	v_lshl_add_u64 v[10:11], v[10:11], 3, s[4:5]
	s_mov_b64 s[6:7], 0
	s_waitcnt vmcnt(0)
	v_ashrrev_i32_e32 v9, 31, v8
	v_add_u32_e32 v12, v3, v8
	s_branch .LBB148_26
.LBB148_25:                             ;   in Loop: Header=BB148_26 Depth=2
	s_or_b64 exec, exec, s[16:17]
	s_add_i32 s20, s19, 1
	s_cmp_gt_u32 s19, 2
	s_cselect_b64 s[2:3], -1, 0
	s_xor_b64 s[16:17], vcc, -1
	s_or_b64 s[2:3], s[16:17], s[2:3]
	s_and_b64 s[2:3], exec, s[2:3]
	v_add_u32_e32 v4, 4, v4
	s_or_b64 s[6:7], s[2:3], s[6:7]
	s_mov_b32 s19, s20
	s_andn2_b64 exec, exec, s[6:7]
	s_cbranch_execz .LBB148_23
.LBB148_26:                             ;   Parent Loop BB148_24 Depth=1
                                        ; =>  This Inner Loop Header: Depth=2
	v_cmp_ne_u32_e32 vcc, s19, v12
	v_cmp_eq_u32_e64 s[2:3], s19, v12
	s_and_saveexec_b64 s[16:17], s[2:3]
	s_cbranch_execz .LBB148_25
; %bb.27:                               ;   in Loop: Header=BB148_26 Depth=2
	scratch_load_dword v13, v4, off
	s_waitcnt vmcnt(0)
	v_add_f32_e32 v5, v5, v13
	global_store_dwordx2 v[10:11], v[8:9], off
	s_branch .LBB148_25
.LBB148_28:
	s_waitcnt lgkmcnt(0)
	s_load_dword s4, s[0:1], 0x3c
	s_waitcnt lgkmcnt(0)
	s_bitcmp1_b32 s4, 0
	s_cselect_b64 s[2:3], -1, 0
	s_bitcmp0_b32 s4, 0
	s_cbranch_scc0 .LBB148_31
; %bb.29:
	s_load_dwordx2 s[4:5], s[0:1], 0x40
	s_andn2_b64 vcc, exec, s[2:3]
	s_waitcnt lgkmcnt(0)
	v_cvt_f32_f64_e32 v8, s[4:5]
	s_cbranch_vccz .LBB148_32
.LBB148_30:
	s_andn2_b64 vcc, exec, s[8:9]
	s_cbranch_vccz .LBB148_33
	s_branch .LBB148_79
.LBB148_31:
	v_mbcnt_lo_u32_b32 v3, -1, 0
	v_mbcnt_hi_u32_b32 v3, -1, v3
	v_and_b32_e32 v4, 0x60, v3
	v_add_u32_e32 v4, 32, v4
	v_xor_b32_e32 v6, 16, v3
	v_cmp_lt_i32_e32 vcc, v6, v4
	v_xor_b32_e32 v7, 8, v3
	s_nop 0
	v_cndmask_b32_e32 v6, v3, v6, vcc
	v_lshlrev_b32_e32 v6, 2, v6
	ds_bpermute_b32 v6, v6, v5
	v_cmp_lt_i32_e32 vcc, v7, v4
	s_waitcnt lgkmcnt(0)
	v_add_f32_e32 v5, v5, v6
	v_cndmask_b32_e32 v6, v3, v7, vcc
	v_lshlrev_b32_e32 v6, 2, v6
	ds_bpermute_b32 v6, v6, v5
	v_xor_b32_e32 v7, 4, v3
	v_cmp_lt_i32_e32 vcc, v7, v4
	s_waitcnt lgkmcnt(0)
	v_add_f32_e32 v5, v5, v6
	v_cndmask_b32_e32 v6, v3, v7, vcc
	v_lshlrev_b32_e32 v6, 2, v6
	ds_bpermute_b32 v6, v6, v5
	v_xor_b32_e32 v7, 2, v3
	;; [unrolled: 7-line block ×3, first 2 shown]
	v_cmp_lt_i32_e32 vcc, v7, v4
	s_waitcnt lgkmcnt(0)
	v_add_f32_e32 v5, v5, v6
	v_cndmask_b32_e32 v3, v3, v7, vcc
	v_lshlrev_b32_e32 v3, 2, v3
	ds_bpermute_b32 v3, v3, v5
	s_waitcnt lgkmcnt(0)
	v_add_f32_e32 v5, v5, v3
	s_load_dwordx2 s[4:5], s[0:1], 0x40
	s_andn2_b64 vcc, exec, s[2:3]
	s_waitcnt lgkmcnt(0)
	v_cvt_f32_f64_e32 v8, s[4:5]
	s_cbranch_vccnz .LBB148_30
.LBB148_32:
	v_cmp_lt_f32_e32 vcc, 0, v5
	s_nop 1
	v_cndmask_b32_e32 v3, 1.0, v5, vcc
	v_div_scale_f32 v4, s[2:3], v3, v3, v8
	v_rcp_f32_e32 v5, v4
	s_nop 0
	v_fma_f32 v6, -v4, v5, 1.0
	v_fmac_f32_e32 v5, v6, v5
	v_div_scale_f32 v6, vcc, v8, v3, v8
	v_mul_f32_e32 v7, v6, v5
	v_fma_f32 v9, -v4, v7, v6
	v_fmac_f32_e32 v7, v9, v5
	v_fma_f32 v4, -v4, v7, v6
	v_div_fmas_f32 v4, v4, v5, v7
	v_div_fixup_f32 v8, v4, v3, v8
	s_andn2_b64 vcc, exec, s[8:9]
	s_cbranch_vccnz .LBB148_79
.LBB148_33:
	s_load_dwordx2 s[4:5], s[0:1], 0x10
	v_mov_b32_e32 v3, 0
	v_or_b32_e32 v9, 4, v3
	v_or_b32_e32 v10, 8, v3
	v_or_b32_e32 v11, 12, v3
	v_or_b32_e32 v12, 1, v14
	v_or_b32_e32 v13, 2, v14
	v_or_b32_e32 v15, 3, v14
	s_cmp_lt_u32 s12, 4
	s_mov_b32 s6, 0
	s_cbranch_scc1 .LBB148_68
; %bb.34:
	v_ashrrev_i32_e32 v3, 31, v2
	s_waitcnt lgkmcnt(0)
	v_lshl_add_u64 v[4:5], v[2:3], 2, s[4:5]
	v_lshl_add_u64 v[6:7], v[0:1], 3, s[10:11]
	s_and_b32 s6, s12, 0x7ffffffc
	v_lshl_add_u64 v[4:5], v[4:5], 0, 12
	v_lshl_add_u64 v[6:7], v[6:7], 0, 16
	s_mov_b32 s7, 0
	s_branch .LBB148_36
.LBB148_35:                             ;   in Loop: Header=BB148_36 Depth=1
	s_or_b64 exec, exec, s[2:3]
	s_add_i32 s7, s7, 4
	v_lshl_add_u64 v[4:5], v[4:5], 0, 16
	s_cmp_eq_u32 s6, s7
	v_lshl_add_u64 v[6:7], v[6:7], 0, 32
	s_cbranch_scc1 .LBB148_68
.LBB148_36:                             ; =>This Inner Loop Header: Depth=1
	global_load_dword v16, v[6:7], off offset:-16
	v_mov_b32_e32 v3, 0
	s_waitcnt vmcnt(0)
	v_cmp_eq_u32_e32 vcc, v14, v16
	v_cmp_ne_u32_e64 s[0:1], v14, v16
	s_and_saveexec_b64 s[8:9], s[0:1]
	s_cbranch_execz .LBB148_42
; %bb.37:                               ;   in Loop: Header=BB148_36 Depth=1
	v_cmp_eq_u32_e64 s[0:1], v12, v16
	v_cmp_ne_u32_e64 s[2:3], v12, v16
	v_mov_b32_e32 v3, v9
	s_and_saveexec_b64 s[14:15], s[2:3]
	s_cbranch_execz .LBB148_41
; %bb.38:                               ;   in Loop: Header=BB148_36 Depth=1
	v_cmp_eq_u32_e64 s[16:17], v13, v16
	v_cmp_ne_u32_e64 s[2:3], v13, v16
	v_mov_b32_e32 v3, v10
	s_and_saveexec_b64 s[18:19], s[2:3]
	s_xor_b64 s[18:19], exec, s[18:19]
; %bb.39:                               ;   in Loop: Header=BB148_36 Depth=1
	v_cmp_eq_u32_e64 s[2:3], v15, v16
	s_andn2_b64 s[16:17], s[16:17], exec
	s_and_b64 s[2:3], s[2:3], exec
	s_or_b64 s[16:17], s[16:17], s[2:3]
	v_mov_b32_e32 v3, v11
; %bb.40:                               ;   in Loop: Header=BB148_36 Depth=1
	s_or_b64 exec, exec, s[18:19]
	s_andn2_b64 s[0:1], s[0:1], exec
	s_and_b64 s[2:3], s[16:17], exec
	s_or_b64 s[0:1], s[0:1], s[2:3]
.LBB148_41:                             ;   in Loop: Header=BB148_36 Depth=1
	s_or_b64 exec, exec, s[14:15]
	s_andn2_b64 s[2:3], vcc, exec
	s_and_b64 s[0:1], s[0:1], exec
	s_or_b64 vcc, s[2:3], s[0:1]
.LBB148_42:                             ;   in Loop: Header=BB148_36 Depth=1
	s_or_b64 exec, exec, s[8:9]
	s_and_saveexec_b64 s[0:1], vcc
	s_cbranch_execz .LBB148_44
; %bb.43:                               ;   in Loop: Header=BB148_36 Depth=1
	scratch_load_dword v3, v3, off
	v_add_u32_e32 v16, s7, v2
	v_ashrrev_i32_e32 v17, 31, v16
	v_lshl_add_u64 v[16:17], v[16:17], 2, s[4:5]
	s_waitcnt vmcnt(0)
	v_mul_f32_e32 v3, v8, v3
	global_store_dword v[16:17], v3, off
.LBB148_44:                             ;   in Loop: Header=BB148_36 Depth=1
	s_or_b64 exec, exec, s[0:1]
	global_load_dword v16, v[6:7], off offset:-8
	v_mov_b32_e32 v3, 0
	s_waitcnt vmcnt(0)
	v_cmp_eq_u32_e64 s[0:1], v14, v16
	v_cmp_ne_u32_e32 vcc, v14, v16
	s_and_saveexec_b64 s[2:3], vcc
	s_cbranch_execz .LBB148_50
; %bb.45:                               ;   in Loop: Header=BB148_36 Depth=1
	v_cmp_eq_u32_e64 s[8:9], v12, v16
	v_cmp_ne_u32_e32 vcc, v12, v16
	v_mov_b32_e32 v3, v9
	s_and_saveexec_b64 s[14:15], vcc
	s_cbranch_execz .LBB148_49
; %bb.46:                               ;   in Loop: Header=BB148_36 Depth=1
	v_cmp_eq_u32_e64 s[16:17], v13, v16
	v_cmp_ne_u32_e32 vcc, v13, v16
	v_mov_b32_e32 v3, v10
	s_and_saveexec_b64 s[18:19], vcc
; %bb.47:                               ;   in Loop: Header=BB148_36 Depth=1
	v_cmp_eq_u32_e32 vcc, v15, v16
	s_andn2_b64 s[16:17], s[16:17], exec
	s_and_b64 s[20:21], vcc, exec
	s_or_b64 s[16:17], s[16:17], s[20:21]
	v_mov_b32_e32 v3, v11
; %bb.48:                               ;   in Loop: Header=BB148_36 Depth=1
	s_or_b64 exec, exec, s[18:19]
	s_andn2_b64 s[8:9], s[8:9], exec
	s_and_b64 s[16:17], s[16:17], exec
	s_or_b64 s[8:9], s[8:9], s[16:17]
.LBB148_49:                             ;   in Loop: Header=BB148_36 Depth=1
	s_or_b64 exec, exec, s[14:15]
	s_andn2_b64 s[0:1], s[0:1], exec
	s_and_b64 s[8:9], s[8:9], exec
	s_or_b64 s[0:1], s[0:1], s[8:9]
.LBB148_50:                             ;   in Loop: Header=BB148_36 Depth=1
	s_or_b64 exec, exec, s[2:3]
	s_and_saveexec_b64 s[2:3], s[0:1]
	s_cbranch_execz .LBB148_52
; %bb.51:                               ;   in Loop: Header=BB148_36 Depth=1
	scratch_load_dword v3, v3, off
	s_waitcnt vmcnt(0)
	v_mul_f32_e32 v3, v8, v3
	global_store_dword v[4:5], v3, off offset:-8
.LBB148_52:                             ;   in Loop: Header=BB148_36 Depth=1
	s_or_b64 exec, exec, s[2:3]
	global_load_dword v16, v[6:7], off
	v_mov_b32_e32 v3, 0
	s_waitcnt vmcnt(0)
	v_cmp_eq_u32_e64 s[0:1], v14, v16
	v_cmp_ne_u32_e32 vcc, v14, v16
	s_and_saveexec_b64 s[2:3], vcc
	s_cbranch_execz .LBB148_58
; %bb.53:                               ;   in Loop: Header=BB148_36 Depth=1
	v_cmp_eq_u32_e64 s[8:9], v12, v16
	v_cmp_ne_u32_e32 vcc, v12, v16
	v_mov_b32_e32 v3, v9
	s_and_saveexec_b64 s[14:15], vcc
	s_cbranch_execz .LBB148_57
; %bb.54:                               ;   in Loop: Header=BB148_36 Depth=1
	v_cmp_eq_u32_e64 s[16:17], v13, v16
	v_cmp_ne_u32_e32 vcc, v13, v16
	v_mov_b32_e32 v3, v10
	s_and_saveexec_b64 s[18:19], vcc
; %bb.55:                               ;   in Loop: Header=BB148_36 Depth=1
	v_cmp_eq_u32_e32 vcc, v15, v16
	s_andn2_b64 s[16:17], s[16:17], exec
	s_and_b64 s[20:21], vcc, exec
	s_or_b64 s[16:17], s[16:17], s[20:21]
	v_mov_b32_e32 v3, v11
; %bb.56:                               ;   in Loop: Header=BB148_36 Depth=1
	s_or_b64 exec, exec, s[18:19]
	s_andn2_b64 s[8:9], s[8:9], exec
	s_and_b64 s[16:17], s[16:17], exec
	s_or_b64 s[8:9], s[8:9], s[16:17]
.LBB148_57:                             ;   in Loop: Header=BB148_36 Depth=1
	s_or_b64 exec, exec, s[14:15]
	s_andn2_b64 s[0:1], s[0:1], exec
	s_and_b64 s[8:9], s[8:9], exec
	s_or_b64 s[0:1], s[0:1], s[8:9]
.LBB148_58:                             ;   in Loop: Header=BB148_36 Depth=1
	s_or_b64 exec, exec, s[2:3]
	s_and_saveexec_b64 s[2:3], s[0:1]
	s_cbranch_execz .LBB148_60
; %bb.59:                               ;   in Loop: Header=BB148_36 Depth=1
	scratch_load_dword v3, v3, off
	s_waitcnt vmcnt(0)
	v_mul_f32_e32 v3, v8, v3
	global_store_dword v[4:5], v3, off offset:-4
.LBB148_60:                             ;   in Loop: Header=BB148_36 Depth=1
	s_or_b64 exec, exec, s[2:3]
	global_load_dword v16, v[6:7], off offset:8
	v_mov_b32_e32 v3, 0
	s_waitcnt vmcnt(0)
	v_cmp_eq_u32_e64 s[0:1], v14, v16
	v_cmp_ne_u32_e32 vcc, v14, v16
	s_and_saveexec_b64 s[2:3], vcc
	s_cbranch_execz .LBB148_66
; %bb.61:                               ;   in Loop: Header=BB148_36 Depth=1
	v_cmp_eq_u32_e64 s[8:9], v12, v16
	v_cmp_ne_u32_e32 vcc, v12, v16
	v_mov_b32_e32 v3, v9
	s_and_saveexec_b64 s[14:15], vcc
	s_cbranch_execz .LBB148_65
; %bb.62:                               ;   in Loop: Header=BB148_36 Depth=1
	v_cmp_eq_u32_e64 s[16:17], v13, v16
	v_cmp_ne_u32_e32 vcc, v13, v16
	v_mov_b32_e32 v3, v10
	s_and_saveexec_b64 s[18:19], vcc
; %bb.63:                               ;   in Loop: Header=BB148_36 Depth=1
	v_cmp_eq_u32_e32 vcc, v15, v16
	s_andn2_b64 s[16:17], s[16:17], exec
	s_and_b64 s[20:21], vcc, exec
	s_or_b64 s[16:17], s[16:17], s[20:21]
	v_mov_b32_e32 v3, v11
; %bb.64:                               ;   in Loop: Header=BB148_36 Depth=1
	s_or_b64 exec, exec, s[18:19]
	s_andn2_b64 s[8:9], s[8:9], exec
	s_and_b64 s[16:17], s[16:17], exec
	s_or_b64 s[8:9], s[8:9], s[16:17]
.LBB148_65:                             ;   in Loop: Header=BB148_36 Depth=1
	s_or_b64 exec, exec, s[14:15]
	s_andn2_b64 s[0:1], s[0:1], exec
	s_and_b64 s[8:9], s[8:9], exec
	s_or_b64 s[0:1], s[0:1], s[8:9]
.LBB148_66:                             ;   in Loop: Header=BB148_36 Depth=1
	s_or_b64 exec, exec, s[2:3]
	s_and_saveexec_b64 s[2:3], s[0:1]
	s_cbranch_execz .LBB148_35
; %bb.67:                               ;   in Loop: Header=BB148_36 Depth=1
	scratch_load_dword v3, v3, off
	s_waitcnt vmcnt(0)
	v_mul_f32_e32 v3, v8, v3
	global_store_dword v[4:5], v3, off
	s_branch .LBB148_35
.LBB148_68:
	s_and_b32 s14, s12, 3
	s_cmp_eq_u32 s14, 0
	s_mov_b32 s7, 0
	s_cbranch_scc1 .LBB148_79
; %bb.69:
	s_lshl_b64 s[0:1], s[6:7], 3
	s_add_u32 s0, s10, s0
	s_addc_u32 s1, s11, s1
	v_add_u32_e32 v2, s6, v2
	v_lshl_add_u64 v[0:1], v[0:1], 3, s[0:1]
	s_branch .LBB148_71
.LBB148_70:                             ;   in Loop: Header=BB148_71 Depth=1
	s_or_b64 exec, exec, s[2:3]
	s_add_i32 s14, s14, -1
	v_add_u32_e32 v2, 1, v2
	s_cmp_lg_u32 s14, 0
	v_lshl_add_u64 v[0:1], v[0:1], 0, 8
	s_cbranch_scc0 .LBB148_79
.LBB148_71:                             ; =>This Inner Loop Header: Depth=1
	global_load_dword v4, v[0:1], off
	v_mov_b32_e32 v3, 0
	s_waitcnt vmcnt(0)
	v_cmp_eq_u32_e64 s[0:1], v14, v4
	v_cmp_ne_u32_e32 vcc, v14, v4
	s_and_saveexec_b64 s[2:3], vcc
	s_cbranch_execz .LBB148_77
; %bb.72:                               ;   in Loop: Header=BB148_71 Depth=1
	v_cmp_eq_u32_e64 s[6:7], v12, v4
	v_cmp_ne_u32_e32 vcc, v12, v4
	v_mov_b32_e32 v3, v9
	s_and_saveexec_b64 s[8:9], vcc
	s_cbranch_execz .LBB148_76
; %bb.73:                               ;   in Loop: Header=BB148_71 Depth=1
	v_cmp_eq_u32_e64 s[10:11], v13, v4
	v_cmp_ne_u32_e32 vcc, v13, v4
	v_mov_b32_e32 v3, v10
	s_and_saveexec_b64 s[12:13], vcc
; %bb.74:                               ;   in Loop: Header=BB148_71 Depth=1
	v_cmp_eq_u32_e32 vcc, v15, v4
	s_andn2_b64 s[10:11], s[10:11], exec
	s_and_b64 s[16:17], vcc, exec
	s_or_b64 s[10:11], s[10:11], s[16:17]
	v_mov_b32_e32 v3, v11
; %bb.75:                               ;   in Loop: Header=BB148_71 Depth=1
	s_or_b64 exec, exec, s[12:13]
	s_andn2_b64 s[6:7], s[6:7], exec
	s_and_b64 s[10:11], s[10:11], exec
	s_or_b64 s[6:7], s[6:7], s[10:11]
.LBB148_76:                             ;   in Loop: Header=BB148_71 Depth=1
	s_or_b64 exec, exec, s[8:9]
	s_andn2_b64 s[0:1], s[0:1], exec
	s_and_b64 s[6:7], s[6:7], exec
	s_or_b64 s[0:1], s[0:1], s[6:7]
.LBB148_77:                             ;   in Loop: Header=BB148_71 Depth=1
	s_or_b64 exec, exec, s[2:3]
	s_and_saveexec_b64 s[2:3], s[0:1]
	s_cbranch_execz .LBB148_70
; %bb.78:                               ;   in Loop: Header=BB148_71 Depth=1
	scratch_load_dword v4, v3, off
	v_ashrrev_i32_e32 v3, 31, v2
	s_waitcnt vmcnt(0)
	v_mul_f32_e32 v6, v8, v4
	s_waitcnt lgkmcnt(0)
	v_lshl_add_u64 v[4:5], v[2:3], 2, s[4:5]
	global_store_dword v[4:5], v6, off
	s_branch .LBB148_70
.LBB148_79:
	s_endpgm
	.section	.rodata,"a",@progbits
	.p2align	6, 0x0
	.amdhsa_kernel _ZN4vllm3moe22topkGatingSoftplusSqrtILi4ELi128ELi4ELi16ELi64ELb1ElfEEvPKT6_PKbPfiPT5_PiiiibdPKfPKS8_SE_
		.amdhsa_group_segment_fixed_size 0
		.amdhsa_private_segment_fixed_size 32
		.amdhsa_kernarg_size 96
		.amdhsa_user_sgpr_count 2
		.amdhsa_user_sgpr_dispatch_ptr 0
		.amdhsa_user_sgpr_queue_ptr 0
		.amdhsa_user_sgpr_kernarg_segment_ptr 1
		.amdhsa_user_sgpr_dispatch_id 0
		.amdhsa_user_sgpr_kernarg_preload_length 0
		.amdhsa_user_sgpr_kernarg_preload_offset 0
		.amdhsa_user_sgpr_private_segment_size 0
		.amdhsa_uses_dynamic_stack 0
		.amdhsa_enable_private_segment 1
		.amdhsa_system_sgpr_workgroup_id_x 1
		.amdhsa_system_sgpr_workgroup_id_y 0
		.amdhsa_system_sgpr_workgroup_id_z 0
		.amdhsa_system_sgpr_workgroup_info 0
		.amdhsa_system_vgpr_workitem_id 1
		.amdhsa_next_free_vgpr 25
		.amdhsa_next_free_sgpr 22
		.amdhsa_accum_offset 28
		.amdhsa_reserve_vcc 1
		.amdhsa_float_round_mode_32 0
		.amdhsa_float_round_mode_16_64 0
		.amdhsa_float_denorm_mode_32 3
		.amdhsa_float_denorm_mode_16_64 3
		.amdhsa_dx10_clamp 1
		.amdhsa_ieee_mode 1
		.amdhsa_fp16_overflow 0
		.amdhsa_tg_split 0
		.amdhsa_exception_fp_ieee_invalid_op 0
		.amdhsa_exception_fp_denorm_src 0
		.amdhsa_exception_fp_ieee_div_zero 0
		.amdhsa_exception_fp_ieee_overflow 0
		.amdhsa_exception_fp_ieee_underflow 0
		.amdhsa_exception_fp_ieee_inexact 0
		.amdhsa_exception_int_div_zero 0
	.end_amdhsa_kernel
	.section	.text._ZN4vllm3moe22topkGatingSoftplusSqrtILi4ELi128ELi4ELi16ELi64ELb1ElfEEvPKT6_PKbPfiPT5_PiiiibdPKfPKS8_SE_,"axG",@progbits,_ZN4vllm3moe22topkGatingSoftplusSqrtILi4ELi128ELi4ELi16ELi64ELb1ElfEEvPKT6_PKbPfiPT5_PiiiibdPKfPKS8_SE_,comdat
.Lfunc_end148:
	.size	_ZN4vllm3moe22topkGatingSoftplusSqrtILi4ELi128ELi4ELi16ELi64ELb1ElfEEvPKT6_PKbPfiPT5_PiiiibdPKfPKS8_SE_, .Lfunc_end148-_ZN4vllm3moe22topkGatingSoftplusSqrtILi4ELi128ELi4ELi16ELi64ELb1ElfEEvPKT6_PKbPfiPT5_PiiiibdPKfPKS8_SE_
                                        ; -- End function
	.section	.AMDGPU.csdata,"",@progbits
; Kernel info:
; codeLenInByte = 3548
; NumSgprs: 28
; NumVgprs: 25
; NumAgprs: 0
; TotalNumVgprs: 25
; ScratchSize: 32
; MemoryBound: 0
; FloatMode: 240
; IeeeMode: 1
; LDSByteSize: 0 bytes/workgroup (compile time only)
; SGPRBlocks: 3
; VGPRBlocks: 3
; NumSGPRsForWavesPerEU: 28
; NumVGPRsForWavesPerEU: 25
; AccumOffset: 28
; Occupancy: 8
; WaveLimiterHint : 1
; COMPUTE_PGM_RSRC2:SCRATCH_EN: 1
; COMPUTE_PGM_RSRC2:USER_SGPR: 2
; COMPUTE_PGM_RSRC2:TRAP_HANDLER: 0
; COMPUTE_PGM_RSRC2:TGID_X_EN: 1
; COMPUTE_PGM_RSRC2:TGID_Y_EN: 0
; COMPUTE_PGM_RSRC2:TGID_Z_EN: 0
; COMPUTE_PGM_RSRC2:TIDIG_COMP_CNT: 1
; COMPUTE_PGM_RSRC3_GFX90A:ACCUM_OFFSET: 6
; COMPUTE_PGM_RSRC3_GFX90A:TG_SPLIT: 0
	.section	.text._ZN4vllm3moe22topkGatingSoftplusSqrtILi4ELi128ELi4ELi16ELi64ELb0ElfEEvPKT6_PKbPfiPT5_PiiiibdPKfPKS8_SE_,"axG",@progbits,_ZN4vllm3moe22topkGatingSoftplusSqrtILi4ELi128ELi4ELi16ELi64ELb0ElfEEvPKT6_PKbPfiPT5_PiiiibdPKfPKS8_SE_,comdat
	.protected	_ZN4vllm3moe22topkGatingSoftplusSqrtILi4ELi128ELi4ELi16ELi64ELb0ElfEEvPKT6_PKbPfiPT5_PiiiibdPKfPKS8_SE_ ; -- Begin function _ZN4vllm3moe22topkGatingSoftplusSqrtILi4ELi128ELi4ELi16ELi64ELb0ElfEEvPKT6_PKbPfiPT5_PiiiibdPKfPKS8_SE_
	.globl	_ZN4vllm3moe22topkGatingSoftplusSqrtILi4ELi128ELi4ELi16ELi64ELb0ElfEEvPKT6_PKbPfiPT5_PiiiibdPKfPKS8_SE_
	.p2align	8
	.type	_ZN4vllm3moe22topkGatingSoftplusSqrtILi4ELi128ELi4ELi16ELi64ELb0ElfEEvPKT6_PKbPfiPT5_PiiiibdPKfPKS8_SE_,@function
_ZN4vllm3moe22topkGatingSoftplusSqrtILi4ELi128ELi4ELi16ELi64ELb0ElfEEvPKT6_PKbPfiPT5_PiiiibdPKfPKS8_SE_: ; @_ZN4vllm3moe22topkGatingSoftplusSqrtILi4ELi128ELi4ELi16ELi64ELb0ElfEEvPKT6_PKbPfiPT5_PiiiibdPKfPKS8_SE_
; %bb.0:
	s_load_dword s30, s[2:3], 0x18
	v_and_b32_e32 v1, 0x3ff, v0
	v_bfe_u32 v4, v0, 10, 10
	s_lshl_b32 s4, s4, 3
	v_lshlrev_b32_e32 v2, 1, v4
	v_lshrrev_b32_e32 v3, 5, v1
	v_add3_u32 v2, s4, v2, v3
	s_waitcnt lgkmcnt(0)
	v_cmp_gt_i32_e32 vcc, s30, v2
	s_and_saveexec_b64 s[4:5], vcc
	s_cbranch_execz .LBB149_55
; %bb.1:
	s_load_dwordx4 s[4:7], s[2:3], 0x0
	s_load_dwordx2 s[20:21], s[2:3], 0x10
	s_waitcnt lgkmcnt(0)
	s_cmp_eq_u64 s[6:7], 0
	s_cbranch_scc1 .LBB149_3
; %bb.2:
	v_ashrrev_i32_e32 v3, 31, v2
	v_lshl_add_u64 v[6:7], s[6:7], 0, v[2:3]
	global_load_ubyte v3, v[6:7], off
	s_waitcnt vmcnt(0)
	v_and_b32_e32 v3, 1, v3
	v_cmp_eq_u32_e32 vcc, 1, v3
	s_xor_b64 s[6:7], vcc, -1
	s_orn2_b64 s[22:23], s[6:7], exec
	s_branch .LBB149_4
.LBB149_3:
	s_mov_b64 s[22:23], -1
.LBB149_4:
	v_lshlrev_b32_e32 v8, 7, v2
	v_mov_b32_e32 v6, s4
	v_mov_b32_e32 v7, s5
	v_ashrrev_i32_e32 v9, 31, v8
	v_and_b32_e32 v3, 31, v1
	v_lshl_add_u64 v[6:7], v[8:9], 2, v[6:7]
	v_mov_b32_e32 v9, 0
	v_lshlrev_b32_e32 v8, 4, v3
	v_lshl_add_u64 v[6:7], v[6:7], 0, v[8:9]
	global_load_dwordx4 v[6:9], v[6:7], off
	s_load_dwordx2 s[4:5], s[0:1], 0x4
	s_load_dwordx4 s[8:11], s[2:3], 0x40
	v_bfe_u32 v0, v0, 20, 10
	s_mov_b32 s16, 0x800000
	s_mov_b32 s13, 0x3f317217
	s_waitcnt lgkmcnt(0)
	s_lshr_b32 s0, s4, 16
	s_mul_i32 s0, s0, s5
	v_mul_lo_u32 v1, s0, v1
	v_mad_u32_u24 v1, v4, s5, v1
	v_add_lshl_u32 v4, v1, v0, 4
	s_mov_b32 s14, 0x7f800000
	s_mov_b32 s12, 0x41a00000
	;; [unrolled: 1-line block ×3, first 2 shown]
	s_cmp_lg_u64 s[10:11], 0
	v_mov_b32_e32 v1, 0x260
	s_cselect_b64 s[6:7], -1, 0
	s_and_b64 s[0:1], exec, s[6:7]
	s_waitcnt vmcnt(0)
	ds_write_b128 v4, v[6:9]
	ds_read_b32 v8, v4
	v_mov_b32_e32 v6, 0x4f800000
	v_mov_b32_e32 v7, 0x41b17218
	s_waitcnt lgkmcnt(0)
	v_mul_f32_e32 v0, 0x3fb8aa3b, v8
	v_exp_f32_e32 v0, v0
	s_nop 0
	v_add_f32_e32 v0, 1.0, v0
	v_cmp_gt_f32_e32 vcc, s16, v0
	s_nop 1
	v_cndmask_b32_e32 v5, 1.0, v6, vcc
	v_mul_f32_e32 v0, v0, v5
	v_log_f32_e32 v9, v0
	v_cndmask_b32_e32 v10, 0, v7, vcc
	v_lshlrev_b32_e32 v5, 2, v3
	v_lshlrev_b32_e32 v0, 2, v5
	v_mul_f32_e32 v11, 0x3f317217, v9
	v_fma_f32 v11, v9, s13, -v11
	v_fmac_f32_e32 v11, 0x3377d1cf, v9
	v_fmac_f32_e32 v11, 0x3f317217, v9
	v_cmp_lt_f32_e64 vcc, |v9|, s14
	s_nop 1
	v_cndmask_b32_e32 v9, v9, v11, vcc
	v_sub_f32_e32 v9, v9, v10
	v_cmp_lt_f32_e32 vcc, s12, v8
	s_nop 1
	v_cndmask_b32_e32 v8, v9, v8, vcc
	v_mul_f32_e32 v9, 0x4f800000, v8
	v_cmp_gt_f32_e32 vcc, s15, v8
	s_nop 1
	v_cndmask_b32_e32 v8, v8, v9, vcc
	v_sqrt_f32_e32 v9, v8
	s_nop 0
	v_add_u32_e32 v10, -1, v9
	v_add_u32_e32 v11, 1, v9
	v_fma_f32 v12, -v10, v9, v8
	v_fma_f32 v13, -v11, v9, v8
	v_cmp_ge_f32_e64 s[4:5], 0, v12
	s_nop 1
	v_cndmask_b32_e64 v9, v9, v10, s[4:5]
	v_cmp_lt_f32_e64 s[4:5], 0, v13
	s_nop 1
	v_cndmask_b32_e64 v9, v9, v11, s[4:5]
	v_mul_f32_e32 v10, 0x37800000, v9
	v_cndmask_b32_e32 v9, v9, v10, vcc
	v_cmp_class_f32_e32 vcc, v8, v1
	s_nop 1
	v_cndmask_b32_e32 v8, v9, v8, vcc
	s_mov_b64 vcc, s[0:1]
	s_cbranch_vccz .LBB149_6
; %bb.5:
	global_load_dword v9, v0, s[10:11]
	s_waitcnt vmcnt(0)
	v_add_f32_e32 v8, v8, v9
.LBB149_6:
	ds_read_b32 v9, v4 offset:4
	ds_write_b32 v4, v8
	s_waitcnt lgkmcnt(1)
	v_mul_f32_e32 v10, 0x3fb8aa3b, v9
	v_exp_f32_e32 v10, v10
	s_nop 0
	v_add_f32_e32 v10, 1.0, v10
	v_cmp_gt_f32_e32 vcc, s16, v10
	s_nop 1
	v_cndmask_b32_e32 v6, 1.0, v6, vcc
	v_mul_f32_e32 v6, v10, v6
	v_log_f32_e32 v6, v6
	v_cndmask_b32_e32 v7, 0, v7, vcc
	v_mul_f32_e32 v8, 0x3f317217, v6
	v_fma_f32 v8, v6, s13, -v8
	v_fmac_f32_e32 v8, 0x3377d1cf, v6
	v_fmac_f32_e32 v8, 0x3f317217, v6
	v_cmp_lt_f32_e64 vcc, |v6|, s14
	s_nop 1
	v_cndmask_b32_e32 v6, v6, v8, vcc
	v_sub_f32_e32 v6, v6, v7
	v_cmp_lt_f32_e32 vcc, s12, v9
	v_cndmask_b32_e64 v8, 0, 1, s[6:7]
	v_cmp_ne_u32_e64 s[0:1], 1, v8
	v_cndmask_b32_e32 v6, v6, v9, vcc
	v_mul_f32_e32 v7, 0x4f800000, v6
	v_cmp_gt_f32_e64 s[4:5], s15, v6
	s_andn2_b64 vcc, exec, s[6:7]
	s_nop 0
	v_cndmask_b32_e64 v6, v6, v7, s[4:5]
	v_sqrt_f32_e32 v7, v6
	s_nop 0
	v_add_u32_e32 v8, -1, v7
	v_add_u32_e32 v9, 1, v7
	v_fma_f32 v10, -v8, v7, v6
	v_fma_f32 v11, -v9, v7, v6
	v_cmp_ge_f32_e64 s[6:7], 0, v10
	s_nop 1
	v_cndmask_b32_e64 v7, v7, v8, s[6:7]
	v_cmp_lt_f32_e64 s[6:7], 0, v11
	s_nop 1
	v_cndmask_b32_e64 v7, v7, v9, s[6:7]
	v_mul_f32_e32 v8, 0x37800000, v7
	v_cndmask_b32_e64 v7, v7, v8, s[4:5]
	v_cmp_class_f32_e64 s[4:5], v6, v1
	s_nop 1
	v_cndmask_b32_e64 v1, v7, v6, s[4:5]
	s_cbranch_vccnz .LBB149_8
; %bb.7:
	global_load_dword v6, v0, s[10:11] offset:4
	s_waitcnt vmcnt(0)
	v_add_f32_e32 v1, v1, v6
.LBB149_8:
	ds_read_b32 v8, v4 offset:8
	s_mov_b32 s12, 0x800000
	s_mov_b32 s7, 0x3f317217
	;; [unrolled: 1-line block ×4, first 2 shown]
	s_waitcnt lgkmcnt(0)
	v_mul_f32_e32 v6, 0x3fb8aa3b, v8
	v_exp_f32_e32 v7, v6
	v_mov_b32_e32 v6, 0x4f800000
	s_mov_b32 s14, 0xf800000
	ds_write_b32 v4, v1 offset:4
	v_add_f32_e32 v7, 1.0, v7
	v_cmp_gt_f32_e32 vcc, s12, v7
	s_nop 1
	v_cndmask_b32_e32 v9, 1.0, v6, vcc
	v_mul_f32_e32 v7, v7, v9
	v_log_f32_e32 v9, v7
	v_mov_b32_e32 v7, 0x41b17218
	v_cndmask_b32_e32 v10, 0, v7, vcc
	v_mul_f32_e32 v11, 0x3f317217, v9
	v_fma_f32 v11, v9, s7, -v11
	v_fmac_f32_e32 v11, 0x3377d1cf, v9
	v_fmac_f32_e32 v11, 0x3f317217, v9
	v_cmp_lt_f32_e64 vcc, |v9|, s13
	s_nop 1
	v_cndmask_b32_e32 v9, v9, v11, vcc
	v_sub_f32_e32 v9, v9, v10
	v_cmp_lt_f32_e32 vcc, s6, v8
	s_nop 1
	v_cndmask_b32_e32 v8, v9, v8, vcc
	v_mul_f32_e32 v9, 0x4f800000, v8
	v_cmp_gt_f32_e32 vcc, s14, v8
	s_nop 1
	v_cndmask_b32_e32 v8, v8, v9, vcc
	v_sqrt_f32_e32 v9, v8
	s_nop 0
	v_add_u32_e32 v1, -1, v9
	v_fma_f32 v10, -v1, v9, v8
	v_cmp_ge_f32_e64 s[4:5], 0, v10
	v_add_u32_e32 v10, 1, v9
	s_nop 0
	v_cndmask_b32_e64 v1, v9, v1, s[4:5]
	v_fma_f32 v9, -v10, v9, v8
	v_cmp_lt_f32_e64 s[4:5], 0, v9
	s_nop 1
	v_cndmask_b32_e64 v1, v1, v10, s[4:5]
	v_mul_f32_e32 v9, 0x37800000, v1
	v_cndmask_b32_e32 v9, v1, v9, vcc
	v_mov_b32_e32 v1, 0x260
	v_cmp_class_f32_e64 s[4:5], v8, v1
	s_and_b64 vcc, exec, s[0:1]
	s_nop 0
	v_cndmask_b32_e64 v8, v9, v8, s[4:5]
	s_cbranch_vccnz .LBB149_10
; %bb.9:
	global_load_dword v9, v0, s[10:11] offset:8
	s_waitcnt vmcnt(0)
	v_add_f32_e32 v8, v8, v9
.LBB149_10:
	ds_read_b32 v9, v4 offset:12
	ds_write_b32 v4, v8 offset:8
	s_waitcnt lgkmcnt(1)
	v_mul_f32_e32 v10, 0x3fb8aa3b, v9
	v_exp_f32_e32 v10, v10
	s_nop 0
	v_add_f32_e32 v10, 1.0, v10
	v_cmp_gt_f32_e32 vcc, s12, v10
	s_nop 1
	v_cndmask_b32_e32 v6, 1.0, v6, vcc
	v_mul_f32_e32 v6, v10, v6
	v_log_f32_e32 v6, v6
	v_cndmask_b32_e32 v7, 0, v7, vcc
	v_mul_f32_e32 v10, 0x3f317217, v6
	v_fma_f32 v10, v6, s7, -v10
	v_fmac_f32_e32 v10, 0x3377d1cf, v6
	v_fmac_f32_e32 v10, 0x3f317217, v6
	v_cmp_lt_f32_e64 vcc, |v6|, s13
	s_nop 1
	v_cndmask_b32_e32 v6, v6, v10, vcc
	v_sub_f32_e32 v6, v6, v7
	v_cmp_lt_f32_e32 vcc, s6, v9
	s_nop 1
	v_cndmask_b32_e32 v6, v6, v9, vcc
	v_mul_f32_e32 v7, 0x4f800000, v6
	v_cmp_gt_f32_e64 s[4:5], s14, v6
	s_and_b64 vcc, exec, s[0:1]
	s_nop 0
	v_cndmask_b32_e64 v6, v6, v7, s[4:5]
	v_sqrt_f32_e32 v7, v6
	s_nop 0
	v_add_u32_e32 v8, -1, v7
	v_add_u32_e32 v9, 1, v7
	v_fma_f32 v10, -v8, v7, v6
	v_fma_f32 v11, -v9, v7, v6
	v_cmp_ge_f32_e64 s[6:7], 0, v10
	s_nop 1
	v_cndmask_b32_e64 v7, v7, v8, s[6:7]
	v_cmp_lt_f32_e64 s[6:7], 0, v11
	s_nop 1
	v_cndmask_b32_e64 v7, v7, v9, s[6:7]
	v_mul_f32_e32 v8, 0x37800000, v7
	v_cndmask_b32_e64 v7, v7, v8, s[4:5]
	v_cmp_class_f32_e64 s[4:5], v6, v1
	s_nop 1
	v_cndmask_b32_e64 v1, v7, v6, s[4:5]
	s_cbranch_vccnz .LBB149_12
; %bb.11:
	global_load_dword v0, v0, s[10:11] offset:12
	s_waitcnt vmcnt(0)
	v_add_f32_e32 v1, v1, v0
.LBB149_12:
	s_load_dwordx4 s[12:15], s[2:3], 0x30
	s_mov_b32 s31, 0
	v_cmp_eq_u32_e64 s[6:7], 0, v3
	ds_write_b32 v4, v1 offset:12
	s_waitcnt lgkmcnt(0)
	s_bitcmp1_b32 s15, 0
	s_cselect_b64 s[4:5], -1, 0
	s_cmp_gt_i32 s12, 0
	s_cselect_b64 s[24:25], -1, 0
	s_and_b64 vcc, exec, s[24:25]
	s_cbranch_vccz .LBB149_41
; %bb.13:
	v_mbcnt_lo_u32_b32 v0, -1, 0
	v_mbcnt_hi_u32_b32 v0, -1, v0
	v_and_b32_e32 v1, 0x60, v0
	v_add_u32_e32 v1, 32, v1
	v_xor_b32_e32 v6, 16, v0
	v_cmp_lt_i32_e32 vcc, v6, v1
	s_load_dwordx4 s[16:19], s[2:3], 0x20
	v_mul_lo_u32 v7, v2, s12
	v_cndmask_b32_e32 v6, v0, v6, vcc
	v_lshlrev_b32_e32 v8, 2, v6
	v_xor_b32_e32 v6, 8, v0
	v_cmp_lt_i32_e32 vcc, v6, v1
	v_mov_b32_e32 v13, 0xc61c4000
	v_mov_b32_e32 v14, 0x80
	v_cndmask_b32_e32 v6, v0, v6, vcc
	v_lshlrev_b32_e32 v9, 2, v6
	v_xor_b32_e32 v6, 4, v0
	v_cmp_lt_i32_e32 vcc, v6, v1
	v_mov_b32_e32 v15, v2
	s_nop 0
	v_cndmask_b32_e32 v6, v0, v6, vcc
	v_lshlrev_b32_e32 v10, 2, v6
	v_xor_b32_e32 v6, 2, v0
	v_cmp_lt_i32_e32 vcc, v6, v1
	s_nop 1
	v_cndmask_b32_e32 v6, v0, v6, vcc
	v_lshlrev_b32_e32 v11, 2, v6
	v_xor_b32_e32 v6, 1, v0
	v_cmp_lt_i32_e32 vcc, v6, v1
	s_nop 1
	v_cndmask_b32_e32 v0, v0, v6, vcc
	v_lshlrev_b32_e32 v12, 2, v0
	v_mov_b32_e32 v6, 0
	s_branch .LBB149_15
.LBB149_14:                             ;   in Loop: Header=BB149_15 Depth=1
	s_or_b64 exec, exec, s[2:3]
	s_cmp_eq_u32 s12, s31
	v_add_u32_e32 v15, s30, v15
	s_cbranch_scc1 .LBB149_42
.LBB149_15:                             ; =>This Inner Loop Header: Depth=1
	ds_read_b128 v[16:19], v4
	s_waitcnt lgkmcnt(0)
	v_cmp_gt_f32_e32 vcc, v17, v16
	s_nop 1
	v_cndmask_b32_e32 v1, v16, v17, vcc
	v_cndmask_b32_e64 v0, 0, 1, vcc
	v_cmp_gt_f32_e32 vcc, v18, v1
	s_nop 1
	v_cndmask_b32_e32 v1, v1, v18, vcc
	v_cndmask_b32_e64 v0, v0, 2, vcc
	v_cmp_gt_f32_e32 vcc, v19, v1
	s_nop 1
	v_cndmask_b32_e64 v0, v0, 3, vcc
	v_cndmask_b32_e32 v16, v1, v19, vcc
	ds_bpermute_b32 v1, v8, v16
	v_or_b32_e32 v0, v5, v0
	ds_bpermute_b32 v17, v8, v0
	s_waitcnt lgkmcnt(1)
	v_cmp_lt_f32_e64 s[26:27], v16, v1
	v_cmp_nlt_f32_e32 vcc, v16, v1
	s_and_saveexec_b64 s[28:29], vcc
	s_cbranch_execz .LBB149_17
; %bb.16:                               ;   in Loop: Header=BB149_15 Depth=1
	v_cmp_eq_f32_e32 vcc, v16, v1
	s_waitcnt lgkmcnt(0)
	v_cmp_lt_i32_e64 s[2:3], v17, v0
	s_and_b64 s[2:3], vcc, s[2:3]
	s_andn2_b64 s[26:27], s[26:27], exec
	s_and_b64 s[2:3], s[2:3], exec
	s_or_b64 s[26:27], s[26:27], s[2:3]
.LBB149_17:                             ;   in Loop: Header=BB149_15 Depth=1
	s_or_b64 exec, exec, s[28:29]
	s_and_saveexec_b64 s[2:3], s[26:27]
	s_cbranch_execz .LBB149_19
; %bb.18:                               ;   in Loop: Header=BB149_15 Depth=1
	v_mov_b32_e32 v16, v1
	s_waitcnt lgkmcnt(0)
	v_mov_b32_e32 v0, v17
.LBB149_19:                             ;   in Loop: Header=BB149_15 Depth=1
	s_or_b64 exec, exec, s[2:3]
	ds_bpermute_b32 v1, v9, v16
	s_waitcnt lgkmcnt(1)
	ds_bpermute_b32 v17, v9, v0
	s_waitcnt lgkmcnt(1)
	v_cmp_lt_f32_e64 s[26:27], v16, v1
	v_cmp_nlt_f32_e32 vcc, v16, v1
	s_and_saveexec_b64 s[28:29], vcc
	s_cbranch_execz .LBB149_21
; %bb.20:                               ;   in Loop: Header=BB149_15 Depth=1
	v_cmp_eq_f32_e32 vcc, v16, v1
	s_waitcnt lgkmcnt(0)
	v_cmp_lt_i32_e64 s[2:3], v17, v0
	s_and_b64 s[2:3], vcc, s[2:3]
	s_andn2_b64 s[26:27], s[26:27], exec
	s_and_b64 s[2:3], s[2:3], exec
	s_or_b64 s[26:27], s[26:27], s[2:3]
.LBB149_21:                             ;   in Loop: Header=BB149_15 Depth=1
	s_or_b64 exec, exec, s[28:29]
	s_and_saveexec_b64 s[2:3], s[26:27]
	s_cbranch_execz .LBB149_23
; %bb.22:                               ;   in Loop: Header=BB149_15 Depth=1
	v_mov_b32_e32 v16, v1
	s_waitcnt lgkmcnt(0)
	v_mov_b32_e32 v0, v17
.LBB149_23:                             ;   in Loop: Header=BB149_15 Depth=1
	s_or_b64 exec, exec, s[2:3]
	ds_bpermute_b32 v1, v10, v16
	s_waitcnt lgkmcnt(1)
	;; [unrolled: 26-line block ×4, first 2 shown]
	ds_bpermute_b32 v17, v12, v0
	s_waitcnt lgkmcnt(1)
	v_cmp_lt_f32_e64 s[26:27], v16, v1
	v_cmp_nlt_f32_e32 vcc, v16, v1
	s_and_saveexec_b64 s[28:29], vcc
	s_cbranch_execnz .LBB149_34
; %bb.32:                               ;   in Loop: Header=BB149_15 Depth=1
	s_or_b64 exec, exec, s[28:29]
	s_and_saveexec_b64 s[2:3], s[26:27]
	s_cbranch_execnz .LBB149_35
.LBB149_33:                             ;   in Loop: Header=BB149_15 Depth=1
	s_or_b64 exec, exec, s[2:3]
	s_and_saveexec_b64 s[26:27], s[6:7]
	s_cbranch_execnz .LBB149_36
	s_branch .LBB149_39
.LBB149_34:                             ;   in Loop: Header=BB149_15 Depth=1
	v_cmp_eq_f32_e32 vcc, v16, v1
	s_waitcnt lgkmcnt(0)
	v_cmp_lt_i32_e64 s[2:3], v17, v0
	s_and_b64 s[2:3], vcc, s[2:3]
	s_andn2_b64 s[26:27], s[26:27], exec
	s_and_b64 s[2:3], s[2:3], exec
	s_or_b64 s[26:27], s[26:27], s[2:3]
	s_or_b64 exec, exec, s[28:29]
	s_and_saveexec_b64 s[2:3], s[26:27]
	s_cbranch_execz .LBB149_33
.LBB149_35:                             ;   in Loop: Header=BB149_15 Depth=1
	s_waitcnt lgkmcnt(0)
	v_mov_b32_e32 v0, v17
	v_mov_b32_e32 v16, v1
	s_or_b64 exec, exec, s[2:3]
	s_and_saveexec_b64 s[26:27], s[6:7]
	s_cbranch_execz .LBB149_39
.LBB149_36:                             ;   in Loop: Header=BB149_15 Depth=1
	s_and_b64 vcc, exec, s[0:1]
	s_cbranch_vccnz .LBB149_38
; %bb.37:                               ;   in Loop: Header=BB149_15 Depth=1
	v_ashrrev_i32_e32 v1, 31, v0
	v_lshl_add_u64 v[18:19], v[0:1], 2, s[10:11]
	global_load_dword v1, v[18:19], off
	s_waitcnt vmcnt(0)
	v_sub_f32_e32 v16, v16, v1
.LBB149_38:                             ;   in Loop: Header=BB149_15 Depth=1
	v_add_u32_e32 v18, s31, v7
	v_cmp_le_i32_e32 vcc, s13, v0
	v_cmp_gt_i32_e64 s[2:3], s14, v0
	v_ashrrev_i32_e32 v19, 31, v18
	s_and_b64 s[2:3], vcc, s[2:3]
	v_lshlrev_b64 v[20:21], 2, v[18:19]
	v_subrev_u32_e32 v1, s13, v0
	v_lshl_add_u64 v[22:23], s[20:21], 0, v[20:21]
	s_waitcnt lgkmcnt(0)
	v_ashrrev_i32_e32 v17, 31, v1
	s_and_b64 vcc, s[22:23], s[2:3]
	global_store_dword v[22:23], v16, off
	v_cndmask_b32_e32 v23, 0, v17, vcc
	v_cndmask_b32_e32 v22, v14, v1, vcc
	v_lshl_add_u64 v[18:19], v[18:19], 3, s[16:17]
	v_add_f32_e32 v1, v6, v16
	global_store_dwordx2 v[18:19], v[22:23], off
	v_lshl_add_u64 v[18:19], s[18:19], 0, v[20:21]
	v_cndmask_b32_e64 v6, v6, v1, s[4:5]
	global_store_dword v[18:19], v15, off
.LBB149_39:                             ;   in Loop: Header=BB149_15 Depth=1
	s_or_b64 exec, exec, s[26:27]
	v_ashrrev_i32_e32 v16, 31, v0
	v_lshrrev_b32_e32 v1, 30, v16
	s_waitcnt lgkmcnt(0)
	v_add_u32_e32 v17, v0, v1
	v_ashrrev_i32_e32 v1, 2, v17
	v_ashrrev_i32_e32 v17, 31, v17
	v_lshrrev_b32_e32 v17, 27, v17
	v_add_u32_e32 v17, v1, v17
	s_add_i32 s31, s31, 1
	v_and_b32_e32 v17, 0xffffffe0, v17
	s_cmp_lt_i32 s31, s12
	v_sub_u32_e32 v17, v1, v17
	s_cselect_b64 s[2:3], -1, 0
	v_cmp_eq_u32_e32 vcc, v3, v17
	s_and_b64 s[26:27], s[2:3], vcc
	s_and_saveexec_b64 s[2:3], s[26:27]
	s_cbranch_execz .LBB149_14
; %bb.40:                               ;   in Loop: Header=BB149_15 Depth=1
	v_lshrrev_b32_e32 v16, 25, v16
	v_add_u32_e32 v16, v0, v16
	v_lshlrev_b32_e32 v1, 2, v1
	v_ashrrev_i32_e32 v16, 7, v16
	v_sub_u32_e32 v0, v0, v1
	v_lshl_add_u32 v0, v16, 2, v0
	v_lshl_add_u32 v0, v0, 2, v4
	ds_write_b32 v0, v13
	s_branch .LBB149_14
.LBB149_41:
	v_mov_b32_e32 v6, 0
.LBB149_42:
	v_cmp_eq_u32_e32 vcc, 0, v3
	s_and_b64 exec, exec, vcc
	s_cbranch_execz .LBB149_55
; %bb.43:
	s_andn2_b64 vcc, exec, s[4:5]
	v_cvt_f32_f64_e32 v0, s[8:9]
	s_cbranch_vccnz .LBB149_45
; %bb.44:
	v_cmp_lt_f32_e32 vcc, 0, v6
	s_nop 1
	v_cndmask_b32_e32 v1, 1.0, v6, vcc
	v_div_scale_f32 v3, s[0:1], v1, v1, v0
	v_rcp_f32_e32 v4, v3
	s_nop 0
	v_fma_f32 v5, -v3, v4, 1.0
	v_fmac_f32_e32 v4, v5, v4
	v_div_scale_f32 v5, vcc, v0, v1, v0
	v_mul_f32_e32 v6, v5, v4
	v_fma_f32 v7, -v3, v6, v5
	v_fmac_f32_e32 v6, v7, v4
	v_fma_f32 v3, -v3, v6, v5
	v_div_fmas_f32 v3, v3, v4, v6
	v_div_fixup_f32 v0, v3, v1, v0
.LBB149_45:
	s_andn2_b64 vcc, exec, s[24:25]
	s_cbranch_vccnz .LBB149_55
; %bb.46:
	v_mul_lo_u32 v2, v2, s12
	s_cmp_gt_u32 s12, 3
	v_ashrrev_i32_e32 v3, 31, v2
	s_cbranch_scc0 .LBB149_50
; %bb.47:
	s_and_b32 s0, s12, 0x7ffffffc
	v_lshl_add_u64 v[4:5], v[2:3], 2, s[20:21]
	v_mov_b32_e32 v1, v0
	v_lshl_add_u64 v[4:5], v[4:5], 0, 8
	s_mov_b32 s1, s0
.LBB149_48:                             ; =>This Inner Loop Header: Depth=1
	global_load_dwordx4 v[6:9], v[4:5], off offset:-8
	s_add_i32 s1, s1, -4
	s_cmp_lg_u32 s1, 0
	s_waitcnt vmcnt(0)
	v_pk_mul_f32 v[6:7], v[0:1], v[6:7]
	v_pk_mul_f32 v[8:9], v[0:1], v[8:9]
	global_store_dwordx4 v[4:5], v[6:9], off offset:-8
	v_lshl_add_u64 v[4:5], v[4:5], 0, 16
	s_cbranch_scc1 .LBB149_48
; %bb.49:
	s_cmp_lg_u32 s0, s12
	s_cselect_b64 s[2:3], -1, 0
	s_branch .LBB149_52
.LBB149_50:
	s_mov_b64 s[2:3], 0
                                        ; implicit-def: $sgpr0
	s_cbranch_execz .LBB149_52
; %bb.51:
	s_mov_b64 s[2:3], -1
	s_mov_b32 s0, 0
.LBB149_52:
	s_andn2_b64 vcc, exec, s[2:3]
	s_cbranch_vccnz .LBB149_55
; %bb.53:
	s_mov_b32 s1, 0
	v_lshl_add_u64 v[2:3], v[2:3], 0, s[0:1]
	s_sub_i32 s2, s12, s0
	v_lshl_add_u64 v[2:3], v[2:3], 2, s[20:21]
.LBB149_54:                             ; =>This Inner Loop Header: Depth=1
	global_load_dword v1, v[2:3], off
	s_add_i32 s2, s2, -1
	s_cmp_lg_u32 s2, 0
	s_waitcnt vmcnt(0)
	v_mul_f32_e32 v1, v0, v1
	global_store_dword v[2:3], v1, off
	v_lshl_add_u64 v[2:3], v[2:3], 0, 4
	s_cbranch_scc1 .LBB149_54
.LBB149_55:
	s_endpgm
	.section	.rodata,"a",@progbits
	.p2align	6, 0x0
	.amdhsa_kernel _ZN4vllm3moe22topkGatingSoftplusSqrtILi4ELi128ELi4ELi16ELi64ELb0ElfEEvPKT6_PKbPfiPT5_PiiiibdPKfPKS8_SE_
		.amdhsa_group_segment_fixed_size 4096
		.amdhsa_private_segment_fixed_size 0
		.amdhsa_kernarg_size 96
		.amdhsa_user_sgpr_count 4
		.amdhsa_user_sgpr_dispatch_ptr 1
		.amdhsa_user_sgpr_queue_ptr 0
		.amdhsa_user_sgpr_kernarg_segment_ptr 1
		.amdhsa_user_sgpr_dispatch_id 0
		.amdhsa_user_sgpr_kernarg_preload_length 0
		.amdhsa_user_sgpr_kernarg_preload_offset 0
		.amdhsa_user_sgpr_private_segment_size 0
		.amdhsa_uses_dynamic_stack 0
		.amdhsa_enable_private_segment 0
		.amdhsa_system_sgpr_workgroup_id_x 1
		.amdhsa_system_sgpr_workgroup_id_y 0
		.amdhsa_system_sgpr_workgroup_id_z 0
		.amdhsa_system_sgpr_workgroup_info 0
		.amdhsa_system_vgpr_workitem_id 2
		.amdhsa_next_free_vgpr 24
		.amdhsa_next_free_sgpr 32
		.amdhsa_accum_offset 24
		.amdhsa_reserve_vcc 1
		.amdhsa_float_round_mode_32 0
		.amdhsa_float_round_mode_16_64 0
		.amdhsa_float_denorm_mode_32 3
		.amdhsa_float_denorm_mode_16_64 3
		.amdhsa_dx10_clamp 1
		.amdhsa_ieee_mode 1
		.amdhsa_fp16_overflow 0
		.amdhsa_tg_split 0
		.amdhsa_exception_fp_ieee_invalid_op 0
		.amdhsa_exception_fp_denorm_src 0
		.amdhsa_exception_fp_ieee_div_zero 0
		.amdhsa_exception_fp_ieee_overflow 0
		.amdhsa_exception_fp_ieee_underflow 0
		.amdhsa_exception_fp_ieee_inexact 0
		.amdhsa_exception_int_div_zero 0
	.end_amdhsa_kernel
	.section	.text._ZN4vllm3moe22topkGatingSoftplusSqrtILi4ELi128ELi4ELi16ELi64ELb0ElfEEvPKT6_PKbPfiPT5_PiiiibdPKfPKS8_SE_,"axG",@progbits,_ZN4vllm3moe22topkGatingSoftplusSqrtILi4ELi128ELi4ELi16ELi64ELb0ElfEEvPKT6_PKbPfiPT5_PiiiibdPKfPKS8_SE_,comdat
.Lfunc_end149:
	.size	_ZN4vllm3moe22topkGatingSoftplusSqrtILi4ELi128ELi4ELi16ELi64ELb0ElfEEvPKT6_PKbPfiPT5_PiiiibdPKfPKS8_SE_, .Lfunc_end149-_ZN4vllm3moe22topkGatingSoftplusSqrtILi4ELi128ELi4ELi16ELi64ELb0ElfEEvPKT6_PKbPfiPT5_PiiiibdPKfPKS8_SE_
                                        ; -- End function
	.section	.AMDGPU.csdata,"",@progbits
; Kernel info:
; codeLenInByte = 3008
; NumSgprs: 38
; NumVgprs: 24
; NumAgprs: 0
; TotalNumVgprs: 24
; ScratchSize: 0
; MemoryBound: 0
; FloatMode: 240
; IeeeMode: 1
; LDSByteSize: 4096 bytes/workgroup (compile time only)
; SGPRBlocks: 4
; VGPRBlocks: 2
; NumSGPRsForWavesPerEU: 38
; NumVGPRsForWavesPerEU: 24
; AccumOffset: 24
; Occupancy: 8
; WaveLimiterHint : 0
; COMPUTE_PGM_RSRC2:SCRATCH_EN: 0
; COMPUTE_PGM_RSRC2:USER_SGPR: 4
; COMPUTE_PGM_RSRC2:TRAP_HANDLER: 0
; COMPUTE_PGM_RSRC2:TGID_X_EN: 1
; COMPUTE_PGM_RSRC2:TGID_Y_EN: 0
; COMPUTE_PGM_RSRC2:TGID_Z_EN: 0
; COMPUTE_PGM_RSRC2:TIDIG_COMP_CNT: 2
; COMPUTE_PGM_RSRC3_GFX90A:ACCUM_OFFSET: 5
; COMPUTE_PGM_RSRC3_GFX90A:TG_SPLIT: 0
	.section	.text._ZN4vllm3moe22topkGatingSoftplusSqrtILi4ELi128ELi4ELi16ELi32ELb1ElfEEvPKT6_PKbPfiPT5_PiiiibdPKfPKS8_SE_,"axG",@progbits,_ZN4vllm3moe22topkGatingSoftplusSqrtILi4ELi128ELi4ELi16ELi32ELb1ElfEEvPKT6_PKbPfiPT5_PiiiibdPKfPKS8_SE_,comdat
	.protected	_ZN4vllm3moe22topkGatingSoftplusSqrtILi4ELi128ELi4ELi16ELi32ELb1ElfEEvPKT6_PKbPfiPT5_PiiiibdPKfPKS8_SE_ ; -- Begin function _ZN4vllm3moe22topkGatingSoftplusSqrtILi4ELi128ELi4ELi16ELi32ELb1ElfEEvPKT6_PKbPfiPT5_PiiiibdPKfPKS8_SE_
	.globl	_ZN4vllm3moe22topkGatingSoftplusSqrtILi4ELi128ELi4ELi16ELi32ELb1ElfEEvPKT6_PKbPfiPT5_PiiiibdPKfPKS8_SE_
	.p2align	8
	.type	_ZN4vllm3moe22topkGatingSoftplusSqrtILi4ELi128ELi4ELi16ELi32ELb1ElfEEvPKT6_PKbPfiPT5_PiiiibdPKfPKS8_SE_,@function
_ZN4vllm3moe22topkGatingSoftplusSqrtILi4ELi128ELi4ELi16ELi32ELb1ElfEEvPKT6_PKbPfiPT5_PiiiibdPKfPKS8_SE_: ; @_ZN4vllm3moe22topkGatingSoftplusSqrtILi4ELi128ELi4ELi16ELi32ELb1ElfEEvPKT6_PKbPfiPT5_PiiiibdPKfPKS8_SE_
; %bb.0:
	s_load_dword s3, s[0:1], 0x18
	v_and_b32_e32 v8, 0x3ff, v0
	s_lshl_b32 s2, s2, 2
	v_lshrrev_b32_e32 v1, 5, v8
	v_bfe_u32 v0, v0, 10, 10
	v_add3_u32 v2, s2, v0, v1
	s_waitcnt lgkmcnt(0)
	v_cmp_gt_i32_e32 vcc, s3, v2
	s_and_saveexec_b64 s[2:3], vcc
	s_cbranch_execz .LBB150_79
; %bb.1:
	s_load_dwordx4 s[8:11], s[0:1], 0x50
	s_load_dwordx2 s[2:3], s[0:1], 0x0
	s_load_dword s12, s[0:1], 0x30
	v_lshlrev_b32_e32 v0, 7, v2
	v_lshlrev_b32_e32 v3, 2, v8
	v_ashrrev_i32_e32 v1, 31, v0
	v_and_b32_e32 v14, 0x7c, v3
	s_waitcnt lgkmcnt(0)
	v_lshl_add_u64 v[0:1], v[0:1], 2, s[2:3]
	v_lshlrev_b32_e32 v4, 2, v14
	v_mov_b32_e32 v5, 0
	v_lshl_add_u64 v[0:1], v[0:1], 0, v[4:5]
	global_load_dwordx4 v[10:13], v[0:1], off
	v_mov_b32_e32 v6, s8
	v_mov_b32_e32 v7, s9
	v_ashrrev_i32_e32 v3, 31, v2
	v_lshl_add_u64 v[6:7], v[2:3], 3, v[6:7]
	global_load_dwordx2 v[6:7], v[6:7], off
	s_ashr_i32 s13, s12, 31
	s_mov_b32 s6, 0x800000
	v_mov_b32_e32 v3, 0x4f800000
	s_mov_b32 s18, 0x3f317217
	s_mov_b32 s19, 0x7f800000
	v_mov_b32_e32 v4, 0x41b17218
	s_mov_b32 s15, 0x41a00000
	s_mov_b32 s20, 0xf800000
	v_mov_b32_e32 v9, 0x260
	v_cmp_lt_i64_e64 s[16:17], s[12:13], 1
	s_mov_b32 s14, 0
	v_cmp_gt_i64_e64 s[8:9], s[12:13], 0
	v_mul_lo_u32 v2, v2, s12
	s_waitcnt vmcnt(1)
	v_mul_f32_e32 v0, 0x3fb8aa3b, v10
	v_mul_f32_e32 v1, 0x3fb8aa3b, v11
	v_exp_f32_e32 v16, v0
	v_exp_f32_e32 v17, v1
	v_mul_f32_e32 v18, 0x3fb8aa3b, v12
	v_mul_f32_e32 v19, 0x3fb8aa3b, v13
	s_waitcnt vmcnt(0)
	v_mul_lo_u32 v7, v7, s12
	v_mul_lo_u32 v15, v6, s13
	v_exp_f32_e32 v18, v18
	v_exp_f32_e32 v19, v19
	v_mad_u64_u32 v[0:1], s[2:3], v6, s12, 0
	v_add3_u32 v1, v1, v15, v7
	v_pk_add_f32 v[6:7], v[16:17], 1.0 op_sel_hi:[1,0]
	v_pk_add_f32 v[16:17], v[18:19], 1.0 op_sel_hi:[1,0]
	v_cmp_gt_f32_e32 vcc, s6, v7
	v_cmp_gt_f32_e64 s[2:3], s6, v6
	v_cmp_gt_f32_e64 s[4:5], s6, v17
	v_cndmask_b32_e32 v15, 1.0, v3, vcc
	v_cndmask_b32_e64 v18, 1.0, v3, s[2:3]
	v_mul_f32_e32 v7, v7, v15
	v_mul_f32_e32 v6, v6, v18
	v_log_f32_e32 v7, v7
	v_log_f32_e32 v6, v6
	v_cndmask_b32_e64 v19, 1.0, v3, s[4:5]
	v_cmp_gt_f32_e64 s[6:7], s6, v16
	v_mul_f32_e32 v17, v17, v19
	v_mul_f32_e32 v20, 0x3f317217, v6
	v_cndmask_b32_e64 v3, 1.0, v3, s[6:7]
	v_mul_f32_e32 v3, v16, v3
	v_log_f32_e32 v16, v17
	v_mul_f32_e32 v17, 0x3f317217, v7
	v_fma_f32 v17, v7, s18, -v17
	v_fma_f32 v20, v6, s18, -v20
	v_fmac_f32_e32 v17, 0x3377d1cf, v7
	v_cndmask_b32_e32 v15, 0, v4, vcc
	v_fmac_f32_e32 v20, 0x3377d1cf, v6
	v_fmac_f32_e32 v17, 0x3f317217, v7
	v_cmp_lt_f32_e64 vcc, |v7|, s19
	v_fmac_f32_e32 v20, 0x3f317217, v6
	v_cndmask_b32_e64 v18, 0, v4, s[2:3]
	v_cndmask_b32_e32 v7, v7, v17, vcc
	v_cmp_lt_f32_e64 vcc, |v6|, s19
	v_sub_f32_e32 v7, v7, v15
	v_mul_f32_e32 v21, 0x3f317217, v16
	v_cndmask_b32_e32 v6, v6, v20, vcc
	v_sub_f32_e32 v6, v6, v18
	v_cmp_lt_f32_e32 vcc, s15, v10
	v_fma_f32 v21, v16, s18, -v21
	v_fmac_f32_e32 v21, 0x3377d1cf, v16
	v_cndmask_b32_e32 v6, v6, v10, vcc
	v_cmp_lt_f32_e32 vcc, s15, v11
	v_cmp_gt_f32_e64 s[2:3], s20, v6
	v_cndmask_b32_e64 v19, 0, v4, s[4:5]
	v_cndmask_b32_e32 v7, v7, v11, vcc
	v_mul_f32_e32 v10, 0x4f800000, v7
	v_cmp_gt_f32_e32 vcc, s20, v7
	v_mul_f32_e32 v11, 0x4f800000, v6
	v_cndmask_b32_e64 v6, v6, v11, s[2:3]
	v_cndmask_b32_e32 v7, v7, v10, vcc
	v_sqrt_f32_e32 v10, v7
	v_sqrt_f32_e32 v11, v6
	v_fmac_f32_e32 v21, 0x3f317217, v16
	v_cmp_lt_f32_e64 s[4:5], |v16|, s19
	v_add_u32_e32 v17, 1, v10
	v_add_u32_e32 v18, -1, v11
	v_cndmask_b32_e64 v15, v16, v21, s[4:5]
	v_add_u32_e32 v16, -1, v10
	v_fma_f32 v21, -v16, v10, v7
	v_fma_f32 v23, -v18, v11, v6
	v_cmp_ge_f32_e64 s[4:5], 0, v21
	v_add_u32_e32 v20, 1, v11
	v_fma_f32 v22, -v17, v10, v7
	v_cndmask_b32_e64 v10, v10, v16, s[4:5]
	v_cmp_ge_f32_e64 s[4:5], 0, v23
	v_log_f32_e32 v3, v3
	v_fma_f32 v24, -v20, v11, v6
	v_cndmask_b32_e64 v11, v11, v18, s[4:5]
	v_cmp_lt_f32_e64 s[4:5], 0, v22
	v_cndmask_b32_e64 v4, 0, v4, s[6:7]
	s_nop 0
	v_cndmask_b32_e64 v10, v10, v17, s[4:5]
	v_cmp_lt_f32_e64 s[4:5], 0, v24
	v_mul_f32_e32 v16, 0x37800000, v10
	v_cndmask_b32_e32 v10, v10, v16, vcc
	v_cndmask_b32_e64 v11, v11, v20, s[4:5]
	v_mul_f32_e32 v17, 0x37800000, v11
	v_cmp_class_f32_e32 vcc, v7, v9
	v_cndmask_b32_e64 v16, v11, v17, s[2:3]
	v_cmp_lt_f32_e64 s[2:3], s15, v12
	v_cndmask_b32_e32 v11, v10, v7, vcc
	v_mul_f32_e32 v7, 0x3f317217, v3
	v_fma_f32 v7, v3, s18, -v7
	v_cmp_class_f32_e32 vcc, v6, v9
	v_fmac_f32_e32 v7, 0x3377d1cf, v3
	v_fmac_f32_e32 v7, 0x3f317217, v3
	v_cndmask_b32_e32 v10, v16, v6, vcc
	v_cmp_lt_f32_e64 vcc, |v3|, s19
	v_sub_f32_e32 v6, v15, v19
	s_nop 0
	v_cndmask_b32_e32 v3, v3, v7, vcc
	v_cmp_lt_f32_e32 vcc, s15, v13
	v_sub_f32_e32 v3, v3, v4
	v_cndmask_b32_e64 v3, v3, v12, s[2:3]
	v_cndmask_b32_e32 v6, v6, v13, vcc
	v_mul_f32_e32 v7, 0x4f800000, v6
	v_cmp_gt_f32_e32 vcc, s20, v6
	s_nop 1
	v_cndmask_b32_e32 v6, v6, v7, vcc
	v_sqrt_f32_e32 v7, v6
	s_nop 0
	v_add_u32_e32 v4, -1, v7
	v_fma_f32 v12, -v4, v7, v6
	v_cmp_ge_f32_e64 s[2:3], 0, v12
	v_add_u32_e32 v12, 1, v7
	s_nop 0
	v_cndmask_b32_e64 v4, v7, v4, s[2:3]
	v_fma_f32 v7, -v12, v7, v6
	v_cmp_lt_f32_e64 s[2:3], 0, v7
	s_nop 1
	v_cndmask_b32_e64 v4, v4, v12, s[2:3]
	v_mul_f32_e32 v12, 0x4f800000, v3
	v_cmp_gt_f32_e64 s[2:3], s20, v3
	v_mul_f32_e32 v7, 0x37800000, v4
	v_cndmask_b32_e32 v4, v4, v7, vcc
	v_cndmask_b32_e64 v3, v3, v12, s[2:3]
	v_sqrt_f32_e32 v12, v3
	v_cmp_class_f32_e32 vcc, v6, v9
	s_nop 1
	v_cndmask_b32_e32 v13, v4, v6, vcc
	v_add_u32_e32 v4, -1, v12
	v_fma_f32 v6, -v4, v12, v3
	v_cmp_ge_f32_e32 vcc, 0, v6
	v_add_u32_e32 v6, 1, v12
	v_fma_f32 v7, -v6, v12, v3
	v_cndmask_b32_e32 v4, v12, v4, vcc
	v_cmp_lt_f32_e32 vcc, 0, v7
	s_nop 1
	v_cndmask_b32_e32 v4, v4, v6, vcc
	v_mul_f32_e32 v6, 0x37800000, v4
	v_cndmask_b32_e64 v4, v4, v6, s[2:3]
	v_cmp_class_f32_e32 vcc, v3, v9
	s_nop 1
	v_cndmask_b32_e32 v12, v4, v3, vcc
	s_and_b64 vcc, exec, s[16:17]
	scratch_store_dwordx4 off, v[10:13], off
	s_cbranch_vccnz .LBB150_28
; %bb.2:
	s_load_dwordx2 s[4:5], s[0:1], 0x20
	v_lshl_add_u64 v[6:7], v[0:1], 3, s[10:11]
	s_cmp_lt_u32 s12, 4
	v_and_b32_e32 v4, 31, v8
	s_cbranch_scc1 .LBB150_21
; %bb.3:
	v_lshlrev_b32_e32 v5, 2, v4
	s_mov_b32 s7, 0
	s_and_b32 s14, s12, 0x7ffffffc
	v_ashrrev_i32_e32 v3, 31, v2
	v_sub_u32_e32 v15, 0, v5
	v_mov_b32_e32 v5, 0
	s_mov_b32 s6, s7
	s_branch .LBB150_5
.LBB150_4:                              ;   in Loop: Header=BB150_5 Depth=1
	s_or_b64 exec, exec, s[16:17]
	s_add_i32 s6, s6, 4
	s_cmp_eq_u32 s6, s14
	s_cbranch_scc1 .LBB150_21
.LBB150_5:                              ; =>This Loop Header: Depth=1
                                        ;     Child Loop BB150_7 Depth 2
                                        ;     Child Loop BB150_11 Depth 2
	;; [unrolled: 1-line block ×4, first 2 shown]
	v_lshl_add_u64 v[8:9], s[6:7], 3, v[6:7]
	global_load_dwordx2 v[10:11], v[8:9], off
	v_add_u32_e32 v12, s6, v2
	v_ashrrev_i32_e32 v13, 31, v12
	v_mov_b32_e32 v16, 0
	s_mov_b64 s[16:17], 0
	s_waitcnt lgkmcnt(0)
	v_lshl_add_u64 v[12:13], v[12:13], 3, s[4:5]
	s_mov_b32 s13, 0
	s_waitcnt vmcnt(0)
	v_ashrrev_i32_e32 v11, 31, v10
	v_add_u32_e32 v17, v15, v10
	s_branch .LBB150_7
.LBB150_6:                              ;   in Loop: Header=BB150_7 Depth=2
	s_or_b64 exec, exec, s[18:19]
	s_add_i32 s15, s13, 1
	s_cmp_gt_u32 s13, 2
	s_cselect_b64 s[2:3], -1, 0
	s_xor_b64 s[18:19], vcc, -1
	s_or_b64 s[2:3], s[18:19], s[2:3]
	s_and_b64 s[2:3], exec, s[2:3]
	v_add_u32_e32 v16, 4, v16
	s_or_b64 s[16:17], s[2:3], s[16:17]
	s_mov_b32 s13, s15
	s_andn2_b64 exec, exec, s[16:17]
	s_cbranch_execz .LBB150_9
.LBB150_7:                              ;   Parent Loop BB150_5 Depth=1
                                        ; =>  This Inner Loop Header: Depth=2
	v_cmp_ne_u32_e32 vcc, s13, v17
	v_cmp_eq_u32_e64 s[2:3], s13, v17
	s_and_saveexec_b64 s[18:19], s[2:3]
	s_cbranch_execz .LBB150_6
; %bb.8:                                ;   in Loop: Header=BB150_7 Depth=2
	scratch_load_dword v18, v16, off
	s_waitcnt vmcnt(0)
	v_add_f32_e32 v5, v5, v18
	global_store_dwordx2 v[12:13], v[10:11], off
	s_branch .LBB150_6
.LBB150_9:                              ;   in Loop: Header=BB150_5 Depth=1
	s_or_b64 exec, exec, s[16:17]
	global_load_dwordx2 v[12:13], v[8:9], off offset:8
	s_ashr_i32 s3, s6, 31
	s_mov_b32 s2, s6
	v_lshl_add_u64 v[10:11], s[2:3], 0, v[2:3]
	v_mov_b32_e32 v16, 0
	s_mov_b32 s13, 0
	v_lshl_add_u64 v[10:11], v[10:11], 3, s[4:5]
	s_mov_b64 s[16:17], 0
	s_waitcnt vmcnt(0)
	v_ashrrev_i32_e32 v13, 31, v12
	v_add_u32_e32 v17, v15, v12
	s_branch .LBB150_11
.LBB150_10:                             ;   in Loop: Header=BB150_11 Depth=2
	s_or_b64 exec, exec, s[18:19]
	s_add_i32 s15, s13, 1
	s_cmp_gt_u32 s13, 2
	s_cselect_b64 s[2:3], -1, 0
	s_xor_b64 s[18:19], vcc, -1
	s_or_b64 s[2:3], s[18:19], s[2:3]
	s_and_b64 s[2:3], exec, s[2:3]
	v_add_u32_e32 v16, 4, v16
	s_or_b64 s[16:17], s[2:3], s[16:17]
	s_mov_b32 s13, s15
	s_andn2_b64 exec, exec, s[16:17]
	s_cbranch_execz .LBB150_13
.LBB150_11:                             ;   Parent Loop BB150_5 Depth=1
                                        ; =>  This Inner Loop Header: Depth=2
	v_cmp_ne_u32_e32 vcc, s13, v17
	v_cmp_eq_u32_e64 s[2:3], s13, v17
	s_and_saveexec_b64 s[18:19], s[2:3]
	s_cbranch_execz .LBB150_10
; %bb.12:                               ;   in Loop: Header=BB150_11 Depth=2
	scratch_load_dword v18, v16, off
	s_waitcnt vmcnt(0)
	v_add_f32_e32 v5, v5, v18
	global_store_dwordx2 v[10:11], v[12:13], off offset:8
	s_branch .LBB150_10
.LBB150_13:                             ;   in Loop: Header=BB150_5 Depth=1
	s_or_b64 exec, exec, s[16:17]
	global_load_dwordx2 v[12:13], v[8:9], off offset:16
	v_mov_b32_e32 v16, 0
	s_mov_b32 s13, 0
	s_mov_b64 s[16:17], 0
	s_waitcnt vmcnt(0)
	v_ashrrev_i32_e32 v13, 31, v12
	v_add_u32_e32 v17, v15, v12
	s_branch .LBB150_15
.LBB150_14:                             ;   in Loop: Header=BB150_15 Depth=2
	s_or_b64 exec, exec, s[18:19]
	s_add_i32 s15, s13, 1
	s_cmp_gt_u32 s13, 2
	s_cselect_b64 s[2:3], -1, 0
	s_xor_b64 s[18:19], vcc, -1
	s_or_b64 s[2:3], s[18:19], s[2:3]
	s_and_b64 s[2:3], exec, s[2:3]
	v_add_u32_e32 v16, 4, v16
	s_or_b64 s[16:17], s[2:3], s[16:17]
	s_mov_b32 s13, s15
	s_andn2_b64 exec, exec, s[16:17]
	s_cbranch_execz .LBB150_17
.LBB150_15:                             ;   Parent Loop BB150_5 Depth=1
                                        ; =>  This Inner Loop Header: Depth=2
	v_cmp_ne_u32_e32 vcc, s13, v17
	v_cmp_eq_u32_e64 s[2:3], s13, v17
	s_and_saveexec_b64 s[18:19], s[2:3]
	s_cbranch_execz .LBB150_14
; %bb.16:                               ;   in Loop: Header=BB150_15 Depth=2
	scratch_load_dword v18, v16, off
	s_waitcnt vmcnt(0)
	v_add_f32_e32 v5, v5, v18
	global_store_dwordx2 v[10:11], v[12:13], off offset:16
	s_branch .LBB150_14
.LBB150_17:                             ;   in Loop: Header=BB150_5 Depth=1
	s_or_b64 exec, exec, s[16:17]
	global_load_dwordx2 v[8:9], v[8:9], off offset:24
	v_mov_b32_e32 v12, 0
	s_mov_b32 s13, 0
	s_mov_b64 s[16:17], 0
	s_waitcnt vmcnt(0)
	v_ashrrev_i32_e32 v9, 31, v8
	v_add_u32_e32 v13, v15, v8
	s_branch .LBB150_19
.LBB150_18:                             ;   in Loop: Header=BB150_19 Depth=2
	s_or_b64 exec, exec, s[18:19]
	s_add_i32 s15, s13, 1
	s_cmp_gt_u32 s13, 2
	s_cselect_b64 s[2:3], -1, 0
	s_xor_b64 s[18:19], vcc, -1
	s_or_b64 s[2:3], s[18:19], s[2:3]
	s_and_b64 s[2:3], exec, s[2:3]
	v_add_u32_e32 v12, 4, v12
	s_or_b64 s[16:17], s[2:3], s[16:17]
	s_mov_b32 s13, s15
	s_andn2_b64 exec, exec, s[16:17]
	s_cbranch_execz .LBB150_4
.LBB150_19:                             ;   Parent Loop BB150_5 Depth=1
                                        ; =>  This Inner Loop Header: Depth=2
	v_cmp_ne_u32_e32 vcc, s13, v13
	v_cmp_eq_u32_e64 s[2:3], s13, v13
	s_and_saveexec_b64 s[18:19], s[2:3]
	s_cbranch_execz .LBB150_18
; %bb.20:                               ;   in Loop: Header=BB150_19 Depth=2
	scratch_load_dword v16, v12, off
	s_waitcnt vmcnt(0)
	v_add_f32_e32 v5, v5, v16
	global_store_dwordx2 v[10:11], v[8:9], off offset:24
	s_branch .LBB150_18
.LBB150_21:
	s_and_b32 s13, s12, 3
	s_cmp_eq_u32 s13, 0
	s_mov_b32 s15, 0
	s_cbranch_scc1 .LBB150_28
; %bb.22:
	v_lshlrev_b32_e32 v3, 2, v4
	v_sub_u32_e32 v3, 0, v3
	s_mov_b32 s18, s15
	s_branch .LBB150_24
.LBB150_23:                             ;   in Loop: Header=BB150_24 Depth=1
	s_or_b64 exec, exec, s[6:7]
	s_add_i32 s14, s14, 1
	s_add_i32 s18, s18, 1
	s_cmp_lg_u32 s18, s13
	s_cbranch_scc0 .LBB150_28
.LBB150_24:                             ; =>This Loop Header: Depth=1
                                        ;     Child Loop BB150_26 Depth 2
	v_lshl_add_u64 v[8:9], s[14:15], 3, v[6:7]
	global_load_dwordx2 v[8:9], v[8:9], off
	v_add_u32_e32 v10, s14, v2
	v_ashrrev_i32_e32 v11, 31, v10
	v_mov_b32_e32 v4, 0
	s_mov_b32 s19, 0
	s_waitcnt lgkmcnt(0)
	v_lshl_add_u64 v[10:11], v[10:11], 3, s[4:5]
	s_mov_b64 s[6:7], 0
	s_waitcnt vmcnt(0)
	v_ashrrev_i32_e32 v9, 31, v8
	v_add_u32_e32 v12, v3, v8
	s_branch .LBB150_26
.LBB150_25:                             ;   in Loop: Header=BB150_26 Depth=2
	s_or_b64 exec, exec, s[16:17]
	s_add_i32 s20, s19, 1
	s_cmp_gt_u32 s19, 2
	s_cselect_b64 s[2:3], -1, 0
	s_xor_b64 s[16:17], vcc, -1
	s_or_b64 s[2:3], s[16:17], s[2:3]
	s_and_b64 s[2:3], exec, s[2:3]
	v_add_u32_e32 v4, 4, v4
	s_or_b64 s[6:7], s[2:3], s[6:7]
	s_mov_b32 s19, s20
	s_andn2_b64 exec, exec, s[6:7]
	s_cbranch_execz .LBB150_23
.LBB150_26:                             ;   Parent Loop BB150_24 Depth=1
                                        ; =>  This Inner Loop Header: Depth=2
	v_cmp_ne_u32_e32 vcc, s19, v12
	v_cmp_eq_u32_e64 s[2:3], s19, v12
	s_and_saveexec_b64 s[16:17], s[2:3]
	s_cbranch_execz .LBB150_25
; %bb.27:                               ;   in Loop: Header=BB150_26 Depth=2
	scratch_load_dword v13, v4, off
	s_waitcnt vmcnt(0)
	v_add_f32_e32 v5, v5, v13
	global_store_dwordx2 v[10:11], v[8:9], off
	s_branch .LBB150_25
.LBB150_28:
	s_waitcnt lgkmcnt(0)
	s_load_dword s4, s[0:1], 0x3c
	s_waitcnt lgkmcnt(0)
	s_bitcmp1_b32 s4, 0
	s_cselect_b64 s[2:3], -1, 0
	s_bitcmp0_b32 s4, 0
	s_cbranch_scc0 .LBB150_31
; %bb.29:
	s_load_dwordx2 s[4:5], s[0:1], 0x40
	s_andn2_b64 vcc, exec, s[2:3]
	s_waitcnt lgkmcnt(0)
	v_cvt_f32_f64_e32 v8, s[4:5]
	s_cbranch_vccz .LBB150_32
.LBB150_30:
	s_andn2_b64 vcc, exec, s[8:9]
	s_cbranch_vccz .LBB150_33
	s_branch .LBB150_79
.LBB150_31:
	v_mbcnt_lo_u32_b32 v3, -1, 0
	v_mbcnt_hi_u32_b32 v3, -1, v3
	v_and_b32_e32 v4, 0x60, v3
	v_add_u32_e32 v4, 32, v4
	v_xor_b32_e32 v6, 16, v3
	v_cmp_lt_i32_e32 vcc, v6, v4
	v_xor_b32_e32 v7, 8, v3
	s_nop 0
	v_cndmask_b32_e32 v6, v3, v6, vcc
	v_lshlrev_b32_e32 v6, 2, v6
	ds_bpermute_b32 v6, v6, v5
	v_cmp_lt_i32_e32 vcc, v7, v4
	s_waitcnt lgkmcnt(0)
	v_add_f32_e32 v5, v5, v6
	v_cndmask_b32_e32 v6, v3, v7, vcc
	v_lshlrev_b32_e32 v6, 2, v6
	ds_bpermute_b32 v6, v6, v5
	v_xor_b32_e32 v7, 4, v3
	v_cmp_lt_i32_e32 vcc, v7, v4
	s_waitcnt lgkmcnt(0)
	v_add_f32_e32 v5, v5, v6
	v_cndmask_b32_e32 v6, v3, v7, vcc
	v_lshlrev_b32_e32 v6, 2, v6
	ds_bpermute_b32 v6, v6, v5
	v_xor_b32_e32 v7, 2, v3
	;; [unrolled: 7-line block ×3, first 2 shown]
	v_cmp_lt_i32_e32 vcc, v7, v4
	s_waitcnt lgkmcnt(0)
	v_add_f32_e32 v5, v5, v6
	v_cndmask_b32_e32 v3, v3, v7, vcc
	v_lshlrev_b32_e32 v3, 2, v3
	ds_bpermute_b32 v3, v3, v5
	s_waitcnt lgkmcnt(0)
	v_add_f32_e32 v5, v5, v3
	s_load_dwordx2 s[4:5], s[0:1], 0x40
	s_andn2_b64 vcc, exec, s[2:3]
	s_waitcnt lgkmcnt(0)
	v_cvt_f32_f64_e32 v8, s[4:5]
	s_cbranch_vccnz .LBB150_30
.LBB150_32:
	v_cmp_lt_f32_e32 vcc, 0, v5
	s_nop 1
	v_cndmask_b32_e32 v3, 1.0, v5, vcc
	v_div_scale_f32 v4, s[2:3], v3, v3, v8
	v_rcp_f32_e32 v5, v4
	s_nop 0
	v_fma_f32 v6, -v4, v5, 1.0
	v_fmac_f32_e32 v5, v6, v5
	v_div_scale_f32 v6, vcc, v8, v3, v8
	v_mul_f32_e32 v7, v6, v5
	v_fma_f32 v9, -v4, v7, v6
	v_fmac_f32_e32 v7, v9, v5
	v_fma_f32 v4, -v4, v7, v6
	v_div_fmas_f32 v4, v4, v5, v7
	v_div_fixup_f32 v8, v4, v3, v8
	s_andn2_b64 vcc, exec, s[8:9]
	s_cbranch_vccnz .LBB150_79
.LBB150_33:
	s_load_dwordx2 s[4:5], s[0:1], 0x10
	v_mov_b32_e32 v3, 0
	v_or_b32_e32 v9, 4, v3
	v_or_b32_e32 v10, 8, v3
	;; [unrolled: 1-line block ×6, first 2 shown]
	s_cmp_lt_u32 s12, 4
	s_mov_b32 s6, 0
	s_cbranch_scc1 .LBB150_68
; %bb.34:
	v_ashrrev_i32_e32 v3, 31, v2
	s_waitcnt lgkmcnt(0)
	v_lshl_add_u64 v[4:5], v[2:3], 2, s[4:5]
	v_lshl_add_u64 v[6:7], v[0:1], 3, s[10:11]
	s_and_b32 s6, s12, 0x7ffffffc
	v_lshl_add_u64 v[4:5], v[4:5], 0, 12
	v_lshl_add_u64 v[6:7], v[6:7], 0, 16
	s_mov_b32 s7, 0
	s_branch .LBB150_36
.LBB150_35:                             ;   in Loop: Header=BB150_36 Depth=1
	s_or_b64 exec, exec, s[2:3]
	s_add_i32 s7, s7, 4
	v_lshl_add_u64 v[4:5], v[4:5], 0, 16
	s_cmp_eq_u32 s6, s7
	v_lshl_add_u64 v[6:7], v[6:7], 0, 32
	s_cbranch_scc1 .LBB150_68
.LBB150_36:                             ; =>This Inner Loop Header: Depth=1
	global_load_dword v16, v[6:7], off offset:-16
	v_mov_b32_e32 v3, 0
	s_waitcnt vmcnt(0)
	v_cmp_eq_u32_e32 vcc, v14, v16
	v_cmp_ne_u32_e64 s[0:1], v14, v16
	s_and_saveexec_b64 s[8:9], s[0:1]
	s_cbranch_execz .LBB150_42
; %bb.37:                               ;   in Loop: Header=BB150_36 Depth=1
	v_cmp_eq_u32_e64 s[0:1], v12, v16
	v_cmp_ne_u32_e64 s[2:3], v12, v16
	v_mov_b32_e32 v3, v9
	s_and_saveexec_b64 s[14:15], s[2:3]
	s_cbranch_execz .LBB150_41
; %bb.38:                               ;   in Loop: Header=BB150_36 Depth=1
	v_cmp_eq_u32_e64 s[16:17], v13, v16
	v_cmp_ne_u32_e64 s[2:3], v13, v16
	v_mov_b32_e32 v3, v10
	s_and_saveexec_b64 s[18:19], s[2:3]
	s_xor_b64 s[18:19], exec, s[18:19]
; %bb.39:                               ;   in Loop: Header=BB150_36 Depth=1
	v_cmp_eq_u32_e64 s[2:3], v15, v16
	s_andn2_b64 s[16:17], s[16:17], exec
	s_and_b64 s[2:3], s[2:3], exec
	s_or_b64 s[16:17], s[16:17], s[2:3]
	v_mov_b32_e32 v3, v11
; %bb.40:                               ;   in Loop: Header=BB150_36 Depth=1
	s_or_b64 exec, exec, s[18:19]
	s_andn2_b64 s[0:1], s[0:1], exec
	s_and_b64 s[2:3], s[16:17], exec
	s_or_b64 s[0:1], s[0:1], s[2:3]
.LBB150_41:                             ;   in Loop: Header=BB150_36 Depth=1
	s_or_b64 exec, exec, s[14:15]
	s_andn2_b64 s[2:3], vcc, exec
	s_and_b64 s[0:1], s[0:1], exec
	s_or_b64 vcc, s[2:3], s[0:1]
.LBB150_42:                             ;   in Loop: Header=BB150_36 Depth=1
	s_or_b64 exec, exec, s[8:9]
	s_and_saveexec_b64 s[0:1], vcc
	s_cbranch_execz .LBB150_44
; %bb.43:                               ;   in Loop: Header=BB150_36 Depth=1
	scratch_load_dword v3, v3, off
	v_add_u32_e32 v16, s7, v2
	v_ashrrev_i32_e32 v17, 31, v16
	v_lshl_add_u64 v[16:17], v[16:17], 2, s[4:5]
	s_waitcnt vmcnt(0)
	v_mul_f32_e32 v3, v8, v3
	global_store_dword v[16:17], v3, off
.LBB150_44:                             ;   in Loop: Header=BB150_36 Depth=1
	s_or_b64 exec, exec, s[0:1]
	global_load_dword v16, v[6:7], off offset:-8
	v_mov_b32_e32 v3, 0
	s_waitcnt vmcnt(0)
	v_cmp_eq_u32_e64 s[0:1], v14, v16
	v_cmp_ne_u32_e32 vcc, v14, v16
	s_and_saveexec_b64 s[2:3], vcc
	s_cbranch_execz .LBB150_50
; %bb.45:                               ;   in Loop: Header=BB150_36 Depth=1
	v_cmp_eq_u32_e64 s[8:9], v12, v16
	v_cmp_ne_u32_e32 vcc, v12, v16
	v_mov_b32_e32 v3, v9
	s_and_saveexec_b64 s[14:15], vcc
	s_cbranch_execz .LBB150_49
; %bb.46:                               ;   in Loop: Header=BB150_36 Depth=1
	v_cmp_eq_u32_e64 s[16:17], v13, v16
	v_cmp_ne_u32_e32 vcc, v13, v16
	v_mov_b32_e32 v3, v10
	s_and_saveexec_b64 s[18:19], vcc
; %bb.47:                               ;   in Loop: Header=BB150_36 Depth=1
	v_cmp_eq_u32_e32 vcc, v15, v16
	s_andn2_b64 s[16:17], s[16:17], exec
	s_and_b64 s[20:21], vcc, exec
	s_or_b64 s[16:17], s[16:17], s[20:21]
	v_mov_b32_e32 v3, v11
; %bb.48:                               ;   in Loop: Header=BB150_36 Depth=1
	s_or_b64 exec, exec, s[18:19]
	s_andn2_b64 s[8:9], s[8:9], exec
	s_and_b64 s[16:17], s[16:17], exec
	s_or_b64 s[8:9], s[8:9], s[16:17]
.LBB150_49:                             ;   in Loop: Header=BB150_36 Depth=1
	s_or_b64 exec, exec, s[14:15]
	s_andn2_b64 s[0:1], s[0:1], exec
	s_and_b64 s[8:9], s[8:9], exec
	s_or_b64 s[0:1], s[0:1], s[8:9]
.LBB150_50:                             ;   in Loop: Header=BB150_36 Depth=1
	s_or_b64 exec, exec, s[2:3]
	s_and_saveexec_b64 s[2:3], s[0:1]
	s_cbranch_execz .LBB150_52
; %bb.51:                               ;   in Loop: Header=BB150_36 Depth=1
	scratch_load_dword v3, v3, off
	s_waitcnt vmcnt(0)
	v_mul_f32_e32 v3, v8, v3
	global_store_dword v[4:5], v3, off offset:-8
.LBB150_52:                             ;   in Loop: Header=BB150_36 Depth=1
	s_or_b64 exec, exec, s[2:3]
	global_load_dword v16, v[6:7], off
	v_mov_b32_e32 v3, 0
	s_waitcnt vmcnt(0)
	v_cmp_eq_u32_e64 s[0:1], v14, v16
	v_cmp_ne_u32_e32 vcc, v14, v16
	s_and_saveexec_b64 s[2:3], vcc
	s_cbranch_execz .LBB150_58
; %bb.53:                               ;   in Loop: Header=BB150_36 Depth=1
	v_cmp_eq_u32_e64 s[8:9], v12, v16
	v_cmp_ne_u32_e32 vcc, v12, v16
	v_mov_b32_e32 v3, v9
	s_and_saveexec_b64 s[14:15], vcc
	s_cbranch_execz .LBB150_57
; %bb.54:                               ;   in Loop: Header=BB150_36 Depth=1
	v_cmp_eq_u32_e64 s[16:17], v13, v16
	v_cmp_ne_u32_e32 vcc, v13, v16
	v_mov_b32_e32 v3, v10
	s_and_saveexec_b64 s[18:19], vcc
; %bb.55:                               ;   in Loop: Header=BB150_36 Depth=1
	v_cmp_eq_u32_e32 vcc, v15, v16
	s_andn2_b64 s[16:17], s[16:17], exec
	s_and_b64 s[20:21], vcc, exec
	s_or_b64 s[16:17], s[16:17], s[20:21]
	v_mov_b32_e32 v3, v11
; %bb.56:                               ;   in Loop: Header=BB150_36 Depth=1
	s_or_b64 exec, exec, s[18:19]
	s_andn2_b64 s[8:9], s[8:9], exec
	s_and_b64 s[16:17], s[16:17], exec
	s_or_b64 s[8:9], s[8:9], s[16:17]
.LBB150_57:                             ;   in Loop: Header=BB150_36 Depth=1
	s_or_b64 exec, exec, s[14:15]
	s_andn2_b64 s[0:1], s[0:1], exec
	s_and_b64 s[8:9], s[8:9], exec
	s_or_b64 s[0:1], s[0:1], s[8:9]
.LBB150_58:                             ;   in Loop: Header=BB150_36 Depth=1
	s_or_b64 exec, exec, s[2:3]
	s_and_saveexec_b64 s[2:3], s[0:1]
	s_cbranch_execz .LBB150_60
; %bb.59:                               ;   in Loop: Header=BB150_36 Depth=1
	scratch_load_dword v3, v3, off
	s_waitcnt vmcnt(0)
	v_mul_f32_e32 v3, v8, v3
	global_store_dword v[4:5], v3, off offset:-4
.LBB150_60:                             ;   in Loop: Header=BB150_36 Depth=1
	s_or_b64 exec, exec, s[2:3]
	global_load_dword v16, v[6:7], off offset:8
	v_mov_b32_e32 v3, 0
	s_waitcnt vmcnt(0)
	v_cmp_eq_u32_e64 s[0:1], v14, v16
	v_cmp_ne_u32_e32 vcc, v14, v16
	s_and_saveexec_b64 s[2:3], vcc
	s_cbranch_execz .LBB150_66
; %bb.61:                               ;   in Loop: Header=BB150_36 Depth=1
	v_cmp_eq_u32_e64 s[8:9], v12, v16
	v_cmp_ne_u32_e32 vcc, v12, v16
	v_mov_b32_e32 v3, v9
	s_and_saveexec_b64 s[14:15], vcc
	s_cbranch_execz .LBB150_65
; %bb.62:                               ;   in Loop: Header=BB150_36 Depth=1
	v_cmp_eq_u32_e64 s[16:17], v13, v16
	v_cmp_ne_u32_e32 vcc, v13, v16
	v_mov_b32_e32 v3, v10
	s_and_saveexec_b64 s[18:19], vcc
; %bb.63:                               ;   in Loop: Header=BB150_36 Depth=1
	v_cmp_eq_u32_e32 vcc, v15, v16
	s_andn2_b64 s[16:17], s[16:17], exec
	s_and_b64 s[20:21], vcc, exec
	s_or_b64 s[16:17], s[16:17], s[20:21]
	v_mov_b32_e32 v3, v11
; %bb.64:                               ;   in Loop: Header=BB150_36 Depth=1
	s_or_b64 exec, exec, s[18:19]
	s_andn2_b64 s[8:9], s[8:9], exec
	s_and_b64 s[16:17], s[16:17], exec
	s_or_b64 s[8:9], s[8:9], s[16:17]
.LBB150_65:                             ;   in Loop: Header=BB150_36 Depth=1
	s_or_b64 exec, exec, s[14:15]
	s_andn2_b64 s[0:1], s[0:1], exec
	s_and_b64 s[8:9], s[8:9], exec
	s_or_b64 s[0:1], s[0:1], s[8:9]
.LBB150_66:                             ;   in Loop: Header=BB150_36 Depth=1
	s_or_b64 exec, exec, s[2:3]
	s_and_saveexec_b64 s[2:3], s[0:1]
	s_cbranch_execz .LBB150_35
; %bb.67:                               ;   in Loop: Header=BB150_36 Depth=1
	scratch_load_dword v3, v3, off
	s_waitcnt vmcnt(0)
	v_mul_f32_e32 v3, v8, v3
	global_store_dword v[4:5], v3, off
	s_branch .LBB150_35
.LBB150_68:
	s_and_b32 s14, s12, 3
	s_cmp_eq_u32 s14, 0
	s_mov_b32 s7, 0
	s_cbranch_scc1 .LBB150_79
; %bb.69:
	s_lshl_b64 s[0:1], s[6:7], 3
	s_add_u32 s0, s10, s0
	s_addc_u32 s1, s11, s1
	v_add_u32_e32 v2, s6, v2
	v_lshl_add_u64 v[0:1], v[0:1], 3, s[0:1]
	s_branch .LBB150_71
.LBB150_70:                             ;   in Loop: Header=BB150_71 Depth=1
	s_or_b64 exec, exec, s[2:3]
	s_add_i32 s14, s14, -1
	v_add_u32_e32 v2, 1, v2
	s_cmp_lg_u32 s14, 0
	v_lshl_add_u64 v[0:1], v[0:1], 0, 8
	s_cbranch_scc0 .LBB150_79
.LBB150_71:                             ; =>This Inner Loop Header: Depth=1
	global_load_dword v4, v[0:1], off
	v_mov_b32_e32 v3, 0
	s_waitcnt vmcnt(0)
	v_cmp_eq_u32_e64 s[0:1], v14, v4
	v_cmp_ne_u32_e32 vcc, v14, v4
	s_and_saveexec_b64 s[2:3], vcc
	s_cbranch_execz .LBB150_77
; %bb.72:                               ;   in Loop: Header=BB150_71 Depth=1
	v_cmp_eq_u32_e64 s[6:7], v12, v4
	v_cmp_ne_u32_e32 vcc, v12, v4
	v_mov_b32_e32 v3, v9
	s_and_saveexec_b64 s[8:9], vcc
	s_cbranch_execz .LBB150_76
; %bb.73:                               ;   in Loop: Header=BB150_71 Depth=1
	v_cmp_eq_u32_e64 s[10:11], v13, v4
	v_cmp_ne_u32_e32 vcc, v13, v4
	v_mov_b32_e32 v3, v10
	s_and_saveexec_b64 s[12:13], vcc
; %bb.74:                               ;   in Loop: Header=BB150_71 Depth=1
	v_cmp_eq_u32_e32 vcc, v15, v4
	s_andn2_b64 s[10:11], s[10:11], exec
	s_and_b64 s[16:17], vcc, exec
	s_or_b64 s[10:11], s[10:11], s[16:17]
	v_mov_b32_e32 v3, v11
; %bb.75:                               ;   in Loop: Header=BB150_71 Depth=1
	s_or_b64 exec, exec, s[12:13]
	s_andn2_b64 s[6:7], s[6:7], exec
	s_and_b64 s[10:11], s[10:11], exec
	s_or_b64 s[6:7], s[6:7], s[10:11]
.LBB150_76:                             ;   in Loop: Header=BB150_71 Depth=1
	s_or_b64 exec, exec, s[8:9]
	s_andn2_b64 s[0:1], s[0:1], exec
	s_and_b64 s[6:7], s[6:7], exec
	s_or_b64 s[0:1], s[0:1], s[6:7]
.LBB150_77:                             ;   in Loop: Header=BB150_71 Depth=1
	s_or_b64 exec, exec, s[2:3]
	s_and_saveexec_b64 s[2:3], s[0:1]
	s_cbranch_execz .LBB150_70
; %bb.78:                               ;   in Loop: Header=BB150_71 Depth=1
	scratch_load_dword v4, v3, off
	v_ashrrev_i32_e32 v3, 31, v2
	s_waitcnt vmcnt(0)
	v_mul_f32_e32 v6, v8, v4
	s_waitcnt lgkmcnt(0)
	v_lshl_add_u64 v[4:5], v[2:3], 2, s[4:5]
	global_store_dword v[4:5], v6, off
	s_branch .LBB150_70
.LBB150_79:
	s_endpgm
	.section	.rodata,"a",@progbits
	.p2align	6, 0x0
	.amdhsa_kernel _ZN4vllm3moe22topkGatingSoftplusSqrtILi4ELi128ELi4ELi16ELi32ELb1ElfEEvPKT6_PKbPfiPT5_PiiiibdPKfPKS8_SE_
		.amdhsa_group_segment_fixed_size 0
		.amdhsa_private_segment_fixed_size 32
		.amdhsa_kernarg_size 96
		.amdhsa_user_sgpr_count 2
		.amdhsa_user_sgpr_dispatch_ptr 0
		.amdhsa_user_sgpr_queue_ptr 0
		.amdhsa_user_sgpr_kernarg_segment_ptr 1
		.amdhsa_user_sgpr_dispatch_id 0
		.amdhsa_user_sgpr_kernarg_preload_length 0
		.amdhsa_user_sgpr_kernarg_preload_offset 0
		.amdhsa_user_sgpr_private_segment_size 0
		.amdhsa_uses_dynamic_stack 0
		.amdhsa_enable_private_segment 1
		.amdhsa_system_sgpr_workgroup_id_x 1
		.amdhsa_system_sgpr_workgroup_id_y 0
		.amdhsa_system_sgpr_workgroup_id_z 0
		.amdhsa_system_sgpr_workgroup_info 0
		.amdhsa_system_vgpr_workitem_id 1
		.amdhsa_next_free_vgpr 25
		.amdhsa_next_free_sgpr 22
		.amdhsa_accum_offset 28
		.amdhsa_reserve_vcc 1
		.amdhsa_float_round_mode_32 0
		.amdhsa_float_round_mode_16_64 0
		.amdhsa_float_denorm_mode_32 3
		.amdhsa_float_denorm_mode_16_64 3
		.amdhsa_dx10_clamp 1
		.amdhsa_ieee_mode 1
		.amdhsa_fp16_overflow 0
		.amdhsa_tg_split 0
		.amdhsa_exception_fp_ieee_invalid_op 0
		.amdhsa_exception_fp_denorm_src 0
		.amdhsa_exception_fp_ieee_div_zero 0
		.amdhsa_exception_fp_ieee_overflow 0
		.amdhsa_exception_fp_ieee_underflow 0
		.amdhsa_exception_fp_ieee_inexact 0
		.amdhsa_exception_int_div_zero 0
	.end_amdhsa_kernel
	.section	.text._ZN4vllm3moe22topkGatingSoftplusSqrtILi4ELi128ELi4ELi16ELi32ELb1ElfEEvPKT6_PKbPfiPT5_PiiiibdPKfPKS8_SE_,"axG",@progbits,_ZN4vllm3moe22topkGatingSoftplusSqrtILi4ELi128ELi4ELi16ELi32ELb1ElfEEvPKT6_PKbPfiPT5_PiiiibdPKfPKS8_SE_,comdat
.Lfunc_end150:
	.size	_ZN4vllm3moe22topkGatingSoftplusSqrtILi4ELi128ELi4ELi16ELi32ELb1ElfEEvPKT6_PKbPfiPT5_PiiiibdPKfPKS8_SE_, .Lfunc_end150-_ZN4vllm3moe22topkGatingSoftplusSqrtILi4ELi128ELi4ELi16ELi32ELb1ElfEEvPKT6_PKbPfiPT5_PiiiibdPKfPKS8_SE_
                                        ; -- End function
	.section	.AMDGPU.csdata,"",@progbits
; Kernel info:
; codeLenInByte = 3544
; NumSgprs: 28
; NumVgprs: 25
; NumAgprs: 0
; TotalNumVgprs: 25
; ScratchSize: 32
; MemoryBound: 0
; FloatMode: 240
; IeeeMode: 1
; LDSByteSize: 0 bytes/workgroup (compile time only)
; SGPRBlocks: 3
; VGPRBlocks: 3
; NumSGPRsForWavesPerEU: 28
; NumVGPRsForWavesPerEU: 25
; AccumOffset: 28
; Occupancy: 8
; WaveLimiterHint : 1
; COMPUTE_PGM_RSRC2:SCRATCH_EN: 1
; COMPUTE_PGM_RSRC2:USER_SGPR: 2
; COMPUTE_PGM_RSRC2:TRAP_HANDLER: 0
; COMPUTE_PGM_RSRC2:TGID_X_EN: 1
; COMPUTE_PGM_RSRC2:TGID_Y_EN: 0
; COMPUTE_PGM_RSRC2:TGID_Z_EN: 0
; COMPUTE_PGM_RSRC2:TIDIG_COMP_CNT: 1
; COMPUTE_PGM_RSRC3_GFX90A:ACCUM_OFFSET: 6
; COMPUTE_PGM_RSRC3_GFX90A:TG_SPLIT: 0
	.section	.text._ZN4vllm3moe22topkGatingSoftplusSqrtILi4ELi128ELi4ELi16ELi32ELb0ElfEEvPKT6_PKbPfiPT5_PiiiibdPKfPKS8_SE_,"axG",@progbits,_ZN4vllm3moe22topkGatingSoftplusSqrtILi4ELi128ELi4ELi16ELi32ELb0ElfEEvPKT6_PKbPfiPT5_PiiiibdPKfPKS8_SE_,comdat
	.protected	_ZN4vllm3moe22topkGatingSoftplusSqrtILi4ELi128ELi4ELi16ELi32ELb0ElfEEvPKT6_PKbPfiPT5_PiiiibdPKfPKS8_SE_ ; -- Begin function _ZN4vllm3moe22topkGatingSoftplusSqrtILi4ELi128ELi4ELi16ELi32ELb0ElfEEvPKT6_PKbPfiPT5_PiiiibdPKfPKS8_SE_
	.globl	_ZN4vllm3moe22topkGatingSoftplusSqrtILi4ELi128ELi4ELi16ELi32ELb0ElfEEvPKT6_PKbPfiPT5_PiiiibdPKfPKS8_SE_
	.p2align	8
	.type	_ZN4vllm3moe22topkGatingSoftplusSqrtILi4ELi128ELi4ELi16ELi32ELb0ElfEEvPKT6_PKbPfiPT5_PiiiibdPKfPKS8_SE_,@function
_ZN4vllm3moe22topkGatingSoftplusSqrtILi4ELi128ELi4ELi16ELi32ELb0ElfEEvPKT6_PKbPfiPT5_PiiiibdPKfPKS8_SE_: ; @_ZN4vllm3moe22topkGatingSoftplusSqrtILi4ELi128ELi4ELi16ELi32ELb0ElfEEvPKT6_PKbPfiPT5_PiiiibdPKfPKS8_SE_
; %bb.0:
	s_load_dword s30, s[2:3], 0x18
	v_and_b32_e32 v1, 0x3ff, v0
	v_bfe_u32 v4, v0, 10, 10
	s_lshl_b32 s4, s4, 2
	v_lshrrev_b32_e32 v2, 5, v1
	v_add3_u32 v2, s4, v4, v2
	s_waitcnt lgkmcnt(0)
	v_cmp_gt_i32_e32 vcc, s30, v2
	s_and_saveexec_b64 s[4:5], vcc
	s_cbranch_execz .LBB151_55
; %bb.1:
	s_load_dwordx4 s[4:7], s[2:3], 0x0
	s_load_dwordx2 s[20:21], s[2:3], 0x10
	s_waitcnt lgkmcnt(0)
	s_cmp_eq_u64 s[6:7], 0
	s_cbranch_scc1 .LBB151_3
; %bb.2:
	v_ashrrev_i32_e32 v3, 31, v2
	v_lshl_add_u64 v[6:7], s[6:7], 0, v[2:3]
	global_load_ubyte v3, v[6:7], off
	s_waitcnt vmcnt(0)
	v_and_b32_e32 v3, 1, v3
	v_cmp_eq_u32_e32 vcc, 1, v3
	s_xor_b64 s[6:7], vcc, -1
	s_orn2_b64 s[22:23], s[6:7], exec
	s_branch .LBB151_4
.LBB151_3:
	s_mov_b64 s[22:23], -1
.LBB151_4:
	v_lshlrev_b32_e32 v8, 7, v2
	v_mov_b32_e32 v6, s4
	v_mov_b32_e32 v7, s5
	v_ashrrev_i32_e32 v9, 31, v8
	v_and_b32_e32 v3, 31, v1
	v_lshl_add_u64 v[6:7], v[8:9], 2, v[6:7]
	v_mov_b32_e32 v9, 0
	v_lshlrev_b32_e32 v8, 4, v3
	v_lshl_add_u64 v[6:7], v[6:7], 0, v[8:9]
	global_load_dwordx4 v[6:9], v[6:7], off
	s_load_dwordx2 s[4:5], s[0:1], 0x4
	s_load_dwordx4 s[8:11], s[2:3], 0x40
	v_bfe_u32 v0, v0, 20, 10
	s_mov_b32 s16, 0x800000
	s_mov_b32 s13, 0x3f317217
	s_waitcnt lgkmcnt(0)
	s_lshr_b32 s0, s4, 16
	v_mul_u32_u24_e32 v4, s5, v4
	s_mul_i32 s0, s0, s5
	v_mad_u32_u24 v1, s0, v1, v4
	v_add_lshl_u32 v4, v1, v0, 4
	s_mov_b32 s14, 0x7f800000
	s_mov_b32 s12, 0x41a00000
	;; [unrolled: 1-line block ×3, first 2 shown]
	s_cmp_lg_u64 s[10:11], 0
	v_mov_b32_e32 v1, 0x260
	s_cselect_b64 s[6:7], -1, 0
	s_and_b64 s[0:1], exec, s[6:7]
	s_waitcnt vmcnt(0)
	ds_write_b128 v4, v[6:9]
	ds_read_b32 v8, v4
	v_mov_b32_e32 v6, 0x4f800000
	v_mov_b32_e32 v7, 0x41b17218
	s_waitcnt lgkmcnt(0)
	v_mul_f32_e32 v0, 0x3fb8aa3b, v8
	v_exp_f32_e32 v0, v0
	s_nop 0
	v_add_f32_e32 v0, 1.0, v0
	v_cmp_gt_f32_e32 vcc, s16, v0
	s_nop 1
	v_cndmask_b32_e32 v5, 1.0, v6, vcc
	v_mul_f32_e32 v0, v0, v5
	v_log_f32_e32 v9, v0
	v_cndmask_b32_e32 v10, 0, v7, vcc
	v_lshlrev_b32_e32 v5, 2, v3
	v_lshlrev_b32_e32 v0, 2, v5
	v_mul_f32_e32 v11, 0x3f317217, v9
	v_fma_f32 v11, v9, s13, -v11
	v_fmac_f32_e32 v11, 0x3377d1cf, v9
	v_fmac_f32_e32 v11, 0x3f317217, v9
	v_cmp_lt_f32_e64 vcc, |v9|, s14
	s_nop 1
	v_cndmask_b32_e32 v9, v9, v11, vcc
	v_sub_f32_e32 v9, v9, v10
	v_cmp_lt_f32_e32 vcc, s12, v8
	s_nop 1
	v_cndmask_b32_e32 v8, v9, v8, vcc
	v_mul_f32_e32 v9, 0x4f800000, v8
	v_cmp_gt_f32_e32 vcc, s15, v8
	s_nop 1
	v_cndmask_b32_e32 v8, v8, v9, vcc
	v_sqrt_f32_e32 v9, v8
	s_nop 0
	v_add_u32_e32 v10, -1, v9
	v_add_u32_e32 v11, 1, v9
	v_fma_f32 v12, -v10, v9, v8
	v_fma_f32 v13, -v11, v9, v8
	v_cmp_ge_f32_e64 s[4:5], 0, v12
	s_nop 1
	v_cndmask_b32_e64 v9, v9, v10, s[4:5]
	v_cmp_lt_f32_e64 s[4:5], 0, v13
	s_nop 1
	v_cndmask_b32_e64 v9, v9, v11, s[4:5]
	v_mul_f32_e32 v10, 0x37800000, v9
	v_cndmask_b32_e32 v9, v9, v10, vcc
	v_cmp_class_f32_e32 vcc, v8, v1
	s_nop 1
	v_cndmask_b32_e32 v8, v9, v8, vcc
	s_mov_b64 vcc, s[0:1]
	s_cbranch_vccz .LBB151_6
; %bb.5:
	global_load_dword v9, v0, s[10:11]
	s_waitcnt vmcnt(0)
	v_add_f32_e32 v8, v8, v9
.LBB151_6:
	ds_read_b32 v9, v4 offset:4
	ds_write_b32 v4, v8
	s_waitcnt lgkmcnt(1)
	v_mul_f32_e32 v10, 0x3fb8aa3b, v9
	v_exp_f32_e32 v10, v10
	s_nop 0
	v_add_f32_e32 v10, 1.0, v10
	v_cmp_gt_f32_e32 vcc, s16, v10
	s_nop 1
	v_cndmask_b32_e32 v6, 1.0, v6, vcc
	v_mul_f32_e32 v6, v10, v6
	v_log_f32_e32 v6, v6
	v_cndmask_b32_e32 v7, 0, v7, vcc
	v_mul_f32_e32 v8, 0x3f317217, v6
	v_fma_f32 v8, v6, s13, -v8
	v_fmac_f32_e32 v8, 0x3377d1cf, v6
	v_fmac_f32_e32 v8, 0x3f317217, v6
	v_cmp_lt_f32_e64 vcc, |v6|, s14
	s_nop 1
	v_cndmask_b32_e32 v6, v6, v8, vcc
	v_sub_f32_e32 v6, v6, v7
	v_cmp_lt_f32_e32 vcc, s12, v9
	v_cndmask_b32_e64 v8, 0, 1, s[6:7]
	v_cmp_ne_u32_e64 s[0:1], 1, v8
	v_cndmask_b32_e32 v6, v6, v9, vcc
	v_mul_f32_e32 v7, 0x4f800000, v6
	v_cmp_gt_f32_e64 s[4:5], s15, v6
	s_andn2_b64 vcc, exec, s[6:7]
	s_nop 0
	v_cndmask_b32_e64 v6, v6, v7, s[4:5]
	v_sqrt_f32_e32 v7, v6
	s_nop 0
	v_add_u32_e32 v8, -1, v7
	v_add_u32_e32 v9, 1, v7
	v_fma_f32 v10, -v8, v7, v6
	v_fma_f32 v11, -v9, v7, v6
	v_cmp_ge_f32_e64 s[6:7], 0, v10
	s_nop 1
	v_cndmask_b32_e64 v7, v7, v8, s[6:7]
	v_cmp_lt_f32_e64 s[6:7], 0, v11
	s_nop 1
	v_cndmask_b32_e64 v7, v7, v9, s[6:7]
	v_mul_f32_e32 v8, 0x37800000, v7
	v_cndmask_b32_e64 v7, v7, v8, s[4:5]
	v_cmp_class_f32_e64 s[4:5], v6, v1
	s_nop 1
	v_cndmask_b32_e64 v1, v7, v6, s[4:5]
	s_cbranch_vccnz .LBB151_8
; %bb.7:
	global_load_dword v6, v0, s[10:11] offset:4
	s_waitcnt vmcnt(0)
	v_add_f32_e32 v1, v1, v6
.LBB151_8:
	ds_read_b32 v8, v4 offset:8
	s_mov_b32 s12, 0x800000
	s_mov_b32 s7, 0x3f317217
	;; [unrolled: 1-line block ×4, first 2 shown]
	s_waitcnt lgkmcnt(0)
	v_mul_f32_e32 v6, 0x3fb8aa3b, v8
	v_exp_f32_e32 v7, v6
	v_mov_b32_e32 v6, 0x4f800000
	s_mov_b32 s14, 0xf800000
	ds_write_b32 v4, v1 offset:4
	v_add_f32_e32 v7, 1.0, v7
	v_cmp_gt_f32_e32 vcc, s12, v7
	s_nop 1
	v_cndmask_b32_e32 v9, 1.0, v6, vcc
	v_mul_f32_e32 v7, v7, v9
	v_log_f32_e32 v9, v7
	v_mov_b32_e32 v7, 0x41b17218
	v_cndmask_b32_e32 v10, 0, v7, vcc
	v_mul_f32_e32 v11, 0x3f317217, v9
	v_fma_f32 v11, v9, s7, -v11
	v_fmac_f32_e32 v11, 0x3377d1cf, v9
	v_fmac_f32_e32 v11, 0x3f317217, v9
	v_cmp_lt_f32_e64 vcc, |v9|, s13
	s_nop 1
	v_cndmask_b32_e32 v9, v9, v11, vcc
	v_sub_f32_e32 v9, v9, v10
	v_cmp_lt_f32_e32 vcc, s6, v8
	s_nop 1
	v_cndmask_b32_e32 v8, v9, v8, vcc
	v_mul_f32_e32 v9, 0x4f800000, v8
	v_cmp_gt_f32_e32 vcc, s14, v8
	s_nop 1
	v_cndmask_b32_e32 v8, v8, v9, vcc
	v_sqrt_f32_e32 v9, v8
	s_nop 0
	v_add_u32_e32 v1, -1, v9
	v_fma_f32 v10, -v1, v9, v8
	v_cmp_ge_f32_e64 s[4:5], 0, v10
	v_add_u32_e32 v10, 1, v9
	s_nop 0
	v_cndmask_b32_e64 v1, v9, v1, s[4:5]
	v_fma_f32 v9, -v10, v9, v8
	v_cmp_lt_f32_e64 s[4:5], 0, v9
	s_nop 1
	v_cndmask_b32_e64 v1, v1, v10, s[4:5]
	v_mul_f32_e32 v9, 0x37800000, v1
	v_cndmask_b32_e32 v9, v1, v9, vcc
	v_mov_b32_e32 v1, 0x260
	v_cmp_class_f32_e64 s[4:5], v8, v1
	s_and_b64 vcc, exec, s[0:1]
	s_nop 0
	v_cndmask_b32_e64 v8, v9, v8, s[4:5]
	s_cbranch_vccnz .LBB151_10
; %bb.9:
	global_load_dword v9, v0, s[10:11] offset:8
	s_waitcnt vmcnt(0)
	v_add_f32_e32 v8, v8, v9
.LBB151_10:
	ds_read_b32 v9, v4 offset:12
	ds_write_b32 v4, v8 offset:8
	s_waitcnt lgkmcnt(1)
	v_mul_f32_e32 v10, 0x3fb8aa3b, v9
	v_exp_f32_e32 v10, v10
	s_nop 0
	v_add_f32_e32 v10, 1.0, v10
	v_cmp_gt_f32_e32 vcc, s12, v10
	s_nop 1
	v_cndmask_b32_e32 v6, 1.0, v6, vcc
	v_mul_f32_e32 v6, v10, v6
	v_log_f32_e32 v6, v6
	v_cndmask_b32_e32 v7, 0, v7, vcc
	v_mul_f32_e32 v10, 0x3f317217, v6
	v_fma_f32 v10, v6, s7, -v10
	v_fmac_f32_e32 v10, 0x3377d1cf, v6
	v_fmac_f32_e32 v10, 0x3f317217, v6
	v_cmp_lt_f32_e64 vcc, |v6|, s13
	s_nop 1
	v_cndmask_b32_e32 v6, v6, v10, vcc
	v_sub_f32_e32 v6, v6, v7
	v_cmp_lt_f32_e32 vcc, s6, v9
	s_nop 1
	v_cndmask_b32_e32 v6, v6, v9, vcc
	v_mul_f32_e32 v7, 0x4f800000, v6
	v_cmp_gt_f32_e64 s[4:5], s14, v6
	s_and_b64 vcc, exec, s[0:1]
	s_nop 0
	v_cndmask_b32_e64 v6, v6, v7, s[4:5]
	v_sqrt_f32_e32 v7, v6
	s_nop 0
	v_add_u32_e32 v8, -1, v7
	v_add_u32_e32 v9, 1, v7
	v_fma_f32 v10, -v8, v7, v6
	v_fma_f32 v11, -v9, v7, v6
	v_cmp_ge_f32_e64 s[6:7], 0, v10
	s_nop 1
	v_cndmask_b32_e64 v7, v7, v8, s[6:7]
	v_cmp_lt_f32_e64 s[6:7], 0, v11
	s_nop 1
	v_cndmask_b32_e64 v7, v7, v9, s[6:7]
	v_mul_f32_e32 v8, 0x37800000, v7
	v_cndmask_b32_e64 v7, v7, v8, s[4:5]
	v_cmp_class_f32_e64 s[4:5], v6, v1
	s_nop 1
	v_cndmask_b32_e64 v1, v7, v6, s[4:5]
	s_cbranch_vccnz .LBB151_12
; %bb.11:
	global_load_dword v0, v0, s[10:11] offset:12
	s_waitcnt vmcnt(0)
	v_add_f32_e32 v1, v1, v0
.LBB151_12:
	s_load_dwordx4 s[12:15], s[2:3], 0x30
	s_mov_b32 s31, 0
	v_cmp_eq_u32_e64 s[6:7], 0, v3
	ds_write_b32 v4, v1 offset:12
	s_waitcnt lgkmcnt(0)
	s_bitcmp1_b32 s15, 0
	s_cselect_b64 s[4:5], -1, 0
	s_cmp_gt_i32 s12, 0
	s_cselect_b64 s[24:25], -1, 0
	s_and_b64 vcc, exec, s[24:25]
	s_cbranch_vccz .LBB151_41
; %bb.13:
	v_mbcnt_lo_u32_b32 v0, -1, 0
	v_mbcnt_hi_u32_b32 v0, -1, v0
	v_and_b32_e32 v1, 0x60, v0
	v_add_u32_e32 v1, 32, v1
	v_xor_b32_e32 v6, 16, v0
	v_cmp_lt_i32_e32 vcc, v6, v1
	s_load_dwordx4 s[16:19], s[2:3], 0x20
	v_mul_lo_u32 v7, v2, s12
	v_cndmask_b32_e32 v6, v0, v6, vcc
	v_lshlrev_b32_e32 v8, 2, v6
	v_xor_b32_e32 v6, 8, v0
	v_cmp_lt_i32_e32 vcc, v6, v1
	v_mov_b32_e32 v13, 0xc61c4000
	v_mov_b32_e32 v14, 0x80
	v_cndmask_b32_e32 v6, v0, v6, vcc
	v_lshlrev_b32_e32 v9, 2, v6
	v_xor_b32_e32 v6, 4, v0
	v_cmp_lt_i32_e32 vcc, v6, v1
	v_mov_b32_e32 v15, v2
	s_nop 0
	v_cndmask_b32_e32 v6, v0, v6, vcc
	v_lshlrev_b32_e32 v10, 2, v6
	v_xor_b32_e32 v6, 2, v0
	v_cmp_lt_i32_e32 vcc, v6, v1
	s_nop 1
	v_cndmask_b32_e32 v6, v0, v6, vcc
	v_lshlrev_b32_e32 v11, 2, v6
	v_xor_b32_e32 v6, 1, v0
	v_cmp_lt_i32_e32 vcc, v6, v1
	s_nop 1
	v_cndmask_b32_e32 v0, v0, v6, vcc
	v_lshlrev_b32_e32 v12, 2, v0
	v_mov_b32_e32 v6, 0
	s_branch .LBB151_15
.LBB151_14:                             ;   in Loop: Header=BB151_15 Depth=1
	s_or_b64 exec, exec, s[2:3]
	s_cmp_eq_u32 s12, s31
	v_add_u32_e32 v15, s30, v15
	s_cbranch_scc1 .LBB151_42
.LBB151_15:                             ; =>This Inner Loop Header: Depth=1
	ds_read_b128 v[16:19], v4
	s_waitcnt lgkmcnt(0)
	v_cmp_gt_f32_e32 vcc, v17, v16
	s_nop 1
	v_cndmask_b32_e32 v1, v16, v17, vcc
	v_cndmask_b32_e64 v0, 0, 1, vcc
	v_cmp_gt_f32_e32 vcc, v18, v1
	s_nop 1
	v_cndmask_b32_e32 v1, v1, v18, vcc
	v_cndmask_b32_e64 v0, v0, 2, vcc
	v_cmp_gt_f32_e32 vcc, v19, v1
	s_nop 1
	v_cndmask_b32_e64 v0, v0, 3, vcc
	v_cndmask_b32_e32 v16, v1, v19, vcc
	ds_bpermute_b32 v1, v8, v16
	v_or_b32_e32 v0, v5, v0
	ds_bpermute_b32 v17, v8, v0
	s_waitcnt lgkmcnt(1)
	v_cmp_lt_f32_e64 s[26:27], v16, v1
	v_cmp_nlt_f32_e32 vcc, v16, v1
	s_and_saveexec_b64 s[28:29], vcc
	s_cbranch_execz .LBB151_17
; %bb.16:                               ;   in Loop: Header=BB151_15 Depth=1
	v_cmp_eq_f32_e32 vcc, v16, v1
	s_waitcnt lgkmcnt(0)
	v_cmp_lt_i32_e64 s[2:3], v17, v0
	s_and_b64 s[2:3], vcc, s[2:3]
	s_andn2_b64 s[26:27], s[26:27], exec
	s_and_b64 s[2:3], s[2:3], exec
	s_or_b64 s[26:27], s[26:27], s[2:3]
.LBB151_17:                             ;   in Loop: Header=BB151_15 Depth=1
	s_or_b64 exec, exec, s[28:29]
	s_and_saveexec_b64 s[2:3], s[26:27]
	s_cbranch_execz .LBB151_19
; %bb.18:                               ;   in Loop: Header=BB151_15 Depth=1
	v_mov_b32_e32 v16, v1
	s_waitcnt lgkmcnt(0)
	v_mov_b32_e32 v0, v17
.LBB151_19:                             ;   in Loop: Header=BB151_15 Depth=1
	s_or_b64 exec, exec, s[2:3]
	ds_bpermute_b32 v1, v9, v16
	s_waitcnt lgkmcnt(1)
	ds_bpermute_b32 v17, v9, v0
	s_waitcnt lgkmcnt(1)
	v_cmp_lt_f32_e64 s[26:27], v16, v1
	v_cmp_nlt_f32_e32 vcc, v16, v1
	s_and_saveexec_b64 s[28:29], vcc
	s_cbranch_execz .LBB151_21
; %bb.20:                               ;   in Loop: Header=BB151_15 Depth=1
	v_cmp_eq_f32_e32 vcc, v16, v1
	s_waitcnt lgkmcnt(0)
	v_cmp_lt_i32_e64 s[2:3], v17, v0
	s_and_b64 s[2:3], vcc, s[2:3]
	s_andn2_b64 s[26:27], s[26:27], exec
	s_and_b64 s[2:3], s[2:3], exec
	s_or_b64 s[26:27], s[26:27], s[2:3]
.LBB151_21:                             ;   in Loop: Header=BB151_15 Depth=1
	s_or_b64 exec, exec, s[28:29]
	s_and_saveexec_b64 s[2:3], s[26:27]
	s_cbranch_execz .LBB151_23
; %bb.22:                               ;   in Loop: Header=BB151_15 Depth=1
	v_mov_b32_e32 v16, v1
	s_waitcnt lgkmcnt(0)
	v_mov_b32_e32 v0, v17
.LBB151_23:                             ;   in Loop: Header=BB151_15 Depth=1
	s_or_b64 exec, exec, s[2:3]
	ds_bpermute_b32 v1, v10, v16
	s_waitcnt lgkmcnt(1)
	;; [unrolled: 26-line block ×4, first 2 shown]
	ds_bpermute_b32 v17, v12, v0
	s_waitcnt lgkmcnt(1)
	v_cmp_lt_f32_e64 s[26:27], v16, v1
	v_cmp_nlt_f32_e32 vcc, v16, v1
	s_and_saveexec_b64 s[28:29], vcc
	s_cbranch_execnz .LBB151_34
; %bb.32:                               ;   in Loop: Header=BB151_15 Depth=1
	s_or_b64 exec, exec, s[28:29]
	s_and_saveexec_b64 s[2:3], s[26:27]
	s_cbranch_execnz .LBB151_35
.LBB151_33:                             ;   in Loop: Header=BB151_15 Depth=1
	s_or_b64 exec, exec, s[2:3]
	s_and_saveexec_b64 s[26:27], s[6:7]
	s_cbranch_execnz .LBB151_36
	s_branch .LBB151_39
.LBB151_34:                             ;   in Loop: Header=BB151_15 Depth=1
	v_cmp_eq_f32_e32 vcc, v16, v1
	s_waitcnt lgkmcnt(0)
	v_cmp_lt_i32_e64 s[2:3], v17, v0
	s_and_b64 s[2:3], vcc, s[2:3]
	s_andn2_b64 s[26:27], s[26:27], exec
	s_and_b64 s[2:3], s[2:3], exec
	s_or_b64 s[26:27], s[26:27], s[2:3]
	s_or_b64 exec, exec, s[28:29]
	s_and_saveexec_b64 s[2:3], s[26:27]
	s_cbranch_execz .LBB151_33
.LBB151_35:                             ;   in Loop: Header=BB151_15 Depth=1
	s_waitcnt lgkmcnt(0)
	v_mov_b32_e32 v0, v17
	v_mov_b32_e32 v16, v1
	s_or_b64 exec, exec, s[2:3]
	s_and_saveexec_b64 s[26:27], s[6:7]
	s_cbranch_execz .LBB151_39
.LBB151_36:                             ;   in Loop: Header=BB151_15 Depth=1
	s_and_b64 vcc, exec, s[0:1]
	s_cbranch_vccnz .LBB151_38
; %bb.37:                               ;   in Loop: Header=BB151_15 Depth=1
	v_ashrrev_i32_e32 v1, 31, v0
	v_lshl_add_u64 v[18:19], v[0:1], 2, s[10:11]
	global_load_dword v1, v[18:19], off
	s_waitcnt vmcnt(0)
	v_sub_f32_e32 v16, v16, v1
.LBB151_38:                             ;   in Loop: Header=BB151_15 Depth=1
	v_add_u32_e32 v18, s31, v7
	v_cmp_le_i32_e32 vcc, s13, v0
	v_cmp_gt_i32_e64 s[2:3], s14, v0
	v_ashrrev_i32_e32 v19, 31, v18
	s_and_b64 s[2:3], vcc, s[2:3]
	v_lshlrev_b64 v[20:21], 2, v[18:19]
	v_subrev_u32_e32 v1, s13, v0
	v_lshl_add_u64 v[22:23], s[20:21], 0, v[20:21]
	s_waitcnt lgkmcnt(0)
	v_ashrrev_i32_e32 v17, 31, v1
	s_and_b64 vcc, s[22:23], s[2:3]
	global_store_dword v[22:23], v16, off
	v_cndmask_b32_e32 v23, 0, v17, vcc
	v_cndmask_b32_e32 v22, v14, v1, vcc
	v_lshl_add_u64 v[18:19], v[18:19], 3, s[16:17]
	v_add_f32_e32 v1, v6, v16
	global_store_dwordx2 v[18:19], v[22:23], off
	v_lshl_add_u64 v[18:19], s[18:19], 0, v[20:21]
	v_cndmask_b32_e64 v6, v6, v1, s[4:5]
	global_store_dword v[18:19], v15, off
.LBB151_39:                             ;   in Loop: Header=BB151_15 Depth=1
	s_or_b64 exec, exec, s[26:27]
	v_ashrrev_i32_e32 v16, 31, v0
	v_lshrrev_b32_e32 v1, 30, v16
	s_waitcnt lgkmcnt(0)
	v_add_u32_e32 v17, v0, v1
	v_ashrrev_i32_e32 v1, 2, v17
	v_ashrrev_i32_e32 v17, 31, v17
	v_lshrrev_b32_e32 v17, 27, v17
	v_add_u32_e32 v17, v1, v17
	s_add_i32 s31, s31, 1
	v_and_b32_e32 v17, 0xffffffe0, v17
	s_cmp_lt_i32 s31, s12
	v_sub_u32_e32 v17, v1, v17
	s_cselect_b64 s[2:3], -1, 0
	v_cmp_eq_u32_e32 vcc, v3, v17
	s_and_b64 s[26:27], s[2:3], vcc
	s_and_saveexec_b64 s[2:3], s[26:27]
	s_cbranch_execz .LBB151_14
; %bb.40:                               ;   in Loop: Header=BB151_15 Depth=1
	v_lshrrev_b32_e32 v16, 25, v16
	v_add_u32_e32 v16, v0, v16
	v_lshlrev_b32_e32 v1, 2, v1
	v_ashrrev_i32_e32 v16, 7, v16
	v_sub_u32_e32 v0, v0, v1
	v_lshl_add_u32 v0, v16, 2, v0
	v_lshl_add_u32 v0, v0, 2, v4
	ds_write_b32 v0, v13
	s_branch .LBB151_14
.LBB151_41:
	v_mov_b32_e32 v6, 0
.LBB151_42:
	v_cmp_eq_u32_e32 vcc, 0, v3
	s_and_b64 exec, exec, vcc
	s_cbranch_execz .LBB151_55
; %bb.43:
	s_andn2_b64 vcc, exec, s[4:5]
	v_cvt_f32_f64_e32 v0, s[8:9]
	s_cbranch_vccnz .LBB151_45
; %bb.44:
	v_cmp_lt_f32_e32 vcc, 0, v6
	s_nop 1
	v_cndmask_b32_e32 v1, 1.0, v6, vcc
	v_div_scale_f32 v3, s[0:1], v1, v1, v0
	v_rcp_f32_e32 v4, v3
	s_nop 0
	v_fma_f32 v5, -v3, v4, 1.0
	v_fmac_f32_e32 v4, v5, v4
	v_div_scale_f32 v5, vcc, v0, v1, v0
	v_mul_f32_e32 v6, v5, v4
	v_fma_f32 v7, -v3, v6, v5
	v_fmac_f32_e32 v6, v7, v4
	v_fma_f32 v3, -v3, v6, v5
	v_div_fmas_f32 v3, v3, v4, v6
	v_div_fixup_f32 v0, v3, v1, v0
.LBB151_45:
	s_andn2_b64 vcc, exec, s[24:25]
	s_cbranch_vccnz .LBB151_55
; %bb.46:
	v_mul_lo_u32 v2, v2, s12
	s_cmp_gt_u32 s12, 3
	v_ashrrev_i32_e32 v3, 31, v2
	s_cbranch_scc0 .LBB151_50
; %bb.47:
	s_and_b32 s0, s12, 0x7ffffffc
	v_lshl_add_u64 v[4:5], v[2:3], 2, s[20:21]
	v_mov_b32_e32 v1, v0
	v_lshl_add_u64 v[4:5], v[4:5], 0, 8
	s_mov_b32 s1, s0
.LBB151_48:                             ; =>This Inner Loop Header: Depth=1
	global_load_dwordx4 v[6:9], v[4:5], off offset:-8
	s_add_i32 s1, s1, -4
	s_cmp_lg_u32 s1, 0
	s_waitcnt vmcnt(0)
	v_pk_mul_f32 v[6:7], v[0:1], v[6:7]
	v_pk_mul_f32 v[8:9], v[0:1], v[8:9]
	global_store_dwordx4 v[4:5], v[6:9], off offset:-8
	v_lshl_add_u64 v[4:5], v[4:5], 0, 16
	s_cbranch_scc1 .LBB151_48
; %bb.49:
	s_cmp_lg_u32 s0, s12
	s_cselect_b64 s[2:3], -1, 0
	s_branch .LBB151_52
.LBB151_50:
	s_mov_b64 s[2:3], 0
                                        ; implicit-def: $sgpr0
	s_cbranch_execz .LBB151_52
; %bb.51:
	s_mov_b64 s[2:3], -1
	s_mov_b32 s0, 0
.LBB151_52:
	s_andn2_b64 vcc, exec, s[2:3]
	s_cbranch_vccnz .LBB151_55
; %bb.53:
	s_mov_b32 s1, 0
	v_lshl_add_u64 v[2:3], v[2:3], 0, s[0:1]
	s_sub_i32 s2, s12, s0
	v_lshl_add_u64 v[2:3], v[2:3], 2, s[20:21]
.LBB151_54:                             ; =>This Inner Loop Header: Depth=1
	global_load_dword v1, v[2:3], off
	s_add_i32 s2, s2, -1
	s_cmp_lg_u32 s2, 0
	s_waitcnt vmcnt(0)
	v_mul_f32_e32 v1, v0, v1
	global_store_dword v[2:3], v1, off
	v_lshl_add_u64 v[2:3], v[2:3], 0, 4
	s_cbranch_scc1 .LBB151_54
.LBB151_55:
	s_endpgm
	.section	.rodata,"a",@progbits
	.p2align	6, 0x0
	.amdhsa_kernel _ZN4vllm3moe22topkGatingSoftplusSqrtILi4ELi128ELi4ELi16ELi32ELb0ElfEEvPKT6_PKbPfiPT5_PiiiibdPKfPKS8_SE_
		.amdhsa_group_segment_fixed_size 2048
		.amdhsa_private_segment_fixed_size 0
		.amdhsa_kernarg_size 96
		.amdhsa_user_sgpr_count 4
		.amdhsa_user_sgpr_dispatch_ptr 1
		.amdhsa_user_sgpr_queue_ptr 0
		.amdhsa_user_sgpr_kernarg_segment_ptr 1
		.amdhsa_user_sgpr_dispatch_id 0
		.amdhsa_user_sgpr_kernarg_preload_length 0
		.amdhsa_user_sgpr_kernarg_preload_offset 0
		.amdhsa_user_sgpr_private_segment_size 0
		.amdhsa_uses_dynamic_stack 0
		.amdhsa_enable_private_segment 0
		.amdhsa_system_sgpr_workgroup_id_x 1
		.amdhsa_system_sgpr_workgroup_id_y 0
		.amdhsa_system_sgpr_workgroup_id_z 0
		.amdhsa_system_sgpr_workgroup_info 0
		.amdhsa_system_vgpr_workitem_id 2
		.amdhsa_next_free_vgpr 24
		.amdhsa_next_free_sgpr 32
		.amdhsa_accum_offset 24
		.amdhsa_reserve_vcc 1
		.amdhsa_float_round_mode_32 0
		.amdhsa_float_round_mode_16_64 0
		.amdhsa_float_denorm_mode_32 3
		.amdhsa_float_denorm_mode_16_64 3
		.amdhsa_dx10_clamp 1
		.amdhsa_ieee_mode 1
		.amdhsa_fp16_overflow 0
		.amdhsa_tg_split 0
		.amdhsa_exception_fp_ieee_invalid_op 0
		.amdhsa_exception_fp_denorm_src 0
		.amdhsa_exception_fp_ieee_div_zero 0
		.amdhsa_exception_fp_ieee_overflow 0
		.amdhsa_exception_fp_ieee_underflow 0
		.amdhsa_exception_fp_ieee_inexact 0
		.amdhsa_exception_int_div_zero 0
	.end_amdhsa_kernel
	.section	.text._ZN4vllm3moe22topkGatingSoftplusSqrtILi4ELi128ELi4ELi16ELi32ELb0ElfEEvPKT6_PKbPfiPT5_PiiiibdPKfPKS8_SE_,"axG",@progbits,_ZN4vllm3moe22topkGatingSoftplusSqrtILi4ELi128ELi4ELi16ELi32ELb0ElfEEvPKT6_PKbPfiPT5_PiiiibdPKfPKS8_SE_,comdat
.Lfunc_end151:
	.size	_ZN4vllm3moe22topkGatingSoftplusSqrtILi4ELi128ELi4ELi16ELi32ELb0ElfEEvPKT6_PKbPfiPT5_PiiiibdPKfPKS8_SE_, .Lfunc_end151-_ZN4vllm3moe22topkGatingSoftplusSqrtILi4ELi128ELi4ELi16ELi32ELb0ElfEEvPKT6_PKbPfiPT5_PiiiibdPKfPKS8_SE_
                                        ; -- End function
	.section	.AMDGPU.csdata,"",@progbits
; Kernel info:
; codeLenInByte = 3000
; NumSgprs: 38
; NumVgprs: 24
; NumAgprs: 0
; TotalNumVgprs: 24
; ScratchSize: 0
; MemoryBound: 0
; FloatMode: 240
; IeeeMode: 1
; LDSByteSize: 2048 bytes/workgroup (compile time only)
; SGPRBlocks: 4
; VGPRBlocks: 2
; NumSGPRsForWavesPerEU: 38
; NumVGPRsForWavesPerEU: 24
; AccumOffset: 24
; Occupancy: 8
; WaveLimiterHint : 0
; COMPUTE_PGM_RSRC2:SCRATCH_EN: 0
; COMPUTE_PGM_RSRC2:USER_SGPR: 4
; COMPUTE_PGM_RSRC2:TRAP_HANDLER: 0
; COMPUTE_PGM_RSRC2:TGID_X_EN: 1
; COMPUTE_PGM_RSRC2:TGID_Y_EN: 0
; COMPUTE_PGM_RSRC2:TGID_Z_EN: 0
; COMPUTE_PGM_RSRC2:TIDIG_COMP_CNT: 2
; COMPUTE_PGM_RSRC3_GFX90A:ACCUM_OFFSET: 5
; COMPUTE_PGM_RSRC3_GFX90A:TG_SPLIT: 0
	.section	.text._ZN4vllm3moe22topkGatingSoftplusSqrtILi4ELi256ELi4ELi16ELi64ELb1ElfEEvPKT6_PKbPfiPT5_PiiiibdPKfPKS8_SE_,"axG",@progbits,_ZN4vllm3moe22topkGatingSoftplusSqrtILi4ELi256ELi4ELi16ELi64ELb1ElfEEvPKT6_PKbPfiPT5_PiiiibdPKfPKS8_SE_,comdat
	.protected	_ZN4vllm3moe22topkGatingSoftplusSqrtILi4ELi256ELi4ELi16ELi64ELb1ElfEEvPKT6_PKbPfiPT5_PiiiibdPKfPKS8_SE_ ; -- Begin function _ZN4vllm3moe22topkGatingSoftplusSqrtILi4ELi256ELi4ELi16ELi64ELb1ElfEEvPKT6_PKbPfiPT5_PiiiibdPKfPKS8_SE_
	.globl	_ZN4vllm3moe22topkGatingSoftplusSqrtILi4ELi256ELi4ELi16ELi64ELb1ElfEEvPKT6_PKbPfiPT5_PiiiibdPKfPKS8_SE_
	.p2align	8
	.type	_ZN4vllm3moe22topkGatingSoftplusSqrtILi4ELi256ELi4ELi16ELi64ELb1ElfEEvPKT6_PKbPfiPT5_PiiiibdPKfPKS8_SE_,@function
_ZN4vllm3moe22topkGatingSoftplusSqrtILi4ELi256ELi4ELi16ELi64ELb1ElfEEvPKT6_PKbPfiPT5_PiiiibdPKfPKS8_SE_: ; @_ZN4vllm3moe22topkGatingSoftplusSqrtILi4ELi256ELi4ELi16ELi64ELb1ElfEEvPKT6_PKbPfiPT5_PiiiibdPKfPKS8_SE_
; %bb.0:
	s_load_dword s3, s[0:1], 0x18
	v_and_b32_e32 v8, 0x3ff, v0
	s_lshl_b32 s2, s2, 2
	v_lshrrev_b32_e32 v1, 6, v8
	v_bfe_u32 v0, v0, 10, 10
	v_add3_u32 v2, s2, v0, v1
	s_waitcnt lgkmcnt(0)
	v_cmp_gt_i32_e32 vcc, s3, v2
	s_and_saveexec_b64 s[2:3], vcc
	s_cbranch_execz .LBB152_79
; %bb.1:
	s_load_dwordx4 s[8:11], s[0:1], 0x50
	s_load_dwordx2 s[2:3], s[0:1], 0x0
	s_load_dword s12, s[0:1], 0x30
	v_lshlrev_b32_e32 v0, 8, v2
	v_lshlrev_b32_e32 v3, 2, v8
	v_ashrrev_i32_e32 v1, 31, v0
	v_and_b32_e32 v14, 0xfc, v3
	s_waitcnt lgkmcnt(0)
	v_lshl_add_u64 v[0:1], v[0:1], 2, s[2:3]
	v_lshlrev_b32_e32 v4, 2, v14
	v_mov_b32_e32 v5, 0
	v_lshl_add_u64 v[0:1], v[0:1], 0, v[4:5]
	global_load_dwordx4 v[10:13], v[0:1], off
	v_mov_b32_e32 v6, s8
	v_mov_b32_e32 v7, s9
	v_ashrrev_i32_e32 v3, 31, v2
	v_lshl_add_u64 v[6:7], v[2:3], 3, v[6:7]
	global_load_dwordx2 v[6:7], v[6:7], off
	s_ashr_i32 s13, s12, 31
	s_mov_b32 s6, 0x800000
	v_mov_b32_e32 v3, 0x4f800000
	s_mov_b32 s18, 0x3f317217
	s_mov_b32 s19, 0x7f800000
	v_mov_b32_e32 v4, 0x41b17218
	s_mov_b32 s15, 0x41a00000
	s_mov_b32 s20, 0xf800000
	v_mov_b32_e32 v9, 0x260
	v_cmp_lt_i64_e64 s[16:17], s[12:13], 1
	s_mov_b32 s14, 0
	v_cmp_gt_i64_e64 s[8:9], s[12:13], 0
	v_mul_lo_u32 v2, v2, s12
	s_waitcnt vmcnt(1)
	v_mul_f32_e32 v0, 0x3fb8aa3b, v10
	v_mul_f32_e32 v1, 0x3fb8aa3b, v11
	v_exp_f32_e32 v16, v0
	v_exp_f32_e32 v17, v1
	v_mul_f32_e32 v18, 0x3fb8aa3b, v12
	v_mul_f32_e32 v19, 0x3fb8aa3b, v13
	s_waitcnt vmcnt(0)
	v_mul_lo_u32 v7, v7, s12
	v_mul_lo_u32 v15, v6, s13
	v_exp_f32_e32 v18, v18
	v_exp_f32_e32 v19, v19
	v_mad_u64_u32 v[0:1], s[2:3], v6, s12, 0
	v_add3_u32 v1, v1, v15, v7
	v_pk_add_f32 v[6:7], v[16:17], 1.0 op_sel_hi:[1,0]
	v_pk_add_f32 v[16:17], v[18:19], 1.0 op_sel_hi:[1,0]
	v_cmp_gt_f32_e32 vcc, s6, v7
	v_cmp_gt_f32_e64 s[2:3], s6, v6
	v_cmp_gt_f32_e64 s[4:5], s6, v17
	v_cndmask_b32_e32 v15, 1.0, v3, vcc
	v_cndmask_b32_e64 v18, 1.0, v3, s[2:3]
	v_mul_f32_e32 v7, v7, v15
	v_mul_f32_e32 v6, v6, v18
	v_log_f32_e32 v7, v7
	v_log_f32_e32 v6, v6
	v_cndmask_b32_e64 v19, 1.0, v3, s[4:5]
	v_cmp_gt_f32_e64 s[6:7], s6, v16
	v_mul_f32_e32 v17, v17, v19
	v_mul_f32_e32 v20, 0x3f317217, v6
	v_cndmask_b32_e64 v3, 1.0, v3, s[6:7]
	v_mul_f32_e32 v3, v16, v3
	v_log_f32_e32 v16, v17
	v_mul_f32_e32 v17, 0x3f317217, v7
	v_fma_f32 v17, v7, s18, -v17
	v_fma_f32 v20, v6, s18, -v20
	v_fmac_f32_e32 v17, 0x3377d1cf, v7
	v_cndmask_b32_e32 v15, 0, v4, vcc
	v_fmac_f32_e32 v20, 0x3377d1cf, v6
	v_fmac_f32_e32 v17, 0x3f317217, v7
	v_cmp_lt_f32_e64 vcc, |v7|, s19
	v_fmac_f32_e32 v20, 0x3f317217, v6
	v_cndmask_b32_e64 v18, 0, v4, s[2:3]
	v_cndmask_b32_e32 v7, v7, v17, vcc
	v_cmp_lt_f32_e64 vcc, |v6|, s19
	v_sub_f32_e32 v7, v7, v15
	v_mul_f32_e32 v21, 0x3f317217, v16
	v_cndmask_b32_e32 v6, v6, v20, vcc
	v_sub_f32_e32 v6, v6, v18
	v_cmp_lt_f32_e32 vcc, s15, v10
	v_fma_f32 v21, v16, s18, -v21
	v_fmac_f32_e32 v21, 0x3377d1cf, v16
	v_cndmask_b32_e32 v6, v6, v10, vcc
	v_cmp_lt_f32_e32 vcc, s15, v11
	v_cmp_gt_f32_e64 s[2:3], s20, v6
	v_cndmask_b32_e64 v19, 0, v4, s[4:5]
	v_cndmask_b32_e32 v7, v7, v11, vcc
	v_mul_f32_e32 v10, 0x4f800000, v7
	v_cmp_gt_f32_e32 vcc, s20, v7
	v_mul_f32_e32 v11, 0x4f800000, v6
	v_cndmask_b32_e64 v6, v6, v11, s[2:3]
	v_cndmask_b32_e32 v7, v7, v10, vcc
	v_sqrt_f32_e32 v10, v7
	v_sqrt_f32_e32 v11, v6
	v_fmac_f32_e32 v21, 0x3f317217, v16
	v_cmp_lt_f32_e64 s[4:5], |v16|, s19
	v_add_u32_e32 v17, 1, v10
	v_add_u32_e32 v18, -1, v11
	v_cndmask_b32_e64 v15, v16, v21, s[4:5]
	v_add_u32_e32 v16, -1, v10
	v_fma_f32 v21, -v16, v10, v7
	v_fma_f32 v23, -v18, v11, v6
	v_cmp_ge_f32_e64 s[4:5], 0, v21
	v_add_u32_e32 v20, 1, v11
	v_fma_f32 v22, -v17, v10, v7
	v_cndmask_b32_e64 v10, v10, v16, s[4:5]
	v_cmp_ge_f32_e64 s[4:5], 0, v23
	v_log_f32_e32 v3, v3
	v_fma_f32 v24, -v20, v11, v6
	v_cndmask_b32_e64 v11, v11, v18, s[4:5]
	v_cmp_lt_f32_e64 s[4:5], 0, v22
	v_cndmask_b32_e64 v4, 0, v4, s[6:7]
	s_nop 0
	v_cndmask_b32_e64 v10, v10, v17, s[4:5]
	v_cmp_lt_f32_e64 s[4:5], 0, v24
	v_mul_f32_e32 v16, 0x37800000, v10
	v_cndmask_b32_e32 v10, v10, v16, vcc
	v_cndmask_b32_e64 v11, v11, v20, s[4:5]
	v_mul_f32_e32 v17, 0x37800000, v11
	v_cmp_class_f32_e32 vcc, v7, v9
	v_cndmask_b32_e64 v16, v11, v17, s[2:3]
	v_cmp_lt_f32_e64 s[2:3], s15, v12
	v_cndmask_b32_e32 v11, v10, v7, vcc
	v_mul_f32_e32 v7, 0x3f317217, v3
	v_fma_f32 v7, v3, s18, -v7
	v_cmp_class_f32_e32 vcc, v6, v9
	v_fmac_f32_e32 v7, 0x3377d1cf, v3
	v_fmac_f32_e32 v7, 0x3f317217, v3
	v_cndmask_b32_e32 v10, v16, v6, vcc
	v_cmp_lt_f32_e64 vcc, |v3|, s19
	v_sub_f32_e32 v6, v15, v19
	s_nop 0
	v_cndmask_b32_e32 v3, v3, v7, vcc
	v_cmp_lt_f32_e32 vcc, s15, v13
	v_sub_f32_e32 v3, v3, v4
	v_cndmask_b32_e64 v3, v3, v12, s[2:3]
	v_cndmask_b32_e32 v6, v6, v13, vcc
	v_mul_f32_e32 v7, 0x4f800000, v6
	v_cmp_gt_f32_e32 vcc, s20, v6
	s_nop 1
	v_cndmask_b32_e32 v6, v6, v7, vcc
	v_sqrt_f32_e32 v7, v6
	s_nop 0
	v_add_u32_e32 v4, -1, v7
	v_fma_f32 v12, -v4, v7, v6
	v_cmp_ge_f32_e64 s[2:3], 0, v12
	v_add_u32_e32 v12, 1, v7
	s_nop 0
	v_cndmask_b32_e64 v4, v7, v4, s[2:3]
	v_fma_f32 v7, -v12, v7, v6
	v_cmp_lt_f32_e64 s[2:3], 0, v7
	s_nop 1
	v_cndmask_b32_e64 v4, v4, v12, s[2:3]
	v_mul_f32_e32 v12, 0x4f800000, v3
	v_cmp_gt_f32_e64 s[2:3], s20, v3
	v_mul_f32_e32 v7, 0x37800000, v4
	v_cndmask_b32_e32 v4, v4, v7, vcc
	v_cndmask_b32_e64 v3, v3, v12, s[2:3]
	v_sqrt_f32_e32 v12, v3
	v_cmp_class_f32_e32 vcc, v6, v9
	s_nop 1
	v_cndmask_b32_e32 v13, v4, v6, vcc
	v_add_u32_e32 v4, -1, v12
	v_fma_f32 v6, -v4, v12, v3
	v_cmp_ge_f32_e32 vcc, 0, v6
	v_add_u32_e32 v6, 1, v12
	v_fma_f32 v7, -v6, v12, v3
	v_cndmask_b32_e32 v4, v12, v4, vcc
	v_cmp_lt_f32_e32 vcc, 0, v7
	s_nop 1
	v_cndmask_b32_e32 v4, v4, v6, vcc
	v_mul_f32_e32 v6, 0x37800000, v4
	v_cndmask_b32_e64 v4, v4, v6, s[2:3]
	v_cmp_class_f32_e32 vcc, v3, v9
	s_nop 1
	v_cndmask_b32_e32 v12, v4, v3, vcc
	s_and_b64 vcc, exec, s[16:17]
	scratch_store_dwordx4 off, v[10:13], off
	s_cbranch_vccnz .LBB152_28
; %bb.2:
	s_load_dwordx2 s[4:5], s[0:1], 0x20
	v_lshl_add_u64 v[6:7], v[0:1], 3, s[10:11]
	s_cmp_lt_u32 s12, 4
	v_and_b32_e32 v4, 63, v8
	s_cbranch_scc1 .LBB152_21
; %bb.3:
	v_lshlrev_b32_e32 v5, 2, v4
	s_mov_b32 s7, 0
	s_and_b32 s14, s12, 0x7ffffffc
	v_ashrrev_i32_e32 v3, 31, v2
	v_sub_u32_e32 v15, 0, v5
	v_mov_b32_e32 v5, 0
	s_mov_b32 s6, s7
	s_branch .LBB152_5
.LBB152_4:                              ;   in Loop: Header=BB152_5 Depth=1
	s_or_b64 exec, exec, s[16:17]
	s_add_i32 s6, s6, 4
	s_cmp_eq_u32 s6, s14
	s_cbranch_scc1 .LBB152_21
.LBB152_5:                              ; =>This Loop Header: Depth=1
                                        ;     Child Loop BB152_7 Depth 2
                                        ;     Child Loop BB152_11 Depth 2
	;; [unrolled: 1-line block ×4, first 2 shown]
	v_lshl_add_u64 v[8:9], s[6:7], 3, v[6:7]
	global_load_dwordx2 v[10:11], v[8:9], off
	v_add_u32_e32 v12, s6, v2
	v_ashrrev_i32_e32 v13, 31, v12
	v_mov_b32_e32 v16, 0
	s_mov_b64 s[16:17], 0
	s_waitcnt lgkmcnt(0)
	v_lshl_add_u64 v[12:13], v[12:13], 3, s[4:5]
	s_mov_b32 s13, 0
	s_waitcnt vmcnt(0)
	v_ashrrev_i32_e32 v11, 31, v10
	v_add_u32_e32 v17, v15, v10
	s_branch .LBB152_7
.LBB152_6:                              ;   in Loop: Header=BB152_7 Depth=2
	s_or_b64 exec, exec, s[18:19]
	s_add_i32 s15, s13, 1
	s_cmp_gt_u32 s13, 2
	s_cselect_b64 s[2:3], -1, 0
	s_xor_b64 s[18:19], vcc, -1
	s_or_b64 s[2:3], s[18:19], s[2:3]
	s_and_b64 s[2:3], exec, s[2:3]
	v_add_u32_e32 v16, 4, v16
	s_or_b64 s[16:17], s[2:3], s[16:17]
	s_mov_b32 s13, s15
	s_andn2_b64 exec, exec, s[16:17]
	s_cbranch_execz .LBB152_9
.LBB152_7:                              ;   Parent Loop BB152_5 Depth=1
                                        ; =>  This Inner Loop Header: Depth=2
	v_cmp_ne_u32_e32 vcc, s13, v17
	v_cmp_eq_u32_e64 s[2:3], s13, v17
	s_and_saveexec_b64 s[18:19], s[2:3]
	s_cbranch_execz .LBB152_6
; %bb.8:                                ;   in Loop: Header=BB152_7 Depth=2
	scratch_load_dword v18, v16, off
	s_waitcnt vmcnt(0)
	v_add_f32_e32 v5, v5, v18
	global_store_dwordx2 v[12:13], v[10:11], off
	s_branch .LBB152_6
.LBB152_9:                              ;   in Loop: Header=BB152_5 Depth=1
	s_or_b64 exec, exec, s[16:17]
	global_load_dwordx2 v[12:13], v[8:9], off offset:8
	s_ashr_i32 s3, s6, 31
	s_mov_b32 s2, s6
	v_lshl_add_u64 v[10:11], s[2:3], 0, v[2:3]
	v_mov_b32_e32 v16, 0
	s_mov_b32 s13, 0
	v_lshl_add_u64 v[10:11], v[10:11], 3, s[4:5]
	s_mov_b64 s[16:17], 0
	s_waitcnt vmcnt(0)
	v_ashrrev_i32_e32 v13, 31, v12
	v_add_u32_e32 v17, v15, v12
	s_branch .LBB152_11
.LBB152_10:                             ;   in Loop: Header=BB152_11 Depth=2
	s_or_b64 exec, exec, s[18:19]
	s_add_i32 s15, s13, 1
	s_cmp_gt_u32 s13, 2
	s_cselect_b64 s[2:3], -1, 0
	s_xor_b64 s[18:19], vcc, -1
	s_or_b64 s[2:3], s[18:19], s[2:3]
	s_and_b64 s[2:3], exec, s[2:3]
	v_add_u32_e32 v16, 4, v16
	s_or_b64 s[16:17], s[2:3], s[16:17]
	s_mov_b32 s13, s15
	s_andn2_b64 exec, exec, s[16:17]
	s_cbranch_execz .LBB152_13
.LBB152_11:                             ;   Parent Loop BB152_5 Depth=1
                                        ; =>  This Inner Loop Header: Depth=2
	v_cmp_ne_u32_e32 vcc, s13, v17
	v_cmp_eq_u32_e64 s[2:3], s13, v17
	s_and_saveexec_b64 s[18:19], s[2:3]
	s_cbranch_execz .LBB152_10
; %bb.12:                               ;   in Loop: Header=BB152_11 Depth=2
	scratch_load_dword v18, v16, off
	s_waitcnt vmcnt(0)
	v_add_f32_e32 v5, v5, v18
	global_store_dwordx2 v[10:11], v[12:13], off offset:8
	s_branch .LBB152_10
.LBB152_13:                             ;   in Loop: Header=BB152_5 Depth=1
	s_or_b64 exec, exec, s[16:17]
	global_load_dwordx2 v[12:13], v[8:9], off offset:16
	v_mov_b32_e32 v16, 0
	s_mov_b32 s13, 0
	s_mov_b64 s[16:17], 0
	s_waitcnt vmcnt(0)
	v_ashrrev_i32_e32 v13, 31, v12
	v_add_u32_e32 v17, v15, v12
	s_branch .LBB152_15
.LBB152_14:                             ;   in Loop: Header=BB152_15 Depth=2
	s_or_b64 exec, exec, s[18:19]
	s_add_i32 s15, s13, 1
	s_cmp_gt_u32 s13, 2
	s_cselect_b64 s[2:3], -1, 0
	s_xor_b64 s[18:19], vcc, -1
	s_or_b64 s[2:3], s[18:19], s[2:3]
	s_and_b64 s[2:3], exec, s[2:3]
	v_add_u32_e32 v16, 4, v16
	s_or_b64 s[16:17], s[2:3], s[16:17]
	s_mov_b32 s13, s15
	s_andn2_b64 exec, exec, s[16:17]
	s_cbranch_execz .LBB152_17
.LBB152_15:                             ;   Parent Loop BB152_5 Depth=1
                                        ; =>  This Inner Loop Header: Depth=2
	v_cmp_ne_u32_e32 vcc, s13, v17
	v_cmp_eq_u32_e64 s[2:3], s13, v17
	s_and_saveexec_b64 s[18:19], s[2:3]
	s_cbranch_execz .LBB152_14
; %bb.16:                               ;   in Loop: Header=BB152_15 Depth=2
	scratch_load_dword v18, v16, off
	s_waitcnt vmcnt(0)
	v_add_f32_e32 v5, v5, v18
	global_store_dwordx2 v[10:11], v[12:13], off offset:16
	s_branch .LBB152_14
.LBB152_17:                             ;   in Loop: Header=BB152_5 Depth=1
	s_or_b64 exec, exec, s[16:17]
	global_load_dwordx2 v[8:9], v[8:9], off offset:24
	v_mov_b32_e32 v12, 0
	s_mov_b32 s13, 0
	s_mov_b64 s[16:17], 0
	s_waitcnt vmcnt(0)
	v_ashrrev_i32_e32 v9, 31, v8
	v_add_u32_e32 v13, v15, v8
	s_branch .LBB152_19
.LBB152_18:                             ;   in Loop: Header=BB152_19 Depth=2
	s_or_b64 exec, exec, s[18:19]
	s_add_i32 s15, s13, 1
	s_cmp_gt_u32 s13, 2
	s_cselect_b64 s[2:3], -1, 0
	s_xor_b64 s[18:19], vcc, -1
	s_or_b64 s[2:3], s[18:19], s[2:3]
	s_and_b64 s[2:3], exec, s[2:3]
	v_add_u32_e32 v12, 4, v12
	s_or_b64 s[16:17], s[2:3], s[16:17]
	s_mov_b32 s13, s15
	s_andn2_b64 exec, exec, s[16:17]
	s_cbranch_execz .LBB152_4
.LBB152_19:                             ;   Parent Loop BB152_5 Depth=1
                                        ; =>  This Inner Loop Header: Depth=2
	v_cmp_ne_u32_e32 vcc, s13, v13
	v_cmp_eq_u32_e64 s[2:3], s13, v13
	s_and_saveexec_b64 s[18:19], s[2:3]
	s_cbranch_execz .LBB152_18
; %bb.20:                               ;   in Loop: Header=BB152_19 Depth=2
	scratch_load_dword v16, v12, off
	s_waitcnt vmcnt(0)
	v_add_f32_e32 v5, v5, v16
	global_store_dwordx2 v[10:11], v[8:9], off offset:24
	s_branch .LBB152_18
.LBB152_21:
	s_and_b32 s13, s12, 3
	s_cmp_eq_u32 s13, 0
	s_mov_b32 s15, 0
	s_cbranch_scc1 .LBB152_28
; %bb.22:
	v_lshlrev_b32_e32 v3, 2, v4
	v_sub_u32_e32 v3, 0, v3
	s_mov_b32 s18, s15
	s_branch .LBB152_24
.LBB152_23:                             ;   in Loop: Header=BB152_24 Depth=1
	s_or_b64 exec, exec, s[6:7]
	s_add_i32 s14, s14, 1
	s_add_i32 s18, s18, 1
	s_cmp_lg_u32 s18, s13
	s_cbranch_scc0 .LBB152_28
.LBB152_24:                             ; =>This Loop Header: Depth=1
                                        ;     Child Loop BB152_26 Depth 2
	v_lshl_add_u64 v[8:9], s[14:15], 3, v[6:7]
	global_load_dwordx2 v[8:9], v[8:9], off
	v_add_u32_e32 v10, s14, v2
	v_ashrrev_i32_e32 v11, 31, v10
	v_mov_b32_e32 v4, 0
	s_mov_b32 s19, 0
	s_waitcnt lgkmcnt(0)
	v_lshl_add_u64 v[10:11], v[10:11], 3, s[4:5]
	s_mov_b64 s[6:7], 0
	s_waitcnt vmcnt(0)
	v_ashrrev_i32_e32 v9, 31, v8
	v_add_u32_e32 v12, v3, v8
	s_branch .LBB152_26
.LBB152_25:                             ;   in Loop: Header=BB152_26 Depth=2
	s_or_b64 exec, exec, s[16:17]
	s_add_i32 s20, s19, 1
	s_cmp_gt_u32 s19, 2
	s_cselect_b64 s[2:3], -1, 0
	s_xor_b64 s[16:17], vcc, -1
	s_or_b64 s[2:3], s[16:17], s[2:3]
	s_and_b64 s[2:3], exec, s[2:3]
	v_add_u32_e32 v4, 4, v4
	s_or_b64 s[6:7], s[2:3], s[6:7]
	s_mov_b32 s19, s20
	s_andn2_b64 exec, exec, s[6:7]
	s_cbranch_execz .LBB152_23
.LBB152_26:                             ;   Parent Loop BB152_24 Depth=1
                                        ; =>  This Inner Loop Header: Depth=2
	v_cmp_ne_u32_e32 vcc, s19, v12
	v_cmp_eq_u32_e64 s[2:3], s19, v12
	s_and_saveexec_b64 s[16:17], s[2:3]
	s_cbranch_execz .LBB152_25
; %bb.27:                               ;   in Loop: Header=BB152_26 Depth=2
	scratch_load_dword v13, v4, off
	s_waitcnt vmcnt(0)
	v_add_f32_e32 v5, v5, v13
	global_store_dwordx2 v[10:11], v[8:9], off
	s_branch .LBB152_25
.LBB152_28:
	s_waitcnt lgkmcnt(0)
	s_load_dword s4, s[0:1], 0x3c
	s_waitcnt lgkmcnt(0)
	s_bitcmp1_b32 s4, 0
	s_cselect_b64 s[2:3], -1, 0
	s_bitcmp0_b32 s4, 0
	s_cbranch_scc0 .LBB152_31
; %bb.29:
	s_load_dwordx2 s[4:5], s[0:1], 0x40
	s_andn2_b64 vcc, exec, s[2:3]
	s_waitcnt lgkmcnt(0)
	v_cvt_f32_f64_e32 v8, s[4:5]
	s_cbranch_vccz .LBB152_32
.LBB152_30:
	s_andn2_b64 vcc, exec, s[8:9]
	s_cbranch_vccz .LBB152_33
	s_branch .LBB152_79
.LBB152_31:
	v_mbcnt_lo_u32_b32 v3, -1, 0
	v_mbcnt_hi_u32_b32 v3, -1, v3
	v_and_b32_e32 v4, 64, v3
	v_add_u32_e32 v4, 64, v4
	v_xor_b32_e32 v6, 32, v3
	v_cmp_lt_i32_e32 vcc, v6, v4
	v_xor_b32_e32 v7, 16, v3
	s_nop 0
	v_cndmask_b32_e32 v6, v3, v6, vcc
	v_lshlrev_b32_e32 v6, 2, v6
	ds_bpermute_b32 v6, v6, v5
	v_cmp_lt_i32_e32 vcc, v7, v4
	s_waitcnt lgkmcnt(0)
	v_add_f32_e32 v5, v5, v6
	v_cndmask_b32_e32 v6, v3, v7, vcc
	v_lshlrev_b32_e32 v6, 2, v6
	ds_bpermute_b32 v6, v6, v5
	v_xor_b32_e32 v7, 8, v3
	v_cmp_lt_i32_e32 vcc, v7, v4
	s_waitcnt lgkmcnt(0)
	v_add_f32_e32 v5, v5, v6
	v_cndmask_b32_e32 v6, v3, v7, vcc
	v_lshlrev_b32_e32 v6, 2, v6
	ds_bpermute_b32 v6, v6, v5
	v_xor_b32_e32 v7, 4, v3
	;; [unrolled: 7-line block ×4, first 2 shown]
	v_cmp_lt_i32_e32 vcc, v7, v4
	s_waitcnt lgkmcnt(0)
	v_add_f32_e32 v5, v5, v6
	v_cndmask_b32_e32 v3, v3, v7, vcc
	v_lshlrev_b32_e32 v3, 2, v3
	ds_bpermute_b32 v3, v3, v5
	s_waitcnt lgkmcnt(0)
	v_add_f32_e32 v5, v5, v3
	s_load_dwordx2 s[4:5], s[0:1], 0x40
	s_andn2_b64 vcc, exec, s[2:3]
	s_waitcnt lgkmcnt(0)
	v_cvt_f32_f64_e32 v8, s[4:5]
	s_cbranch_vccnz .LBB152_30
.LBB152_32:
	v_cmp_lt_f32_e32 vcc, 0, v5
	s_nop 1
	v_cndmask_b32_e32 v3, 1.0, v5, vcc
	v_div_scale_f32 v4, s[2:3], v3, v3, v8
	v_rcp_f32_e32 v5, v4
	s_nop 0
	v_fma_f32 v6, -v4, v5, 1.0
	v_fmac_f32_e32 v5, v6, v5
	v_div_scale_f32 v6, vcc, v8, v3, v8
	v_mul_f32_e32 v7, v6, v5
	v_fma_f32 v9, -v4, v7, v6
	v_fmac_f32_e32 v7, v9, v5
	v_fma_f32 v4, -v4, v7, v6
	v_div_fmas_f32 v4, v4, v5, v7
	v_div_fixup_f32 v8, v4, v3, v8
	s_andn2_b64 vcc, exec, s[8:9]
	s_cbranch_vccnz .LBB152_79
.LBB152_33:
	s_load_dwordx2 s[4:5], s[0:1], 0x10
	v_mov_b32_e32 v3, 0
	v_or_b32_e32 v9, 4, v3
	v_or_b32_e32 v10, 8, v3
	;; [unrolled: 1-line block ×6, first 2 shown]
	s_cmp_lt_u32 s12, 4
	s_mov_b32 s6, 0
	s_cbranch_scc1 .LBB152_68
; %bb.34:
	v_ashrrev_i32_e32 v3, 31, v2
	s_waitcnt lgkmcnt(0)
	v_lshl_add_u64 v[4:5], v[2:3], 2, s[4:5]
	v_lshl_add_u64 v[6:7], v[0:1], 3, s[10:11]
	s_and_b32 s6, s12, 0x7ffffffc
	v_lshl_add_u64 v[4:5], v[4:5], 0, 12
	v_lshl_add_u64 v[6:7], v[6:7], 0, 16
	s_mov_b32 s7, 0
	s_branch .LBB152_36
.LBB152_35:                             ;   in Loop: Header=BB152_36 Depth=1
	s_or_b64 exec, exec, s[2:3]
	s_add_i32 s7, s7, 4
	v_lshl_add_u64 v[4:5], v[4:5], 0, 16
	s_cmp_eq_u32 s6, s7
	v_lshl_add_u64 v[6:7], v[6:7], 0, 32
	s_cbranch_scc1 .LBB152_68
.LBB152_36:                             ; =>This Inner Loop Header: Depth=1
	global_load_dword v16, v[6:7], off offset:-16
	v_mov_b32_e32 v3, 0
	s_waitcnt vmcnt(0)
	v_cmp_eq_u32_e32 vcc, v14, v16
	v_cmp_ne_u32_e64 s[0:1], v14, v16
	s_and_saveexec_b64 s[8:9], s[0:1]
	s_cbranch_execz .LBB152_42
; %bb.37:                               ;   in Loop: Header=BB152_36 Depth=1
	v_cmp_eq_u32_e64 s[0:1], v12, v16
	v_cmp_ne_u32_e64 s[2:3], v12, v16
	v_mov_b32_e32 v3, v9
	s_and_saveexec_b64 s[14:15], s[2:3]
	s_cbranch_execz .LBB152_41
; %bb.38:                               ;   in Loop: Header=BB152_36 Depth=1
	v_cmp_eq_u32_e64 s[16:17], v13, v16
	v_cmp_ne_u32_e64 s[2:3], v13, v16
	v_mov_b32_e32 v3, v10
	s_and_saveexec_b64 s[18:19], s[2:3]
	s_xor_b64 s[18:19], exec, s[18:19]
; %bb.39:                               ;   in Loop: Header=BB152_36 Depth=1
	v_cmp_eq_u32_e64 s[2:3], v15, v16
	s_andn2_b64 s[16:17], s[16:17], exec
	s_and_b64 s[2:3], s[2:3], exec
	s_or_b64 s[16:17], s[16:17], s[2:3]
	v_mov_b32_e32 v3, v11
; %bb.40:                               ;   in Loop: Header=BB152_36 Depth=1
	s_or_b64 exec, exec, s[18:19]
	s_andn2_b64 s[0:1], s[0:1], exec
	s_and_b64 s[2:3], s[16:17], exec
	s_or_b64 s[0:1], s[0:1], s[2:3]
.LBB152_41:                             ;   in Loop: Header=BB152_36 Depth=1
	s_or_b64 exec, exec, s[14:15]
	s_andn2_b64 s[2:3], vcc, exec
	s_and_b64 s[0:1], s[0:1], exec
	s_or_b64 vcc, s[2:3], s[0:1]
.LBB152_42:                             ;   in Loop: Header=BB152_36 Depth=1
	s_or_b64 exec, exec, s[8:9]
	s_and_saveexec_b64 s[0:1], vcc
	s_cbranch_execz .LBB152_44
; %bb.43:                               ;   in Loop: Header=BB152_36 Depth=1
	scratch_load_dword v3, v3, off
	v_add_u32_e32 v16, s7, v2
	v_ashrrev_i32_e32 v17, 31, v16
	v_lshl_add_u64 v[16:17], v[16:17], 2, s[4:5]
	s_waitcnt vmcnt(0)
	v_mul_f32_e32 v3, v8, v3
	global_store_dword v[16:17], v3, off
.LBB152_44:                             ;   in Loop: Header=BB152_36 Depth=1
	s_or_b64 exec, exec, s[0:1]
	global_load_dword v16, v[6:7], off offset:-8
	v_mov_b32_e32 v3, 0
	s_waitcnt vmcnt(0)
	v_cmp_eq_u32_e64 s[0:1], v14, v16
	v_cmp_ne_u32_e32 vcc, v14, v16
	s_and_saveexec_b64 s[2:3], vcc
	s_cbranch_execz .LBB152_50
; %bb.45:                               ;   in Loop: Header=BB152_36 Depth=1
	v_cmp_eq_u32_e64 s[8:9], v12, v16
	v_cmp_ne_u32_e32 vcc, v12, v16
	v_mov_b32_e32 v3, v9
	s_and_saveexec_b64 s[14:15], vcc
	s_cbranch_execz .LBB152_49
; %bb.46:                               ;   in Loop: Header=BB152_36 Depth=1
	v_cmp_eq_u32_e64 s[16:17], v13, v16
	v_cmp_ne_u32_e32 vcc, v13, v16
	v_mov_b32_e32 v3, v10
	s_and_saveexec_b64 s[18:19], vcc
; %bb.47:                               ;   in Loop: Header=BB152_36 Depth=1
	v_cmp_eq_u32_e32 vcc, v15, v16
	s_andn2_b64 s[16:17], s[16:17], exec
	s_and_b64 s[20:21], vcc, exec
	s_or_b64 s[16:17], s[16:17], s[20:21]
	v_mov_b32_e32 v3, v11
; %bb.48:                               ;   in Loop: Header=BB152_36 Depth=1
	s_or_b64 exec, exec, s[18:19]
	s_andn2_b64 s[8:9], s[8:9], exec
	s_and_b64 s[16:17], s[16:17], exec
	s_or_b64 s[8:9], s[8:9], s[16:17]
.LBB152_49:                             ;   in Loop: Header=BB152_36 Depth=1
	s_or_b64 exec, exec, s[14:15]
	s_andn2_b64 s[0:1], s[0:1], exec
	s_and_b64 s[8:9], s[8:9], exec
	s_or_b64 s[0:1], s[0:1], s[8:9]
.LBB152_50:                             ;   in Loop: Header=BB152_36 Depth=1
	s_or_b64 exec, exec, s[2:3]
	s_and_saveexec_b64 s[2:3], s[0:1]
	s_cbranch_execz .LBB152_52
; %bb.51:                               ;   in Loop: Header=BB152_36 Depth=1
	scratch_load_dword v3, v3, off
	s_waitcnt vmcnt(0)
	v_mul_f32_e32 v3, v8, v3
	global_store_dword v[4:5], v3, off offset:-8
.LBB152_52:                             ;   in Loop: Header=BB152_36 Depth=1
	s_or_b64 exec, exec, s[2:3]
	global_load_dword v16, v[6:7], off
	v_mov_b32_e32 v3, 0
	s_waitcnt vmcnt(0)
	v_cmp_eq_u32_e64 s[0:1], v14, v16
	v_cmp_ne_u32_e32 vcc, v14, v16
	s_and_saveexec_b64 s[2:3], vcc
	s_cbranch_execz .LBB152_58
; %bb.53:                               ;   in Loop: Header=BB152_36 Depth=1
	v_cmp_eq_u32_e64 s[8:9], v12, v16
	v_cmp_ne_u32_e32 vcc, v12, v16
	v_mov_b32_e32 v3, v9
	s_and_saveexec_b64 s[14:15], vcc
	s_cbranch_execz .LBB152_57
; %bb.54:                               ;   in Loop: Header=BB152_36 Depth=1
	v_cmp_eq_u32_e64 s[16:17], v13, v16
	v_cmp_ne_u32_e32 vcc, v13, v16
	v_mov_b32_e32 v3, v10
	s_and_saveexec_b64 s[18:19], vcc
; %bb.55:                               ;   in Loop: Header=BB152_36 Depth=1
	v_cmp_eq_u32_e32 vcc, v15, v16
	s_andn2_b64 s[16:17], s[16:17], exec
	s_and_b64 s[20:21], vcc, exec
	s_or_b64 s[16:17], s[16:17], s[20:21]
	v_mov_b32_e32 v3, v11
; %bb.56:                               ;   in Loop: Header=BB152_36 Depth=1
	s_or_b64 exec, exec, s[18:19]
	s_andn2_b64 s[8:9], s[8:9], exec
	s_and_b64 s[16:17], s[16:17], exec
	s_or_b64 s[8:9], s[8:9], s[16:17]
.LBB152_57:                             ;   in Loop: Header=BB152_36 Depth=1
	s_or_b64 exec, exec, s[14:15]
	s_andn2_b64 s[0:1], s[0:1], exec
	s_and_b64 s[8:9], s[8:9], exec
	s_or_b64 s[0:1], s[0:1], s[8:9]
.LBB152_58:                             ;   in Loop: Header=BB152_36 Depth=1
	s_or_b64 exec, exec, s[2:3]
	s_and_saveexec_b64 s[2:3], s[0:1]
	s_cbranch_execz .LBB152_60
; %bb.59:                               ;   in Loop: Header=BB152_36 Depth=1
	scratch_load_dword v3, v3, off
	s_waitcnt vmcnt(0)
	v_mul_f32_e32 v3, v8, v3
	global_store_dword v[4:5], v3, off offset:-4
.LBB152_60:                             ;   in Loop: Header=BB152_36 Depth=1
	s_or_b64 exec, exec, s[2:3]
	global_load_dword v16, v[6:7], off offset:8
	v_mov_b32_e32 v3, 0
	s_waitcnt vmcnt(0)
	v_cmp_eq_u32_e64 s[0:1], v14, v16
	v_cmp_ne_u32_e32 vcc, v14, v16
	s_and_saveexec_b64 s[2:3], vcc
	s_cbranch_execz .LBB152_66
; %bb.61:                               ;   in Loop: Header=BB152_36 Depth=1
	v_cmp_eq_u32_e64 s[8:9], v12, v16
	v_cmp_ne_u32_e32 vcc, v12, v16
	v_mov_b32_e32 v3, v9
	s_and_saveexec_b64 s[14:15], vcc
	s_cbranch_execz .LBB152_65
; %bb.62:                               ;   in Loop: Header=BB152_36 Depth=1
	v_cmp_eq_u32_e64 s[16:17], v13, v16
	v_cmp_ne_u32_e32 vcc, v13, v16
	v_mov_b32_e32 v3, v10
	s_and_saveexec_b64 s[18:19], vcc
; %bb.63:                               ;   in Loop: Header=BB152_36 Depth=1
	v_cmp_eq_u32_e32 vcc, v15, v16
	s_andn2_b64 s[16:17], s[16:17], exec
	s_and_b64 s[20:21], vcc, exec
	s_or_b64 s[16:17], s[16:17], s[20:21]
	v_mov_b32_e32 v3, v11
; %bb.64:                               ;   in Loop: Header=BB152_36 Depth=1
	s_or_b64 exec, exec, s[18:19]
	s_andn2_b64 s[8:9], s[8:9], exec
	s_and_b64 s[16:17], s[16:17], exec
	s_or_b64 s[8:9], s[8:9], s[16:17]
.LBB152_65:                             ;   in Loop: Header=BB152_36 Depth=1
	s_or_b64 exec, exec, s[14:15]
	s_andn2_b64 s[0:1], s[0:1], exec
	s_and_b64 s[8:9], s[8:9], exec
	s_or_b64 s[0:1], s[0:1], s[8:9]
.LBB152_66:                             ;   in Loop: Header=BB152_36 Depth=1
	s_or_b64 exec, exec, s[2:3]
	s_and_saveexec_b64 s[2:3], s[0:1]
	s_cbranch_execz .LBB152_35
; %bb.67:                               ;   in Loop: Header=BB152_36 Depth=1
	scratch_load_dword v3, v3, off
	s_waitcnt vmcnt(0)
	v_mul_f32_e32 v3, v8, v3
	global_store_dword v[4:5], v3, off
	s_branch .LBB152_35
.LBB152_68:
	s_and_b32 s14, s12, 3
	s_cmp_eq_u32 s14, 0
	s_mov_b32 s7, 0
	s_cbranch_scc1 .LBB152_79
; %bb.69:
	s_lshl_b64 s[0:1], s[6:7], 3
	s_add_u32 s0, s10, s0
	s_addc_u32 s1, s11, s1
	v_add_u32_e32 v2, s6, v2
	v_lshl_add_u64 v[0:1], v[0:1], 3, s[0:1]
	s_branch .LBB152_71
.LBB152_70:                             ;   in Loop: Header=BB152_71 Depth=1
	s_or_b64 exec, exec, s[2:3]
	s_add_i32 s14, s14, -1
	v_add_u32_e32 v2, 1, v2
	s_cmp_lg_u32 s14, 0
	v_lshl_add_u64 v[0:1], v[0:1], 0, 8
	s_cbranch_scc0 .LBB152_79
.LBB152_71:                             ; =>This Inner Loop Header: Depth=1
	global_load_dword v4, v[0:1], off
	v_mov_b32_e32 v3, 0
	s_waitcnt vmcnt(0)
	v_cmp_eq_u32_e64 s[0:1], v14, v4
	v_cmp_ne_u32_e32 vcc, v14, v4
	s_and_saveexec_b64 s[2:3], vcc
	s_cbranch_execz .LBB152_77
; %bb.72:                               ;   in Loop: Header=BB152_71 Depth=1
	v_cmp_eq_u32_e64 s[6:7], v12, v4
	v_cmp_ne_u32_e32 vcc, v12, v4
	v_mov_b32_e32 v3, v9
	s_and_saveexec_b64 s[8:9], vcc
	s_cbranch_execz .LBB152_76
; %bb.73:                               ;   in Loop: Header=BB152_71 Depth=1
	v_cmp_eq_u32_e64 s[10:11], v13, v4
	v_cmp_ne_u32_e32 vcc, v13, v4
	v_mov_b32_e32 v3, v10
	s_and_saveexec_b64 s[12:13], vcc
; %bb.74:                               ;   in Loop: Header=BB152_71 Depth=1
	v_cmp_eq_u32_e32 vcc, v15, v4
	s_andn2_b64 s[10:11], s[10:11], exec
	s_and_b64 s[16:17], vcc, exec
	s_or_b64 s[10:11], s[10:11], s[16:17]
	v_mov_b32_e32 v3, v11
; %bb.75:                               ;   in Loop: Header=BB152_71 Depth=1
	s_or_b64 exec, exec, s[12:13]
	s_andn2_b64 s[6:7], s[6:7], exec
	s_and_b64 s[10:11], s[10:11], exec
	s_or_b64 s[6:7], s[6:7], s[10:11]
.LBB152_76:                             ;   in Loop: Header=BB152_71 Depth=1
	s_or_b64 exec, exec, s[8:9]
	s_andn2_b64 s[0:1], s[0:1], exec
	s_and_b64 s[6:7], s[6:7], exec
	s_or_b64 s[0:1], s[0:1], s[6:7]
.LBB152_77:                             ;   in Loop: Header=BB152_71 Depth=1
	s_or_b64 exec, exec, s[2:3]
	s_and_saveexec_b64 s[2:3], s[0:1]
	s_cbranch_execz .LBB152_70
; %bb.78:                               ;   in Loop: Header=BB152_71 Depth=1
	scratch_load_dword v4, v3, off
	v_ashrrev_i32_e32 v3, 31, v2
	s_waitcnt vmcnt(0)
	v_mul_f32_e32 v6, v8, v4
	s_waitcnt lgkmcnt(0)
	v_lshl_add_u64 v[4:5], v[2:3], 2, s[4:5]
	global_store_dword v[4:5], v6, off
	s_branch .LBB152_70
.LBB152_79:
	s_endpgm
	.section	.rodata,"a",@progbits
	.p2align	6, 0x0
	.amdhsa_kernel _ZN4vllm3moe22topkGatingSoftplusSqrtILi4ELi256ELi4ELi16ELi64ELb1ElfEEvPKT6_PKbPfiPT5_PiiiibdPKfPKS8_SE_
		.amdhsa_group_segment_fixed_size 0
		.amdhsa_private_segment_fixed_size 32
		.amdhsa_kernarg_size 96
		.amdhsa_user_sgpr_count 2
		.amdhsa_user_sgpr_dispatch_ptr 0
		.amdhsa_user_sgpr_queue_ptr 0
		.amdhsa_user_sgpr_kernarg_segment_ptr 1
		.amdhsa_user_sgpr_dispatch_id 0
		.amdhsa_user_sgpr_kernarg_preload_length 0
		.amdhsa_user_sgpr_kernarg_preload_offset 0
		.amdhsa_user_sgpr_private_segment_size 0
		.amdhsa_uses_dynamic_stack 0
		.amdhsa_enable_private_segment 1
		.amdhsa_system_sgpr_workgroup_id_x 1
		.amdhsa_system_sgpr_workgroup_id_y 0
		.amdhsa_system_sgpr_workgroup_id_z 0
		.amdhsa_system_sgpr_workgroup_info 0
		.amdhsa_system_vgpr_workitem_id 1
		.amdhsa_next_free_vgpr 25
		.amdhsa_next_free_sgpr 22
		.amdhsa_accum_offset 28
		.amdhsa_reserve_vcc 1
		.amdhsa_float_round_mode_32 0
		.amdhsa_float_round_mode_16_64 0
		.amdhsa_float_denorm_mode_32 3
		.amdhsa_float_denorm_mode_16_64 3
		.amdhsa_dx10_clamp 1
		.amdhsa_ieee_mode 1
		.amdhsa_fp16_overflow 0
		.amdhsa_tg_split 0
		.amdhsa_exception_fp_ieee_invalid_op 0
		.amdhsa_exception_fp_denorm_src 0
		.amdhsa_exception_fp_ieee_div_zero 0
		.amdhsa_exception_fp_ieee_overflow 0
		.amdhsa_exception_fp_ieee_underflow 0
		.amdhsa_exception_fp_ieee_inexact 0
		.amdhsa_exception_int_div_zero 0
	.end_amdhsa_kernel
	.section	.text._ZN4vllm3moe22topkGatingSoftplusSqrtILi4ELi256ELi4ELi16ELi64ELb1ElfEEvPKT6_PKbPfiPT5_PiiiibdPKfPKS8_SE_,"axG",@progbits,_ZN4vllm3moe22topkGatingSoftplusSqrtILi4ELi256ELi4ELi16ELi64ELb1ElfEEvPKT6_PKbPfiPT5_PiiiibdPKfPKS8_SE_,comdat
.Lfunc_end152:
	.size	_ZN4vllm3moe22topkGatingSoftplusSqrtILi4ELi256ELi4ELi16ELi64ELb1ElfEEvPKT6_PKbPfiPT5_PiiiibdPKfPKS8_SE_, .Lfunc_end152-_ZN4vllm3moe22topkGatingSoftplusSqrtILi4ELi256ELi4ELi16ELi64ELb1ElfEEvPKT6_PKbPfiPT5_PiiiibdPKfPKS8_SE_
                                        ; -- End function
	.section	.AMDGPU.csdata,"",@progbits
; Kernel info:
; codeLenInByte = 3572
; NumSgprs: 28
; NumVgprs: 25
; NumAgprs: 0
; TotalNumVgprs: 25
; ScratchSize: 32
; MemoryBound: 0
; FloatMode: 240
; IeeeMode: 1
; LDSByteSize: 0 bytes/workgroup (compile time only)
; SGPRBlocks: 3
; VGPRBlocks: 3
; NumSGPRsForWavesPerEU: 28
; NumVGPRsForWavesPerEU: 25
; AccumOffset: 28
; Occupancy: 8
; WaveLimiterHint : 1
; COMPUTE_PGM_RSRC2:SCRATCH_EN: 1
; COMPUTE_PGM_RSRC2:USER_SGPR: 2
; COMPUTE_PGM_RSRC2:TRAP_HANDLER: 0
; COMPUTE_PGM_RSRC2:TGID_X_EN: 1
; COMPUTE_PGM_RSRC2:TGID_Y_EN: 0
; COMPUTE_PGM_RSRC2:TGID_Z_EN: 0
; COMPUTE_PGM_RSRC2:TIDIG_COMP_CNT: 1
; COMPUTE_PGM_RSRC3_GFX90A:ACCUM_OFFSET: 6
; COMPUTE_PGM_RSRC3_GFX90A:TG_SPLIT: 0
	.section	.text._ZN4vllm3moe22topkGatingSoftplusSqrtILi4ELi256ELi4ELi16ELi64ELb0ElfEEvPKT6_PKbPfiPT5_PiiiibdPKfPKS8_SE_,"axG",@progbits,_ZN4vllm3moe22topkGatingSoftplusSqrtILi4ELi256ELi4ELi16ELi64ELb0ElfEEvPKT6_PKbPfiPT5_PiiiibdPKfPKS8_SE_,comdat
	.protected	_ZN4vllm3moe22topkGatingSoftplusSqrtILi4ELi256ELi4ELi16ELi64ELb0ElfEEvPKT6_PKbPfiPT5_PiiiibdPKfPKS8_SE_ ; -- Begin function _ZN4vllm3moe22topkGatingSoftplusSqrtILi4ELi256ELi4ELi16ELi64ELb0ElfEEvPKT6_PKbPfiPT5_PiiiibdPKfPKS8_SE_
	.globl	_ZN4vllm3moe22topkGatingSoftplusSqrtILi4ELi256ELi4ELi16ELi64ELb0ElfEEvPKT6_PKbPfiPT5_PiiiibdPKfPKS8_SE_
	.p2align	8
	.type	_ZN4vllm3moe22topkGatingSoftplusSqrtILi4ELi256ELi4ELi16ELi64ELb0ElfEEvPKT6_PKbPfiPT5_PiiiibdPKfPKS8_SE_,@function
_ZN4vllm3moe22topkGatingSoftplusSqrtILi4ELi256ELi4ELi16ELi64ELb0ElfEEvPKT6_PKbPfiPT5_PiiiibdPKfPKS8_SE_: ; @_ZN4vllm3moe22topkGatingSoftplusSqrtILi4ELi256ELi4ELi16ELi64ELb0ElfEEvPKT6_PKbPfiPT5_PiiiibdPKfPKS8_SE_
; %bb.0:
	s_load_dword s30, s[2:3], 0x18
	v_and_b32_e32 v1, 0x3ff, v0
	v_bfe_u32 v4, v0, 10, 10
	s_lshl_b32 s4, s4, 2
	v_lshrrev_b32_e32 v2, 6, v1
	v_add3_u32 v2, s4, v4, v2
	s_waitcnt lgkmcnt(0)
	v_cmp_gt_i32_e32 vcc, s30, v2
	s_and_saveexec_b64 s[4:5], vcc
	s_cbranch_execz .LBB153_59
; %bb.1:
	s_load_dwordx4 s[4:7], s[2:3], 0x0
	s_load_dwordx2 s[20:21], s[2:3], 0x10
	s_waitcnt lgkmcnt(0)
	s_cmp_eq_u64 s[6:7], 0
	s_cbranch_scc1 .LBB153_3
; %bb.2:
	v_ashrrev_i32_e32 v3, 31, v2
	v_lshl_add_u64 v[6:7], s[6:7], 0, v[2:3]
	global_load_ubyte v3, v[6:7], off
	s_waitcnt vmcnt(0)
	v_and_b32_e32 v3, 1, v3
	v_cmp_eq_u32_e32 vcc, 1, v3
	s_xor_b64 s[6:7], vcc, -1
	s_orn2_b64 s[22:23], s[6:7], exec
	s_branch .LBB153_4
.LBB153_3:
	s_mov_b64 s[22:23], -1
.LBB153_4:
	v_lshlrev_b32_e32 v8, 8, v2
	v_mov_b32_e32 v6, s4
	v_mov_b32_e32 v7, s5
	v_ashrrev_i32_e32 v9, 31, v8
	v_and_b32_e32 v3, 63, v1
	v_lshl_add_u64 v[6:7], v[8:9], 2, v[6:7]
	v_mov_b32_e32 v9, 0
	v_lshlrev_b32_e32 v8, 4, v3
	v_lshl_add_u64 v[6:7], v[6:7], 0, v[8:9]
	global_load_dwordx4 v[6:9], v[6:7], off
	s_load_dwordx2 s[4:5], s[0:1], 0x4
	s_load_dwordx4 s[8:11], s[2:3], 0x40
	v_bfe_u32 v0, v0, 20, 10
	s_mov_b32 s16, 0x800000
	s_mov_b32 s13, 0x3f317217
	s_waitcnt lgkmcnt(0)
	s_lshr_b32 s0, s4, 16
	s_mul_i32 s0, s0, s5
	v_mul_lo_u32 v1, s0, v1
	v_mad_u32_u24 v1, v4, s5, v1
	v_add_lshl_u32 v4, v1, v0, 4
	s_mov_b32 s14, 0x7f800000
	s_mov_b32 s12, 0x41a00000
	;; [unrolled: 1-line block ×3, first 2 shown]
	s_cmp_lg_u64 s[10:11], 0
	v_mov_b32_e32 v1, 0x260
	s_cselect_b64 s[6:7], -1, 0
	s_and_b64 s[0:1], exec, s[6:7]
	s_waitcnt vmcnt(0)
	ds_write_b128 v4, v[6:9]
	ds_read_b32 v8, v4
	v_mov_b32_e32 v6, 0x4f800000
	v_mov_b32_e32 v7, 0x41b17218
	s_waitcnt lgkmcnt(0)
	v_mul_f32_e32 v0, 0x3fb8aa3b, v8
	v_exp_f32_e32 v0, v0
	s_nop 0
	v_add_f32_e32 v0, 1.0, v0
	v_cmp_gt_f32_e32 vcc, s16, v0
	s_nop 1
	v_cndmask_b32_e32 v5, 1.0, v6, vcc
	v_mul_f32_e32 v0, v0, v5
	v_log_f32_e32 v9, v0
	v_cndmask_b32_e32 v10, 0, v7, vcc
	v_lshlrev_b32_e32 v5, 2, v3
	v_lshlrev_b32_e32 v0, 2, v5
	v_mul_f32_e32 v11, 0x3f317217, v9
	v_fma_f32 v11, v9, s13, -v11
	v_fmac_f32_e32 v11, 0x3377d1cf, v9
	v_fmac_f32_e32 v11, 0x3f317217, v9
	v_cmp_lt_f32_e64 vcc, |v9|, s14
	s_nop 1
	v_cndmask_b32_e32 v9, v9, v11, vcc
	v_sub_f32_e32 v9, v9, v10
	v_cmp_lt_f32_e32 vcc, s12, v8
	s_nop 1
	v_cndmask_b32_e32 v8, v9, v8, vcc
	v_mul_f32_e32 v9, 0x4f800000, v8
	v_cmp_gt_f32_e32 vcc, s15, v8
	s_nop 1
	v_cndmask_b32_e32 v8, v8, v9, vcc
	v_sqrt_f32_e32 v9, v8
	s_nop 0
	v_add_u32_e32 v10, -1, v9
	v_add_u32_e32 v11, 1, v9
	v_fma_f32 v12, -v10, v9, v8
	v_fma_f32 v13, -v11, v9, v8
	v_cmp_ge_f32_e64 s[4:5], 0, v12
	s_nop 1
	v_cndmask_b32_e64 v9, v9, v10, s[4:5]
	v_cmp_lt_f32_e64 s[4:5], 0, v13
	s_nop 1
	v_cndmask_b32_e64 v9, v9, v11, s[4:5]
	v_mul_f32_e32 v10, 0x37800000, v9
	v_cndmask_b32_e32 v9, v9, v10, vcc
	v_cmp_class_f32_e32 vcc, v8, v1
	s_nop 1
	v_cndmask_b32_e32 v8, v9, v8, vcc
	s_mov_b64 vcc, s[0:1]
	s_cbranch_vccz .LBB153_6
; %bb.5:
	global_load_dword v9, v0, s[10:11]
	s_waitcnt vmcnt(0)
	v_add_f32_e32 v8, v8, v9
.LBB153_6:
	ds_read_b32 v9, v4 offset:4
	ds_write_b32 v4, v8
	s_waitcnt lgkmcnt(1)
	v_mul_f32_e32 v10, 0x3fb8aa3b, v9
	v_exp_f32_e32 v10, v10
	s_nop 0
	v_add_f32_e32 v10, 1.0, v10
	v_cmp_gt_f32_e32 vcc, s16, v10
	s_nop 1
	v_cndmask_b32_e32 v6, 1.0, v6, vcc
	v_mul_f32_e32 v6, v10, v6
	v_log_f32_e32 v6, v6
	v_cndmask_b32_e32 v7, 0, v7, vcc
	v_mul_f32_e32 v8, 0x3f317217, v6
	v_fma_f32 v8, v6, s13, -v8
	v_fmac_f32_e32 v8, 0x3377d1cf, v6
	v_fmac_f32_e32 v8, 0x3f317217, v6
	v_cmp_lt_f32_e64 vcc, |v6|, s14
	s_nop 1
	v_cndmask_b32_e32 v6, v6, v8, vcc
	v_sub_f32_e32 v6, v6, v7
	v_cmp_lt_f32_e32 vcc, s12, v9
	v_cndmask_b32_e64 v8, 0, 1, s[6:7]
	v_cmp_ne_u32_e64 s[0:1], 1, v8
	v_cndmask_b32_e32 v6, v6, v9, vcc
	v_mul_f32_e32 v7, 0x4f800000, v6
	v_cmp_gt_f32_e64 s[4:5], s15, v6
	s_andn2_b64 vcc, exec, s[6:7]
	s_nop 0
	v_cndmask_b32_e64 v6, v6, v7, s[4:5]
	v_sqrt_f32_e32 v7, v6
	s_nop 0
	v_add_u32_e32 v8, -1, v7
	v_add_u32_e32 v9, 1, v7
	v_fma_f32 v10, -v8, v7, v6
	v_fma_f32 v11, -v9, v7, v6
	v_cmp_ge_f32_e64 s[6:7], 0, v10
	s_nop 1
	v_cndmask_b32_e64 v7, v7, v8, s[6:7]
	v_cmp_lt_f32_e64 s[6:7], 0, v11
	s_nop 1
	v_cndmask_b32_e64 v7, v7, v9, s[6:7]
	v_mul_f32_e32 v8, 0x37800000, v7
	v_cndmask_b32_e64 v7, v7, v8, s[4:5]
	v_cmp_class_f32_e64 s[4:5], v6, v1
	s_nop 1
	v_cndmask_b32_e64 v1, v7, v6, s[4:5]
	s_cbranch_vccnz .LBB153_8
; %bb.7:
	global_load_dword v6, v0, s[10:11] offset:4
	s_waitcnt vmcnt(0)
	v_add_f32_e32 v1, v1, v6
.LBB153_8:
	ds_read_b32 v8, v4 offset:8
	s_mov_b32 s12, 0x800000
	s_mov_b32 s7, 0x3f317217
	s_mov_b32 s13, 0x7f800000
	s_mov_b32 s6, 0x41a00000
	s_waitcnt lgkmcnt(0)
	v_mul_f32_e32 v6, 0x3fb8aa3b, v8
	v_exp_f32_e32 v7, v6
	v_mov_b32_e32 v6, 0x4f800000
	s_mov_b32 s14, 0xf800000
	ds_write_b32 v4, v1 offset:4
	v_add_f32_e32 v7, 1.0, v7
	v_cmp_gt_f32_e32 vcc, s12, v7
	s_nop 1
	v_cndmask_b32_e32 v9, 1.0, v6, vcc
	v_mul_f32_e32 v7, v7, v9
	v_log_f32_e32 v9, v7
	v_mov_b32_e32 v7, 0x41b17218
	v_cndmask_b32_e32 v10, 0, v7, vcc
	v_mul_f32_e32 v11, 0x3f317217, v9
	v_fma_f32 v11, v9, s7, -v11
	v_fmac_f32_e32 v11, 0x3377d1cf, v9
	v_fmac_f32_e32 v11, 0x3f317217, v9
	v_cmp_lt_f32_e64 vcc, |v9|, s13
	s_nop 1
	v_cndmask_b32_e32 v9, v9, v11, vcc
	v_sub_f32_e32 v9, v9, v10
	v_cmp_lt_f32_e32 vcc, s6, v8
	s_nop 1
	v_cndmask_b32_e32 v8, v9, v8, vcc
	v_mul_f32_e32 v9, 0x4f800000, v8
	v_cmp_gt_f32_e32 vcc, s14, v8
	s_nop 1
	v_cndmask_b32_e32 v8, v8, v9, vcc
	v_sqrt_f32_e32 v9, v8
	s_nop 0
	v_add_u32_e32 v1, -1, v9
	v_fma_f32 v10, -v1, v9, v8
	v_cmp_ge_f32_e64 s[4:5], 0, v10
	v_add_u32_e32 v10, 1, v9
	s_nop 0
	v_cndmask_b32_e64 v1, v9, v1, s[4:5]
	v_fma_f32 v9, -v10, v9, v8
	v_cmp_lt_f32_e64 s[4:5], 0, v9
	s_nop 1
	v_cndmask_b32_e64 v1, v1, v10, s[4:5]
	v_mul_f32_e32 v9, 0x37800000, v1
	v_cndmask_b32_e32 v9, v1, v9, vcc
	v_mov_b32_e32 v1, 0x260
	v_cmp_class_f32_e64 s[4:5], v8, v1
	s_and_b64 vcc, exec, s[0:1]
	s_nop 0
	v_cndmask_b32_e64 v8, v9, v8, s[4:5]
	s_cbranch_vccnz .LBB153_10
; %bb.9:
	global_load_dword v9, v0, s[10:11] offset:8
	s_waitcnt vmcnt(0)
	v_add_f32_e32 v8, v8, v9
.LBB153_10:
	ds_read_b32 v9, v4 offset:12
	ds_write_b32 v4, v8 offset:8
	s_waitcnt lgkmcnt(1)
	v_mul_f32_e32 v10, 0x3fb8aa3b, v9
	v_exp_f32_e32 v10, v10
	s_nop 0
	v_add_f32_e32 v10, 1.0, v10
	v_cmp_gt_f32_e32 vcc, s12, v10
	s_nop 1
	v_cndmask_b32_e32 v6, 1.0, v6, vcc
	v_mul_f32_e32 v6, v10, v6
	v_log_f32_e32 v6, v6
	v_cndmask_b32_e32 v7, 0, v7, vcc
	v_mul_f32_e32 v10, 0x3f317217, v6
	v_fma_f32 v10, v6, s7, -v10
	v_fmac_f32_e32 v10, 0x3377d1cf, v6
	v_fmac_f32_e32 v10, 0x3f317217, v6
	v_cmp_lt_f32_e64 vcc, |v6|, s13
	s_nop 1
	v_cndmask_b32_e32 v6, v6, v10, vcc
	v_sub_f32_e32 v6, v6, v7
	v_cmp_lt_f32_e32 vcc, s6, v9
	s_nop 1
	v_cndmask_b32_e32 v6, v6, v9, vcc
	v_mul_f32_e32 v7, 0x4f800000, v6
	v_cmp_gt_f32_e64 s[4:5], s14, v6
	s_and_b64 vcc, exec, s[0:1]
	s_nop 0
	v_cndmask_b32_e64 v6, v6, v7, s[4:5]
	v_sqrt_f32_e32 v7, v6
	s_nop 0
	v_add_u32_e32 v8, -1, v7
	v_add_u32_e32 v9, 1, v7
	v_fma_f32 v10, -v8, v7, v6
	v_fma_f32 v11, -v9, v7, v6
	v_cmp_ge_f32_e64 s[6:7], 0, v10
	s_nop 1
	v_cndmask_b32_e64 v7, v7, v8, s[6:7]
	v_cmp_lt_f32_e64 s[6:7], 0, v11
	s_nop 1
	v_cndmask_b32_e64 v7, v7, v9, s[6:7]
	v_mul_f32_e32 v8, 0x37800000, v7
	v_cndmask_b32_e64 v7, v7, v8, s[4:5]
	v_cmp_class_f32_e64 s[4:5], v6, v1
	s_nop 1
	v_cndmask_b32_e64 v1, v7, v6, s[4:5]
	s_cbranch_vccnz .LBB153_12
; %bb.11:
	global_load_dword v0, v0, s[10:11] offset:12
	s_waitcnt vmcnt(0)
	v_add_f32_e32 v1, v1, v0
.LBB153_12:
	s_load_dwordx4 s[12:15], s[2:3], 0x30
	s_mov_b32 s31, 0
	v_cmp_eq_u32_e64 s[4:5], 0, v3
	ds_write_b32 v4, v1 offset:12
	s_waitcnt lgkmcnt(0)
	s_bitcmp1_b32 s15, 0
	s_cselect_b64 s[6:7], -1, 0
	s_cmp_gt_i32 s12, 0
	s_cselect_b64 s[24:25], -1, 0
	s_and_b64 vcc, exec, s[24:25]
	s_cbranch_vccz .LBB153_45
; %bb.13:
	v_mbcnt_lo_u32_b32 v0, -1, 0
	v_mbcnt_hi_u32_b32 v0, -1, v0
	v_and_b32_e32 v1, 64, v0
	v_add_u32_e32 v1, 64, v1
	v_xor_b32_e32 v6, 32, v0
	v_cmp_lt_i32_e32 vcc, v6, v1
	s_load_dwordx4 s[16:19], s[2:3], 0x20
	v_mul_lo_u32 v7, v2, s12
	v_cndmask_b32_e32 v6, v0, v6, vcc
	v_lshlrev_b32_e32 v8, 2, v6
	v_xor_b32_e32 v6, 16, v0
	v_cmp_lt_i32_e32 vcc, v6, v1
	v_mov_b32_e32 v14, 0xc61c4000
	v_mov_b32_e32 v15, 0x100
	v_cndmask_b32_e32 v6, v0, v6, vcc
	v_lshlrev_b32_e32 v9, 2, v6
	v_xor_b32_e32 v6, 8, v0
	v_cmp_lt_i32_e32 vcc, v6, v1
	v_mov_b32_e32 v16, v2
	s_nop 0
	v_cndmask_b32_e32 v6, v0, v6, vcc
	v_lshlrev_b32_e32 v10, 2, v6
	v_xor_b32_e32 v6, 4, v0
	v_cmp_lt_i32_e32 vcc, v6, v1
	s_nop 1
	v_cndmask_b32_e32 v6, v0, v6, vcc
	v_lshlrev_b32_e32 v11, 2, v6
	v_xor_b32_e32 v6, 2, v0
	v_cmp_lt_i32_e32 vcc, v6, v1
	;; [unrolled: 5-line block ×3, first 2 shown]
	s_nop 1
	v_cndmask_b32_e32 v0, v0, v6, vcc
	v_lshlrev_b32_e32 v13, 2, v0
	v_mov_b32_e32 v6, 0
	s_branch .LBB153_15
.LBB153_14:                             ;   in Loop: Header=BB153_15 Depth=1
	s_or_b64 exec, exec, s[2:3]
	s_cmp_eq_u32 s12, s31
	v_add_u32_e32 v16, s30, v16
	s_cbranch_scc1 .LBB153_46
.LBB153_15:                             ; =>This Inner Loop Header: Depth=1
	ds_read_b128 v[18:21], v4
	s_waitcnt lgkmcnt(0)
	v_cmp_gt_f32_e32 vcc, v19, v18
	s_nop 1
	v_cndmask_b32_e32 v1, v18, v19, vcc
	v_cndmask_b32_e64 v0, 0, 1, vcc
	v_cmp_gt_f32_e32 vcc, v20, v1
	s_nop 1
	v_cndmask_b32_e32 v1, v1, v20, vcc
	v_cndmask_b32_e64 v0, v0, 2, vcc
	v_cmp_gt_f32_e32 vcc, v21, v1
	s_nop 1
	v_cndmask_b32_e64 v0, v0, 3, vcc
	v_cndmask_b32_e32 v17, v1, v21, vcc
	ds_bpermute_b32 v1, v8, v17
	v_or_b32_e32 v0, v5, v0
	ds_bpermute_b32 v18, v8, v0
	s_waitcnt lgkmcnt(1)
	v_cmp_lt_f32_e64 s[26:27], v17, v1
	v_cmp_nlt_f32_e32 vcc, v17, v1
	s_and_saveexec_b64 s[28:29], vcc
	s_cbranch_execz .LBB153_17
; %bb.16:                               ;   in Loop: Header=BB153_15 Depth=1
	v_cmp_eq_f32_e32 vcc, v17, v1
	s_waitcnt lgkmcnt(0)
	v_cmp_lt_i32_e64 s[2:3], v18, v0
	s_and_b64 s[2:3], vcc, s[2:3]
	s_andn2_b64 s[26:27], s[26:27], exec
	s_and_b64 s[2:3], s[2:3], exec
	s_or_b64 s[26:27], s[26:27], s[2:3]
.LBB153_17:                             ;   in Loop: Header=BB153_15 Depth=1
	s_or_b64 exec, exec, s[28:29]
	s_and_saveexec_b64 s[2:3], s[26:27]
	s_cbranch_execz .LBB153_19
; %bb.18:                               ;   in Loop: Header=BB153_15 Depth=1
	v_mov_b32_e32 v17, v1
	s_waitcnt lgkmcnt(0)
	v_mov_b32_e32 v0, v18
.LBB153_19:                             ;   in Loop: Header=BB153_15 Depth=1
	s_or_b64 exec, exec, s[2:3]
	ds_bpermute_b32 v1, v9, v17
	s_waitcnt lgkmcnt(1)
	ds_bpermute_b32 v18, v9, v0
	s_waitcnt lgkmcnt(1)
	v_cmp_lt_f32_e64 s[26:27], v17, v1
	v_cmp_nlt_f32_e32 vcc, v17, v1
	s_and_saveexec_b64 s[28:29], vcc
	s_cbranch_execz .LBB153_21
; %bb.20:                               ;   in Loop: Header=BB153_15 Depth=1
	v_cmp_eq_f32_e32 vcc, v17, v1
	s_waitcnt lgkmcnt(0)
	v_cmp_lt_i32_e64 s[2:3], v18, v0
	s_and_b64 s[2:3], vcc, s[2:3]
	s_andn2_b64 s[26:27], s[26:27], exec
	s_and_b64 s[2:3], s[2:3], exec
	s_or_b64 s[26:27], s[26:27], s[2:3]
.LBB153_21:                             ;   in Loop: Header=BB153_15 Depth=1
	s_or_b64 exec, exec, s[28:29]
	s_and_saveexec_b64 s[2:3], s[26:27]
	s_cbranch_execz .LBB153_23
; %bb.22:                               ;   in Loop: Header=BB153_15 Depth=1
	v_mov_b32_e32 v17, v1
	s_waitcnt lgkmcnt(0)
	v_mov_b32_e32 v0, v18
.LBB153_23:                             ;   in Loop: Header=BB153_15 Depth=1
	s_or_b64 exec, exec, s[2:3]
	ds_bpermute_b32 v1, v10, v17
	s_waitcnt lgkmcnt(1)
	;; [unrolled: 26-line block ×5, first 2 shown]
	ds_bpermute_b32 v18, v13, v0
	s_waitcnt lgkmcnt(1)
	v_cmp_lt_f32_e64 s[26:27], v17, v1
	v_cmp_nlt_f32_e32 vcc, v17, v1
	s_and_saveexec_b64 s[28:29], vcc
	s_cbranch_execnz .LBB153_38
; %bb.36:                               ;   in Loop: Header=BB153_15 Depth=1
	s_or_b64 exec, exec, s[28:29]
	s_and_saveexec_b64 s[2:3], s[26:27]
	s_cbranch_execnz .LBB153_39
.LBB153_37:                             ;   in Loop: Header=BB153_15 Depth=1
	s_or_b64 exec, exec, s[2:3]
	s_and_saveexec_b64 s[26:27], s[4:5]
	s_cbranch_execnz .LBB153_40
	s_branch .LBB153_43
.LBB153_38:                             ;   in Loop: Header=BB153_15 Depth=1
	v_cmp_eq_f32_e32 vcc, v17, v1
	s_waitcnt lgkmcnt(0)
	v_cmp_lt_i32_e64 s[2:3], v18, v0
	s_and_b64 s[2:3], vcc, s[2:3]
	s_andn2_b64 s[26:27], s[26:27], exec
	s_and_b64 s[2:3], s[2:3], exec
	s_or_b64 s[26:27], s[26:27], s[2:3]
	s_or_b64 exec, exec, s[28:29]
	s_and_saveexec_b64 s[2:3], s[26:27]
	s_cbranch_execz .LBB153_37
.LBB153_39:                             ;   in Loop: Header=BB153_15 Depth=1
	s_waitcnt lgkmcnt(0)
	v_mov_b32_e32 v0, v18
	v_mov_b32_e32 v17, v1
	s_or_b64 exec, exec, s[2:3]
	s_and_saveexec_b64 s[26:27], s[4:5]
	s_cbranch_execz .LBB153_43
.LBB153_40:                             ;   in Loop: Header=BB153_15 Depth=1
	s_and_b64 vcc, exec, s[0:1]
	s_cbranch_vccnz .LBB153_42
; %bb.41:                               ;   in Loop: Header=BB153_15 Depth=1
	v_ashrrev_i32_e32 v1, 31, v0
	s_waitcnt lgkmcnt(0)
	v_lshl_add_u64 v[18:19], v[0:1], 2, s[10:11]
	global_load_dword v1, v[18:19], off
	s_waitcnt vmcnt(0)
	v_sub_f32_e32 v17, v17, v1
.LBB153_42:                             ;   in Loop: Header=BB153_15 Depth=1
	s_waitcnt lgkmcnt(0)
	v_add_u32_e32 v18, s31, v7
	v_ashrrev_i32_e32 v19, 31, v18
	v_cmp_le_i32_e32 vcc, s13, v0
	v_cmp_gt_i32_e64 s[2:3], s14, v0
	v_lshlrev_b64 v[20:21], 2, v[18:19]
	s_and_b64 s[2:3], vcc, s[2:3]
	v_lshl_add_u64 v[22:23], s[20:21], 0, v[20:21]
	v_subrev_u32_e32 v1, s13, v0
	global_store_dword v[22:23], v17, off
	v_ashrrev_i32_e32 v22, 31, v1
	s_and_b64 vcc, s[22:23], s[2:3]
	v_cndmask_b32_e32 v23, 0, v22, vcc
	v_cndmask_b32_e32 v22, v15, v1, vcc
	v_lshl_add_u64 v[18:19], v[18:19], 3, s[16:17]
	v_add_f32_e32 v1, v6, v17
	global_store_dwordx2 v[18:19], v[22:23], off
	v_lshl_add_u64 v[18:19], s[18:19], 0, v[20:21]
	v_cndmask_b32_e64 v6, v6, v1, s[6:7]
	global_store_dword v[18:19], v16, off
.LBB153_43:                             ;   in Loop: Header=BB153_15 Depth=1
	s_or_b64 exec, exec, s[26:27]
	v_ashrrev_i32_e32 v1, 31, v0
	v_lshrrev_b32_e32 v17, 30, v1
	s_waitcnt lgkmcnt(0)
	v_add_u32_e32 v18, v0, v17
	v_ashrrev_i32_e32 v17, 2, v18
	v_ashrrev_i32_e32 v18, 31, v18
	v_lshrrev_b32_e32 v18, 26, v18
	v_add_u32_e32 v18, v17, v18
	s_add_i32 s31, s31, 1
	v_and_b32_e32 v18, 0xffffffc0, v18
	s_cmp_lt_i32 s31, s12
	v_sub_u32_e32 v18, v17, v18
	s_cselect_b64 s[2:3], -1, 0
	v_cmp_eq_u32_e32 vcc, v3, v18
	s_and_b64 s[26:27], s[2:3], vcc
	s_and_saveexec_b64 s[2:3], s[26:27]
	s_cbranch_execz .LBB153_14
; %bb.44:                               ;   in Loop: Header=BB153_15 Depth=1
	v_add_u32_sdwa v1, v0, v1 dst_sel:DWORD dst_unused:UNUSED_PAD src0_sel:DWORD src1_sel:BYTE_3
	v_lshlrev_b32_e32 v17, 2, v17
	v_ashrrev_i32_e32 v1, 8, v1
	v_sub_u32_e32 v0, v0, v17
	v_lshl_add_u32 v0, v1, 2, v0
	v_lshl_add_u32 v0, v0, 2, v4
	ds_write_b32 v0, v14
	s_branch .LBB153_14
.LBB153_45:
	v_mov_b32_e32 v6, 0
.LBB153_46:
	v_cmp_eq_u32_e32 vcc, 0, v3
	s_and_b64 exec, exec, vcc
	s_cbranch_execz .LBB153_59
; %bb.47:
	s_andn2_b64 vcc, exec, s[6:7]
	v_cvt_f32_f64_e32 v0, s[8:9]
	s_cbranch_vccnz .LBB153_49
; %bb.48:
	v_cmp_lt_f32_e32 vcc, 0, v6
	s_nop 1
	v_cndmask_b32_e32 v1, 1.0, v6, vcc
	v_div_scale_f32 v3, s[0:1], v1, v1, v0
	v_rcp_f32_e32 v4, v3
	s_nop 0
	v_fma_f32 v5, -v3, v4, 1.0
	v_fmac_f32_e32 v4, v5, v4
	v_div_scale_f32 v5, vcc, v0, v1, v0
	v_mul_f32_e32 v6, v5, v4
	v_fma_f32 v7, -v3, v6, v5
	v_fmac_f32_e32 v6, v7, v4
	v_fma_f32 v3, -v3, v6, v5
	v_div_fmas_f32 v3, v3, v4, v6
	v_div_fixup_f32 v0, v3, v1, v0
.LBB153_49:
	s_andn2_b64 vcc, exec, s[24:25]
	s_cbranch_vccnz .LBB153_59
; %bb.50:
	v_mul_lo_u32 v2, v2, s12
	s_cmp_gt_u32 s12, 3
	v_ashrrev_i32_e32 v3, 31, v2
	s_cbranch_scc0 .LBB153_54
; %bb.51:
	s_and_b32 s0, s12, 0x7ffffffc
	v_lshl_add_u64 v[4:5], v[2:3], 2, s[20:21]
	v_mov_b32_e32 v1, v0
	v_lshl_add_u64 v[4:5], v[4:5], 0, 8
	s_mov_b32 s1, s0
.LBB153_52:                             ; =>This Inner Loop Header: Depth=1
	global_load_dwordx4 v[6:9], v[4:5], off offset:-8
	s_add_i32 s1, s1, -4
	s_cmp_lg_u32 s1, 0
	s_waitcnt vmcnt(0)
	v_pk_mul_f32 v[6:7], v[0:1], v[6:7]
	v_pk_mul_f32 v[8:9], v[0:1], v[8:9]
	global_store_dwordx4 v[4:5], v[6:9], off offset:-8
	v_lshl_add_u64 v[4:5], v[4:5], 0, 16
	s_cbranch_scc1 .LBB153_52
; %bb.53:
	s_cmp_lg_u32 s0, s12
	s_cselect_b64 s[2:3], -1, 0
	s_branch .LBB153_56
.LBB153_54:
	s_mov_b64 s[2:3], 0
                                        ; implicit-def: $sgpr0
	s_cbranch_execz .LBB153_56
; %bb.55:
	s_mov_b64 s[2:3], -1
	s_mov_b32 s0, 0
.LBB153_56:
	s_andn2_b64 vcc, exec, s[2:3]
	s_cbranch_vccnz .LBB153_59
; %bb.57:
	s_mov_b32 s1, 0
	v_lshl_add_u64 v[2:3], v[2:3], 0, s[0:1]
	s_sub_i32 s2, s12, s0
	v_lshl_add_u64 v[2:3], v[2:3], 2, s[20:21]
.LBB153_58:                             ; =>This Inner Loop Header: Depth=1
	global_load_dword v1, v[2:3], off
	s_add_i32 s2, s2, -1
	s_cmp_lg_u32 s2, 0
	s_waitcnt vmcnt(0)
	v_mul_f32_e32 v1, v0, v1
	global_store_dword v[2:3], v1, off
	v_lshl_add_u64 v[2:3], v[2:3], 0, 4
	s_cbranch_scc1 .LBB153_58
.LBB153_59:
	s_endpgm
	.section	.rodata,"a",@progbits
	.p2align	6, 0x0
	.amdhsa_kernel _ZN4vllm3moe22topkGatingSoftplusSqrtILi4ELi256ELi4ELi16ELi64ELb0ElfEEvPKT6_PKbPfiPT5_PiiiibdPKfPKS8_SE_
		.amdhsa_group_segment_fixed_size 4096
		.amdhsa_private_segment_fixed_size 0
		.amdhsa_kernarg_size 96
		.amdhsa_user_sgpr_count 4
		.amdhsa_user_sgpr_dispatch_ptr 1
		.amdhsa_user_sgpr_queue_ptr 0
		.amdhsa_user_sgpr_kernarg_segment_ptr 1
		.amdhsa_user_sgpr_dispatch_id 0
		.amdhsa_user_sgpr_kernarg_preload_length 0
		.amdhsa_user_sgpr_kernarg_preload_offset 0
		.amdhsa_user_sgpr_private_segment_size 0
		.amdhsa_uses_dynamic_stack 0
		.amdhsa_enable_private_segment 0
		.amdhsa_system_sgpr_workgroup_id_x 1
		.amdhsa_system_sgpr_workgroup_id_y 0
		.amdhsa_system_sgpr_workgroup_id_z 0
		.amdhsa_system_sgpr_workgroup_info 0
		.amdhsa_system_vgpr_workitem_id 2
		.amdhsa_next_free_vgpr 24
		.amdhsa_next_free_sgpr 32
		.amdhsa_accum_offset 24
		.amdhsa_reserve_vcc 1
		.amdhsa_float_round_mode_32 0
		.amdhsa_float_round_mode_16_64 0
		.amdhsa_float_denorm_mode_32 3
		.amdhsa_float_denorm_mode_16_64 3
		.amdhsa_dx10_clamp 1
		.amdhsa_ieee_mode 1
		.amdhsa_fp16_overflow 0
		.amdhsa_tg_split 0
		.amdhsa_exception_fp_ieee_invalid_op 0
		.amdhsa_exception_fp_denorm_src 0
		.amdhsa_exception_fp_ieee_div_zero 0
		.amdhsa_exception_fp_ieee_overflow 0
		.amdhsa_exception_fp_ieee_underflow 0
		.amdhsa_exception_fp_ieee_inexact 0
		.amdhsa_exception_int_div_zero 0
	.end_amdhsa_kernel
	.section	.text._ZN4vllm3moe22topkGatingSoftplusSqrtILi4ELi256ELi4ELi16ELi64ELb0ElfEEvPKT6_PKbPfiPT5_PiiiibdPKfPKS8_SE_,"axG",@progbits,_ZN4vllm3moe22topkGatingSoftplusSqrtILi4ELi256ELi4ELi16ELi64ELb0ElfEEvPKT6_PKbPfiPT5_PiiiibdPKfPKS8_SE_,comdat
.Lfunc_end153:
	.size	_ZN4vllm3moe22topkGatingSoftplusSqrtILi4ELi256ELi4ELi16ELi64ELb0ElfEEvPKT6_PKbPfiPT5_PiiiibdPKfPKS8_SE_, .Lfunc_end153-_ZN4vllm3moe22topkGatingSoftplusSqrtILi4ELi256ELi4ELi16ELi64ELb0ElfEEvPKT6_PKbPfiPT5_PiiiibdPKfPKS8_SE_
                                        ; -- End function
	.section	.AMDGPU.csdata,"",@progbits
; Kernel info:
; codeLenInByte = 3128
; NumSgprs: 38
; NumVgprs: 24
; NumAgprs: 0
; TotalNumVgprs: 24
; ScratchSize: 0
; MemoryBound: 0
; FloatMode: 240
; IeeeMode: 1
; LDSByteSize: 4096 bytes/workgroup (compile time only)
; SGPRBlocks: 4
; VGPRBlocks: 2
; NumSGPRsForWavesPerEU: 38
; NumVGPRsForWavesPerEU: 24
; AccumOffset: 24
; Occupancy: 8
; WaveLimiterHint : 0
; COMPUTE_PGM_RSRC2:SCRATCH_EN: 0
; COMPUTE_PGM_RSRC2:USER_SGPR: 4
; COMPUTE_PGM_RSRC2:TRAP_HANDLER: 0
; COMPUTE_PGM_RSRC2:TGID_X_EN: 1
; COMPUTE_PGM_RSRC2:TGID_Y_EN: 0
; COMPUTE_PGM_RSRC2:TGID_Z_EN: 0
; COMPUTE_PGM_RSRC2:TIDIG_COMP_CNT: 2
; COMPUTE_PGM_RSRC3_GFX90A:ACCUM_OFFSET: 5
; COMPUTE_PGM_RSRC3_GFX90A:TG_SPLIT: 0
	.section	.text._ZN4vllm3moe22topkGatingSoftplusSqrtILi8ELi256ELi4ELi16ELi32ELb1ElfEEvPKT6_PKbPfiPT5_PiiiibdPKfPKS8_SE_,"axG",@progbits,_ZN4vllm3moe22topkGatingSoftplusSqrtILi8ELi256ELi4ELi16ELi32ELb1ElfEEvPKT6_PKbPfiPT5_PiiiibdPKfPKS8_SE_,comdat
	.protected	_ZN4vllm3moe22topkGatingSoftplusSqrtILi8ELi256ELi4ELi16ELi32ELb1ElfEEvPKT6_PKbPfiPT5_PiiiibdPKfPKS8_SE_ ; -- Begin function _ZN4vllm3moe22topkGatingSoftplusSqrtILi8ELi256ELi4ELi16ELi32ELb1ElfEEvPKT6_PKbPfiPT5_PiiiibdPKfPKS8_SE_
	.globl	_ZN4vllm3moe22topkGatingSoftplusSqrtILi8ELi256ELi4ELi16ELi32ELb1ElfEEvPKT6_PKbPfiPT5_PiiiibdPKfPKS8_SE_
	.p2align	8
	.type	_ZN4vllm3moe22topkGatingSoftplusSqrtILi8ELi256ELi4ELi16ELi32ELb1ElfEEvPKT6_PKbPfiPT5_PiiiibdPKfPKS8_SE_,@function
_ZN4vllm3moe22topkGatingSoftplusSqrtILi8ELi256ELi4ELi16ELi32ELb1ElfEEvPKT6_PKbPfiPT5_PiiiibdPKfPKS8_SE_: ; @_ZN4vllm3moe22topkGatingSoftplusSqrtILi8ELi256ELi4ELi16ELi32ELb1ElfEEvPKT6_PKbPfiPT5_PiiiibdPKfPKS8_SE_
; %bb.0:
	s_load_dword s3, s[0:1], 0x18
	v_and_b32_e32 v1, 0x3ff, v0
	s_lshl_b32 s2, s2, 2
	v_lshrrev_b32_e32 v2, 5, v1
	v_bfe_u32 v0, v0, 10, 10
	v_add3_u32 v6, s2, v0, v2
	s_waitcnt lgkmcnt(0)
	v_cmp_gt_i32_e32 vcc, s3, v6
	s_and_saveexec_b64 s[2:3], vcc
	s_cbranch_execz .LBB154_31
; %bb.1:
	s_load_dwordx4 s[8:11], s[0:1], 0x50
	s_load_dwordx2 s[2:3], s[0:1], 0x0
	s_load_dword s12, s[0:1], 0x30
	v_lshlrev_b32_e32 v2, 8, v6
	v_lshlrev_b32_e32 v0, 2, v1
	s_waitcnt lgkmcnt(0)
	v_mov_b32_e32 v8, s8
	v_mov_b32_e32 v9, s9
	v_ashrrev_i32_e32 v3, 31, v2
	v_and_b32_e32 v12, 0x7c, v0
	v_ashrrev_i32_e32 v7, 31, v6
	v_lshl_add_u64 v[2:3], v[2:3], 2, s[2:3]
	v_lshlrev_b32_e32 v4, 2, v12
	v_mov_b32_e32 v5, 0
	v_lshl_add_u64 v[0:1], v[6:7], 3, v[8:9]
	global_load_dwordx2 v[8:9], v[0:1], off
	v_lshl_add_u64 v[0:1], v[2:3], 0, v[4:5]
	global_load_dwordx4 v[14:17], v[0:1], off
	s_mov_b32 s23, 0x800000
	global_load_dwordx4 v[0:3], v[0:1], off offset:512
	s_ashr_i32 s13, s12, 31
	v_mov_b32_e32 v7, 0x4f800000
	s_mov_b32 s21, 0x3f317217
	s_mov_b32 s22, 0x7f800000
	v_mov_b32_e32 v13, 0x41b17218
	s_mov_b32 s17, 0x41a00000
	s_mov_b32 s20, 0xf800000
	v_mov_b32_e32 v20, 0x260
	v_cmp_lt_i64_e64 s[18:19], s[12:13], 1
	v_mov_b32_e32 v4, 0
	s_mov_b32 s16, 0
	v_cmp_gt_i64_e64 s[14:15], s[12:13], 0
	s_waitcnt vmcnt(2)
	v_mul_lo_u32 v21, v9, s12
	v_mul_lo_u32 v22, v8, s13
	s_waitcnt vmcnt(1)
	v_mul_f32_e32 v9, 0x3fb8aa3b, v14
	v_mul_f32_e32 v11, 0x3fb8aa3b, v15
	v_exp_f32_e32 v10, v9
	v_exp_f32_e32 v11, v11
	v_mul_f32_e32 v18, 0x3fb8aa3b, v16
	v_mul_f32_e32 v19, 0x3fb8aa3b, v17
	v_exp_f32_e32 v18, v18
	v_pk_add_f32 v[10:11], v[10:11], 1.0 op_sel_hi:[1,0]
	v_exp_f32_e32 v19, v19
	v_mad_u64_u32 v[8:9], s[2:3], v8, s12, 0
	v_cmp_gt_f32_e32 vcc, s23, v11
	v_add3_u32 v9, v9, v22, v21
	v_cmp_gt_f32_e64 s[2:3], s23, v10
	v_cndmask_b32_e32 v21, 1.0, v7, vcc
	v_mul_f32_e32 v11, v11, v21
	v_cndmask_b32_e64 v22, 1.0, v7, s[2:3]
	v_mul_f32_e32 v10, v10, v22
	v_log_f32_e32 v11, v11
	v_pk_add_f32 v[18:19], v[18:19], 1.0 op_sel_hi:[1,0]
	v_log_f32_e32 v10, v10
	v_cmp_gt_f32_e64 s[4:5], s23, v19
	v_cmp_gt_f32_e64 s[6:7], s23, v18
	v_cndmask_b32_e32 v21, 0, v13, vcc
	v_cndmask_b32_e64 v23, 1.0, v7, s[4:5]
	v_cndmask_b32_e64 v24, 1.0, v7, s[6:7]
	v_mul_f32_e32 v19, v19, v23
	v_mul_f32_e32 v23, 0x3f317217, v11
	;; [unrolled: 1-line block ×4, first 2 shown]
	v_fma_f32 v23, v11, s21, -v23
	v_fma_f32 v24, v10, s21, -v24
	v_fmac_f32_e32 v23, 0x3377d1cf, v11
	v_fmac_f32_e32 v24, 0x3377d1cf, v10
	;; [unrolled: 1-line block ×3, first 2 shown]
	v_cmp_lt_f32_e64 vcc, |v11|, s22
	v_fmac_f32_e32 v24, 0x3f317217, v10
	v_cndmask_b32_e64 v22, 0, v13, s[2:3]
	v_cndmask_b32_e32 v11, v11, v23, vcc
	v_cmp_lt_f32_e64 vcc, |v10|, s22
	v_sub_f32_e32 v11, v11, v21
	v_log_f32_e32 v19, v19
	v_cndmask_b32_e32 v10, v10, v24, vcc
	v_sub_f32_e32 v10, v10, v22
	v_cmp_lt_f32_e32 vcc, s17, v14
	v_mul_f32_e32 v25, 0x3f317217, v19
	v_log_f32_e32 v18, v18
	v_cndmask_b32_e32 v10, v10, v14, vcc
	v_cmp_lt_f32_e32 vcc, s17, v15
	v_cmp_gt_f32_e64 s[2:3], s20, v10
	v_fma_f32 v25, v19, s21, -v25
	v_cndmask_b32_e32 v11, v11, v15, vcc
	v_mul_f32_e32 v14, 0x4f800000, v11
	v_cmp_gt_f32_e32 vcc, s20, v11
	v_mul_f32_e32 v15, 0x4f800000, v10
	v_cndmask_b32_e64 v10, v10, v15, s[2:3]
	v_cndmask_b32_e32 v11, v11, v14, vcc
	v_sqrt_f32_e32 v14, v11
	v_sqrt_f32_e32 v15, v10
	v_fmac_f32_e32 v25, 0x3377d1cf, v19
	v_fmac_f32_e32 v25, 0x3f317217, v19
	v_add_u32_e32 v21, -1, v14
	v_add_u32_e32 v23, -1, v15
	v_fma_f32 v26, -v21, v14, v11
	v_add_u32_e32 v22, 1, v14
	v_fma_f32 v28, -v23, v15, v10
	v_cmp_ge_f32_e64 s[8:9], 0, v26
	v_add_u32_e32 v24, 1, v15
	v_fma_f32 v27, -v22, v14, v11
	v_cndmask_b32_e64 v14, v14, v21, s[8:9]
	v_cmp_ge_f32_e64 s[8:9], 0, v28
	v_fma_f32 v29, -v24, v15, v10
	s_nop 0
	v_cndmask_b32_e64 v15, v15, v23, s[8:9]
	v_cmp_lt_f32_e64 s[8:9], 0, v27
	s_nop 1
	v_cndmask_b32_e64 v14, v14, v22, s[8:9]
	v_cmp_lt_f32_e64 s[8:9], 0, v29
	v_mul_f32_e32 v21, 0x37800000, v14
	v_cndmask_b32_e32 v14, v14, v21, vcc
	v_cndmask_b32_e64 v15, v15, v24, s[8:9]
	v_mul_f32_e32 v22, 0x37800000, v15
	v_cmp_class_f32_e32 vcc, v11, v20
	v_cndmask_b32_e64 v21, v15, v22, s[2:3]
	v_cmp_lt_f32_e64 s[2:3], s17, v16
	v_cndmask_b32_e32 v15, v14, v11, vcc
	v_cmp_class_f32_e32 vcc, v10, v20
	v_cndmask_b32_e64 v11, 0, v13, s[4:5]
	s_nop 0
	v_cndmask_b32_e32 v14, v21, v10, vcc
	v_cmp_lt_f32_e64 vcc, |v19|, s22
	s_nop 1
	v_cndmask_b32_e32 v10, v19, v25, vcc
	v_sub_f32_e32 v10, v10, v11
	v_mul_f32_e32 v11, 0x3f317217, v18
	v_fma_f32 v11, v18, s21, -v11
	v_fmac_f32_e32 v11, 0x3377d1cf, v18
	v_fmac_f32_e32 v11, 0x3f317217, v18
	v_cmp_lt_f32_e64 vcc, |v18|, s22
	s_nop 1
	v_cndmask_b32_e32 v11, v18, v11, vcc
	v_cmp_lt_f32_e32 vcc, s17, v17
	v_cndmask_b32_e64 v18, 0, v13, s[6:7]
	v_sub_f32_e32 v11, v11, v18
	v_cndmask_b32_e32 v10, v10, v17, vcc
	v_mul_f32_e32 v17, 0x4f800000, v10
	v_cmp_gt_f32_e32 vcc, s20, v10
	v_cndmask_b32_e64 v11, v11, v16, s[2:3]
	s_nop 0
	v_cndmask_b32_e32 v10, v10, v17, vcc
	v_sqrt_f32_e32 v17, v10
	s_nop 0
	v_add_u32_e32 v16, -1, v17
	v_fma_f32 v18, -v16, v17, v10
	v_cmp_ge_f32_e64 s[2:3], 0, v18
	v_add_u32_e32 v18, 1, v17
	s_nop 0
	v_cndmask_b32_e64 v16, v17, v16, s[2:3]
	v_fma_f32 v17, -v18, v17, v10
	v_cmp_lt_f32_e64 s[2:3], 0, v17
	s_nop 1
	v_cndmask_b32_e64 v16, v16, v18, s[2:3]
	v_mul_f32_e32 v18, 0x4f800000, v11
	v_cmp_gt_f32_e64 s[2:3], s20, v11
	v_mul_f32_e32 v17, 0x37800000, v16
	v_cndmask_b32_e32 v16, v16, v17, vcc
	v_cndmask_b32_e64 v18, v11, v18, s[2:3]
	v_sqrt_f32_e32 v11, v18
	v_cmp_class_f32_e32 vcc, v10, v20
	v_add_u32_e32 v19, 1, v11
	s_nop 0
	v_cndmask_b32_e32 v17, v16, v10, vcc
	v_add_u32_e32 v10, -1, v11
	v_fma_f32 v16, -v10, v11, v18
	v_cmp_ge_f32_e32 vcc, 0, v16
	v_fma_f32 v21, -v19, v11, v18
	s_nop 0
	v_cndmask_b32_e32 v16, v11, v10, vcc
	s_waitcnt vmcnt(0)
	v_mul_f32_e32 v10, 0x3fb8aa3b, v0
	v_mul_f32_e32 v11, 0x3fb8aa3b, v1
	v_exp_f32_e32 v10, v10
	v_exp_f32_e32 v11, v11
	v_cmp_lt_f32_e32 vcc, 0, v21
	v_pk_add_f32 v[10:11], v[10:11], 1.0 op_sel_hi:[1,0]
	s_nop 0
	v_cndmask_b32_e32 v16, v16, v19, vcc
	v_mul_f32_e32 v19, 0x37800000, v16
	v_cmp_gt_f32_e32 vcc, s23, v11
	v_cndmask_b32_e64 v16, v16, v19, s[2:3]
	v_cmp_class_f32_e64 s[2:3], v18, v20
	v_cndmask_b32_e32 v19, 1.0, v7, vcc
	v_mul_f32_e32 v11, v11, v19
	v_log_f32_e32 v11, v11
	v_cndmask_b32_e64 v16, v16, v18, s[2:3]
	v_cmp_gt_f32_e64 s[2:3], s23, v10
	scratch_store_dwordx4 off, v[14:17], off
	v_cmp_lt_f32_e64 s[4:5], |v11|, s22
	s_nop 0
	v_cndmask_b32_e64 v15, 1.0, v7, s[2:3]
	v_mul_f32_e32 v14, 0x3f317217, v11
	v_mul_f32_e32 v10, v10, v15
	v_fma_f32 v14, v11, s21, -v14
	v_log_f32_e32 v10, v10
	v_fmac_f32_e32 v14, 0x3377d1cf, v11
	v_fmac_f32_e32 v14, 0x3f317217, v11
	v_cndmask_b32_e64 v11, v11, v14, s[4:5]
	v_cndmask_b32_e32 v14, 0, v13, vcc
	v_sub_f32_e32 v11, v11, v14
	v_mul_f32_e32 v14, 0x3f317217, v10
	v_fma_f32 v14, v10, s21, -v14
	v_fmac_f32_e32 v14, 0x3377d1cf, v10
	v_fmac_f32_e32 v14, 0x3f317217, v10
	v_cmp_lt_f32_e64 vcc, |v10|, s22
	s_nop 1
	v_cndmask_b32_e32 v10, v10, v14, vcc
	v_cmp_lt_f32_e32 vcc, s17, v1
	v_cndmask_b32_e64 v14, 0, v13, s[2:3]
	v_sub_f32_e32 v10, v10, v14
	v_cndmask_b32_e32 v1, v11, v1, vcc
	v_mul_f32_e32 v11, 0x4f800000, v1
	v_cmp_gt_f32_e32 vcc, s20, v1
	v_cmp_lt_f32_e64 s[2:3], s17, v0
	s_nop 0
	v_cndmask_b32_e32 v1, v1, v11, vcc
	v_sqrt_f32_e32 v11, v1
	v_cndmask_b32_e64 v0, v10, v0, s[2:3]
	v_add_u32_e32 v10, -1, v11
	v_fma_f32 v14, -v10, v11, v1
	v_cmp_ge_f32_e64 s[2:3], 0, v14
	v_add_u32_e32 v14, 1, v11
	s_nop 0
	v_cndmask_b32_e64 v10, v11, v10, s[2:3]
	v_fma_f32 v11, -v14, v11, v1
	v_cmp_lt_f32_e64 s[2:3], 0, v11
	s_nop 1
	v_cndmask_b32_e64 v10, v10, v14, s[2:3]
	v_mul_f32_e32 v14, 0x4f800000, v0
	v_cmp_gt_f32_e64 s[2:3], s20, v0
	v_mul_f32_e32 v11, 0x37800000, v10
	v_cndmask_b32_e32 v10, v10, v11, vcc
	v_cndmask_b32_e64 v0, v0, v14, s[2:3]
	v_sqrt_f32_e32 v14, v0
	v_cmp_class_f32_e32 vcc, v1, v20
	v_add_u32_e32 v16, 1, v14
	s_nop 0
	v_cndmask_b32_e32 v1, v10, v1, vcc
	v_add_u32_e32 v10, -1, v14
	v_fma_f32 v11, -v10, v14, v0
	v_cmp_ge_f32_e32 vcc, 0, v11
	v_mul_f32_e32 v11, 0x3fb8aa3b, v3
	v_exp_f32_e32 v11, v11
	v_cndmask_b32_e32 v15, v14, v10, vcc
	v_mul_f32_e32 v10, 0x3fb8aa3b, v2
	v_exp_f32_e32 v10, v10
	v_fma_f32 v14, -v16, v14, v0
	v_cmp_lt_f32_e32 vcc, 0, v14
	v_pk_add_f32 v[10:11], v[10:11], 1.0 op_sel_hi:[1,0]
	s_nop 0
	v_cndmask_b32_e32 v14, v15, v16, vcc
	v_cmp_gt_f32_e32 vcc, s23, v11
	v_mul_f32_e32 v15, 0x37800000, v14
	v_cndmask_b32_e64 v14, v14, v15, s[2:3]
	v_cndmask_b32_e32 v16, 1.0, v7, vcc
	v_mul_f32_e32 v11, v11, v16
	v_log_f32_e32 v11, v11
	v_cmp_class_f32_e64 s[2:3], v0, v20
	v_cmp_lt_f32_e64 s[4:5], |v11|, s22
	s_nop 0
	v_cndmask_b32_e64 v0, v14, v0, s[2:3]
	v_cmp_gt_f32_e64 s[2:3], s23, v10
	v_mul_f32_e32 v14, 0x3f317217, v11
	v_fma_f32 v14, v11, s21, -v14
	v_cndmask_b32_e64 v7, 1.0, v7, s[2:3]
	v_mul_f32_e32 v7, v10, v7
	v_log_f32_e32 v7, v7
	v_fmac_f32_e32 v14, 0x3377d1cf, v11
	v_fmac_f32_e32 v14, 0x3f317217, v11
	v_cndmask_b32_e64 v10, v11, v14, s[4:5]
	v_cndmask_b32_e32 v11, 0, v13, vcc
	v_sub_f32_e32 v10, v10, v11
	v_mul_f32_e32 v11, 0x3f317217, v7
	v_fma_f32 v11, v7, s21, -v11
	v_fmac_f32_e32 v11, 0x3377d1cf, v7
	v_fmac_f32_e32 v11, 0x3f317217, v7
	v_cmp_lt_f32_e64 vcc, |v7|, s22
	s_nop 1
	v_cndmask_b32_e32 v7, v7, v11, vcc
	v_cmp_lt_f32_e32 vcc, s17, v3
	v_cndmask_b32_e64 v11, 0, v13, s[2:3]
	v_sub_f32_e32 v7, v7, v11
	v_cndmask_b32_e32 v3, v10, v3, vcc
	v_mul_f32_e32 v10, 0x4f800000, v3
	v_cmp_gt_f32_e32 vcc, s20, v3
	v_cmp_lt_f32_e64 s[2:3], s17, v2
	s_nop 0
	v_cndmask_b32_e32 v3, v3, v10, vcc
	v_sqrt_f32_e32 v10, v3
	v_cndmask_b32_e64 v2, v7, v2, s[2:3]
	v_add_u32_e32 v7, -1, v10
	v_fma_f32 v11, -v7, v10, v3
	v_cmp_ge_f32_e64 s[2:3], 0, v11
	v_add_u32_e32 v11, 1, v10
	s_nop 0
	v_cndmask_b32_e64 v7, v10, v7, s[2:3]
	v_fma_f32 v10, -v11, v10, v3
	v_cmp_lt_f32_e64 s[2:3], 0, v10
	s_nop 1
	v_cndmask_b32_e64 v7, v7, v11, s[2:3]
	v_mul_f32_e32 v11, 0x4f800000, v2
	v_cmp_gt_f32_e64 s[2:3], s20, v2
	v_mul_f32_e32 v10, 0x37800000, v7
	v_cndmask_b32_e32 v7, v7, v10, vcc
	v_cndmask_b32_e64 v2, v2, v11, s[2:3]
	v_sqrt_f32_e32 v11, v2
	v_cmp_class_f32_e32 vcc, v3, v20
	s_nop 1
	v_cndmask_b32_e32 v3, v7, v3, vcc
	v_add_u32_e32 v7, -1, v11
	v_fma_f32 v10, -v7, v11, v2
	v_cmp_ge_f32_e32 vcc, 0, v10
	v_add_u32_e32 v10, 1, v11
	s_nop 0
	v_cndmask_b32_e32 v7, v11, v7, vcc
	v_fma_f32 v11, -v10, v11, v2
	v_cmp_lt_f32_e32 vcc, 0, v11
	s_nop 1
	v_cndmask_b32_e32 v7, v7, v10, vcc
	v_mul_f32_e32 v10, 0x37800000, v7
	v_cndmask_b32_e64 v7, v7, v10, s[2:3]
	v_cmp_class_f32_e32 vcc, v2, v20
	s_nop 1
	v_cndmask_b32_e32 v2, v7, v2, vcc
	scratch_store_dwordx4 off, v[0:3], off offset:16
	s_and_b64 vcc, exec, s[18:19]
	s_nop 0
	v_lshl_add_u64 v[2:3], v[8:9], 3, s[10:11]
	v_mul_lo_u32 v0, v6, s12
	s_cbranch_vccnz .LBB154_28
; %bb.2:
	s_load_dwordx2 s[4:5], s[0:1], 0x20
	s_cmp_lt_u32 s12, 4
	s_cbranch_scc1 .LBB154_21
; %bb.3:
	s_mov_b32 s7, 0
	s_and_b32 s16, s12, 0x7ffffffc
	v_ashrrev_i32_e32 v1, 31, v0
	v_mov_b32_e32 v5, 0
	s_mov_b32 s6, s7
	s_branch .LBB154_5
.LBB154_4:                              ;   in Loop: Header=BB154_5 Depth=1
	s_or_b64 exec, exec, s[8:9]
	s_add_i32 s6, s6, 4
	s_cmp_eq_u32 s6, s16
	s_cbranch_scc1 .LBB154_21
.LBB154_5:                              ; =>This Loop Header: Depth=1
                                        ;     Child Loop BB154_7 Depth 2
                                        ;     Child Loop BB154_11 Depth 2
	;; [unrolled: 1-line block ×4, first 2 shown]
	v_lshl_add_u64 v[6:7], s[6:7], 3, v[2:3]
	global_load_dwordx2 v[8:9], v[6:7], off
	v_add_u32_e32 v10, s6, v0
	v_ashrrev_i32_e32 v11, 31, v10
	v_mov_b32_e32 v13, 0
	s_mov_b64 s[8:9], 0
	s_mov_b32 s13, 0
	s_waitcnt lgkmcnt(0)
	v_lshl_add_u64 v[10:11], v[10:11], 3, s[4:5]
	s_mov_b32 s17, 0
	s_waitcnt vmcnt(0)
	v_ashrrev_i32_e32 v9, 31, v8
	s_branch .LBB154_7
.LBB154_6:                              ;   in Loop: Header=BB154_7 Depth=2
	s_or_b64 exec, exec, s[10:11]
	s_add_i32 s18, s17, 1
	s_cmp_gt_u32 s17, 6
	s_cselect_b64 s[2:3], -1, 0
	s_xor_b64 s[10:11], vcc, -1
	s_or_b64 s[2:3], s[10:11], s[2:3]
	s_add_i32 s13, s13, 32
	s_and_b64 s[2:3], exec, s[2:3]
	v_add_u32_e32 v13, 4, v13
	s_or_b64 s[8:9], s[2:3], s[8:9]
	s_mov_b32 s17, s18
	s_andn2_b64 exec, exec, s[8:9]
	s_cbranch_execz .LBB154_9
.LBB154_7:                              ;   Parent Loop BB154_5 Depth=1
                                        ; =>  This Inner Loop Header: Depth=2
	s_and_b32 s2, s17, 3
	s_and_b32 s3, s13, 0x80
	s_or_b32 s2, s2, s3
	v_or_b32_e32 v14, s2, v12
	v_cmp_ne_u32_e32 vcc, v14, v8
	v_cmp_eq_u32_e64 s[2:3], v14, v8
	s_and_saveexec_b64 s[10:11], s[2:3]
	s_cbranch_execz .LBB154_6
; %bb.8:                                ;   in Loop: Header=BB154_7 Depth=2
	scratch_load_dword v14, v13, off
	s_waitcnt vmcnt(0)
	v_add_f32_e32 v5, v5, v14
	global_store_dwordx2 v[10:11], v[8:9], off
	s_branch .LBB154_6
.LBB154_9:                              ;   in Loop: Header=BB154_5 Depth=1
	s_or_b64 exec, exec, s[8:9]
	global_load_dwordx2 v[10:11], v[6:7], off offset:8
	s_ashr_i32 s3, s6, 31
	s_mov_b32 s2, s6
	v_lshl_add_u64 v[8:9], s[2:3], 0, v[0:1]
	v_mov_b32_e32 v13, 0
	s_mov_b32 s13, 0
	s_mov_b64 s[8:9], 0
	v_lshl_add_u64 v[8:9], v[8:9], 3, s[4:5]
	s_mov_b32 s17, 0
	s_waitcnt vmcnt(0)
	v_ashrrev_i32_e32 v11, 31, v10
	s_branch .LBB154_11
.LBB154_10:                             ;   in Loop: Header=BB154_11 Depth=2
	s_or_b64 exec, exec, s[10:11]
	s_add_i32 s18, s17, 1
	s_cmp_gt_u32 s17, 6
	s_cselect_b64 s[2:3], -1, 0
	s_xor_b64 s[10:11], vcc, -1
	s_or_b64 s[2:3], s[10:11], s[2:3]
	s_add_i32 s13, s13, 32
	s_and_b64 s[2:3], exec, s[2:3]
	v_add_u32_e32 v13, 4, v13
	s_or_b64 s[8:9], s[2:3], s[8:9]
	s_mov_b32 s17, s18
	s_andn2_b64 exec, exec, s[8:9]
	s_cbranch_execz .LBB154_13
.LBB154_11:                             ;   Parent Loop BB154_5 Depth=1
                                        ; =>  This Inner Loop Header: Depth=2
	s_and_b32 s2, s17, 3
	s_and_b32 s3, s13, 0x80
	s_or_b32 s2, s2, s3
	v_or_b32_e32 v14, s2, v12
	v_cmp_ne_u32_e32 vcc, v14, v10
	v_cmp_eq_u32_e64 s[2:3], v14, v10
	s_and_saveexec_b64 s[10:11], s[2:3]
	s_cbranch_execz .LBB154_10
; %bb.12:                               ;   in Loop: Header=BB154_11 Depth=2
	scratch_load_dword v14, v13, off
	s_waitcnt vmcnt(0)
	v_add_f32_e32 v5, v5, v14
	global_store_dwordx2 v[8:9], v[10:11], off offset:8
	s_branch .LBB154_10
.LBB154_13:                             ;   in Loop: Header=BB154_5 Depth=1
	s_or_b64 exec, exec, s[8:9]
	global_load_dwordx2 v[10:11], v[6:7], off offset:16
	v_mov_b32_e32 v13, 0
	s_mov_b32 s13, 0
	s_mov_b64 s[8:9], 0
	s_mov_b32 s17, 0
	s_waitcnt vmcnt(0)
	v_ashrrev_i32_e32 v11, 31, v10
	s_branch .LBB154_15
.LBB154_14:                             ;   in Loop: Header=BB154_15 Depth=2
	s_or_b64 exec, exec, s[10:11]
	s_add_i32 s18, s17, 1
	s_cmp_gt_u32 s17, 6
	s_cselect_b64 s[2:3], -1, 0
	s_xor_b64 s[10:11], vcc, -1
	s_or_b64 s[2:3], s[10:11], s[2:3]
	s_add_i32 s13, s13, 32
	s_and_b64 s[2:3], exec, s[2:3]
	v_add_u32_e32 v13, 4, v13
	s_or_b64 s[8:9], s[2:3], s[8:9]
	s_mov_b32 s17, s18
	s_andn2_b64 exec, exec, s[8:9]
	s_cbranch_execz .LBB154_17
.LBB154_15:                             ;   Parent Loop BB154_5 Depth=1
                                        ; =>  This Inner Loop Header: Depth=2
	s_and_b32 s2, s17, 3
	s_and_b32 s3, s13, 0x80
	s_or_b32 s2, s2, s3
	v_or_b32_e32 v14, s2, v12
	v_cmp_ne_u32_e32 vcc, v14, v10
	v_cmp_eq_u32_e64 s[2:3], v14, v10
	s_and_saveexec_b64 s[10:11], s[2:3]
	s_cbranch_execz .LBB154_14
; %bb.16:                               ;   in Loop: Header=BB154_15 Depth=2
	scratch_load_dword v14, v13, off
	s_waitcnt vmcnt(0)
	v_add_f32_e32 v5, v5, v14
	global_store_dwordx2 v[8:9], v[10:11], off offset:16
	s_branch .LBB154_14
.LBB154_17:                             ;   in Loop: Header=BB154_5 Depth=1
	s_or_b64 exec, exec, s[8:9]
	global_load_dwordx2 v[6:7], v[6:7], off offset:24
	v_mov_b32_e32 v10, 0
	s_mov_b32 s13, 0
	s_mov_b64 s[8:9], 0
	s_mov_b32 s17, 0
	s_waitcnt vmcnt(0)
	v_ashrrev_i32_e32 v7, 31, v6
	s_branch .LBB154_19
.LBB154_18:                             ;   in Loop: Header=BB154_19 Depth=2
	s_or_b64 exec, exec, s[10:11]
	s_add_i32 s18, s17, 1
	s_cmp_gt_u32 s17, 6
	s_cselect_b64 s[2:3], -1, 0
	s_xor_b64 s[10:11], vcc, -1
	s_or_b64 s[2:3], s[10:11], s[2:3]
	s_add_i32 s13, s13, 32
	s_and_b64 s[2:3], exec, s[2:3]
	v_add_u32_e32 v10, 4, v10
	s_or_b64 s[8:9], s[2:3], s[8:9]
	s_mov_b32 s17, s18
	s_andn2_b64 exec, exec, s[8:9]
	s_cbranch_execz .LBB154_4
.LBB154_19:                             ;   Parent Loop BB154_5 Depth=1
                                        ; =>  This Inner Loop Header: Depth=2
	s_and_b32 s2, s17, 3
	s_and_b32 s3, s13, 0x80
	s_or_b32 s2, s2, s3
	v_or_b32_e32 v11, s2, v12
	v_cmp_ne_u32_e32 vcc, v11, v6
	v_cmp_eq_u32_e64 s[2:3], v11, v6
	s_and_saveexec_b64 s[10:11], s[2:3]
	s_cbranch_execz .LBB154_18
; %bb.20:                               ;   in Loop: Header=BB154_19 Depth=2
	scratch_load_dword v11, v10, off
	s_waitcnt vmcnt(0)
	v_add_f32_e32 v5, v5, v11
	global_store_dwordx2 v[8:9], v[6:7], off offset:24
	s_branch .LBB154_18
.LBB154_21:
	s_and_b32 s10, s12, 3
	s_cmp_eq_u32 s10, 0
	s_mov_b32 s17, 0
	s_cbranch_scc1 .LBB154_28
; %bb.22:
	s_mov_b32 s11, s17
	s_branch .LBB154_24
.LBB154_23:                             ;   in Loop: Header=BB154_24 Depth=1
	s_or_b64 exec, exec, s[6:7]
	s_add_i32 s16, s16, 1
	s_add_i32 s11, s11, 1
	s_cmp_lg_u32 s11, s10
	s_cbranch_scc0 .LBB154_28
.LBB154_24:                             ; =>This Loop Header: Depth=1
                                        ;     Child Loop BB154_26 Depth 2
	v_lshl_add_u64 v[6:7], s[16:17], 3, v[2:3]
	global_load_dwordx2 v[6:7], v[6:7], off
	v_add_u32_e32 v8, s16, v0
	v_ashrrev_i32_e32 v9, 31, v8
	v_mov_b32_e32 v1, 0
	s_mov_b32 s13, 0
	s_mov_b64 s[6:7], 0
	s_waitcnt lgkmcnt(0)
	v_lshl_add_u64 v[8:9], v[8:9], 3, s[4:5]
	s_mov_b32 s18, 0
	s_waitcnt vmcnt(0)
	v_ashrrev_i32_e32 v7, 31, v6
	s_branch .LBB154_26
.LBB154_25:                             ;   in Loop: Header=BB154_26 Depth=2
	s_or_b64 exec, exec, s[8:9]
	s_add_i32 s19, s18, 1
	s_cmp_gt_u32 s18, 6
	s_cselect_b64 s[2:3], -1, 0
	s_xor_b64 s[8:9], vcc, -1
	s_or_b64 s[2:3], s[8:9], s[2:3]
	s_add_i32 s13, s13, 32
	s_and_b64 s[2:3], exec, s[2:3]
	v_add_u32_e32 v1, 4, v1
	s_or_b64 s[6:7], s[2:3], s[6:7]
	s_mov_b32 s18, s19
	s_andn2_b64 exec, exec, s[6:7]
	s_cbranch_execz .LBB154_23
.LBB154_26:                             ;   Parent Loop BB154_24 Depth=1
                                        ; =>  This Inner Loop Header: Depth=2
	s_and_b32 s2, s18, 3
	s_and_b32 s3, s13, 0x80
	s_or_b32 s2, s2, s3
	v_or_b32_e32 v10, s2, v12
	v_cmp_ne_u32_e32 vcc, v10, v6
	v_cmp_eq_u32_e64 s[2:3], v10, v6
	s_and_saveexec_b64 s[8:9], s[2:3]
	s_cbranch_execz .LBB154_25
; %bb.27:                               ;   in Loop: Header=BB154_26 Depth=2
	scratch_load_dword v10, v1, off
	s_waitcnt vmcnt(0)
	v_add_f32_e32 v5, v5, v10
	global_store_dwordx2 v[8:9], v[6:7], off
	s_branch .LBB154_25
.LBB154_28:
	s_waitcnt lgkmcnt(0)
	s_load_dword s4, s[0:1], 0x3c
	v_add_u32_e32 v9, 16, v4
	s_waitcnt lgkmcnt(0)
	s_bitcmp1_b32 s4, 0
	s_cselect_b64 s[2:3], -1, 0
	s_bitcmp0_b32 s4, 0
	s_cbranch_scc0 .LBB154_32
; %bb.29:
	s_load_dwordx2 s[4:5], s[0:1], 0x40
	s_andn2_b64 vcc, exec, s[2:3]
	s_waitcnt lgkmcnt(0)
	v_cvt_f32_f64_e32 v8, s[4:5]
	s_cbranch_vccz .LBB154_33
.LBB154_30:
	s_andn2_b64 vcc, exec, s[14:15]
	s_cbranch_vccz .LBB154_34
.LBB154_31:
	s_endpgm
.LBB154_32:
	v_mbcnt_lo_u32_b32 v1, -1, 0
	v_mbcnt_hi_u32_b32 v1, -1, v1
	v_and_b32_e32 v4, 0x60, v1
	v_add_u32_e32 v4, 32, v4
	v_xor_b32_e32 v6, 16, v1
	v_cmp_lt_i32_e32 vcc, v6, v4
	v_xor_b32_e32 v7, 8, v1
	s_nop 0
	v_cndmask_b32_e32 v6, v1, v6, vcc
	v_lshlrev_b32_e32 v6, 2, v6
	ds_bpermute_b32 v6, v6, v5
	v_cmp_lt_i32_e32 vcc, v7, v4
	s_waitcnt lgkmcnt(0)
	v_add_f32_e32 v5, v5, v6
	v_cndmask_b32_e32 v6, v1, v7, vcc
	v_lshlrev_b32_e32 v6, 2, v6
	ds_bpermute_b32 v6, v6, v5
	v_xor_b32_e32 v7, 4, v1
	v_cmp_lt_i32_e32 vcc, v7, v4
	s_waitcnt lgkmcnt(0)
	v_add_f32_e32 v5, v5, v6
	v_cndmask_b32_e32 v6, v1, v7, vcc
	v_lshlrev_b32_e32 v6, 2, v6
	ds_bpermute_b32 v6, v6, v5
	v_xor_b32_e32 v7, 2, v1
	;; [unrolled: 7-line block ×3, first 2 shown]
	v_cmp_lt_i32_e32 vcc, v7, v4
	s_waitcnt lgkmcnt(0)
	v_add_f32_e32 v5, v5, v6
	v_cndmask_b32_e32 v1, v1, v7, vcc
	v_lshlrev_b32_e32 v1, 2, v1
	ds_bpermute_b32 v1, v1, v5
	s_waitcnt lgkmcnt(0)
	v_add_f32_e32 v5, v5, v1
	s_load_dwordx2 s[4:5], s[0:1], 0x40
	s_andn2_b64 vcc, exec, s[2:3]
	s_waitcnt lgkmcnt(0)
	v_cvt_f32_f64_e32 v8, s[4:5]
	s_cbranch_vccnz .LBB154_30
.LBB154_33:
	v_cmp_lt_f32_e32 vcc, 0, v5
	s_nop 1
	v_cndmask_b32_e32 v1, 1.0, v5, vcc
	v_div_scale_f32 v4, s[2:3], v1, v1, v8
	v_rcp_f32_e32 v5, v4
	s_nop 0
	v_fma_f32 v6, -v4, v5, 1.0
	v_fmac_f32_e32 v5, v6, v5
	v_div_scale_f32 v6, vcc, v8, v1, v8
	v_mul_f32_e32 v7, v6, v5
	v_fma_f32 v10, -v4, v7, v6
	v_fmac_f32_e32 v7, v10, v5
	v_fma_f32 v4, -v4, v7, v6
	v_div_fmas_f32 v4, v4, v5, v7
	v_div_fixup_f32 v8, v4, v1, v8
	s_andn2_b64 vcc, exec, s[14:15]
	s_cbranch_vccnz .LBB154_31
.LBB154_34:
	s_load_dwordx2 s[14:15], s[0:1], 0x10
	v_mov_b32_e32 v1, 0
	v_or_b32_e32 v20, 4, v1
	v_or_b32_e32 v18, 8, v1
	;; [unrolled: 1-line block ×3, first 2 shown]
	v_add_u32_e32 v13, 20, v1
	v_add_u32_e32 v10, 24, v1
	;; [unrolled: 1-line block ×3, first 2 shown]
	v_or_b32_e32 v23, 1, v12
	v_or_b32_e32 v22, 2, v12
	v_or_b32_e32 v21, 3, v12
	v_or_b32_e32 v19, 0x80, v12
	v_or_b32_e32 v17, 0x81, v12
	v_or_b32_e32 v15, 0x82, v12
	v_or_b32_e32 v14, 0x83, v12
	s_cmp_eq_u32 s12, 1
	s_mov_b32 s16, 0
	s_cbranch_scc1 .LBB154_69
; %bb.35:
	v_ashrrev_i32_e32 v1, 31, v0
	s_waitcnt lgkmcnt(0)
	v_lshl_add_u64 v[4:5], v[0:1], 2, s[14:15]
	s_and_b32 s16, s12, 0x7ffffffe
	v_lshl_add_u64 v[4:5], v[4:5], 0, 4
	v_lshl_add_u64 v[6:7], v[2:3], 0, 8
	s_mov_b32 s13, 0
	s_branch .LBB154_37
.LBB154_36:                             ;   in Loop: Header=BB154_37 Depth=1
	s_or_b64 exec, exec, s[0:1]
	s_add_i32 s13, s13, 2
	v_lshl_add_u64 v[4:5], v[4:5], 0, 8
	s_cmp_eq_u32 s16, s13
	v_lshl_add_u64 v[6:7], v[6:7], 0, 16
	s_cbranch_scc1 .LBB154_69
.LBB154_37:                             ; =>This Inner Loop Header: Depth=1
	global_load_dword v24, v[6:7], off offset:-8
	v_mov_b32_e32 v1, 0
	s_waitcnt vmcnt(0)
	v_cmp_eq_u32_e32 vcc, v12, v24
	v_cmp_ne_u32_e64 s[0:1], v12, v24
	s_and_saveexec_b64 s[18:19], s[0:1]
	s_cbranch_execz .LBB154_51
; %bb.38:                               ;   in Loop: Header=BB154_37 Depth=1
	v_cmp_eq_u32_e64 s[0:1], v23, v24
	v_cmp_ne_u32_e64 s[2:3], v23, v24
	v_mov_b32_e32 v1, v20
	s_and_saveexec_b64 s[20:21], s[2:3]
	s_cbranch_execz .LBB154_50
; %bb.39:                               ;   in Loop: Header=BB154_37 Depth=1
	v_cmp_eq_u32_e64 s[2:3], v22, v24
	v_cmp_ne_u32_e64 s[4:5], v22, v24
	v_mov_b32_e32 v1, v18
	;; [unrolled: 6-line block ×6, first 2 shown]
	s_and_saveexec_b64 s[34:35], s[10:11]
	s_xor_b64 s[34:35], exec, s[34:35]
; %bb.44:                               ;   in Loop: Header=BB154_37 Depth=1
	v_cmp_eq_u32_e64 s[10:11], v14, v24
	s_andn2_b64 s[30:31], s[30:31], exec
	s_and_b64 s[10:11], s[10:11], exec
	s_or_b64 s[30:31], s[30:31], s[10:11]
	v_mov_b32_e32 v1, v11
; %bb.45:                               ;   in Loop: Header=BB154_37 Depth=1
	s_or_b64 exec, exec, s[34:35]
	s_andn2_b64 s[8:9], s[8:9], exec
	s_and_b64 s[10:11], s[30:31], exec
	s_or_b64 s[8:9], s[8:9], s[10:11]
.LBB154_46:                             ;   in Loop: Header=BB154_37 Depth=1
	s_or_b64 exec, exec, s[28:29]
	s_andn2_b64 s[6:7], s[6:7], exec
	s_and_b64 s[8:9], s[8:9], exec
	s_or_b64 s[6:7], s[6:7], s[8:9]
.LBB154_47:                             ;   in Loop: Header=BB154_37 Depth=1
	s_or_b64 exec, exec, s[26:27]
	s_andn2_b64 s[4:5], s[4:5], exec
	s_and_b64 s[6:7], s[6:7], exec
	s_or_b64 s[4:5], s[4:5], s[6:7]
.LBB154_48:                             ;   in Loop: Header=BB154_37 Depth=1
	s_or_b64 exec, exec, s[24:25]
	s_andn2_b64 s[2:3], s[2:3], exec
	s_and_b64 s[4:5], s[4:5], exec
	s_or_b64 s[2:3], s[2:3], s[4:5]
.LBB154_49:                             ;   in Loop: Header=BB154_37 Depth=1
	s_or_b64 exec, exec, s[22:23]
	s_andn2_b64 s[0:1], s[0:1], exec
	s_and_b64 s[2:3], s[2:3], exec
	s_or_b64 s[0:1], s[0:1], s[2:3]
.LBB154_50:                             ;   in Loop: Header=BB154_37 Depth=1
	s_or_b64 exec, exec, s[20:21]
	s_andn2_b64 s[2:3], vcc, exec
	s_and_b64 s[0:1], s[0:1], exec
	s_or_b64 vcc, s[2:3], s[0:1]
.LBB154_51:                             ;   in Loop: Header=BB154_37 Depth=1
	s_or_b64 exec, exec, s[18:19]
	s_and_saveexec_b64 s[0:1], vcc
	s_cbranch_execz .LBB154_53
; %bb.52:                               ;   in Loop: Header=BB154_37 Depth=1
	scratch_load_dword v1, v1, off
	v_add_u32_e32 v24, s13, v0
	v_ashrrev_i32_e32 v25, 31, v24
	v_lshl_add_u64 v[24:25], v[24:25], 2, s[14:15]
	s_waitcnt vmcnt(0)
	v_mul_f32_e32 v1, v8, v1
	global_store_dword v[24:25], v1, off
.LBB154_53:                             ;   in Loop: Header=BB154_37 Depth=1
	s_or_b64 exec, exec, s[0:1]
	global_load_dword v24, v[6:7], off
	v_mov_b32_e32 v1, 0
	s_waitcnt vmcnt(0)
	v_cmp_eq_u32_e64 s[8:9], v12, v24
	v_cmp_ne_u32_e32 vcc, v12, v24
	s_and_saveexec_b64 s[10:11], vcc
	s_cbranch_execz .LBB154_67
; %bb.54:                               ;   in Loop: Header=BB154_37 Depth=1
	v_cmp_eq_u32_e32 vcc, v23, v24
	v_cmp_ne_u32_e64 s[0:1], v23, v24
	v_mov_b32_e32 v1, v20
	s_and_saveexec_b64 s[18:19], s[0:1]
	s_cbranch_execz .LBB154_66
; %bb.55:                               ;   in Loop: Header=BB154_37 Depth=1
	v_cmp_eq_u32_e64 s[0:1], v22, v24
	v_cmp_ne_u32_e64 s[2:3], v22, v24
	v_mov_b32_e32 v1, v18
	s_and_saveexec_b64 s[20:21], s[2:3]
	s_cbranch_execz .LBB154_65
; %bb.56:                               ;   in Loop: Header=BB154_37 Depth=1
	v_cmp_eq_u32_e64 s[2:3], v21, v24
	;; [unrolled: 6-line block ×5, first 2 shown]
	v_cmp_ne_u32_e64 s[6:7], v15, v24
	v_mov_b32_e32 v1, v10
	s_and_saveexec_b64 s[34:35], s[6:7]
; %bb.60:                               ;   in Loop: Header=BB154_37 Depth=1
	v_cmp_eq_u32_e64 s[6:7], v14, v24
	s_andn2_b64 s[30:31], s[30:31], exec
	s_and_b64 s[6:7], s[6:7], exec
	s_or_b64 s[30:31], s[30:31], s[6:7]
	v_mov_b32_e32 v1, v11
; %bb.61:                               ;   in Loop: Header=BB154_37 Depth=1
	s_or_b64 exec, exec, s[34:35]
	s_andn2_b64 s[6:7], s[26:27], exec
	s_and_b64 s[26:27], s[30:31], exec
	s_or_b64 s[26:27], s[6:7], s[26:27]
.LBB154_62:                             ;   in Loop: Header=BB154_37 Depth=1
	s_or_b64 exec, exec, s[28:29]
	s_andn2_b64 s[4:5], s[4:5], exec
	s_and_b64 s[6:7], s[26:27], exec
	s_or_b64 s[4:5], s[4:5], s[6:7]
.LBB154_63:                             ;   in Loop: Header=BB154_37 Depth=1
	s_or_b64 exec, exec, s[24:25]
	s_andn2_b64 s[2:3], s[2:3], exec
	s_and_b64 s[4:5], s[4:5], exec
	s_or_b64 s[2:3], s[2:3], s[4:5]
.LBB154_64:                             ;   in Loop: Header=BB154_37 Depth=1
	s_or_b64 exec, exec, s[22:23]
	s_andn2_b64 s[0:1], s[0:1], exec
	s_and_b64 s[2:3], s[2:3], exec
	s_or_b64 s[0:1], s[0:1], s[2:3]
.LBB154_65:                             ;   in Loop: Header=BB154_37 Depth=1
	s_or_b64 exec, exec, s[20:21]
	s_andn2_b64 s[2:3], vcc, exec
	s_and_b64 s[0:1], s[0:1], exec
	s_or_b64 vcc, s[2:3], s[0:1]
.LBB154_66:                             ;   in Loop: Header=BB154_37 Depth=1
	s_or_b64 exec, exec, s[18:19]
	s_andn2_b64 s[0:1], s[8:9], exec
	s_and_b64 s[2:3], vcc, exec
	s_or_b64 s[8:9], s[0:1], s[2:3]
.LBB154_67:                             ;   in Loop: Header=BB154_37 Depth=1
	s_or_b64 exec, exec, s[10:11]
	s_and_saveexec_b64 s[0:1], s[8:9]
	s_cbranch_execz .LBB154_36
; %bb.68:                               ;   in Loop: Header=BB154_37 Depth=1
	scratch_load_dword v1, v1, off
	s_waitcnt vmcnt(0)
	v_mul_f32_e32 v1, v8, v1
	global_store_dword v[4:5], v1, off
	s_branch .LBB154_36
.LBB154_69:
	s_bitcmp0_b32 s12, 0
	s_mov_b32 s17, 0
	s_cbranch_scc1 .LBB154_31
; %bb.70:
	v_lshl_add_u64 v[2:3], s[16:17], 3, v[2:3]
	global_load_dword v1, v[2:3], off
	v_mov_b32_e32 v2, 0
	s_waitcnt vmcnt(0)
	v_cmp_eq_u32_e64 s[8:9], v12, v1
	v_cmp_ne_u32_e32 vcc, v12, v1
	s_and_saveexec_b64 s[10:11], vcc
	s_cbranch_execz .LBB154_84
; %bb.71:
	v_cmp_eq_u32_e32 vcc, v23, v1
	v_cmp_ne_u32_e64 s[0:1], v23, v1
	s_and_saveexec_b64 s[12:13], s[0:1]
	s_cbranch_execz .LBB154_83
; %bb.72:
	v_cmp_eq_u32_e64 s[0:1], v22, v1
	v_cmp_ne_u32_e64 s[2:3], v22, v1
	s_and_saveexec_b64 s[18:19], s[2:3]
	s_cbranch_execz .LBB154_82
; %bb.73:
	v_cmp_eq_u32_e64 s[2:3], v21, v1
	;; [unrolled: 5-line block ×5, first 2 shown]
	v_cmp_ne_u32_e64 s[6:7], v15, v1
	s_and_saveexec_b64 s[30:31], s[6:7]
; %bb.77:
	v_cmp_eq_u32_e64 s[6:7], v14, v1
	s_andn2_b64 s[28:29], s[28:29], exec
	s_and_b64 s[6:7], s[6:7], exec
	s_or_b64 s[28:29], s[28:29], s[6:7]
	v_mov_b32_e32 v10, v11
; %bb.78:
	s_or_b64 exec, exec, s[30:31]
	s_andn2_b64 s[6:7], s[24:25], exec
	s_and_b64 s[24:25], s[28:29], exec
	s_or_b64 s[24:25], s[6:7], s[24:25]
	v_mov_b32_e32 v13, v10
.LBB154_79:
	s_or_b64 exec, exec, s[26:27]
	s_andn2_b64 s[4:5], s[4:5], exec
	s_and_b64 s[6:7], s[24:25], exec
	s_or_b64 s[4:5], s[4:5], s[6:7]
	v_mov_b32_e32 v9, v13
.LBB154_80:
	s_or_b64 exec, exec, s[22:23]
	s_andn2_b64 s[2:3], s[2:3], exec
	s_and_b64 s[4:5], s[4:5], exec
	s_or_b64 s[2:3], s[2:3], s[4:5]
	v_mov_b32_e32 v16, v9
.LBB154_81:
	s_or_b64 exec, exec, s[20:21]
	s_andn2_b64 s[0:1], s[0:1], exec
	s_and_b64 s[2:3], s[2:3], exec
	s_or_b64 s[0:1], s[0:1], s[2:3]
	v_mov_b32_e32 v18, v16
.LBB154_82:
	s_or_b64 exec, exec, s[18:19]
	s_andn2_b64 s[2:3], vcc, exec
	s_and_b64 s[0:1], s[0:1], exec
	s_or_b64 vcc, s[2:3], s[0:1]
	v_mov_b32_e32 v20, v18
.LBB154_83:
	s_or_b64 exec, exec, s[12:13]
	s_andn2_b64 s[0:1], s[8:9], exec
	s_and_b64 s[2:3], vcc, exec
	s_or_b64 s[8:9], s[0:1], s[2:3]
	v_mov_b32_e32 v2, v20
.LBB154_84:
	s_or_b64 exec, exec, s[10:11]
	s_and_b64 exec, exec, s[8:9]
	s_cbranch_execz .LBB154_31
; %bb.85:
	scratch_load_dword v2, v2, off
	v_add_u32_e32 v0, s16, v0
	v_ashrrev_i32_e32 v1, 31, v0
	s_waitcnt lgkmcnt(0)
	v_lshl_add_u64 v[0:1], v[0:1], 2, s[14:15]
	s_waitcnt vmcnt(0)
	v_mul_f32_e32 v2, v8, v2
	global_store_dword v[0:1], v2, off
	s_endpgm
	.section	.rodata,"a",@progbits
	.p2align	6, 0x0
	.amdhsa_kernel _ZN4vllm3moe22topkGatingSoftplusSqrtILi8ELi256ELi4ELi16ELi32ELb1ElfEEvPKT6_PKbPfiPT5_PiiiibdPKfPKS8_SE_
		.amdhsa_group_segment_fixed_size 0
		.amdhsa_private_segment_fixed_size 48
		.amdhsa_kernarg_size 96
		.amdhsa_user_sgpr_count 2
		.amdhsa_user_sgpr_dispatch_ptr 0
		.amdhsa_user_sgpr_queue_ptr 0
		.amdhsa_user_sgpr_kernarg_segment_ptr 1
		.amdhsa_user_sgpr_dispatch_id 0
		.amdhsa_user_sgpr_kernarg_preload_length 0
		.amdhsa_user_sgpr_kernarg_preload_offset 0
		.amdhsa_user_sgpr_private_segment_size 0
		.amdhsa_uses_dynamic_stack 0
		.amdhsa_enable_private_segment 1
		.amdhsa_system_sgpr_workgroup_id_x 1
		.amdhsa_system_sgpr_workgroup_id_y 0
		.amdhsa_system_sgpr_workgroup_id_z 0
		.amdhsa_system_sgpr_workgroup_info 0
		.amdhsa_system_vgpr_workitem_id 1
		.amdhsa_next_free_vgpr 30
		.amdhsa_next_free_sgpr 36
		.amdhsa_accum_offset 32
		.amdhsa_reserve_vcc 1
		.amdhsa_float_round_mode_32 0
		.amdhsa_float_round_mode_16_64 0
		.amdhsa_float_denorm_mode_32 3
		.amdhsa_float_denorm_mode_16_64 3
		.amdhsa_dx10_clamp 1
		.amdhsa_ieee_mode 1
		.amdhsa_fp16_overflow 0
		.amdhsa_tg_split 0
		.amdhsa_exception_fp_ieee_invalid_op 0
		.amdhsa_exception_fp_denorm_src 0
		.amdhsa_exception_fp_ieee_div_zero 0
		.amdhsa_exception_fp_ieee_overflow 0
		.amdhsa_exception_fp_ieee_underflow 0
		.amdhsa_exception_fp_ieee_inexact 0
		.amdhsa_exception_int_div_zero 0
	.end_amdhsa_kernel
	.section	.text._ZN4vllm3moe22topkGatingSoftplusSqrtILi8ELi256ELi4ELi16ELi32ELb1ElfEEvPKT6_PKbPfiPT5_PiiiibdPKfPKS8_SE_,"axG",@progbits,_ZN4vllm3moe22topkGatingSoftplusSqrtILi8ELi256ELi4ELi16ELi32ELb1ElfEEvPKT6_PKbPfiPT5_PiiiibdPKfPKS8_SE_,comdat
.Lfunc_end154:
	.size	_ZN4vllm3moe22topkGatingSoftplusSqrtILi8ELi256ELi4ELi16ELi32ELb1ElfEEvPKT6_PKbPfiPT5_PiiiibdPKfPKS8_SE_, .Lfunc_end154-_ZN4vllm3moe22topkGatingSoftplusSqrtILi8ELi256ELi4ELi16ELi32ELb1ElfEEvPKT6_PKbPfiPT5_PiiiibdPKfPKS8_SE_
                                        ; -- End function
	.section	.AMDGPU.csdata,"",@progbits
; Kernel info:
; codeLenInByte = 4740
; NumSgprs: 42
; NumVgprs: 30
; NumAgprs: 0
; TotalNumVgprs: 30
; ScratchSize: 48
; MemoryBound: 0
; FloatMode: 240
; IeeeMode: 1
; LDSByteSize: 0 bytes/workgroup (compile time only)
; SGPRBlocks: 5
; VGPRBlocks: 3
; NumSGPRsForWavesPerEU: 42
; NumVGPRsForWavesPerEU: 30
; AccumOffset: 32
; Occupancy: 8
; WaveLimiterHint : 1
; COMPUTE_PGM_RSRC2:SCRATCH_EN: 1
; COMPUTE_PGM_RSRC2:USER_SGPR: 2
; COMPUTE_PGM_RSRC2:TRAP_HANDLER: 0
; COMPUTE_PGM_RSRC2:TGID_X_EN: 1
; COMPUTE_PGM_RSRC2:TGID_Y_EN: 0
; COMPUTE_PGM_RSRC2:TGID_Z_EN: 0
; COMPUTE_PGM_RSRC2:TIDIG_COMP_CNT: 1
; COMPUTE_PGM_RSRC3_GFX90A:ACCUM_OFFSET: 7
; COMPUTE_PGM_RSRC3_GFX90A:TG_SPLIT: 0
	.section	.text._ZN4vllm3moe22topkGatingSoftplusSqrtILi8ELi256ELi4ELi16ELi32ELb0ElfEEvPKT6_PKbPfiPT5_PiiiibdPKfPKS8_SE_,"axG",@progbits,_ZN4vllm3moe22topkGatingSoftplusSqrtILi8ELi256ELi4ELi16ELi32ELb0ElfEEvPKT6_PKbPfiPT5_PiiiibdPKfPKS8_SE_,comdat
	.protected	_ZN4vllm3moe22topkGatingSoftplusSqrtILi8ELi256ELi4ELi16ELi32ELb0ElfEEvPKT6_PKbPfiPT5_PiiiibdPKfPKS8_SE_ ; -- Begin function _ZN4vllm3moe22topkGatingSoftplusSqrtILi8ELi256ELi4ELi16ELi32ELb0ElfEEvPKT6_PKbPfiPT5_PiiiibdPKfPKS8_SE_
	.globl	_ZN4vllm3moe22topkGatingSoftplusSqrtILi8ELi256ELi4ELi16ELi32ELb0ElfEEvPKT6_PKbPfiPT5_PiiiibdPKfPKS8_SE_
	.p2align	8
	.type	_ZN4vllm3moe22topkGatingSoftplusSqrtILi8ELi256ELi4ELi16ELi32ELb0ElfEEvPKT6_PKbPfiPT5_PiiiibdPKfPKS8_SE_,@function
_ZN4vllm3moe22topkGatingSoftplusSqrtILi8ELi256ELi4ELi16ELi32ELb0ElfEEvPKT6_PKbPfiPT5_PiiiibdPKfPKS8_SE_: ; @_ZN4vllm3moe22topkGatingSoftplusSqrtILi8ELi256ELi4ELi16ELi32ELb0ElfEEvPKT6_PKbPfiPT5_PiiiibdPKfPKS8_SE_
; %bb.0:
	s_load_dword s30, s[2:3], 0x18
	v_and_b32_e32 v1, 0x3ff, v0
	v_bfe_u32 v4, v0, 10, 10
	s_lshl_b32 s4, s4, 2
	v_lshrrev_b32_e32 v2, 5, v1
	v_add3_u32 v2, s4, v4, v2
	s_waitcnt lgkmcnt(0)
	v_cmp_gt_i32_e32 vcc, s30, v2
	s_and_saveexec_b64 s[4:5], vcc
	s_cbranch_execz .LBB155_63
; %bb.1:
	s_load_dwordx4 s[4:7], s[2:3], 0x0
	s_load_dwordx2 s[20:21], s[2:3], 0x10
	s_waitcnt lgkmcnt(0)
	s_cmp_eq_u64 s[6:7], 0
	s_cbranch_scc1 .LBB155_3
; %bb.2:
	v_ashrrev_i32_e32 v3, 31, v2
	v_lshl_add_u64 v[6:7], s[6:7], 0, v[2:3]
	global_load_ubyte v3, v[6:7], off
	s_waitcnt vmcnt(0)
	v_and_b32_e32 v3, 1, v3
	v_cmp_eq_u32_e32 vcc, 1, v3
	s_xor_b64 s[6:7], vcc, -1
	s_orn2_b64 s[22:23], s[6:7], exec
	s_branch .LBB155_4
.LBB155_3:
	s_mov_b64 s[22:23], -1
.LBB155_4:
	v_lshlrev_b32_e32 v8, 8, v2
	v_mov_b32_e32 v6, s4
	v_mov_b32_e32 v7, s5
	v_ashrrev_i32_e32 v9, 31, v8
	v_and_b32_e32 v3, 31, v1
	v_lshl_add_u64 v[6:7], v[8:9], 2, v[6:7]
	v_mov_b32_e32 v9, 0
	v_lshlrev_b32_e32 v8, 4, v3
	v_lshl_add_u64 v[14:15], v[6:7], 0, v[8:9]
	global_load_dwordx4 v[6:9], v[14:15], off
	global_load_dwordx4 v[10:13], v[14:15], off offset:512
	s_load_dwordx2 s[4:5], s[0:1], 0x4
	s_load_dwordx4 s[8:11], s[2:3], 0x40
	v_bfe_u32 v0, v0, 20, 10
	s_mov_b32 s14, 0x800000
	s_mov_b32 s13, 0x3f317217
	s_waitcnt lgkmcnt(0)
	s_lshr_b32 s0, s4, 16
	v_mul_u32_u24_e32 v4, s5, v4
	s_mul_i32 s0, s0, s5
	v_mad_u32_u24 v1, s0, v1, v4
	v_add_lshl_u32 v4, v1, v0, 5
	s_mov_b32 s15, 0x7f800000
	s_mov_b32 s12, 0x41a00000
	;; [unrolled: 1-line block ×3, first 2 shown]
	s_cmp_lg_u64 s[10:11], 0
	v_mov_b32_e32 v1, 0x260
	s_cselect_b64 s[6:7], -1, 0
	v_lshlrev_b32_e32 v5, 2, v3
	s_and_b64 s[0:1], exec, s[6:7]
	s_waitcnt vmcnt(1)
	ds_write_b128 v4, v[6:9]
	ds_read_b32 v8, v4
	v_mov_b32_e32 v6, 0x4f800000
	v_mov_b32_e32 v7, 0x41b17218
	s_waitcnt vmcnt(0)
	ds_write_b128 v4, v[10:13] offset:16
	s_waitcnt lgkmcnt(1)
	v_mul_f32_e32 v0, 0x3fb8aa3b, v8
	v_exp_f32_e32 v0, v0
	s_nop 0
	v_add_f32_e32 v0, 1.0, v0
	v_cmp_gt_f32_e32 vcc, s14, v0
	s_nop 1
	v_cndmask_b32_e32 v9, 1.0, v6, vcc
	v_mul_f32_e32 v0, v0, v9
	v_log_f32_e32 v9, v0
	v_cndmask_b32_e32 v14, 0, v7, vcc
	v_lshlrev_b32_e32 v0, 2, v5
	v_mul_f32_e32 v15, 0x3f317217, v9
	v_fma_f32 v15, v9, s13, -v15
	v_fmac_f32_e32 v15, 0x3377d1cf, v9
	v_fmac_f32_e32 v15, 0x3f317217, v9
	v_cmp_lt_f32_e64 vcc, |v9|, s15
	s_nop 1
	v_cndmask_b32_e32 v9, v9, v15, vcc
	v_sub_f32_e32 v9, v9, v14
	v_cmp_lt_f32_e32 vcc, s12, v8
	s_nop 1
	v_cndmask_b32_e32 v8, v9, v8, vcc
	v_mul_f32_e32 v9, 0x4f800000, v8
	v_cmp_gt_f32_e32 vcc, s16, v8
	s_nop 1
	v_cndmask_b32_e32 v8, v8, v9, vcc
	v_sqrt_f32_e32 v9, v8
	s_nop 0
	v_add_u32_e32 v10, -1, v9
	v_add_u32_e32 v11, 1, v9
	v_fma_f32 v12, -v10, v9, v8
	v_fma_f32 v13, -v11, v9, v8
	v_cmp_ge_f32_e64 s[4:5], 0, v12
	s_nop 1
	v_cndmask_b32_e64 v9, v9, v10, s[4:5]
	v_cmp_lt_f32_e64 s[4:5], 0, v13
	s_nop 1
	v_cndmask_b32_e64 v9, v9, v11, s[4:5]
	v_mul_f32_e32 v10, 0x37800000, v9
	v_cndmask_b32_e32 v9, v9, v10, vcc
	v_cmp_class_f32_e32 vcc, v8, v1
	s_nop 1
	v_cndmask_b32_e32 v8, v9, v8, vcc
	s_mov_b64 vcc, s[0:1]
	s_cbranch_vccz .LBB155_6
; %bb.5:
	global_load_dword v9, v0, s[10:11]
	s_waitcnt vmcnt(0)
	v_add_f32_e32 v8, v8, v9
.LBB155_6:
	ds_read_b32 v9, v4 offset:4
	ds_write_b32 v4, v8
	s_waitcnt lgkmcnt(1)
	v_mul_f32_e32 v10, 0x3fb8aa3b, v9
	v_exp_f32_e32 v10, v10
	s_nop 0
	v_add_f32_e32 v10, 1.0, v10
	v_cmp_gt_f32_e32 vcc, s14, v10
	s_nop 1
	v_cndmask_b32_e32 v6, 1.0, v6, vcc
	v_mul_f32_e32 v6, v10, v6
	v_log_f32_e32 v6, v6
	v_cndmask_b32_e32 v7, 0, v7, vcc
	v_mul_f32_e32 v8, 0x3f317217, v6
	v_fma_f32 v8, v6, s13, -v8
	v_fmac_f32_e32 v8, 0x3377d1cf, v6
	v_fmac_f32_e32 v8, 0x3f317217, v6
	v_cmp_lt_f32_e64 vcc, |v6|, s15
	s_nop 1
	v_cndmask_b32_e32 v6, v6, v8, vcc
	v_sub_f32_e32 v6, v6, v7
	v_cmp_lt_f32_e32 vcc, s12, v9
	v_cndmask_b32_e64 v8, 0, 1, s[6:7]
	v_cmp_ne_u32_e64 s[0:1], 1, v8
	v_cndmask_b32_e32 v6, v6, v9, vcc
	v_mul_f32_e32 v7, 0x4f800000, v6
	v_cmp_gt_f32_e64 s[4:5], s16, v6
	s_andn2_b64 vcc, exec, s[6:7]
	s_nop 0
	v_cndmask_b32_e64 v6, v6, v7, s[4:5]
	v_sqrt_f32_e32 v7, v6
	s_nop 0
	v_add_u32_e32 v8, -1, v7
	v_add_u32_e32 v9, 1, v7
	v_fma_f32 v10, -v8, v7, v6
	v_fma_f32 v11, -v9, v7, v6
	v_cmp_ge_f32_e64 s[6:7], 0, v10
	s_nop 1
	v_cndmask_b32_e64 v7, v7, v8, s[6:7]
	v_cmp_lt_f32_e64 s[6:7], 0, v11
	s_nop 1
	v_cndmask_b32_e64 v7, v7, v9, s[6:7]
	v_mul_f32_e32 v8, 0x37800000, v7
	v_cndmask_b32_e64 v7, v7, v8, s[4:5]
	v_cmp_class_f32_e64 s[4:5], v6, v1
	s_nop 1
	v_cndmask_b32_e64 v1, v7, v6, s[4:5]
	s_cbranch_vccnz .LBB155_8
; %bb.7:
	global_load_dword v6, v0, s[10:11] offset:4
	s_waitcnt vmcnt(0)
	v_add_f32_e32 v1, v1, v6
.LBB155_8:
	ds_read_b32 v8, v4 offset:8
	s_mov_b32 s12, 0x800000
	s_mov_b32 s7, 0x3f317217
	s_mov_b32 s13, 0x7f800000
	s_mov_b32 s6, 0x41a00000
	s_waitcnt lgkmcnt(0)
	v_mul_f32_e32 v6, 0x3fb8aa3b, v8
	v_exp_f32_e32 v7, v6
	v_mov_b32_e32 v6, 0x4f800000
	s_mov_b32 s14, 0xf800000
	ds_write_b32 v4, v1 offset:4
	v_add_f32_e32 v7, 1.0, v7
	v_cmp_gt_f32_e32 vcc, s12, v7
	s_nop 1
	v_cndmask_b32_e32 v9, 1.0, v6, vcc
	v_mul_f32_e32 v7, v7, v9
	v_log_f32_e32 v9, v7
	v_mov_b32_e32 v7, 0x41b17218
	v_cndmask_b32_e32 v10, 0, v7, vcc
	v_mul_f32_e32 v11, 0x3f317217, v9
	v_fma_f32 v11, v9, s7, -v11
	v_fmac_f32_e32 v11, 0x3377d1cf, v9
	v_fmac_f32_e32 v11, 0x3f317217, v9
	v_cmp_lt_f32_e64 vcc, |v9|, s13
	s_nop 1
	v_cndmask_b32_e32 v9, v9, v11, vcc
	v_sub_f32_e32 v9, v9, v10
	v_cmp_lt_f32_e32 vcc, s6, v8
	s_nop 1
	v_cndmask_b32_e32 v8, v9, v8, vcc
	v_mul_f32_e32 v9, 0x4f800000, v8
	v_cmp_gt_f32_e32 vcc, s14, v8
	s_nop 1
	v_cndmask_b32_e32 v8, v8, v9, vcc
	v_sqrt_f32_e32 v9, v8
	s_nop 0
	v_add_u32_e32 v1, -1, v9
	v_fma_f32 v10, -v1, v9, v8
	v_cmp_ge_f32_e64 s[4:5], 0, v10
	v_add_u32_e32 v10, 1, v9
	s_nop 0
	v_cndmask_b32_e64 v1, v9, v1, s[4:5]
	v_fma_f32 v9, -v10, v9, v8
	v_cmp_lt_f32_e64 s[4:5], 0, v9
	s_nop 1
	v_cndmask_b32_e64 v1, v1, v10, s[4:5]
	v_mul_f32_e32 v9, 0x37800000, v1
	v_cndmask_b32_e32 v9, v1, v9, vcc
	v_mov_b32_e32 v1, 0x260
	v_cmp_class_f32_e64 s[4:5], v8, v1
	s_and_b64 vcc, exec, s[0:1]
	s_nop 0
	v_cndmask_b32_e64 v8, v9, v8, s[4:5]
	s_cbranch_vccnz .LBB155_10
; %bb.9:
	global_load_dword v9, v0, s[10:11] offset:8
	s_waitcnt vmcnt(0)
	v_add_f32_e32 v8, v8, v9
.LBB155_10:
	ds_read_b32 v9, v4 offset:12
	ds_write_b32 v4, v8 offset:8
	s_waitcnt lgkmcnt(1)
	v_mul_f32_e32 v10, 0x3fb8aa3b, v9
	v_exp_f32_e32 v10, v10
	s_nop 0
	v_add_f32_e32 v10, 1.0, v10
	v_cmp_gt_f32_e32 vcc, s12, v10
	s_nop 1
	v_cndmask_b32_e32 v6, 1.0, v6, vcc
	v_mul_f32_e32 v6, v10, v6
	v_log_f32_e32 v6, v6
	v_cndmask_b32_e32 v7, 0, v7, vcc
	v_mul_f32_e32 v10, 0x3f317217, v6
	v_fma_f32 v10, v6, s7, -v10
	v_fmac_f32_e32 v10, 0x3377d1cf, v6
	v_fmac_f32_e32 v10, 0x3f317217, v6
	v_cmp_lt_f32_e64 vcc, |v6|, s13
	s_nop 1
	v_cndmask_b32_e32 v6, v6, v10, vcc
	v_sub_f32_e32 v6, v6, v7
	v_cmp_lt_f32_e32 vcc, s6, v9
	s_nop 1
	v_cndmask_b32_e32 v6, v6, v9, vcc
	v_mul_f32_e32 v7, 0x4f800000, v6
	v_cmp_gt_f32_e64 s[4:5], s14, v6
	s_and_b64 vcc, exec, s[0:1]
	s_nop 0
	v_cndmask_b32_e64 v6, v6, v7, s[4:5]
	v_sqrt_f32_e32 v7, v6
	s_nop 0
	v_add_u32_e32 v8, -1, v7
	v_add_u32_e32 v9, 1, v7
	v_fma_f32 v10, -v8, v7, v6
	v_fma_f32 v11, -v9, v7, v6
	v_cmp_ge_f32_e64 s[6:7], 0, v10
	s_nop 1
	v_cndmask_b32_e64 v7, v7, v8, s[6:7]
	v_cmp_lt_f32_e64 s[6:7], 0, v11
	s_nop 1
	v_cndmask_b32_e64 v7, v7, v9, s[6:7]
	v_mul_f32_e32 v8, 0x37800000, v7
	v_cndmask_b32_e64 v7, v7, v8, s[4:5]
	v_cmp_class_f32_e64 s[4:5], v6, v1
	s_nop 1
	v_cndmask_b32_e64 v1, v7, v6, s[4:5]
	s_cbranch_vccnz .LBB155_12
; %bb.11:
	global_load_dword v6, v0, s[10:11] offset:12
	s_waitcnt vmcnt(0)
	v_add_f32_e32 v1, v1, v6
.LBB155_12:
	ds_read_b32 v8, v4 offset:16
	s_mov_b32 s7, 0x3f317217
	s_mov_b32 s6, 0x41a00000
	ds_write_b32 v4, v1 offset:12
	s_waitcnt lgkmcnt(1)
	v_mul_f32_e32 v6, 0x3fb8aa3b, v8
	v_exp_f32_e32 v7, v6
	v_mov_b32_e32 v6, 0x4f800000
	v_add_f32_e32 v7, 1.0, v7
	v_cmp_gt_f32_e32 vcc, s12, v7
	s_nop 1
	v_cndmask_b32_e32 v9, 1.0, v6, vcc
	v_mul_f32_e32 v7, v7, v9
	v_log_f32_e32 v9, v7
	v_mov_b32_e32 v7, 0x41b17218
	v_cndmask_b32_e32 v10, 0, v7, vcc
	v_mul_f32_e32 v11, 0x3f317217, v9
	v_fma_f32 v11, v9, s7, -v11
	v_fmac_f32_e32 v11, 0x3377d1cf, v9
	v_fmac_f32_e32 v11, 0x3f317217, v9
	v_cmp_lt_f32_e64 vcc, |v9|, s13
	s_nop 1
	v_cndmask_b32_e32 v9, v9, v11, vcc
	v_sub_f32_e32 v9, v9, v10
	v_cmp_lt_f32_e32 vcc, s6, v8
	s_nop 1
	v_cndmask_b32_e32 v8, v9, v8, vcc
	v_mul_f32_e32 v9, 0x4f800000, v8
	v_cmp_gt_f32_e32 vcc, s14, v8
	s_nop 1
	v_cndmask_b32_e32 v8, v8, v9, vcc
	v_sqrt_f32_e32 v9, v8
	s_nop 0
	v_add_u32_e32 v1, -1, v9
	v_fma_f32 v10, -v1, v9, v8
	v_cmp_ge_f32_e64 s[4:5], 0, v10
	v_add_u32_e32 v10, 1, v9
	s_nop 0
	v_cndmask_b32_e64 v1, v9, v1, s[4:5]
	v_fma_f32 v9, -v10, v9, v8
	v_cmp_lt_f32_e64 s[4:5], 0, v9
	s_nop 1
	v_cndmask_b32_e64 v1, v1, v10, s[4:5]
	v_mul_f32_e32 v9, 0x37800000, v1
	v_cndmask_b32_e32 v9, v1, v9, vcc
	v_mov_b32_e32 v1, 0x260
	v_cmp_class_f32_e64 s[4:5], v8, v1
	s_and_b64 vcc, exec, s[0:1]
	s_nop 0
	v_cndmask_b32_e64 v8, v9, v8, s[4:5]
	s_cbranch_vccnz .LBB155_14
; %bb.13:
	global_load_dword v9, v0, s[10:11] offset:512
	s_waitcnt vmcnt(0)
	v_add_f32_e32 v8, v8, v9
.LBB155_14:
	ds_read_b32 v9, v4 offset:20
	ds_write_b32 v4, v8 offset:16
	s_waitcnt lgkmcnt(1)
	v_mul_f32_e32 v10, 0x3fb8aa3b, v9
	v_exp_f32_e32 v10, v10
	s_nop 0
	v_add_f32_e32 v10, 1.0, v10
	v_cmp_gt_f32_e32 vcc, s12, v10
	s_nop 1
	v_cndmask_b32_e32 v6, 1.0, v6, vcc
	v_mul_f32_e32 v6, v10, v6
	v_log_f32_e32 v6, v6
	v_cndmask_b32_e32 v7, 0, v7, vcc
	v_mul_f32_e32 v10, 0x3f317217, v6
	v_fma_f32 v10, v6, s7, -v10
	v_fmac_f32_e32 v10, 0x3377d1cf, v6
	v_fmac_f32_e32 v10, 0x3f317217, v6
	v_cmp_lt_f32_e64 vcc, |v6|, s13
	s_nop 1
	v_cndmask_b32_e32 v6, v6, v10, vcc
	v_sub_f32_e32 v6, v6, v7
	v_cmp_lt_f32_e32 vcc, s6, v9
	s_nop 1
	v_cndmask_b32_e32 v6, v6, v9, vcc
	v_mul_f32_e32 v7, 0x4f800000, v6
	v_cmp_gt_f32_e64 s[4:5], s14, v6
	s_and_b64 vcc, exec, s[0:1]
	s_nop 0
	v_cndmask_b32_e64 v6, v6, v7, s[4:5]
	v_sqrt_f32_e32 v7, v6
	s_nop 0
	v_add_u32_e32 v8, -1, v7
	v_add_u32_e32 v9, 1, v7
	v_fma_f32 v10, -v8, v7, v6
	v_fma_f32 v11, -v9, v7, v6
	v_cmp_ge_f32_e64 s[6:7], 0, v10
	s_nop 1
	v_cndmask_b32_e64 v7, v7, v8, s[6:7]
	v_cmp_lt_f32_e64 s[6:7], 0, v11
	s_nop 1
	v_cndmask_b32_e64 v7, v7, v9, s[6:7]
	v_mul_f32_e32 v8, 0x37800000, v7
	v_cndmask_b32_e64 v7, v7, v8, s[4:5]
	v_cmp_class_f32_e64 s[4:5], v6, v1
	s_nop 1
	v_cndmask_b32_e64 v1, v7, v6, s[4:5]
	s_cbranch_vccnz .LBB155_16
; %bb.15:
	global_load_dword v6, v0, s[10:11] offset:516
	s_waitcnt vmcnt(0)
	v_add_f32_e32 v1, v1, v6
.LBB155_16:
	ds_read_b32 v8, v4 offset:24
	s_mov_b32 s7, 0x3f317217
	s_mov_b32 s6, 0x41a00000
	ds_write_b32 v4, v1 offset:20
	s_waitcnt lgkmcnt(1)
	v_mul_f32_e32 v6, 0x3fb8aa3b, v8
	v_exp_f32_e32 v7, v6
	v_mov_b32_e32 v6, 0x4f800000
	v_add_f32_e32 v7, 1.0, v7
	v_cmp_gt_f32_e32 vcc, s12, v7
	s_nop 1
	v_cndmask_b32_e32 v9, 1.0, v6, vcc
	v_mul_f32_e32 v7, v7, v9
	v_log_f32_e32 v9, v7
	v_mov_b32_e32 v7, 0x41b17218
	v_cndmask_b32_e32 v10, 0, v7, vcc
	v_mul_f32_e32 v11, 0x3f317217, v9
	v_fma_f32 v11, v9, s7, -v11
	v_fmac_f32_e32 v11, 0x3377d1cf, v9
	v_fmac_f32_e32 v11, 0x3f317217, v9
	v_cmp_lt_f32_e64 vcc, |v9|, s13
	s_nop 1
	v_cndmask_b32_e32 v9, v9, v11, vcc
	v_sub_f32_e32 v9, v9, v10
	v_cmp_lt_f32_e32 vcc, s6, v8
	s_nop 1
	v_cndmask_b32_e32 v8, v9, v8, vcc
	v_mul_f32_e32 v9, 0x4f800000, v8
	v_cmp_gt_f32_e32 vcc, s14, v8
	s_nop 1
	v_cndmask_b32_e32 v8, v8, v9, vcc
	v_sqrt_f32_e32 v9, v8
	s_nop 0
	v_add_u32_e32 v1, -1, v9
	v_fma_f32 v10, -v1, v9, v8
	v_cmp_ge_f32_e64 s[4:5], 0, v10
	v_add_u32_e32 v10, 1, v9
	s_nop 0
	v_cndmask_b32_e64 v1, v9, v1, s[4:5]
	v_fma_f32 v9, -v10, v9, v8
	v_cmp_lt_f32_e64 s[4:5], 0, v9
	s_nop 1
	v_cndmask_b32_e64 v1, v1, v10, s[4:5]
	v_mul_f32_e32 v9, 0x37800000, v1
	v_cndmask_b32_e32 v9, v1, v9, vcc
	v_mov_b32_e32 v1, 0x260
	v_cmp_class_f32_e64 s[4:5], v8, v1
	s_and_b64 vcc, exec, s[0:1]
	s_nop 0
	v_cndmask_b32_e64 v8, v9, v8, s[4:5]
	s_cbranch_vccnz .LBB155_18
; %bb.17:
	global_load_dword v9, v0, s[10:11] offset:520
	s_waitcnt vmcnt(0)
	v_add_f32_e32 v8, v8, v9
.LBB155_18:
	ds_read_b32 v9, v4 offset:28
	ds_write_b32 v4, v8 offset:24
	s_waitcnt lgkmcnt(1)
	v_mul_f32_e32 v10, 0x3fb8aa3b, v9
	v_exp_f32_e32 v10, v10
	s_nop 0
	v_add_f32_e32 v10, 1.0, v10
	v_cmp_gt_f32_e32 vcc, s12, v10
	s_nop 1
	v_cndmask_b32_e32 v6, 1.0, v6, vcc
	v_mul_f32_e32 v6, v10, v6
	v_log_f32_e32 v6, v6
	v_cndmask_b32_e32 v7, 0, v7, vcc
	v_mul_f32_e32 v10, 0x3f317217, v6
	v_fma_f32 v10, v6, s7, -v10
	v_fmac_f32_e32 v10, 0x3377d1cf, v6
	v_fmac_f32_e32 v10, 0x3f317217, v6
	v_cmp_lt_f32_e64 vcc, |v6|, s13
	s_nop 1
	v_cndmask_b32_e32 v6, v6, v10, vcc
	v_sub_f32_e32 v6, v6, v7
	v_cmp_lt_f32_e32 vcc, s6, v9
	s_nop 1
	v_cndmask_b32_e32 v6, v6, v9, vcc
	v_mul_f32_e32 v7, 0x4f800000, v6
	v_cmp_gt_f32_e64 s[4:5], s14, v6
	s_and_b64 vcc, exec, s[0:1]
	s_nop 0
	v_cndmask_b32_e64 v6, v6, v7, s[4:5]
	v_sqrt_f32_e32 v7, v6
	s_nop 0
	v_add_u32_e32 v8, -1, v7
	v_add_u32_e32 v9, 1, v7
	v_fma_f32 v10, -v8, v7, v6
	v_fma_f32 v11, -v9, v7, v6
	v_cmp_ge_f32_e64 s[6:7], 0, v10
	s_nop 1
	v_cndmask_b32_e64 v7, v7, v8, s[6:7]
	v_cmp_lt_f32_e64 s[6:7], 0, v11
	s_nop 1
	v_cndmask_b32_e64 v7, v7, v9, s[6:7]
	v_mul_f32_e32 v8, 0x37800000, v7
	v_cndmask_b32_e64 v7, v7, v8, s[4:5]
	v_cmp_class_f32_e64 s[4:5], v6, v1
	s_nop 1
	v_cndmask_b32_e64 v1, v7, v6, s[4:5]
	s_cbranch_vccnz .LBB155_20
; %bb.19:
	global_load_dword v0, v0, s[10:11] offset:524
	s_waitcnt vmcnt(0)
	v_add_f32_e32 v1, v1, v0
.LBB155_20:
	s_load_dwordx4 s[12:15], s[2:3], 0x30
	s_mov_b32 s31, 0
	v_cmp_eq_u32_e64 s[6:7], 0, v3
	ds_write_b32 v4, v1 offset:28
	s_waitcnt lgkmcnt(0)
	s_bitcmp1_b32 s15, 0
	s_cselect_b64 s[4:5], -1, 0
	s_cmp_gt_i32 s12, 0
	s_cselect_b64 s[24:25], -1, 0
	s_and_b64 vcc, exec, s[24:25]
	s_cbranch_vccz .LBB155_49
; %bb.21:
	v_mbcnt_lo_u32_b32 v0, -1, 0
	v_mbcnt_hi_u32_b32 v0, -1, v0
	v_and_b32_e32 v1, 0x60, v0
	v_add_u32_e32 v1, 32, v1
	v_xor_b32_e32 v6, 16, v0
	v_cmp_lt_i32_e32 vcc, v6, v1
	s_load_dwordx4 s[16:19], s[2:3], 0x20
	v_mul_lo_u32 v7, v2, s12
	v_cndmask_b32_e32 v6, v0, v6, vcc
	v_lshlrev_b32_e32 v8, 2, v6
	v_xor_b32_e32 v6, 8, v0
	v_cmp_lt_i32_e32 vcc, v6, v1
	v_mov_b32_e32 v13, 0x80
	v_mov_b32_e32 v14, 0x81
	v_cndmask_b32_e32 v6, v0, v6, vcc
	v_lshlrev_b32_e32 v9, 2, v6
	v_xor_b32_e32 v6, 4, v0
	v_cmp_lt_i32_e32 vcc, v6, v1
	v_mov_b32_e32 v15, 0x82
	v_mov_b32_e32 v16, 0x83
	;; [unrolled: 6-line block ×3, first 2 shown]
	v_cndmask_b32_e32 v6, v0, v6, vcc
	v_lshlrev_b32_e32 v11, 2, v6
	v_xor_b32_e32 v6, 1, v0
	v_cmp_lt_i32_e32 vcc, v6, v1
	v_mov_b32_e32 v19, v2
	s_nop 0
	v_cndmask_b32_e32 v0, v0, v6, vcc
	v_lshlrev_b32_e32 v12, 2, v0
	v_mov_b32_e32 v6, 0
	s_branch .LBB155_23
.LBB155_22:                             ;   in Loop: Header=BB155_23 Depth=1
	s_or_b64 exec, exec, s[2:3]
	s_cmp_eq_u32 s12, s31
	v_add_u32_e32 v19, s30, v19
	s_cbranch_scc1 .LBB155_50
.LBB155_23:                             ; =>This Inner Loop Header: Depth=1
	ds_read_b128 v[20:23], v4
	ds_read_b128 v[24:27], v4 offset:16
	s_waitcnt lgkmcnt(0)
	v_cmp_gt_f32_e32 vcc, v21, v20
	s_nop 1
	v_cndmask_b32_e32 v1, v20, v21, vcc
	v_cndmask_b32_e64 v0, 0, 1, vcc
	v_cmp_gt_f32_e32 vcc, v22, v1
	s_nop 1
	v_cndmask_b32_e32 v1, v1, v22, vcc
	v_cndmask_b32_e64 v0, v0, 2, vcc
	;; [unrolled: 4-line block ×3, first 2 shown]
	v_cmp_gt_f32_e32 vcc, v24, v1
	s_nop 1
	v_cndmask_b32_e32 v1, v1, v24, vcc
	v_cndmask_b32_e32 v0, v0, v13, vcc
	v_cmp_gt_f32_e32 vcc, v25, v1
	s_nop 1
	v_cndmask_b32_e32 v1, v1, v25, vcc
	v_cndmask_b32_e32 v0, v0, v14, vcc
	;; [unrolled: 4-line block ×4, first 2 shown]
	ds_bpermute_b32 v1, v8, v20
	v_or_b32_e32 v0, v5, v0
	ds_bpermute_b32 v21, v8, v0
	s_waitcnt lgkmcnt(1)
	v_cmp_lt_f32_e64 s[26:27], v20, v1
	v_cmp_nlt_f32_e32 vcc, v20, v1
	s_and_saveexec_b64 s[28:29], vcc
	s_cbranch_execz .LBB155_25
; %bb.24:                               ;   in Loop: Header=BB155_23 Depth=1
	v_cmp_eq_f32_e32 vcc, v20, v1
	s_waitcnt lgkmcnt(0)
	v_cmp_lt_i32_e64 s[2:3], v21, v0
	s_and_b64 s[2:3], vcc, s[2:3]
	s_andn2_b64 s[26:27], s[26:27], exec
	s_and_b64 s[2:3], s[2:3], exec
	s_or_b64 s[26:27], s[26:27], s[2:3]
.LBB155_25:                             ;   in Loop: Header=BB155_23 Depth=1
	s_or_b64 exec, exec, s[28:29]
	s_and_saveexec_b64 s[2:3], s[26:27]
	s_cbranch_execz .LBB155_27
; %bb.26:                               ;   in Loop: Header=BB155_23 Depth=1
	v_mov_b32_e32 v20, v1
	s_waitcnt lgkmcnt(0)
	v_mov_b32_e32 v0, v21
.LBB155_27:                             ;   in Loop: Header=BB155_23 Depth=1
	s_or_b64 exec, exec, s[2:3]
	ds_bpermute_b32 v1, v9, v20
	s_waitcnt lgkmcnt(1)
	ds_bpermute_b32 v21, v9, v0
	s_waitcnt lgkmcnt(1)
	v_cmp_lt_f32_e64 s[26:27], v20, v1
	v_cmp_nlt_f32_e32 vcc, v20, v1
	s_and_saveexec_b64 s[28:29], vcc
	s_cbranch_execz .LBB155_29
; %bb.28:                               ;   in Loop: Header=BB155_23 Depth=1
	v_cmp_eq_f32_e32 vcc, v20, v1
	s_waitcnt lgkmcnt(0)
	v_cmp_lt_i32_e64 s[2:3], v21, v0
	s_and_b64 s[2:3], vcc, s[2:3]
	s_andn2_b64 s[26:27], s[26:27], exec
	s_and_b64 s[2:3], s[2:3], exec
	s_or_b64 s[26:27], s[26:27], s[2:3]
.LBB155_29:                             ;   in Loop: Header=BB155_23 Depth=1
	s_or_b64 exec, exec, s[28:29]
	s_and_saveexec_b64 s[2:3], s[26:27]
	s_cbranch_execz .LBB155_31
; %bb.30:                               ;   in Loop: Header=BB155_23 Depth=1
	v_mov_b32_e32 v20, v1
	s_waitcnt lgkmcnt(0)
	v_mov_b32_e32 v0, v21
.LBB155_31:                             ;   in Loop: Header=BB155_23 Depth=1
	s_or_b64 exec, exec, s[2:3]
	ds_bpermute_b32 v1, v10, v20
	s_waitcnt lgkmcnt(1)
	;; [unrolled: 26-line block ×4, first 2 shown]
	ds_bpermute_b32 v21, v12, v0
	s_waitcnt lgkmcnt(1)
	v_cmp_lt_f32_e64 s[26:27], v20, v1
	v_cmp_nlt_f32_e32 vcc, v20, v1
	s_and_saveexec_b64 s[28:29], vcc
	s_cbranch_execnz .LBB155_42
; %bb.40:                               ;   in Loop: Header=BB155_23 Depth=1
	s_or_b64 exec, exec, s[28:29]
	s_and_saveexec_b64 s[2:3], s[26:27]
	s_cbranch_execnz .LBB155_43
.LBB155_41:                             ;   in Loop: Header=BB155_23 Depth=1
	s_or_b64 exec, exec, s[2:3]
	s_and_saveexec_b64 s[26:27], s[6:7]
	s_cbranch_execnz .LBB155_44
	s_branch .LBB155_47
.LBB155_42:                             ;   in Loop: Header=BB155_23 Depth=1
	v_cmp_eq_f32_e32 vcc, v20, v1
	s_waitcnt lgkmcnt(0)
	v_cmp_lt_i32_e64 s[2:3], v21, v0
	s_and_b64 s[2:3], vcc, s[2:3]
	s_andn2_b64 s[26:27], s[26:27], exec
	s_and_b64 s[2:3], s[2:3], exec
	s_or_b64 s[26:27], s[26:27], s[2:3]
	s_or_b64 exec, exec, s[28:29]
	s_and_saveexec_b64 s[2:3], s[26:27]
	s_cbranch_execz .LBB155_41
.LBB155_43:                             ;   in Loop: Header=BB155_23 Depth=1
	s_waitcnt lgkmcnt(0)
	v_mov_b32_e32 v0, v21
	v_mov_b32_e32 v20, v1
	s_or_b64 exec, exec, s[2:3]
	s_and_saveexec_b64 s[26:27], s[6:7]
	s_cbranch_execz .LBB155_47
.LBB155_44:                             ;   in Loop: Header=BB155_23 Depth=1
	s_and_b64 vcc, exec, s[0:1]
	s_cbranch_vccnz .LBB155_46
; %bb.45:                               ;   in Loop: Header=BB155_23 Depth=1
	v_ashrrev_i32_e32 v1, 31, v0
	v_lshl_add_u64 v[22:23], v[0:1], 2, s[10:11]
	global_load_dword v1, v[22:23], off
	s_waitcnt vmcnt(0)
	v_sub_f32_e32 v20, v20, v1
.LBB155_46:                             ;   in Loop: Header=BB155_23 Depth=1
	v_add_u32_e32 v22, s31, v7
	v_cmp_le_i32_e32 vcc, s13, v0
	v_cmp_gt_i32_e64 s[2:3], s14, v0
	v_ashrrev_i32_e32 v23, 31, v22
	s_and_b64 s[2:3], vcc, s[2:3]
	v_lshlrev_b64 v[24:25], 2, v[22:23]
	v_subrev_u32_e32 v1, s13, v0
	v_lshl_add_u64 v[26:27], s[20:21], 0, v[24:25]
	s_waitcnt lgkmcnt(0)
	v_ashrrev_i32_e32 v21, 31, v1
	s_and_b64 vcc, s[22:23], s[2:3]
	global_store_dword v[26:27], v20, off
	v_cndmask_b32_e32 v27, 0, v21, vcc
	v_cndmask_b32_e32 v26, v18, v1, vcc
	v_lshl_add_u64 v[22:23], v[22:23], 3, s[16:17]
	v_add_f32_e32 v1, v6, v20
	global_store_dwordx2 v[22:23], v[26:27], off
	v_lshl_add_u64 v[22:23], s[18:19], 0, v[24:25]
	v_cndmask_b32_e64 v6, v6, v1, s[4:5]
	global_store_dword v[22:23], v19, off
.LBB155_47:                             ;   in Loop: Header=BB155_23 Depth=1
	s_or_b64 exec, exec, s[26:27]
	v_ashrrev_i32_e32 v20, 31, v0
	v_lshrrev_b32_e32 v1, 30, v20
	s_waitcnt lgkmcnt(0)
	v_add_u32_e32 v21, v0, v1
	v_ashrrev_i32_e32 v1, 2, v21
	v_ashrrev_i32_e32 v21, 31, v21
	v_lshrrev_b32_e32 v21, 27, v21
	v_add_u32_e32 v21, v1, v21
	s_add_i32 s31, s31, 1
	v_and_b32_e32 v21, 0xffffffe0, v21
	s_cmp_lt_i32 s31, s12
	v_sub_u32_e32 v21, v1, v21
	s_cselect_b64 s[2:3], -1, 0
	v_cmp_eq_u32_e32 vcc, v3, v21
	s_and_b64 s[26:27], s[2:3], vcc
	s_and_saveexec_b64 s[2:3], s[26:27]
	s_cbranch_execz .LBB155_22
; %bb.48:                               ;   in Loop: Header=BB155_23 Depth=1
	v_lshrrev_b32_e32 v20, 25, v20
	v_add_u32_e32 v20, v0, v20
	v_lshlrev_b32_e32 v1, 2, v1
	v_ashrrev_i32_e32 v20, 7, v20
	v_sub_u32_e32 v0, v0, v1
	v_lshl_add_u32 v0, v20, 2, v0
	v_lshl_add_u32 v0, v0, 2, v4
	ds_write_b32 v0, v17
	s_branch .LBB155_22
.LBB155_49:
	v_mov_b32_e32 v6, 0
.LBB155_50:
	v_cmp_eq_u32_e32 vcc, 0, v3
	s_and_b64 exec, exec, vcc
	s_cbranch_execz .LBB155_63
; %bb.51:
	s_andn2_b64 vcc, exec, s[4:5]
	v_cvt_f32_f64_e32 v0, s[8:9]
	s_cbranch_vccnz .LBB155_53
; %bb.52:
	v_cmp_lt_f32_e32 vcc, 0, v6
	s_nop 1
	v_cndmask_b32_e32 v1, 1.0, v6, vcc
	v_div_scale_f32 v3, s[0:1], v1, v1, v0
	v_rcp_f32_e32 v4, v3
	s_nop 0
	v_fma_f32 v5, -v3, v4, 1.0
	v_fmac_f32_e32 v4, v5, v4
	v_div_scale_f32 v5, vcc, v0, v1, v0
	v_mul_f32_e32 v6, v5, v4
	v_fma_f32 v7, -v3, v6, v5
	v_fmac_f32_e32 v6, v7, v4
	v_fma_f32 v3, -v3, v6, v5
	v_div_fmas_f32 v3, v3, v4, v6
	v_div_fixup_f32 v0, v3, v1, v0
.LBB155_53:
	s_andn2_b64 vcc, exec, s[24:25]
	s_cbranch_vccnz .LBB155_63
; %bb.54:
	v_mul_lo_u32 v2, v2, s12
	s_cmp_gt_u32 s12, 3
	v_ashrrev_i32_e32 v3, 31, v2
	s_cbranch_scc0 .LBB155_58
; %bb.55:
	s_and_b32 s0, s12, 0x7ffffffc
	v_lshl_add_u64 v[4:5], v[2:3], 2, s[20:21]
	v_mov_b32_e32 v1, v0
	v_lshl_add_u64 v[4:5], v[4:5], 0, 8
	s_mov_b32 s1, s0
.LBB155_56:                             ; =>This Inner Loop Header: Depth=1
	global_load_dwordx4 v[6:9], v[4:5], off offset:-8
	s_add_i32 s1, s1, -4
	s_cmp_lg_u32 s1, 0
	s_waitcnt vmcnt(0)
	v_pk_mul_f32 v[6:7], v[0:1], v[6:7]
	v_pk_mul_f32 v[8:9], v[0:1], v[8:9]
	global_store_dwordx4 v[4:5], v[6:9], off offset:-8
	v_lshl_add_u64 v[4:5], v[4:5], 0, 16
	s_cbranch_scc1 .LBB155_56
; %bb.57:
	s_cmp_lg_u32 s0, s12
	s_cselect_b64 s[2:3], -1, 0
	s_branch .LBB155_60
.LBB155_58:
	s_mov_b64 s[2:3], 0
                                        ; implicit-def: $sgpr0
	s_cbranch_execz .LBB155_60
; %bb.59:
	s_mov_b64 s[2:3], -1
	s_mov_b32 s0, 0
.LBB155_60:
	s_andn2_b64 vcc, exec, s[2:3]
	s_cbranch_vccnz .LBB155_63
; %bb.61:
	s_mov_b32 s1, 0
	v_lshl_add_u64 v[2:3], v[2:3], 0, s[0:1]
	s_sub_i32 s2, s12, s0
	v_lshl_add_u64 v[2:3], v[2:3], 2, s[20:21]
.LBB155_62:                             ; =>This Inner Loop Header: Depth=1
	global_load_dword v1, v[2:3], off
	s_add_i32 s2, s2, -1
	s_cmp_lg_u32 s2, 0
	s_waitcnt vmcnt(0)
	v_mul_f32_e32 v1, v0, v1
	global_store_dword v[2:3], v1, off
	v_lshl_add_u64 v[2:3], v[2:3], 0, 4
	s_cbranch_scc1 .LBB155_62
.LBB155_63:
	s_endpgm
	.section	.rodata,"a",@progbits
	.p2align	6, 0x0
	.amdhsa_kernel _ZN4vllm3moe22topkGatingSoftplusSqrtILi8ELi256ELi4ELi16ELi32ELb0ElfEEvPKT6_PKbPfiPT5_PiiiibdPKfPKS8_SE_
		.amdhsa_group_segment_fixed_size 4096
		.amdhsa_private_segment_fixed_size 0
		.amdhsa_kernarg_size 96
		.amdhsa_user_sgpr_count 4
		.amdhsa_user_sgpr_dispatch_ptr 1
		.amdhsa_user_sgpr_queue_ptr 0
		.amdhsa_user_sgpr_kernarg_segment_ptr 1
		.amdhsa_user_sgpr_dispatch_id 0
		.amdhsa_user_sgpr_kernarg_preload_length 0
		.amdhsa_user_sgpr_kernarg_preload_offset 0
		.amdhsa_user_sgpr_private_segment_size 0
		.amdhsa_uses_dynamic_stack 0
		.amdhsa_enable_private_segment 0
		.amdhsa_system_sgpr_workgroup_id_x 1
		.amdhsa_system_sgpr_workgroup_id_y 0
		.amdhsa_system_sgpr_workgroup_id_z 0
		.amdhsa_system_sgpr_workgroup_info 0
		.amdhsa_system_vgpr_workitem_id 2
		.amdhsa_next_free_vgpr 28
		.amdhsa_next_free_sgpr 32
		.amdhsa_accum_offset 28
		.amdhsa_reserve_vcc 1
		.amdhsa_float_round_mode_32 0
		.amdhsa_float_round_mode_16_64 0
		.amdhsa_float_denorm_mode_32 3
		.amdhsa_float_denorm_mode_16_64 3
		.amdhsa_dx10_clamp 1
		.amdhsa_ieee_mode 1
		.amdhsa_fp16_overflow 0
		.amdhsa_tg_split 0
		.amdhsa_exception_fp_ieee_invalid_op 0
		.amdhsa_exception_fp_denorm_src 0
		.amdhsa_exception_fp_ieee_div_zero 0
		.amdhsa_exception_fp_ieee_overflow 0
		.amdhsa_exception_fp_ieee_underflow 0
		.amdhsa_exception_fp_ieee_inexact 0
		.amdhsa_exception_int_div_zero 0
	.end_amdhsa_kernel
	.section	.text._ZN4vllm3moe22topkGatingSoftplusSqrtILi8ELi256ELi4ELi16ELi32ELb0ElfEEvPKT6_PKbPfiPT5_PiiiibdPKfPKS8_SE_,"axG",@progbits,_ZN4vllm3moe22topkGatingSoftplusSqrtILi8ELi256ELi4ELi16ELi32ELb0ElfEEvPKT6_PKbPfiPT5_PiiiibdPKfPKS8_SE_,comdat
.Lfunc_end155:
	.size	_ZN4vllm3moe22topkGatingSoftplusSqrtILi8ELi256ELi4ELi16ELi32ELb0ElfEEvPKT6_PKbPfiPT5_PiiiibdPKfPKS8_SE_, .Lfunc_end155-_ZN4vllm3moe22topkGatingSoftplusSqrtILi8ELi256ELi4ELi16ELi32ELb0ElfEEvPKT6_PKbPfiPT5_PiiiibdPKfPKS8_SE_
                                        ; -- End function
	.section	.AMDGPU.csdata,"",@progbits
; Kernel info:
; codeLenInByte = 4316
; NumSgprs: 38
; NumVgprs: 28
; NumAgprs: 0
; TotalNumVgprs: 28
; ScratchSize: 0
; MemoryBound: 0
; FloatMode: 240
; IeeeMode: 1
; LDSByteSize: 4096 bytes/workgroup (compile time only)
; SGPRBlocks: 4
; VGPRBlocks: 3
; NumSGPRsForWavesPerEU: 38
; NumVGPRsForWavesPerEU: 28
; AccumOffset: 28
; Occupancy: 8
; WaveLimiterHint : 0
; COMPUTE_PGM_RSRC2:SCRATCH_EN: 0
; COMPUTE_PGM_RSRC2:USER_SGPR: 4
; COMPUTE_PGM_RSRC2:TRAP_HANDLER: 0
; COMPUTE_PGM_RSRC2:TGID_X_EN: 1
; COMPUTE_PGM_RSRC2:TGID_Y_EN: 0
; COMPUTE_PGM_RSRC2:TGID_Z_EN: 0
; COMPUTE_PGM_RSRC2:TIDIG_COMP_CNT: 2
; COMPUTE_PGM_RSRC3_GFX90A:ACCUM_OFFSET: 6
; COMPUTE_PGM_RSRC3_GFX90A:TG_SPLIT: 0
	.section	.text._ZN4vllm3moe22topkGatingSoftplusSqrtILi8ELi512ELi4ELi16ELi64ELb1ElfEEvPKT6_PKbPfiPT5_PiiiibdPKfPKS8_SE_,"axG",@progbits,_ZN4vllm3moe22topkGatingSoftplusSqrtILi8ELi512ELi4ELi16ELi64ELb1ElfEEvPKT6_PKbPfiPT5_PiiiibdPKfPKS8_SE_,comdat
	.protected	_ZN4vllm3moe22topkGatingSoftplusSqrtILi8ELi512ELi4ELi16ELi64ELb1ElfEEvPKT6_PKbPfiPT5_PiiiibdPKfPKS8_SE_ ; -- Begin function _ZN4vllm3moe22topkGatingSoftplusSqrtILi8ELi512ELi4ELi16ELi64ELb1ElfEEvPKT6_PKbPfiPT5_PiiiibdPKfPKS8_SE_
	.globl	_ZN4vllm3moe22topkGatingSoftplusSqrtILi8ELi512ELi4ELi16ELi64ELb1ElfEEvPKT6_PKbPfiPT5_PiiiibdPKfPKS8_SE_
	.p2align	8
	.type	_ZN4vllm3moe22topkGatingSoftplusSqrtILi8ELi512ELi4ELi16ELi64ELb1ElfEEvPKT6_PKbPfiPT5_PiiiibdPKfPKS8_SE_,@function
_ZN4vllm3moe22topkGatingSoftplusSqrtILi8ELi512ELi4ELi16ELi64ELb1ElfEEvPKT6_PKbPfiPT5_PiiiibdPKfPKS8_SE_: ; @_ZN4vllm3moe22topkGatingSoftplusSqrtILi8ELi512ELi4ELi16ELi64ELb1ElfEEvPKT6_PKbPfiPT5_PiiiibdPKfPKS8_SE_
; %bb.0:
	s_load_dword s3, s[0:1], 0x18
	v_and_b32_e32 v1, 0x3ff, v0
	s_lshl_b32 s2, s2, 2
	v_lshrrev_b32_e32 v2, 6, v1
	v_bfe_u32 v0, v0, 10, 10
	v_add3_u32 v6, s2, v0, v2
	s_waitcnt lgkmcnt(0)
	v_cmp_gt_i32_e32 vcc, s3, v6
	s_and_saveexec_b64 s[2:3], vcc
	s_cbranch_execz .LBB156_31
; %bb.1:
	s_load_dwordx4 s[8:11], s[0:1], 0x50
	s_load_dwordx2 s[2:3], s[0:1], 0x0
	s_load_dword s12, s[0:1], 0x30
	v_lshlrev_b32_e32 v2, 9, v6
	v_lshlrev_b32_e32 v0, 2, v1
	s_waitcnt lgkmcnt(0)
	v_mov_b32_e32 v8, s8
	v_mov_b32_e32 v9, s9
	v_ashrrev_i32_e32 v3, 31, v2
	v_and_b32_e32 v12, 0xfc, v0
	v_ashrrev_i32_e32 v7, 31, v6
	v_lshl_add_u64 v[2:3], v[2:3], 2, s[2:3]
	v_lshlrev_b32_e32 v4, 2, v12
	v_mov_b32_e32 v5, 0
	v_lshl_add_u64 v[0:1], v[6:7], 3, v[8:9]
	global_load_dwordx2 v[8:9], v[0:1], off
	v_lshl_add_u64 v[0:1], v[2:3], 0, v[4:5]
	global_load_dwordx4 v[14:17], v[0:1], off
	s_mov_b32 s23, 0x800000
	global_load_dwordx4 v[0:3], v[0:1], off offset:1024
	s_ashr_i32 s13, s12, 31
	v_mov_b32_e32 v7, 0x4f800000
	s_mov_b32 s21, 0x3f317217
	s_mov_b32 s22, 0x7f800000
	v_mov_b32_e32 v13, 0x41b17218
	s_mov_b32 s17, 0x41a00000
	s_mov_b32 s20, 0xf800000
	v_mov_b32_e32 v20, 0x260
	v_cmp_lt_i64_e64 s[18:19], s[12:13], 1
	v_mov_b32_e32 v4, 0
	s_mov_b32 s16, 0
	v_cmp_gt_i64_e64 s[14:15], s[12:13], 0
	s_waitcnt vmcnt(2)
	v_mul_lo_u32 v21, v9, s12
	v_mul_lo_u32 v22, v8, s13
	s_waitcnt vmcnt(1)
	v_mul_f32_e32 v9, 0x3fb8aa3b, v14
	v_mul_f32_e32 v11, 0x3fb8aa3b, v15
	v_exp_f32_e32 v10, v9
	v_exp_f32_e32 v11, v11
	v_mul_f32_e32 v18, 0x3fb8aa3b, v16
	v_mul_f32_e32 v19, 0x3fb8aa3b, v17
	v_exp_f32_e32 v18, v18
	v_pk_add_f32 v[10:11], v[10:11], 1.0 op_sel_hi:[1,0]
	v_exp_f32_e32 v19, v19
	v_mad_u64_u32 v[8:9], s[2:3], v8, s12, 0
	v_cmp_gt_f32_e32 vcc, s23, v11
	v_add3_u32 v9, v9, v22, v21
	v_cmp_gt_f32_e64 s[2:3], s23, v10
	v_cndmask_b32_e32 v21, 1.0, v7, vcc
	v_mul_f32_e32 v11, v11, v21
	v_cndmask_b32_e64 v22, 1.0, v7, s[2:3]
	v_mul_f32_e32 v10, v10, v22
	v_log_f32_e32 v11, v11
	v_pk_add_f32 v[18:19], v[18:19], 1.0 op_sel_hi:[1,0]
	v_log_f32_e32 v10, v10
	v_cmp_gt_f32_e64 s[4:5], s23, v19
	v_cmp_gt_f32_e64 s[6:7], s23, v18
	v_cndmask_b32_e32 v21, 0, v13, vcc
	v_cndmask_b32_e64 v23, 1.0, v7, s[4:5]
	v_cndmask_b32_e64 v24, 1.0, v7, s[6:7]
	v_mul_f32_e32 v19, v19, v23
	v_mul_f32_e32 v23, 0x3f317217, v11
	;; [unrolled: 1-line block ×4, first 2 shown]
	v_fma_f32 v23, v11, s21, -v23
	v_fma_f32 v24, v10, s21, -v24
	v_fmac_f32_e32 v23, 0x3377d1cf, v11
	v_fmac_f32_e32 v24, 0x3377d1cf, v10
	;; [unrolled: 1-line block ×3, first 2 shown]
	v_cmp_lt_f32_e64 vcc, |v11|, s22
	v_fmac_f32_e32 v24, 0x3f317217, v10
	v_cndmask_b32_e64 v22, 0, v13, s[2:3]
	v_cndmask_b32_e32 v11, v11, v23, vcc
	v_cmp_lt_f32_e64 vcc, |v10|, s22
	v_sub_f32_e32 v11, v11, v21
	v_log_f32_e32 v19, v19
	v_cndmask_b32_e32 v10, v10, v24, vcc
	v_sub_f32_e32 v10, v10, v22
	v_cmp_lt_f32_e32 vcc, s17, v14
	v_mul_f32_e32 v25, 0x3f317217, v19
	v_log_f32_e32 v18, v18
	v_cndmask_b32_e32 v10, v10, v14, vcc
	v_cmp_lt_f32_e32 vcc, s17, v15
	v_cmp_gt_f32_e64 s[2:3], s20, v10
	v_fma_f32 v25, v19, s21, -v25
	v_cndmask_b32_e32 v11, v11, v15, vcc
	v_mul_f32_e32 v14, 0x4f800000, v11
	v_cmp_gt_f32_e32 vcc, s20, v11
	v_mul_f32_e32 v15, 0x4f800000, v10
	v_cndmask_b32_e64 v10, v10, v15, s[2:3]
	v_cndmask_b32_e32 v11, v11, v14, vcc
	v_sqrt_f32_e32 v14, v11
	v_sqrt_f32_e32 v15, v10
	v_fmac_f32_e32 v25, 0x3377d1cf, v19
	v_fmac_f32_e32 v25, 0x3f317217, v19
	v_add_u32_e32 v21, -1, v14
	v_add_u32_e32 v23, -1, v15
	v_fma_f32 v26, -v21, v14, v11
	v_add_u32_e32 v22, 1, v14
	v_fma_f32 v28, -v23, v15, v10
	v_cmp_ge_f32_e64 s[8:9], 0, v26
	v_add_u32_e32 v24, 1, v15
	v_fma_f32 v27, -v22, v14, v11
	v_cndmask_b32_e64 v14, v14, v21, s[8:9]
	v_cmp_ge_f32_e64 s[8:9], 0, v28
	v_fma_f32 v29, -v24, v15, v10
	s_nop 0
	v_cndmask_b32_e64 v15, v15, v23, s[8:9]
	v_cmp_lt_f32_e64 s[8:9], 0, v27
	s_nop 1
	v_cndmask_b32_e64 v14, v14, v22, s[8:9]
	v_cmp_lt_f32_e64 s[8:9], 0, v29
	v_mul_f32_e32 v21, 0x37800000, v14
	v_cndmask_b32_e32 v14, v14, v21, vcc
	v_cndmask_b32_e64 v15, v15, v24, s[8:9]
	v_mul_f32_e32 v22, 0x37800000, v15
	v_cmp_class_f32_e32 vcc, v11, v20
	v_cndmask_b32_e64 v21, v15, v22, s[2:3]
	v_cmp_lt_f32_e64 s[2:3], s17, v16
	v_cndmask_b32_e32 v15, v14, v11, vcc
	v_cmp_class_f32_e32 vcc, v10, v20
	v_cndmask_b32_e64 v11, 0, v13, s[4:5]
	s_nop 0
	v_cndmask_b32_e32 v14, v21, v10, vcc
	v_cmp_lt_f32_e64 vcc, |v19|, s22
	s_nop 1
	v_cndmask_b32_e32 v10, v19, v25, vcc
	v_sub_f32_e32 v10, v10, v11
	v_mul_f32_e32 v11, 0x3f317217, v18
	v_fma_f32 v11, v18, s21, -v11
	v_fmac_f32_e32 v11, 0x3377d1cf, v18
	v_fmac_f32_e32 v11, 0x3f317217, v18
	v_cmp_lt_f32_e64 vcc, |v18|, s22
	s_nop 1
	v_cndmask_b32_e32 v11, v18, v11, vcc
	v_cmp_lt_f32_e32 vcc, s17, v17
	v_cndmask_b32_e64 v18, 0, v13, s[6:7]
	v_sub_f32_e32 v11, v11, v18
	v_cndmask_b32_e32 v10, v10, v17, vcc
	v_mul_f32_e32 v17, 0x4f800000, v10
	v_cmp_gt_f32_e32 vcc, s20, v10
	v_cndmask_b32_e64 v11, v11, v16, s[2:3]
	s_nop 0
	v_cndmask_b32_e32 v10, v10, v17, vcc
	v_sqrt_f32_e32 v17, v10
	s_nop 0
	v_add_u32_e32 v16, -1, v17
	v_fma_f32 v18, -v16, v17, v10
	v_cmp_ge_f32_e64 s[2:3], 0, v18
	v_add_u32_e32 v18, 1, v17
	s_nop 0
	v_cndmask_b32_e64 v16, v17, v16, s[2:3]
	v_fma_f32 v17, -v18, v17, v10
	v_cmp_lt_f32_e64 s[2:3], 0, v17
	s_nop 1
	v_cndmask_b32_e64 v16, v16, v18, s[2:3]
	v_mul_f32_e32 v18, 0x4f800000, v11
	v_cmp_gt_f32_e64 s[2:3], s20, v11
	v_mul_f32_e32 v17, 0x37800000, v16
	v_cndmask_b32_e32 v16, v16, v17, vcc
	v_cndmask_b32_e64 v18, v11, v18, s[2:3]
	v_sqrt_f32_e32 v11, v18
	v_cmp_class_f32_e32 vcc, v10, v20
	v_add_u32_e32 v19, 1, v11
	s_nop 0
	v_cndmask_b32_e32 v17, v16, v10, vcc
	v_add_u32_e32 v10, -1, v11
	v_fma_f32 v16, -v10, v11, v18
	v_cmp_ge_f32_e32 vcc, 0, v16
	v_fma_f32 v21, -v19, v11, v18
	s_nop 0
	v_cndmask_b32_e32 v16, v11, v10, vcc
	s_waitcnt vmcnt(0)
	v_mul_f32_e32 v10, 0x3fb8aa3b, v0
	v_mul_f32_e32 v11, 0x3fb8aa3b, v1
	v_exp_f32_e32 v10, v10
	v_exp_f32_e32 v11, v11
	v_cmp_lt_f32_e32 vcc, 0, v21
	v_pk_add_f32 v[10:11], v[10:11], 1.0 op_sel_hi:[1,0]
	s_nop 0
	v_cndmask_b32_e32 v16, v16, v19, vcc
	v_mul_f32_e32 v19, 0x37800000, v16
	v_cmp_gt_f32_e32 vcc, s23, v11
	v_cndmask_b32_e64 v16, v16, v19, s[2:3]
	v_cmp_class_f32_e64 s[2:3], v18, v20
	v_cndmask_b32_e32 v19, 1.0, v7, vcc
	v_mul_f32_e32 v11, v11, v19
	v_log_f32_e32 v11, v11
	v_cndmask_b32_e64 v16, v16, v18, s[2:3]
	v_cmp_gt_f32_e64 s[2:3], s23, v10
	scratch_store_dwordx4 off, v[14:17], off
	v_cmp_lt_f32_e64 s[4:5], |v11|, s22
	s_nop 0
	v_cndmask_b32_e64 v15, 1.0, v7, s[2:3]
	v_mul_f32_e32 v14, 0x3f317217, v11
	v_mul_f32_e32 v10, v10, v15
	v_fma_f32 v14, v11, s21, -v14
	v_log_f32_e32 v10, v10
	v_fmac_f32_e32 v14, 0x3377d1cf, v11
	v_fmac_f32_e32 v14, 0x3f317217, v11
	v_cndmask_b32_e64 v11, v11, v14, s[4:5]
	v_cndmask_b32_e32 v14, 0, v13, vcc
	v_sub_f32_e32 v11, v11, v14
	v_mul_f32_e32 v14, 0x3f317217, v10
	v_fma_f32 v14, v10, s21, -v14
	v_fmac_f32_e32 v14, 0x3377d1cf, v10
	v_fmac_f32_e32 v14, 0x3f317217, v10
	v_cmp_lt_f32_e64 vcc, |v10|, s22
	s_nop 1
	v_cndmask_b32_e32 v10, v10, v14, vcc
	v_cmp_lt_f32_e32 vcc, s17, v1
	v_cndmask_b32_e64 v14, 0, v13, s[2:3]
	v_sub_f32_e32 v10, v10, v14
	v_cndmask_b32_e32 v1, v11, v1, vcc
	v_mul_f32_e32 v11, 0x4f800000, v1
	v_cmp_gt_f32_e32 vcc, s20, v1
	v_cmp_lt_f32_e64 s[2:3], s17, v0
	s_nop 0
	v_cndmask_b32_e32 v1, v1, v11, vcc
	v_sqrt_f32_e32 v11, v1
	v_cndmask_b32_e64 v0, v10, v0, s[2:3]
	v_add_u32_e32 v10, -1, v11
	v_fma_f32 v14, -v10, v11, v1
	v_cmp_ge_f32_e64 s[2:3], 0, v14
	v_add_u32_e32 v14, 1, v11
	s_nop 0
	v_cndmask_b32_e64 v10, v11, v10, s[2:3]
	v_fma_f32 v11, -v14, v11, v1
	v_cmp_lt_f32_e64 s[2:3], 0, v11
	s_nop 1
	v_cndmask_b32_e64 v10, v10, v14, s[2:3]
	v_mul_f32_e32 v14, 0x4f800000, v0
	v_cmp_gt_f32_e64 s[2:3], s20, v0
	v_mul_f32_e32 v11, 0x37800000, v10
	v_cndmask_b32_e32 v10, v10, v11, vcc
	v_cndmask_b32_e64 v0, v0, v14, s[2:3]
	v_sqrt_f32_e32 v14, v0
	v_cmp_class_f32_e32 vcc, v1, v20
	v_add_u32_e32 v16, 1, v14
	s_nop 0
	v_cndmask_b32_e32 v1, v10, v1, vcc
	v_add_u32_e32 v10, -1, v14
	v_fma_f32 v11, -v10, v14, v0
	v_cmp_ge_f32_e32 vcc, 0, v11
	v_mul_f32_e32 v11, 0x3fb8aa3b, v3
	v_exp_f32_e32 v11, v11
	v_cndmask_b32_e32 v15, v14, v10, vcc
	v_mul_f32_e32 v10, 0x3fb8aa3b, v2
	v_exp_f32_e32 v10, v10
	v_fma_f32 v14, -v16, v14, v0
	v_cmp_lt_f32_e32 vcc, 0, v14
	v_pk_add_f32 v[10:11], v[10:11], 1.0 op_sel_hi:[1,0]
	s_nop 0
	v_cndmask_b32_e32 v14, v15, v16, vcc
	v_cmp_gt_f32_e32 vcc, s23, v11
	v_mul_f32_e32 v15, 0x37800000, v14
	v_cndmask_b32_e64 v14, v14, v15, s[2:3]
	v_cndmask_b32_e32 v16, 1.0, v7, vcc
	v_mul_f32_e32 v11, v11, v16
	v_log_f32_e32 v11, v11
	v_cmp_class_f32_e64 s[2:3], v0, v20
	v_cmp_lt_f32_e64 s[4:5], |v11|, s22
	s_nop 0
	v_cndmask_b32_e64 v0, v14, v0, s[2:3]
	v_cmp_gt_f32_e64 s[2:3], s23, v10
	v_mul_f32_e32 v14, 0x3f317217, v11
	v_fma_f32 v14, v11, s21, -v14
	v_cndmask_b32_e64 v7, 1.0, v7, s[2:3]
	v_mul_f32_e32 v7, v10, v7
	v_log_f32_e32 v7, v7
	v_fmac_f32_e32 v14, 0x3377d1cf, v11
	v_fmac_f32_e32 v14, 0x3f317217, v11
	v_cndmask_b32_e64 v10, v11, v14, s[4:5]
	v_cndmask_b32_e32 v11, 0, v13, vcc
	v_sub_f32_e32 v10, v10, v11
	v_mul_f32_e32 v11, 0x3f317217, v7
	v_fma_f32 v11, v7, s21, -v11
	v_fmac_f32_e32 v11, 0x3377d1cf, v7
	v_fmac_f32_e32 v11, 0x3f317217, v7
	v_cmp_lt_f32_e64 vcc, |v7|, s22
	s_nop 1
	v_cndmask_b32_e32 v7, v7, v11, vcc
	v_cmp_lt_f32_e32 vcc, s17, v3
	v_cndmask_b32_e64 v11, 0, v13, s[2:3]
	v_sub_f32_e32 v7, v7, v11
	v_cndmask_b32_e32 v3, v10, v3, vcc
	v_mul_f32_e32 v10, 0x4f800000, v3
	v_cmp_gt_f32_e32 vcc, s20, v3
	v_cmp_lt_f32_e64 s[2:3], s17, v2
	s_nop 0
	v_cndmask_b32_e32 v3, v3, v10, vcc
	v_sqrt_f32_e32 v10, v3
	v_cndmask_b32_e64 v2, v7, v2, s[2:3]
	v_add_u32_e32 v7, -1, v10
	v_fma_f32 v11, -v7, v10, v3
	v_cmp_ge_f32_e64 s[2:3], 0, v11
	v_add_u32_e32 v11, 1, v10
	s_nop 0
	v_cndmask_b32_e64 v7, v10, v7, s[2:3]
	v_fma_f32 v10, -v11, v10, v3
	v_cmp_lt_f32_e64 s[2:3], 0, v10
	s_nop 1
	v_cndmask_b32_e64 v7, v7, v11, s[2:3]
	v_mul_f32_e32 v11, 0x4f800000, v2
	v_cmp_gt_f32_e64 s[2:3], s20, v2
	v_mul_f32_e32 v10, 0x37800000, v7
	v_cndmask_b32_e32 v7, v7, v10, vcc
	v_cndmask_b32_e64 v2, v2, v11, s[2:3]
	v_sqrt_f32_e32 v11, v2
	v_cmp_class_f32_e32 vcc, v3, v20
	s_nop 1
	v_cndmask_b32_e32 v3, v7, v3, vcc
	v_add_u32_e32 v7, -1, v11
	v_fma_f32 v10, -v7, v11, v2
	v_cmp_ge_f32_e32 vcc, 0, v10
	v_add_u32_e32 v10, 1, v11
	s_nop 0
	v_cndmask_b32_e32 v7, v11, v7, vcc
	v_fma_f32 v11, -v10, v11, v2
	v_cmp_lt_f32_e32 vcc, 0, v11
	s_nop 1
	v_cndmask_b32_e32 v7, v7, v10, vcc
	v_mul_f32_e32 v10, 0x37800000, v7
	v_cndmask_b32_e64 v7, v7, v10, s[2:3]
	v_cmp_class_f32_e32 vcc, v2, v20
	s_nop 1
	v_cndmask_b32_e32 v2, v7, v2, vcc
	scratch_store_dwordx4 off, v[0:3], off offset:16
	s_and_b64 vcc, exec, s[18:19]
	s_nop 0
	v_lshl_add_u64 v[2:3], v[8:9], 3, s[10:11]
	v_mul_lo_u32 v0, v6, s12
	s_cbranch_vccnz .LBB156_28
; %bb.2:
	s_load_dwordx2 s[4:5], s[0:1], 0x20
	s_cmp_lt_u32 s12, 4
	s_cbranch_scc1 .LBB156_21
; %bb.3:
	s_mov_b32 s7, 0
	s_and_b32 s16, s12, 0x7ffffffc
	v_ashrrev_i32_e32 v1, 31, v0
	v_mov_b32_e32 v5, 0
	s_mov_b32 s6, s7
	s_branch .LBB156_5
.LBB156_4:                              ;   in Loop: Header=BB156_5 Depth=1
	s_or_b64 exec, exec, s[8:9]
	s_add_i32 s6, s6, 4
	s_cmp_eq_u32 s6, s16
	s_cbranch_scc1 .LBB156_21
.LBB156_5:                              ; =>This Loop Header: Depth=1
                                        ;     Child Loop BB156_7 Depth 2
                                        ;     Child Loop BB156_11 Depth 2
	;; [unrolled: 1-line block ×4, first 2 shown]
	v_lshl_add_u64 v[6:7], s[6:7], 3, v[2:3]
	global_load_dwordx2 v[8:9], v[6:7], off
	v_add_u32_e32 v10, s6, v0
	v_ashrrev_i32_e32 v11, 31, v10
	v_mov_b32_e32 v13, 0
	s_mov_b64 s[8:9], 0
	s_mov_b32 s13, 0
	s_waitcnt lgkmcnt(0)
	v_lshl_add_u64 v[10:11], v[10:11], 3, s[4:5]
	s_mov_b32 s17, 0
	s_waitcnt vmcnt(0)
	v_ashrrev_i32_e32 v9, 31, v8
	s_branch .LBB156_7
.LBB156_6:                              ;   in Loop: Header=BB156_7 Depth=2
	s_or_b64 exec, exec, s[10:11]
	s_add_i32 s18, s17, 1
	s_cmp_gt_u32 s17, 6
	s_cselect_b64 s[2:3], -1, 0
	s_xor_b64 s[10:11], vcc, -1
	s_or_b64 s[2:3], s[10:11], s[2:3]
	s_add_i32 s13, s13, 64
	s_and_b64 s[2:3], exec, s[2:3]
	v_add_u32_e32 v13, 4, v13
	s_or_b64 s[8:9], s[2:3], s[8:9]
	s_mov_b32 s17, s18
	s_andn2_b64 exec, exec, s[8:9]
	s_cbranch_execz .LBB156_9
.LBB156_7:                              ;   Parent Loop BB156_5 Depth=1
                                        ; =>  This Inner Loop Header: Depth=2
	s_and_b32 s2, s17, 3
	s_and_b32 s3, s13, 0x100
	s_or_b32 s2, s2, s3
	v_or_b32_e32 v14, s2, v12
	v_cmp_ne_u32_e32 vcc, v14, v8
	v_cmp_eq_u32_e64 s[2:3], v14, v8
	s_and_saveexec_b64 s[10:11], s[2:3]
	s_cbranch_execz .LBB156_6
; %bb.8:                                ;   in Loop: Header=BB156_7 Depth=2
	scratch_load_dword v14, v13, off
	s_waitcnt vmcnt(0)
	v_add_f32_e32 v5, v5, v14
	global_store_dwordx2 v[10:11], v[8:9], off
	s_branch .LBB156_6
.LBB156_9:                              ;   in Loop: Header=BB156_5 Depth=1
	s_or_b64 exec, exec, s[8:9]
	global_load_dwordx2 v[10:11], v[6:7], off offset:8
	s_ashr_i32 s3, s6, 31
	s_mov_b32 s2, s6
	v_lshl_add_u64 v[8:9], s[2:3], 0, v[0:1]
	v_mov_b32_e32 v13, 0
	s_mov_b32 s13, 0
	s_mov_b64 s[8:9], 0
	v_lshl_add_u64 v[8:9], v[8:9], 3, s[4:5]
	s_mov_b32 s17, 0
	s_waitcnt vmcnt(0)
	v_ashrrev_i32_e32 v11, 31, v10
	s_branch .LBB156_11
.LBB156_10:                             ;   in Loop: Header=BB156_11 Depth=2
	s_or_b64 exec, exec, s[10:11]
	s_add_i32 s18, s17, 1
	s_cmp_gt_u32 s17, 6
	s_cselect_b64 s[2:3], -1, 0
	s_xor_b64 s[10:11], vcc, -1
	s_or_b64 s[2:3], s[10:11], s[2:3]
	s_add_i32 s13, s13, 64
	s_and_b64 s[2:3], exec, s[2:3]
	v_add_u32_e32 v13, 4, v13
	s_or_b64 s[8:9], s[2:3], s[8:9]
	s_mov_b32 s17, s18
	s_andn2_b64 exec, exec, s[8:9]
	s_cbranch_execz .LBB156_13
.LBB156_11:                             ;   Parent Loop BB156_5 Depth=1
                                        ; =>  This Inner Loop Header: Depth=2
	s_and_b32 s2, s17, 3
	s_and_b32 s3, s13, 0x100
	s_or_b32 s2, s2, s3
	v_or_b32_e32 v14, s2, v12
	v_cmp_ne_u32_e32 vcc, v14, v10
	v_cmp_eq_u32_e64 s[2:3], v14, v10
	s_and_saveexec_b64 s[10:11], s[2:3]
	s_cbranch_execz .LBB156_10
; %bb.12:                               ;   in Loop: Header=BB156_11 Depth=2
	scratch_load_dword v14, v13, off
	s_waitcnt vmcnt(0)
	v_add_f32_e32 v5, v5, v14
	global_store_dwordx2 v[8:9], v[10:11], off offset:8
	s_branch .LBB156_10
.LBB156_13:                             ;   in Loop: Header=BB156_5 Depth=1
	s_or_b64 exec, exec, s[8:9]
	global_load_dwordx2 v[10:11], v[6:7], off offset:16
	v_mov_b32_e32 v13, 0
	s_mov_b32 s13, 0
	s_mov_b64 s[8:9], 0
	s_mov_b32 s17, 0
	s_waitcnt vmcnt(0)
	v_ashrrev_i32_e32 v11, 31, v10
	s_branch .LBB156_15
.LBB156_14:                             ;   in Loop: Header=BB156_15 Depth=2
	s_or_b64 exec, exec, s[10:11]
	s_add_i32 s18, s17, 1
	s_cmp_gt_u32 s17, 6
	s_cselect_b64 s[2:3], -1, 0
	s_xor_b64 s[10:11], vcc, -1
	s_or_b64 s[2:3], s[10:11], s[2:3]
	s_add_i32 s13, s13, 64
	s_and_b64 s[2:3], exec, s[2:3]
	v_add_u32_e32 v13, 4, v13
	s_or_b64 s[8:9], s[2:3], s[8:9]
	s_mov_b32 s17, s18
	s_andn2_b64 exec, exec, s[8:9]
	s_cbranch_execz .LBB156_17
.LBB156_15:                             ;   Parent Loop BB156_5 Depth=1
                                        ; =>  This Inner Loop Header: Depth=2
	s_and_b32 s2, s17, 3
	s_and_b32 s3, s13, 0x100
	s_or_b32 s2, s2, s3
	v_or_b32_e32 v14, s2, v12
	v_cmp_ne_u32_e32 vcc, v14, v10
	v_cmp_eq_u32_e64 s[2:3], v14, v10
	s_and_saveexec_b64 s[10:11], s[2:3]
	s_cbranch_execz .LBB156_14
; %bb.16:                               ;   in Loop: Header=BB156_15 Depth=2
	scratch_load_dword v14, v13, off
	s_waitcnt vmcnt(0)
	v_add_f32_e32 v5, v5, v14
	global_store_dwordx2 v[8:9], v[10:11], off offset:16
	s_branch .LBB156_14
.LBB156_17:                             ;   in Loop: Header=BB156_5 Depth=1
	s_or_b64 exec, exec, s[8:9]
	global_load_dwordx2 v[6:7], v[6:7], off offset:24
	v_mov_b32_e32 v10, 0
	s_mov_b32 s13, 0
	s_mov_b64 s[8:9], 0
	s_mov_b32 s17, 0
	s_waitcnt vmcnt(0)
	v_ashrrev_i32_e32 v7, 31, v6
	s_branch .LBB156_19
.LBB156_18:                             ;   in Loop: Header=BB156_19 Depth=2
	s_or_b64 exec, exec, s[10:11]
	s_add_i32 s18, s17, 1
	s_cmp_gt_u32 s17, 6
	s_cselect_b64 s[2:3], -1, 0
	s_xor_b64 s[10:11], vcc, -1
	s_or_b64 s[2:3], s[10:11], s[2:3]
	s_add_i32 s13, s13, 64
	s_and_b64 s[2:3], exec, s[2:3]
	v_add_u32_e32 v10, 4, v10
	s_or_b64 s[8:9], s[2:3], s[8:9]
	s_mov_b32 s17, s18
	s_andn2_b64 exec, exec, s[8:9]
	s_cbranch_execz .LBB156_4
.LBB156_19:                             ;   Parent Loop BB156_5 Depth=1
                                        ; =>  This Inner Loop Header: Depth=2
	s_and_b32 s2, s17, 3
	s_and_b32 s3, s13, 0x100
	s_or_b32 s2, s2, s3
	v_or_b32_e32 v11, s2, v12
	v_cmp_ne_u32_e32 vcc, v11, v6
	v_cmp_eq_u32_e64 s[2:3], v11, v6
	s_and_saveexec_b64 s[10:11], s[2:3]
	s_cbranch_execz .LBB156_18
; %bb.20:                               ;   in Loop: Header=BB156_19 Depth=2
	scratch_load_dword v11, v10, off
	s_waitcnt vmcnt(0)
	v_add_f32_e32 v5, v5, v11
	global_store_dwordx2 v[8:9], v[6:7], off offset:24
	s_branch .LBB156_18
.LBB156_21:
	s_and_b32 s10, s12, 3
	s_cmp_eq_u32 s10, 0
	s_mov_b32 s17, 0
	s_cbranch_scc1 .LBB156_28
; %bb.22:
	s_mov_b32 s11, s17
	s_branch .LBB156_24
.LBB156_23:                             ;   in Loop: Header=BB156_24 Depth=1
	s_or_b64 exec, exec, s[6:7]
	s_add_i32 s16, s16, 1
	s_add_i32 s11, s11, 1
	s_cmp_lg_u32 s11, s10
	s_cbranch_scc0 .LBB156_28
.LBB156_24:                             ; =>This Loop Header: Depth=1
                                        ;     Child Loop BB156_26 Depth 2
	v_lshl_add_u64 v[6:7], s[16:17], 3, v[2:3]
	global_load_dwordx2 v[6:7], v[6:7], off
	v_add_u32_e32 v8, s16, v0
	v_ashrrev_i32_e32 v9, 31, v8
	v_mov_b32_e32 v1, 0
	s_mov_b32 s13, 0
	s_mov_b64 s[6:7], 0
	s_waitcnt lgkmcnt(0)
	v_lshl_add_u64 v[8:9], v[8:9], 3, s[4:5]
	s_mov_b32 s18, 0
	s_waitcnt vmcnt(0)
	v_ashrrev_i32_e32 v7, 31, v6
	s_branch .LBB156_26
.LBB156_25:                             ;   in Loop: Header=BB156_26 Depth=2
	s_or_b64 exec, exec, s[8:9]
	s_add_i32 s19, s18, 1
	s_cmp_gt_u32 s18, 6
	s_cselect_b64 s[2:3], -1, 0
	s_xor_b64 s[8:9], vcc, -1
	s_or_b64 s[2:3], s[8:9], s[2:3]
	s_add_i32 s13, s13, 64
	s_and_b64 s[2:3], exec, s[2:3]
	v_add_u32_e32 v1, 4, v1
	s_or_b64 s[6:7], s[2:3], s[6:7]
	s_mov_b32 s18, s19
	s_andn2_b64 exec, exec, s[6:7]
	s_cbranch_execz .LBB156_23
.LBB156_26:                             ;   Parent Loop BB156_24 Depth=1
                                        ; =>  This Inner Loop Header: Depth=2
	s_and_b32 s2, s18, 3
	s_and_b32 s3, s13, 0x100
	s_or_b32 s2, s2, s3
	v_or_b32_e32 v10, s2, v12
	v_cmp_ne_u32_e32 vcc, v10, v6
	v_cmp_eq_u32_e64 s[2:3], v10, v6
	s_and_saveexec_b64 s[8:9], s[2:3]
	s_cbranch_execz .LBB156_25
; %bb.27:                               ;   in Loop: Header=BB156_26 Depth=2
	scratch_load_dword v10, v1, off
	s_waitcnt vmcnt(0)
	v_add_f32_e32 v5, v5, v10
	global_store_dwordx2 v[8:9], v[6:7], off
	s_branch .LBB156_25
.LBB156_28:
	s_waitcnt lgkmcnt(0)
	s_load_dword s4, s[0:1], 0x3c
	v_add_u32_e32 v9, 16, v4
	s_waitcnt lgkmcnt(0)
	s_bitcmp1_b32 s4, 0
	s_cselect_b64 s[2:3], -1, 0
	s_bitcmp0_b32 s4, 0
	s_cbranch_scc0 .LBB156_32
; %bb.29:
	s_load_dwordx2 s[4:5], s[0:1], 0x40
	s_andn2_b64 vcc, exec, s[2:3]
	s_waitcnt lgkmcnt(0)
	v_cvt_f32_f64_e32 v8, s[4:5]
	s_cbranch_vccz .LBB156_33
.LBB156_30:
	s_andn2_b64 vcc, exec, s[14:15]
	s_cbranch_vccz .LBB156_34
.LBB156_31:
	s_endpgm
.LBB156_32:
	v_mbcnt_lo_u32_b32 v1, -1, 0
	v_mbcnt_hi_u32_b32 v1, -1, v1
	v_and_b32_e32 v4, 64, v1
	v_add_u32_e32 v4, 64, v4
	v_xor_b32_e32 v6, 32, v1
	v_cmp_lt_i32_e32 vcc, v6, v4
	v_xor_b32_e32 v7, 16, v1
	s_nop 0
	v_cndmask_b32_e32 v6, v1, v6, vcc
	v_lshlrev_b32_e32 v6, 2, v6
	ds_bpermute_b32 v6, v6, v5
	v_cmp_lt_i32_e32 vcc, v7, v4
	s_waitcnt lgkmcnt(0)
	v_add_f32_e32 v5, v5, v6
	v_cndmask_b32_e32 v6, v1, v7, vcc
	v_lshlrev_b32_e32 v6, 2, v6
	ds_bpermute_b32 v6, v6, v5
	v_xor_b32_e32 v7, 8, v1
	v_cmp_lt_i32_e32 vcc, v7, v4
	s_waitcnt lgkmcnt(0)
	v_add_f32_e32 v5, v5, v6
	v_cndmask_b32_e32 v6, v1, v7, vcc
	v_lshlrev_b32_e32 v6, 2, v6
	ds_bpermute_b32 v6, v6, v5
	v_xor_b32_e32 v7, 4, v1
	;; [unrolled: 7-line block ×4, first 2 shown]
	v_cmp_lt_i32_e32 vcc, v7, v4
	s_waitcnt lgkmcnt(0)
	v_add_f32_e32 v5, v5, v6
	v_cndmask_b32_e32 v1, v1, v7, vcc
	v_lshlrev_b32_e32 v1, 2, v1
	ds_bpermute_b32 v1, v1, v5
	s_waitcnt lgkmcnt(0)
	v_add_f32_e32 v5, v5, v1
	s_load_dwordx2 s[4:5], s[0:1], 0x40
	s_andn2_b64 vcc, exec, s[2:3]
	s_waitcnt lgkmcnt(0)
	v_cvt_f32_f64_e32 v8, s[4:5]
	s_cbranch_vccnz .LBB156_30
.LBB156_33:
	v_cmp_lt_f32_e32 vcc, 0, v5
	s_nop 1
	v_cndmask_b32_e32 v1, 1.0, v5, vcc
	v_div_scale_f32 v4, s[2:3], v1, v1, v8
	v_rcp_f32_e32 v5, v4
	s_nop 0
	v_fma_f32 v6, -v4, v5, 1.0
	v_fmac_f32_e32 v5, v6, v5
	v_div_scale_f32 v6, vcc, v8, v1, v8
	v_mul_f32_e32 v7, v6, v5
	v_fma_f32 v10, -v4, v7, v6
	v_fmac_f32_e32 v7, v10, v5
	v_fma_f32 v4, -v4, v7, v6
	v_div_fmas_f32 v4, v4, v5, v7
	v_div_fixup_f32 v8, v4, v1, v8
	s_andn2_b64 vcc, exec, s[14:15]
	s_cbranch_vccnz .LBB156_31
.LBB156_34:
	s_load_dwordx2 s[14:15], s[0:1], 0x10
	v_mov_b32_e32 v1, 0
	v_or_b32_e32 v20, 4, v1
	v_or_b32_e32 v18, 8, v1
	;; [unrolled: 1-line block ×3, first 2 shown]
	v_add_u32_e32 v13, 20, v1
	v_add_u32_e32 v10, 24, v1
	;; [unrolled: 1-line block ×3, first 2 shown]
	v_or_b32_e32 v23, 1, v12
	v_or_b32_e32 v22, 2, v12
	;; [unrolled: 1-line block ×7, first 2 shown]
	s_cmp_eq_u32 s12, 1
	s_mov_b32 s16, 0
	s_cbranch_scc1 .LBB156_69
; %bb.35:
	v_ashrrev_i32_e32 v1, 31, v0
	s_waitcnt lgkmcnt(0)
	v_lshl_add_u64 v[4:5], v[0:1], 2, s[14:15]
	s_and_b32 s16, s12, 0x7ffffffe
	v_lshl_add_u64 v[4:5], v[4:5], 0, 4
	v_lshl_add_u64 v[6:7], v[2:3], 0, 8
	s_mov_b32 s13, 0
	s_branch .LBB156_37
.LBB156_36:                             ;   in Loop: Header=BB156_37 Depth=1
	s_or_b64 exec, exec, s[0:1]
	s_add_i32 s13, s13, 2
	v_lshl_add_u64 v[4:5], v[4:5], 0, 8
	s_cmp_eq_u32 s16, s13
	v_lshl_add_u64 v[6:7], v[6:7], 0, 16
	s_cbranch_scc1 .LBB156_69
.LBB156_37:                             ; =>This Inner Loop Header: Depth=1
	global_load_dword v24, v[6:7], off offset:-8
	v_mov_b32_e32 v1, 0
	s_waitcnt vmcnt(0)
	v_cmp_eq_u32_e32 vcc, v12, v24
	v_cmp_ne_u32_e64 s[0:1], v12, v24
	s_and_saveexec_b64 s[18:19], s[0:1]
	s_cbranch_execz .LBB156_51
; %bb.38:                               ;   in Loop: Header=BB156_37 Depth=1
	v_cmp_eq_u32_e64 s[0:1], v23, v24
	v_cmp_ne_u32_e64 s[2:3], v23, v24
	v_mov_b32_e32 v1, v20
	s_and_saveexec_b64 s[20:21], s[2:3]
	s_cbranch_execz .LBB156_50
; %bb.39:                               ;   in Loop: Header=BB156_37 Depth=1
	v_cmp_eq_u32_e64 s[2:3], v22, v24
	v_cmp_ne_u32_e64 s[4:5], v22, v24
	v_mov_b32_e32 v1, v18
	;; [unrolled: 6-line block ×6, first 2 shown]
	s_and_saveexec_b64 s[34:35], s[10:11]
	s_xor_b64 s[34:35], exec, s[34:35]
; %bb.44:                               ;   in Loop: Header=BB156_37 Depth=1
	v_cmp_eq_u32_e64 s[10:11], v14, v24
	s_andn2_b64 s[30:31], s[30:31], exec
	s_and_b64 s[10:11], s[10:11], exec
	s_or_b64 s[30:31], s[30:31], s[10:11]
	v_mov_b32_e32 v1, v11
; %bb.45:                               ;   in Loop: Header=BB156_37 Depth=1
	s_or_b64 exec, exec, s[34:35]
	s_andn2_b64 s[8:9], s[8:9], exec
	s_and_b64 s[10:11], s[30:31], exec
	s_or_b64 s[8:9], s[8:9], s[10:11]
.LBB156_46:                             ;   in Loop: Header=BB156_37 Depth=1
	s_or_b64 exec, exec, s[28:29]
	s_andn2_b64 s[6:7], s[6:7], exec
	s_and_b64 s[8:9], s[8:9], exec
	s_or_b64 s[6:7], s[6:7], s[8:9]
.LBB156_47:                             ;   in Loop: Header=BB156_37 Depth=1
	s_or_b64 exec, exec, s[26:27]
	s_andn2_b64 s[4:5], s[4:5], exec
	s_and_b64 s[6:7], s[6:7], exec
	s_or_b64 s[4:5], s[4:5], s[6:7]
.LBB156_48:                             ;   in Loop: Header=BB156_37 Depth=1
	s_or_b64 exec, exec, s[24:25]
	s_andn2_b64 s[2:3], s[2:3], exec
	s_and_b64 s[4:5], s[4:5], exec
	s_or_b64 s[2:3], s[2:3], s[4:5]
.LBB156_49:                             ;   in Loop: Header=BB156_37 Depth=1
	s_or_b64 exec, exec, s[22:23]
	s_andn2_b64 s[0:1], s[0:1], exec
	s_and_b64 s[2:3], s[2:3], exec
	s_or_b64 s[0:1], s[0:1], s[2:3]
.LBB156_50:                             ;   in Loop: Header=BB156_37 Depth=1
	s_or_b64 exec, exec, s[20:21]
	s_andn2_b64 s[2:3], vcc, exec
	s_and_b64 s[0:1], s[0:1], exec
	s_or_b64 vcc, s[2:3], s[0:1]
.LBB156_51:                             ;   in Loop: Header=BB156_37 Depth=1
	s_or_b64 exec, exec, s[18:19]
	s_and_saveexec_b64 s[0:1], vcc
	s_cbranch_execz .LBB156_53
; %bb.52:                               ;   in Loop: Header=BB156_37 Depth=1
	scratch_load_dword v1, v1, off
	v_add_u32_e32 v24, s13, v0
	v_ashrrev_i32_e32 v25, 31, v24
	v_lshl_add_u64 v[24:25], v[24:25], 2, s[14:15]
	s_waitcnt vmcnt(0)
	v_mul_f32_e32 v1, v8, v1
	global_store_dword v[24:25], v1, off
.LBB156_53:                             ;   in Loop: Header=BB156_37 Depth=1
	s_or_b64 exec, exec, s[0:1]
	global_load_dword v24, v[6:7], off
	v_mov_b32_e32 v1, 0
	s_waitcnt vmcnt(0)
	v_cmp_eq_u32_e64 s[8:9], v12, v24
	v_cmp_ne_u32_e32 vcc, v12, v24
	s_and_saveexec_b64 s[10:11], vcc
	s_cbranch_execz .LBB156_67
; %bb.54:                               ;   in Loop: Header=BB156_37 Depth=1
	v_cmp_eq_u32_e32 vcc, v23, v24
	v_cmp_ne_u32_e64 s[0:1], v23, v24
	v_mov_b32_e32 v1, v20
	s_and_saveexec_b64 s[18:19], s[0:1]
	s_cbranch_execz .LBB156_66
; %bb.55:                               ;   in Loop: Header=BB156_37 Depth=1
	v_cmp_eq_u32_e64 s[0:1], v22, v24
	v_cmp_ne_u32_e64 s[2:3], v22, v24
	v_mov_b32_e32 v1, v18
	s_and_saveexec_b64 s[20:21], s[2:3]
	s_cbranch_execz .LBB156_65
; %bb.56:                               ;   in Loop: Header=BB156_37 Depth=1
	v_cmp_eq_u32_e64 s[2:3], v21, v24
	;; [unrolled: 6-line block ×5, first 2 shown]
	v_cmp_ne_u32_e64 s[6:7], v15, v24
	v_mov_b32_e32 v1, v10
	s_and_saveexec_b64 s[34:35], s[6:7]
; %bb.60:                               ;   in Loop: Header=BB156_37 Depth=1
	v_cmp_eq_u32_e64 s[6:7], v14, v24
	s_andn2_b64 s[30:31], s[30:31], exec
	s_and_b64 s[6:7], s[6:7], exec
	s_or_b64 s[30:31], s[30:31], s[6:7]
	v_mov_b32_e32 v1, v11
; %bb.61:                               ;   in Loop: Header=BB156_37 Depth=1
	s_or_b64 exec, exec, s[34:35]
	s_andn2_b64 s[6:7], s[26:27], exec
	s_and_b64 s[26:27], s[30:31], exec
	s_or_b64 s[26:27], s[6:7], s[26:27]
.LBB156_62:                             ;   in Loop: Header=BB156_37 Depth=1
	s_or_b64 exec, exec, s[28:29]
	s_andn2_b64 s[4:5], s[4:5], exec
	s_and_b64 s[6:7], s[26:27], exec
	s_or_b64 s[4:5], s[4:5], s[6:7]
.LBB156_63:                             ;   in Loop: Header=BB156_37 Depth=1
	s_or_b64 exec, exec, s[24:25]
	s_andn2_b64 s[2:3], s[2:3], exec
	s_and_b64 s[4:5], s[4:5], exec
	s_or_b64 s[2:3], s[2:3], s[4:5]
.LBB156_64:                             ;   in Loop: Header=BB156_37 Depth=1
	s_or_b64 exec, exec, s[22:23]
	s_andn2_b64 s[0:1], s[0:1], exec
	s_and_b64 s[2:3], s[2:3], exec
	s_or_b64 s[0:1], s[0:1], s[2:3]
.LBB156_65:                             ;   in Loop: Header=BB156_37 Depth=1
	s_or_b64 exec, exec, s[20:21]
	s_andn2_b64 s[2:3], vcc, exec
	s_and_b64 s[0:1], s[0:1], exec
	s_or_b64 vcc, s[2:3], s[0:1]
.LBB156_66:                             ;   in Loop: Header=BB156_37 Depth=1
	s_or_b64 exec, exec, s[18:19]
	s_andn2_b64 s[0:1], s[8:9], exec
	s_and_b64 s[2:3], vcc, exec
	s_or_b64 s[8:9], s[0:1], s[2:3]
.LBB156_67:                             ;   in Loop: Header=BB156_37 Depth=1
	s_or_b64 exec, exec, s[10:11]
	s_and_saveexec_b64 s[0:1], s[8:9]
	s_cbranch_execz .LBB156_36
; %bb.68:                               ;   in Loop: Header=BB156_37 Depth=1
	scratch_load_dword v1, v1, off
	s_waitcnt vmcnt(0)
	v_mul_f32_e32 v1, v8, v1
	global_store_dword v[4:5], v1, off
	s_branch .LBB156_36
.LBB156_69:
	s_bitcmp0_b32 s12, 0
	s_mov_b32 s17, 0
	s_cbranch_scc1 .LBB156_31
; %bb.70:
	v_lshl_add_u64 v[2:3], s[16:17], 3, v[2:3]
	global_load_dword v1, v[2:3], off
	v_mov_b32_e32 v2, 0
	s_waitcnt vmcnt(0)
	v_cmp_eq_u32_e64 s[8:9], v12, v1
	v_cmp_ne_u32_e32 vcc, v12, v1
	s_and_saveexec_b64 s[10:11], vcc
	s_cbranch_execz .LBB156_84
; %bb.71:
	v_cmp_eq_u32_e32 vcc, v23, v1
	v_cmp_ne_u32_e64 s[0:1], v23, v1
	s_and_saveexec_b64 s[12:13], s[0:1]
	s_cbranch_execz .LBB156_83
; %bb.72:
	v_cmp_eq_u32_e64 s[0:1], v22, v1
	v_cmp_ne_u32_e64 s[2:3], v22, v1
	s_and_saveexec_b64 s[18:19], s[2:3]
	s_cbranch_execz .LBB156_82
; %bb.73:
	v_cmp_eq_u32_e64 s[2:3], v21, v1
	v_cmp_ne_u32_e64 s[4:5], v21, v1
	s_and_saveexec_b64 s[20:21], s[4:5]
	s_cbranch_execz .LBB156_81
; %bb.74:
	v_cmp_eq_u32_e64 s[4:5], v19, v1
	v_cmp_ne_u32_e64 s[6:7], v19, v1
	s_and_saveexec_b64 s[22:23], s[6:7]
	s_cbranch_execz .LBB156_80
; %bb.75:
	v_cmp_eq_u32_e64 s[24:25], v17, v1
	v_cmp_ne_u32_e64 s[6:7], v17, v1
	s_and_saveexec_b64 s[26:27], s[6:7]
	s_cbranch_execz .LBB156_79
; %bb.76:
	v_cmp_eq_u32_e64 s[28:29], v15, v1
	v_cmp_ne_u32_e64 s[6:7], v15, v1
	s_and_saveexec_b64 s[30:31], s[6:7]
; %bb.77:
	v_cmp_eq_u32_e64 s[6:7], v14, v1
	s_andn2_b64 s[28:29], s[28:29], exec
	s_and_b64 s[6:7], s[6:7], exec
	s_or_b64 s[28:29], s[28:29], s[6:7]
	v_mov_b32_e32 v10, v11
; %bb.78:
	s_or_b64 exec, exec, s[30:31]
	s_andn2_b64 s[6:7], s[24:25], exec
	s_and_b64 s[24:25], s[28:29], exec
	s_or_b64 s[24:25], s[6:7], s[24:25]
	v_mov_b32_e32 v13, v10
.LBB156_79:
	s_or_b64 exec, exec, s[26:27]
	s_andn2_b64 s[4:5], s[4:5], exec
	s_and_b64 s[6:7], s[24:25], exec
	s_or_b64 s[4:5], s[4:5], s[6:7]
	v_mov_b32_e32 v9, v13
.LBB156_80:
	s_or_b64 exec, exec, s[22:23]
	s_andn2_b64 s[2:3], s[2:3], exec
	s_and_b64 s[4:5], s[4:5], exec
	s_or_b64 s[2:3], s[2:3], s[4:5]
	v_mov_b32_e32 v16, v9
.LBB156_81:
	s_or_b64 exec, exec, s[20:21]
	s_andn2_b64 s[0:1], s[0:1], exec
	s_and_b64 s[2:3], s[2:3], exec
	s_or_b64 s[0:1], s[0:1], s[2:3]
	v_mov_b32_e32 v18, v16
.LBB156_82:
	s_or_b64 exec, exec, s[18:19]
	s_andn2_b64 s[2:3], vcc, exec
	s_and_b64 s[0:1], s[0:1], exec
	s_or_b64 vcc, s[2:3], s[0:1]
	v_mov_b32_e32 v20, v18
.LBB156_83:
	s_or_b64 exec, exec, s[12:13]
	s_andn2_b64 s[0:1], s[8:9], exec
	s_and_b64 s[2:3], vcc, exec
	s_or_b64 s[8:9], s[0:1], s[2:3]
	v_mov_b32_e32 v2, v20
.LBB156_84:
	s_or_b64 exec, exec, s[10:11]
	s_and_b64 exec, exec, s[8:9]
	s_cbranch_execz .LBB156_31
; %bb.85:
	scratch_load_dword v2, v2, off
	v_add_u32_e32 v0, s16, v0
	v_ashrrev_i32_e32 v1, 31, v0
	s_waitcnt lgkmcnt(0)
	v_lshl_add_u64 v[0:1], v[0:1], 2, s[14:15]
	s_waitcnt vmcnt(0)
	v_mul_f32_e32 v2, v8, v2
	global_store_dword v[0:1], v2, off
	s_endpgm
	.section	.rodata,"a",@progbits
	.p2align	6, 0x0
	.amdhsa_kernel _ZN4vllm3moe22topkGatingSoftplusSqrtILi8ELi512ELi4ELi16ELi64ELb1ElfEEvPKT6_PKbPfiPT5_PiiiibdPKfPKS8_SE_
		.amdhsa_group_segment_fixed_size 0
		.amdhsa_private_segment_fixed_size 48
		.amdhsa_kernarg_size 96
		.amdhsa_user_sgpr_count 2
		.amdhsa_user_sgpr_dispatch_ptr 0
		.amdhsa_user_sgpr_queue_ptr 0
		.amdhsa_user_sgpr_kernarg_segment_ptr 1
		.amdhsa_user_sgpr_dispatch_id 0
		.amdhsa_user_sgpr_kernarg_preload_length 0
		.amdhsa_user_sgpr_kernarg_preload_offset 0
		.amdhsa_user_sgpr_private_segment_size 0
		.amdhsa_uses_dynamic_stack 0
		.amdhsa_enable_private_segment 1
		.amdhsa_system_sgpr_workgroup_id_x 1
		.amdhsa_system_sgpr_workgroup_id_y 0
		.amdhsa_system_sgpr_workgroup_id_z 0
		.amdhsa_system_sgpr_workgroup_info 0
		.amdhsa_system_vgpr_workitem_id 1
		.amdhsa_next_free_vgpr 30
		.amdhsa_next_free_sgpr 36
		.amdhsa_accum_offset 32
		.amdhsa_reserve_vcc 1
		.amdhsa_float_round_mode_32 0
		.amdhsa_float_round_mode_16_64 0
		.amdhsa_float_denorm_mode_32 3
		.amdhsa_float_denorm_mode_16_64 3
		.amdhsa_dx10_clamp 1
		.amdhsa_ieee_mode 1
		.amdhsa_fp16_overflow 0
		.amdhsa_tg_split 0
		.amdhsa_exception_fp_ieee_invalid_op 0
		.amdhsa_exception_fp_denorm_src 0
		.amdhsa_exception_fp_ieee_div_zero 0
		.amdhsa_exception_fp_ieee_overflow 0
		.amdhsa_exception_fp_ieee_underflow 0
		.amdhsa_exception_fp_ieee_inexact 0
		.amdhsa_exception_int_div_zero 0
	.end_amdhsa_kernel
	.section	.text._ZN4vllm3moe22topkGatingSoftplusSqrtILi8ELi512ELi4ELi16ELi64ELb1ElfEEvPKT6_PKbPfiPT5_PiiiibdPKfPKS8_SE_,"axG",@progbits,_ZN4vllm3moe22topkGatingSoftplusSqrtILi8ELi512ELi4ELi16ELi64ELb1ElfEEvPKT6_PKbPfiPT5_PiiiibdPKfPKS8_SE_,comdat
.Lfunc_end156:
	.size	_ZN4vllm3moe22topkGatingSoftplusSqrtILi8ELi512ELi4ELi16ELi64ELb1ElfEEvPKT6_PKbPfiPT5_PiiiibdPKfPKS8_SE_, .Lfunc_end156-_ZN4vllm3moe22topkGatingSoftplusSqrtILi8ELi512ELi4ELi16ELi64ELb1ElfEEvPKT6_PKbPfiPT5_PiiiibdPKfPKS8_SE_
                                        ; -- End function
	.section	.AMDGPU.csdata,"",@progbits
; Kernel info:
; codeLenInByte = 4768
; NumSgprs: 42
; NumVgprs: 30
; NumAgprs: 0
; TotalNumVgprs: 30
; ScratchSize: 48
; MemoryBound: 0
; FloatMode: 240
; IeeeMode: 1
; LDSByteSize: 0 bytes/workgroup (compile time only)
; SGPRBlocks: 5
; VGPRBlocks: 3
; NumSGPRsForWavesPerEU: 42
; NumVGPRsForWavesPerEU: 30
; AccumOffset: 32
; Occupancy: 8
; WaveLimiterHint : 1
; COMPUTE_PGM_RSRC2:SCRATCH_EN: 1
; COMPUTE_PGM_RSRC2:USER_SGPR: 2
; COMPUTE_PGM_RSRC2:TRAP_HANDLER: 0
; COMPUTE_PGM_RSRC2:TGID_X_EN: 1
; COMPUTE_PGM_RSRC2:TGID_Y_EN: 0
; COMPUTE_PGM_RSRC2:TGID_Z_EN: 0
; COMPUTE_PGM_RSRC2:TIDIG_COMP_CNT: 1
; COMPUTE_PGM_RSRC3_GFX90A:ACCUM_OFFSET: 7
; COMPUTE_PGM_RSRC3_GFX90A:TG_SPLIT: 0
	.section	.text._ZN4vllm3moe22topkGatingSoftplusSqrtILi8ELi512ELi4ELi16ELi64ELb0ElfEEvPKT6_PKbPfiPT5_PiiiibdPKfPKS8_SE_,"axG",@progbits,_ZN4vllm3moe22topkGatingSoftplusSqrtILi8ELi512ELi4ELi16ELi64ELb0ElfEEvPKT6_PKbPfiPT5_PiiiibdPKfPKS8_SE_,comdat
	.protected	_ZN4vllm3moe22topkGatingSoftplusSqrtILi8ELi512ELi4ELi16ELi64ELb0ElfEEvPKT6_PKbPfiPT5_PiiiibdPKfPKS8_SE_ ; -- Begin function _ZN4vllm3moe22topkGatingSoftplusSqrtILi8ELi512ELi4ELi16ELi64ELb0ElfEEvPKT6_PKbPfiPT5_PiiiibdPKfPKS8_SE_
	.globl	_ZN4vllm3moe22topkGatingSoftplusSqrtILi8ELi512ELi4ELi16ELi64ELb0ElfEEvPKT6_PKbPfiPT5_PiiiibdPKfPKS8_SE_
	.p2align	8
	.type	_ZN4vllm3moe22topkGatingSoftplusSqrtILi8ELi512ELi4ELi16ELi64ELb0ElfEEvPKT6_PKbPfiPT5_PiiiibdPKfPKS8_SE_,@function
_ZN4vllm3moe22topkGatingSoftplusSqrtILi8ELi512ELi4ELi16ELi64ELb0ElfEEvPKT6_PKbPfiPT5_PiiiibdPKfPKS8_SE_: ; @_ZN4vllm3moe22topkGatingSoftplusSqrtILi8ELi512ELi4ELi16ELi64ELb0ElfEEvPKT6_PKbPfiPT5_PiiiibdPKfPKS8_SE_
; %bb.0:
	s_load_dword s30, s[2:3], 0x18
	v_and_b32_e32 v1, 0x3ff, v0
	v_bfe_u32 v4, v0, 10, 10
	s_lshl_b32 s4, s4, 2
	v_lshrrev_b32_e32 v2, 6, v1
	v_add3_u32 v2, s4, v4, v2
	s_waitcnt lgkmcnt(0)
	v_cmp_gt_i32_e32 vcc, s30, v2
	s_and_saveexec_b64 s[4:5], vcc
	s_cbranch_execz .LBB157_67
; %bb.1:
	s_load_dwordx4 s[4:7], s[2:3], 0x0
	s_load_dwordx2 s[20:21], s[2:3], 0x10
	s_waitcnt lgkmcnt(0)
	s_cmp_eq_u64 s[6:7], 0
	s_cbranch_scc1 .LBB157_3
; %bb.2:
	v_ashrrev_i32_e32 v3, 31, v2
	v_lshl_add_u64 v[6:7], s[6:7], 0, v[2:3]
	global_load_ubyte v3, v[6:7], off
	s_waitcnt vmcnt(0)
	v_and_b32_e32 v3, 1, v3
	v_cmp_eq_u32_e32 vcc, 1, v3
	s_xor_b64 s[6:7], vcc, -1
	s_orn2_b64 s[22:23], s[6:7], exec
	s_branch .LBB157_4
.LBB157_3:
	s_mov_b64 s[22:23], -1
.LBB157_4:
	v_lshlrev_b32_e32 v8, 9, v2
	v_mov_b32_e32 v6, s4
	v_mov_b32_e32 v7, s5
	v_ashrrev_i32_e32 v9, 31, v8
	v_and_b32_e32 v3, 63, v1
	v_lshl_add_u64 v[6:7], v[8:9], 2, v[6:7]
	v_mov_b32_e32 v9, 0
	v_lshlrev_b32_e32 v8, 4, v3
	v_lshl_add_u64 v[14:15], v[6:7], 0, v[8:9]
	global_load_dwordx4 v[6:9], v[14:15], off
	global_load_dwordx4 v[10:13], v[14:15], off offset:1024
	s_load_dwordx2 s[4:5], s[0:1], 0x4
	s_load_dwordx4 s[8:11], s[2:3], 0x40
	v_bfe_u32 v0, v0, 20, 10
	s_mov_b32 s14, 0x800000
	s_mov_b32 s13, 0x3f317217
	s_waitcnt lgkmcnt(0)
	s_lshr_b32 s0, s4, 16
	s_mul_i32 s0, s0, s5
	v_mul_lo_u32 v1, s0, v1
	v_mad_u32_u24 v1, v4, s5, v1
	v_add_lshl_u32 v4, v1, v0, 5
	s_mov_b32 s15, 0x7f800000
	s_mov_b32 s12, 0x41a00000
	;; [unrolled: 1-line block ×3, first 2 shown]
	s_cmp_lg_u64 s[10:11], 0
	v_mov_b32_e32 v1, 0x260
	s_cselect_b64 s[6:7], -1, 0
	v_lshlrev_b32_e32 v5, 2, v3
	s_and_b64 s[0:1], exec, s[6:7]
	s_waitcnt vmcnt(1)
	ds_write_b128 v4, v[6:9]
	ds_read_b32 v8, v4
	v_mov_b32_e32 v6, 0x4f800000
	v_mov_b32_e32 v7, 0x41b17218
	s_waitcnt vmcnt(0)
	ds_write_b128 v4, v[10:13] offset:16
	s_waitcnt lgkmcnt(1)
	v_mul_f32_e32 v0, 0x3fb8aa3b, v8
	v_exp_f32_e32 v0, v0
	s_nop 0
	v_add_f32_e32 v0, 1.0, v0
	v_cmp_gt_f32_e32 vcc, s14, v0
	s_nop 1
	v_cndmask_b32_e32 v9, 1.0, v6, vcc
	v_mul_f32_e32 v0, v0, v9
	v_log_f32_e32 v9, v0
	v_cndmask_b32_e32 v14, 0, v7, vcc
	v_lshlrev_b32_e32 v0, 2, v5
	v_mul_f32_e32 v15, 0x3f317217, v9
	v_fma_f32 v15, v9, s13, -v15
	v_fmac_f32_e32 v15, 0x3377d1cf, v9
	v_fmac_f32_e32 v15, 0x3f317217, v9
	v_cmp_lt_f32_e64 vcc, |v9|, s15
	s_nop 1
	v_cndmask_b32_e32 v9, v9, v15, vcc
	v_sub_f32_e32 v9, v9, v14
	v_cmp_lt_f32_e32 vcc, s12, v8
	s_nop 1
	v_cndmask_b32_e32 v8, v9, v8, vcc
	v_mul_f32_e32 v9, 0x4f800000, v8
	v_cmp_gt_f32_e32 vcc, s16, v8
	s_nop 1
	v_cndmask_b32_e32 v8, v8, v9, vcc
	v_sqrt_f32_e32 v9, v8
	s_nop 0
	v_add_u32_e32 v10, -1, v9
	v_add_u32_e32 v11, 1, v9
	v_fma_f32 v12, -v10, v9, v8
	v_fma_f32 v13, -v11, v9, v8
	v_cmp_ge_f32_e64 s[4:5], 0, v12
	s_nop 1
	v_cndmask_b32_e64 v9, v9, v10, s[4:5]
	v_cmp_lt_f32_e64 s[4:5], 0, v13
	s_nop 1
	v_cndmask_b32_e64 v9, v9, v11, s[4:5]
	v_mul_f32_e32 v10, 0x37800000, v9
	v_cndmask_b32_e32 v9, v9, v10, vcc
	v_cmp_class_f32_e32 vcc, v8, v1
	s_nop 1
	v_cndmask_b32_e32 v8, v9, v8, vcc
	s_mov_b64 vcc, s[0:1]
	s_cbranch_vccz .LBB157_6
; %bb.5:
	global_load_dword v9, v0, s[10:11]
	s_waitcnt vmcnt(0)
	v_add_f32_e32 v8, v8, v9
.LBB157_6:
	ds_read_b32 v9, v4 offset:4
	ds_write_b32 v4, v8
	s_waitcnt lgkmcnt(1)
	v_mul_f32_e32 v10, 0x3fb8aa3b, v9
	v_exp_f32_e32 v10, v10
	s_nop 0
	v_add_f32_e32 v10, 1.0, v10
	v_cmp_gt_f32_e32 vcc, s14, v10
	s_nop 1
	v_cndmask_b32_e32 v6, 1.0, v6, vcc
	v_mul_f32_e32 v6, v10, v6
	v_log_f32_e32 v6, v6
	v_cndmask_b32_e32 v7, 0, v7, vcc
	v_mul_f32_e32 v8, 0x3f317217, v6
	v_fma_f32 v8, v6, s13, -v8
	v_fmac_f32_e32 v8, 0x3377d1cf, v6
	v_fmac_f32_e32 v8, 0x3f317217, v6
	v_cmp_lt_f32_e64 vcc, |v6|, s15
	s_nop 1
	v_cndmask_b32_e32 v6, v6, v8, vcc
	v_sub_f32_e32 v6, v6, v7
	v_cmp_lt_f32_e32 vcc, s12, v9
	v_cndmask_b32_e64 v8, 0, 1, s[6:7]
	v_cmp_ne_u32_e64 s[0:1], 1, v8
	v_cndmask_b32_e32 v6, v6, v9, vcc
	v_mul_f32_e32 v7, 0x4f800000, v6
	v_cmp_gt_f32_e64 s[4:5], s16, v6
	s_andn2_b64 vcc, exec, s[6:7]
	s_nop 0
	v_cndmask_b32_e64 v6, v6, v7, s[4:5]
	v_sqrt_f32_e32 v7, v6
	s_nop 0
	v_add_u32_e32 v8, -1, v7
	v_add_u32_e32 v9, 1, v7
	v_fma_f32 v10, -v8, v7, v6
	v_fma_f32 v11, -v9, v7, v6
	v_cmp_ge_f32_e64 s[6:7], 0, v10
	s_nop 1
	v_cndmask_b32_e64 v7, v7, v8, s[6:7]
	v_cmp_lt_f32_e64 s[6:7], 0, v11
	s_nop 1
	v_cndmask_b32_e64 v7, v7, v9, s[6:7]
	v_mul_f32_e32 v8, 0x37800000, v7
	v_cndmask_b32_e64 v7, v7, v8, s[4:5]
	v_cmp_class_f32_e64 s[4:5], v6, v1
	s_nop 1
	v_cndmask_b32_e64 v1, v7, v6, s[4:5]
	s_cbranch_vccnz .LBB157_8
; %bb.7:
	global_load_dword v6, v0, s[10:11] offset:4
	s_waitcnt vmcnt(0)
	v_add_f32_e32 v1, v1, v6
.LBB157_8:
	ds_read_b32 v8, v4 offset:8
	s_mov_b32 s12, 0x800000
	s_mov_b32 s7, 0x3f317217
	;; [unrolled: 1-line block ×4, first 2 shown]
	s_waitcnt lgkmcnt(0)
	v_mul_f32_e32 v6, 0x3fb8aa3b, v8
	v_exp_f32_e32 v7, v6
	v_mov_b32_e32 v6, 0x4f800000
	s_mov_b32 s14, 0xf800000
	ds_write_b32 v4, v1 offset:4
	v_add_f32_e32 v7, 1.0, v7
	v_cmp_gt_f32_e32 vcc, s12, v7
	s_nop 1
	v_cndmask_b32_e32 v9, 1.0, v6, vcc
	v_mul_f32_e32 v7, v7, v9
	v_log_f32_e32 v9, v7
	v_mov_b32_e32 v7, 0x41b17218
	v_cndmask_b32_e32 v10, 0, v7, vcc
	v_mul_f32_e32 v11, 0x3f317217, v9
	v_fma_f32 v11, v9, s7, -v11
	v_fmac_f32_e32 v11, 0x3377d1cf, v9
	v_fmac_f32_e32 v11, 0x3f317217, v9
	v_cmp_lt_f32_e64 vcc, |v9|, s13
	s_nop 1
	v_cndmask_b32_e32 v9, v9, v11, vcc
	v_sub_f32_e32 v9, v9, v10
	v_cmp_lt_f32_e32 vcc, s6, v8
	s_nop 1
	v_cndmask_b32_e32 v8, v9, v8, vcc
	v_mul_f32_e32 v9, 0x4f800000, v8
	v_cmp_gt_f32_e32 vcc, s14, v8
	s_nop 1
	v_cndmask_b32_e32 v8, v8, v9, vcc
	v_sqrt_f32_e32 v9, v8
	s_nop 0
	v_add_u32_e32 v1, -1, v9
	v_fma_f32 v10, -v1, v9, v8
	v_cmp_ge_f32_e64 s[4:5], 0, v10
	v_add_u32_e32 v10, 1, v9
	s_nop 0
	v_cndmask_b32_e64 v1, v9, v1, s[4:5]
	v_fma_f32 v9, -v10, v9, v8
	v_cmp_lt_f32_e64 s[4:5], 0, v9
	s_nop 1
	v_cndmask_b32_e64 v1, v1, v10, s[4:5]
	v_mul_f32_e32 v9, 0x37800000, v1
	v_cndmask_b32_e32 v9, v1, v9, vcc
	v_mov_b32_e32 v1, 0x260
	v_cmp_class_f32_e64 s[4:5], v8, v1
	s_and_b64 vcc, exec, s[0:1]
	s_nop 0
	v_cndmask_b32_e64 v8, v9, v8, s[4:5]
	s_cbranch_vccnz .LBB157_10
; %bb.9:
	global_load_dword v9, v0, s[10:11] offset:8
	s_waitcnt vmcnt(0)
	v_add_f32_e32 v8, v8, v9
.LBB157_10:
	ds_read_b32 v9, v4 offset:12
	ds_write_b32 v4, v8 offset:8
	s_waitcnt lgkmcnt(1)
	v_mul_f32_e32 v10, 0x3fb8aa3b, v9
	v_exp_f32_e32 v10, v10
	s_nop 0
	v_add_f32_e32 v10, 1.0, v10
	v_cmp_gt_f32_e32 vcc, s12, v10
	s_nop 1
	v_cndmask_b32_e32 v6, 1.0, v6, vcc
	v_mul_f32_e32 v6, v10, v6
	v_log_f32_e32 v6, v6
	v_cndmask_b32_e32 v7, 0, v7, vcc
	v_mul_f32_e32 v10, 0x3f317217, v6
	v_fma_f32 v10, v6, s7, -v10
	v_fmac_f32_e32 v10, 0x3377d1cf, v6
	v_fmac_f32_e32 v10, 0x3f317217, v6
	v_cmp_lt_f32_e64 vcc, |v6|, s13
	s_nop 1
	v_cndmask_b32_e32 v6, v6, v10, vcc
	v_sub_f32_e32 v6, v6, v7
	v_cmp_lt_f32_e32 vcc, s6, v9
	s_nop 1
	v_cndmask_b32_e32 v6, v6, v9, vcc
	v_mul_f32_e32 v7, 0x4f800000, v6
	v_cmp_gt_f32_e64 s[4:5], s14, v6
	s_and_b64 vcc, exec, s[0:1]
	s_nop 0
	v_cndmask_b32_e64 v6, v6, v7, s[4:5]
	v_sqrt_f32_e32 v7, v6
	s_nop 0
	v_add_u32_e32 v8, -1, v7
	v_add_u32_e32 v9, 1, v7
	v_fma_f32 v10, -v8, v7, v6
	v_fma_f32 v11, -v9, v7, v6
	v_cmp_ge_f32_e64 s[6:7], 0, v10
	s_nop 1
	v_cndmask_b32_e64 v7, v7, v8, s[6:7]
	v_cmp_lt_f32_e64 s[6:7], 0, v11
	s_nop 1
	v_cndmask_b32_e64 v7, v7, v9, s[6:7]
	v_mul_f32_e32 v8, 0x37800000, v7
	v_cndmask_b32_e64 v7, v7, v8, s[4:5]
	v_cmp_class_f32_e64 s[4:5], v6, v1
	s_nop 1
	v_cndmask_b32_e64 v1, v7, v6, s[4:5]
	s_cbranch_vccnz .LBB157_12
; %bb.11:
	global_load_dword v6, v0, s[10:11] offset:12
	s_waitcnt vmcnt(0)
	v_add_f32_e32 v1, v1, v6
.LBB157_12:
	ds_read_b32 v8, v4 offset:16
	s_mov_b32 s7, 0x3f317217
	s_mov_b32 s6, 0x41a00000
	ds_write_b32 v4, v1 offset:12
	s_waitcnt lgkmcnt(1)
	v_mul_f32_e32 v6, 0x3fb8aa3b, v8
	v_exp_f32_e32 v7, v6
	v_mov_b32_e32 v6, 0x4f800000
	v_add_f32_e32 v7, 1.0, v7
	v_cmp_gt_f32_e32 vcc, s12, v7
	s_nop 1
	v_cndmask_b32_e32 v9, 1.0, v6, vcc
	v_mul_f32_e32 v7, v7, v9
	v_log_f32_e32 v9, v7
	v_mov_b32_e32 v7, 0x41b17218
	v_cndmask_b32_e32 v10, 0, v7, vcc
	v_mul_f32_e32 v11, 0x3f317217, v9
	v_fma_f32 v11, v9, s7, -v11
	v_fmac_f32_e32 v11, 0x3377d1cf, v9
	v_fmac_f32_e32 v11, 0x3f317217, v9
	v_cmp_lt_f32_e64 vcc, |v9|, s13
	s_nop 1
	v_cndmask_b32_e32 v9, v9, v11, vcc
	v_sub_f32_e32 v9, v9, v10
	v_cmp_lt_f32_e32 vcc, s6, v8
	s_nop 1
	v_cndmask_b32_e32 v8, v9, v8, vcc
	v_mul_f32_e32 v9, 0x4f800000, v8
	v_cmp_gt_f32_e32 vcc, s14, v8
	s_nop 1
	v_cndmask_b32_e32 v8, v8, v9, vcc
	v_sqrt_f32_e32 v9, v8
	s_nop 0
	v_add_u32_e32 v1, -1, v9
	v_fma_f32 v10, -v1, v9, v8
	v_cmp_ge_f32_e64 s[4:5], 0, v10
	v_add_u32_e32 v10, 1, v9
	s_nop 0
	v_cndmask_b32_e64 v1, v9, v1, s[4:5]
	v_fma_f32 v9, -v10, v9, v8
	v_cmp_lt_f32_e64 s[4:5], 0, v9
	s_nop 1
	v_cndmask_b32_e64 v1, v1, v10, s[4:5]
	v_mul_f32_e32 v9, 0x37800000, v1
	v_cndmask_b32_e32 v9, v1, v9, vcc
	v_mov_b32_e32 v1, 0x260
	v_cmp_class_f32_e64 s[4:5], v8, v1
	s_and_b64 vcc, exec, s[0:1]
	s_nop 0
	v_cndmask_b32_e64 v8, v9, v8, s[4:5]
	s_cbranch_vccnz .LBB157_14
; %bb.13:
	global_load_dword v9, v0, s[10:11] offset:1024
	s_waitcnt vmcnt(0)
	v_add_f32_e32 v8, v8, v9
.LBB157_14:
	ds_read_b32 v9, v4 offset:20
	ds_write_b32 v4, v8 offset:16
	s_waitcnt lgkmcnt(1)
	v_mul_f32_e32 v10, 0x3fb8aa3b, v9
	v_exp_f32_e32 v10, v10
	s_nop 0
	v_add_f32_e32 v10, 1.0, v10
	v_cmp_gt_f32_e32 vcc, s12, v10
	s_nop 1
	v_cndmask_b32_e32 v6, 1.0, v6, vcc
	v_mul_f32_e32 v6, v10, v6
	v_log_f32_e32 v6, v6
	v_cndmask_b32_e32 v7, 0, v7, vcc
	v_mul_f32_e32 v10, 0x3f317217, v6
	v_fma_f32 v10, v6, s7, -v10
	v_fmac_f32_e32 v10, 0x3377d1cf, v6
	v_fmac_f32_e32 v10, 0x3f317217, v6
	v_cmp_lt_f32_e64 vcc, |v6|, s13
	s_nop 1
	v_cndmask_b32_e32 v6, v6, v10, vcc
	v_sub_f32_e32 v6, v6, v7
	v_cmp_lt_f32_e32 vcc, s6, v9
	s_nop 1
	v_cndmask_b32_e32 v6, v6, v9, vcc
	v_mul_f32_e32 v7, 0x4f800000, v6
	v_cmp_gt_f32_e64 s[4:5], s14, v6
	s_and_b64 vcc, exec, s[0:1]
	s_nop 0
	v_cndmask_b32_e64 v6, v6, v7, s[4:5]
	v_sqrt_f32_e32 v7, v6
	s_nop 0
	v_add_u32_e32 v8, -1, v7
	v_add_u32_e32 v9, 1, v7
	v_fma_f32 v10, -v8, v7, v6
	v_fma_f32 v11, -v9, v7, v6
	v_cmp_ge_f32_e64 s[6:7], 0, v10
	s_nop 1
	v_cndmask_b32_e64 v7, v7, v8, s[6:7]
	v_cmp_lt_f32_e64 s[6:7], 0, v11
	s_nop 1
	v_cndmask_b32_e64 v7, v7, v9, s[6:7]
	v_mul_f32_e32 v8, 0x37800000, v7
	v_cndmask_b32_e64 v7, v7, v8, s[4:5]
	v_cmp_class_f32_e64 s[4:5], v6, v1
	s_nop 1
	v_cndmask_b32_e64 v1, v7, v6, s[4:5]
	s_cbranch_vccnz .LBB157_16
; %bb.15:
	global_load_dword v6, v0, s[10:11] offset:1028
	s_waitcnt vmcnt(0)
	v_add_f32_e32 v1, v1, v6
.LBB157_16:
	ds_read_b32 v8, v4 offset:24
	s_mov_b32 s7, 0x3f317217
	s_mov_b32 s6, 0x41a00000
	ds_write_b32 v4, v1 offset:20
	s_waitcnt lgkmcnt(1)
	v_mul_f32_e32 v6, 0x3fb8aa3b, v8
	v_exp_f32_e32 v7, v6
	v_mov_b32_e32 v6, 0x4f800000
	v_add_f32_e32 v7, 1.0, v7
	v_cmp_gt_f32_e32 vcc, s12, v7
	s_nop 1
	v_cndmask_b32_e32 v9, 1.0, v6, vcc
	v_mul_f32_e32 v7, v7, v9
	v_log_f32_e32 v9, v7
	v_mov_b32_e32 v7, 0x41b17218
	v_cndmask_b32_e32 v10, 0, v7, vcc
	v_mul_f32_e32 v11, 0x3f317217, v9
	v_fma_f32 v11, v9, s7, -v11
	v_fmac_f32_e32 v11, 0x3377d1cf, v9
	v_fmac_f32_e32 v11, 0x3f317217, v9
	v_cmp_lt_f32_e64 vcc, |v9|, s13
	s_nop 1
	v_cndmask_b32_e32 v9, v9, v11, vcc
	v_sub_f32_e32 v9, v9, v10
	v_cmp_lt_f32_e32 vcc, s6, v8
	s_nop 1
	v_cndmask_b32_e32 v8, v9, v8, vcc
	v_mul_f32_e32 v9, 0x4f800000, v8
	v_cmp_gt_f32_e32 vcc, s14, v8
	s_nop 1
	v_cndmask_b32_e32 v8, v8, v9, vcc
	v_sqrt_f32_e32 v9, v8
	s_nop 0
	v_add_u32_e32 v1, -1, v9
	v_fma_f32 v10, -v1, v9, v8
	v_cmp_ge_f32_e64 s[4:5], 0, v10
	v_add_u32_e32 v10, 1, v9
	s_nop 0
	v_cndmask_b32_e64 v1, v9, v1, s[4:5]
	v_fma_f32 v9, -v10, v9, v8
	v_cmp_lt_f32_e64 s[4:5], 0, v9
	s_nop 1
	v_cndmask_b32_e64 v1, v1, v10, s[4:5]
	v_mul_f32_e32 v9, 0x37800000, v1
	v_cndmask_b32_e32 v9, v1, v9, vcc
	v_mov_b32_e32 v1, 0x260
	v_cmp_class_f32_e64 s[4:5], v8, v1
	s_and_b64 vcc, exec, s[0:1]
	s_nop 0
	v_cndmask_b32_e64 v8, v9, v8, s[4:5]
	s_cbranch_vccnz .LBB157_18
; %bb.17:
	global_load_dword v9, v0, s[10:11] offset:1032
	s_waitcnt vmcnt(0)
	v_add_f32_e32 v8, v8, v9
.LBB157_18:
	ds_read_b32 v9, v4 offset:28
	ds_write_b32 v4, v8 offset:24
	s_waitcnt lgkmcnt(1)
	v_mul_f32_e32 v10, 0x3fb8aa3b, v9
	v_exp_f32_e32 v10, v10
	s_nop 0
	v_add_f32_e32 v10, 1.0, v10
	v_cmp_gt_f32_e32 vcc, s12, v10
	s_nop 1
	v_cndmask_b32_e32 v6, 1.0, v6, vcc
	v_mul_f32_e32 v6, v10, v6
	v_log_f32_e32 v6, v6
	v_cndmask_b32_e32 v7, 0, v7, vcc
	v_mul_f32_e32 v10, 0x3f317217, v6
	v_fma_f32 v10, v6, s7, -v10
	v_fmac_f32_e32 v10, 0x3377d1cf, v6
	v_fmac_f32_e32 v10, 0x3f317217, v6
	v_cmp_lt_f32_e64 vcc, |v6|, s13
	s_nop 1
	v_cndmask_b32_e32 v6, v6, v10, vcc
	v_sub_f32_e32 v6, v6, v7
	v_cmp_lt_f32_e32 vcc, s6, v9
	s_nop 1
	v_cndmask_b32_e32 v6, v6, v9, vcc
	v_mul_f32_e32 v7, 0x4f800000, v6
	v_cmp_gt_f32_e64 s[4:5], s14, v6
	s_and_b64 vcc, exec, s[0:1]
	s_nop 0
	v_cndmask_b32_e64 v6, v6, v7, s[4:5]
	v_sqrt_f32_e32 v7, v6
	s_nop 0
	v_add_u32_e32 v8, -1, v7
	v_add_u32_e32 v9, 1, v7
	v_fma_f32 v10, -v8, v7, v6
	v_fma_f32 v11, -v9, v7, v6
	v_cmp_ge_f32_e64 s[6:7], 0, v10
	s_nop 1
	v_cndmask_b32_e64 v7, v7, v8, s[6:7]
	v_cmp_lt_f32_e64 s[6:7], 0, v11
	s_nop 1
	v_cndmask_b32_e64 v7, v7, v9, s[6:7]
	v_mul_f32_e32 v8, 0x37800000, v7
	v_cndmask_b32_e64 v7, v7, v8, s[4:5]
	v_cmp_class_f32_e64 s[4:5], v6, v1
	s_nop 1
	v_cndmask_b32_e64 v1, v7, v6, s[4:5]
	s_cbranch_vccnz .LBB157_20
; %bb.19:
	global_load_dword v0, v0, s[10:11] offset:1036
	s_waitcnt vmcnt(0)
	v_add_f32_e32 v1, v1, v0
.LBB157_20:
	s_load_dwordx4 s[12:15], s[2:3], 0x30
	s_mov_b32 s31, 0
	v_cmp_eq_u32_e64 s[6:7], 0, v3
	ds_write_b32 v4, v1 offset:28
	s_waitcnt lgkmcnt(0)
	s_bitcmp1_b32 s15, 0
	s_cselect_b64 s[4:5], -1, 0
	s_cmp_gt_i32 s12, 0
	s_cselect_b64 s[24:25], -1, 0
	s_and_b64 vcc, exec, s[24:25]
	s_cbranch_vccz .LBB157_53
; %bb.21:
	v_mbcnt_lo_u32_b32 v0, -1, 0
	v_mbcnt_hi_u32_b32 v0, -1, v0
	v_and_b32_e32 v1, 64, v0
	v_add_u32_e32 v1, 64, v1
	v_xor_b32_e32 v6, 32, v0
	v_cmp_lt_i32_e32 vcc, v6, v1
	s_load_dwordx4 s[16:19], s[2:3], 0x20
	v_mul_lo_u32 v7, v2, s12
	v_cndmask_b32_e32 v6, v0, v6, vcc
	v_lshlrev_b32_e32 v8, 2, v6
	v_xor_b32_e32 v6, 16, v0
	v_cmp_lt_i32_e32 vcc, v6, v1
	v_mov_b32_e32 v14, 0x100
	v_mov_b32_e32 v15, 0x101
	v_cndmask_b32_e32 v6, v0, v6, vcc
	v_lshlrev_b32_e32 v9, 2, v6
	v_xor_b32_e32 v6, 8, v0
	v_cmp_lt_i32_e32 vcc, v6, v1
	v_bfrev_b32_e32 v16, 4.0
	v_bfrev_b32_e32 v17, -4.0
	v_cndmask_b32_e32 v6, v0, v6, vcc
	v_lshlrev_b32_e32 v10, 2, v6
	v_xor_b32_e32 v6, 4, v0
	v_cmp_lt_i32_e32 vcc, v6, v1
	v_mov_b32_e32 v18, 0xc61c4000
	v_mov_b32_e32 v19, 0x200
	v_cndmask_b32_e32 v6, v0, v6, vcc
	v_lshlrev_b32_e32 v11, 2, v6
	v_xor_b32_e32 v6, 2, v0
	v_cmp_lt_i32_e32 vcc, v6, v1
	v_mov_b32_e32 v20, v2
	s_nop 0
	v_cndmask_b32_e32 v6, v0, v6, vcc
	v_lshlrev_b32_e32 v12, 2, v6
	v_xor_b32_e32 v6, 1, v0
	v_cmp_lt_i32_e32 vcc, v6, v1
	s_nop 1
	v_cndmask_b32_e32 v0, v0, v6, vcc
	v_lshlrev_b32_e32 v13, 2, v0
	v_mov_b32_e32 v6, 0
	s_branch .LBB157_23
.LBB157_22:                             ;   in Loop: Header=BB157_23 Depth=1
	s_or_b64 exec, exec, s[2:3]
	s_cmp_eq_u32 s12, s31
	v_add_u32_e32 v20, s30, v20
	s_cbranch_scc1 .LBB157_54
.LBB157_23:                             ; =>This Inner Loop Header: Depth=1
	ds_read_b128 v[22:25], v4
	ds_read_b128 v[26:29], v4 offset:16
	s_waitcnt lgkmcnt(0)
	v_cmp_gt_f32_e32 vcc, v23, v22
	s_nop 1
	v_cndmask_b32_e32 v1, v22, v23, vcc
	v_cndmask_b32_e64 v0, 0, 1, vcc
	v_cmp_gt_f32_e32 vcc, v24, v1
	s_nop 1
	v_cndmask_b32_e32 v1, v1, v24, vcc
	v_cndmask_b32_e64 v0, v0, 2, vcc
	;; [unrolled: 4-line block ×3, first 2 shown]
	v_cmp_gt_f32_e32 vcc, v26, v1
	s_nop 1
	v_cndmask_b32_e32 v1, v1, v26, vcc
	v_cndmask_b32_e32 v0, v0, v14, vcc
	v_cmp_gt_f32_e32 vcc, v27, v1
	s_nop 1
	v_cndmask_b32_e32 v1, v1, v27, vcc
	v_cndmask_b32_e32 v0, v0, v15, vcc
	;; [unrolled: 4-line block ×4, first 2 shown]
	ds_bpermute_b32 v1, v8, v21
	v_or_b32_e32 v0, v5, v0
	ds_bpermute_b32 v22, v8, v0
	s_waitcnt lgkmcnt(1)
	v_cmp_lt_f32_e64 s[26:27], v21, v1
	v_cmp_nlt_f32_e32 vcc, v21, v1
	s_and_saveexec_b64 s[28:29], vcc
	s_cbranch_execz .LBB157_25
; %bb.24:                               ;   in Loop: Header=BB157_23 Depth=1
	v_cmp_eq_f32_e32 vcc, v21, v1
	s_waitcnt lgkmcnt(0)
	v_cmp_lt_i32_e64 s[2:3], v22, v0
	s_and_b64 s[2:3], vcc, s[2:3]
	s_andn2_b64 s[26:27], s[26:27], exec
	s_and_b64 s[2:3], s[2:3], exec
	s_or_b64 s[26:27], s[26:27], s[2:3]
.LBB157_25:                             ;   in Loop: Header=BB157_23 Depth=1
	s_or_b64 exec, exec, s[28:29]
	s_and_saveexec_b64 s[2:3], s[26:27]
	s_cbranch_execz .LBB157_27
; %bb.26:                               ;   in Loop: Header=BB157_23 Depth=1
	v_mov_b32_e32 v21, v1
	s_waitcnt lgkmcnt(0)
	v_mov_b32_e32 v0, v22
.LBB157_27:                             ;   in Loop: Header=BB157_23 Depth=1
	s_or_b64 exec, exec, s[2:3]
	ds_bpermute_b32 v1, v9, v21
	s_waitcnt lgkmcnt(1)
	ds_bpermute_b32 v22, v9, v0
	s_waitcnt lgkmcnt(1)
	v_cmp_lt_f32_e64 s[26:27], v21, v1
	v_cmp_nlt_f32_e32 vcc, v21, v1
	s_and_saveexec_b64 s[28:29], vcc
	s_cbranch_execz .LBB157_29
; %bb.28:                               ;   in Loop: Header=BB157_23 Depth=1
	v_cmp_eq_f32_e32 vcc, v21, v1
	s_waitcnt lgkmcnt(0)
	v_cmp_lt_i32_e64 s[2:3], v22, v0
	s_and_b64 s[2:3], vcc, s[2:3]
	s_andn2_b64 s[26:27], s[26:27], exec
	s_and_b64 s[2:3], s[2:3], exec
	s_or_b64 s[26:27], s[26:27], s[2:3]
.LBB157_29:                             ;   in Loop: Header=BB157_23 Depth=1
	s_or_b64 exec, exec, s[28:29]
	s_and_saveexec_b64 s[2:3], s[26:27]
	s_cbranch_execz .LBB157_31
; %bb.30:                               ;   in Loop: Header=BB157_23 Depth=1
	v_mov_b32_e32 v21, v1
	s_waitcnt lgkmcnt(0)
	v_mov_b32_e32 v0, v22
.LBB157_31:                             ;   in Loop: Header=BB157_23 Depth=1
	s_or_b64 exec, exec, s[2:3]
	ds_bpermute_b32 v1, v10, v21
	s_waitcnt lgkmcnt(1)
	;; [unrolled: 26-line block ×5, first 2 shown]
	ds_bpermute_b32 v22, v13, v0
	s_waitcnt lgkmcnt(1)
	v_cmp_lt_f32_e64 s[26:27], v21, v1
	v_cmp_nlt_f32_e32 vcc, v21, v1
	s_and_saveexec_b64 s[28:29], vcc
	s_cbranch_execnz .LBB157_46
; %bb.44:                               ;   in Loop: Header=BB157_23 Depth=1
	s_or_b64 exec, exec, s[28:29]
	s_and_saveexec_b64 s[2:3], s[26:27]
	s_cbranch_execnz .LBB157_47
.LBB157_45:                             ;   in Loop: Header=BB157_23 Depth=1
	s_or_b64 exec, exec, s[2:3]
	s_and_saveexec_b64 s[26:27], s[6:7]
	s_cbranch_execnz .LBB157_48
	s_branch .LBB157_51
.LBB157_46:                             ;   in Loop: Header=BB157_23 Depth=1
	v_cmp_eq_f32_e32 vcc, v21, v1
	s_waitcnt lgkmcnt(0)
	v_cmp_lt_i32_e64 s[2:3], v22, v0
	s_and_b64 s[2:3], vcc, s[2:3]
	s_andn2_b64 s[26:27], s[26:27], exec
	s_and_b64 s[2:3], s[2:3], exec
	s_or_b64 s[26:27], s[26:27], s[2:3]
	s_or_b64 exec, exec, s[28:29]
	s_and_saveexec_b64 s[2:3], s[26:27]
	s_cbranch_execz .LBB157_45
.LBB157_47:                             ;   in Loop: Header=BB157_23 Depth=1
	s_waitcnt lgkmcnt(0)
	v_mov_b32_e32 v0, v22
	v_mov_b32_e32 v21, v1
	s_or_b64 exec, exec, s[2:3]
	s_and_saveexec_b64 s[26:27], s[6:7]
	s_cbranch_execz .LBB157_51
.LBB157_48:                             ;   in Loop: Header=BB157_23 Depth=1
	s_and_b64 vcc, exec, s[0:1]
	s_cbranch_vccnz .LBB157_50
; %bb.49:                               ;   in Loop: Header=BB157_23 Depth=1
	v_ashrrev_i32_e32 v1, 31, v0
	s_waitcnt lgkmcnt(0)
	v_lshl_add_u64 v[22:23], v[0:1], 2, s[10:11]
	global_load_dword v1, v[22:23], off
	s_waitcnt vmcnt(0)
	v_sub_f32_e32 v21, v21, v1
.LBB157_50:                             ;   in Loop: Header=BB157_23 Depth=1
	s_waitcnt lgkmcnt(0)
	v_add_u32_e32 v22, s31, v7
	v_ashrrev_i32_e32 v23, 31, v22
	v_cmp_le_i32_e32 vcc, s13, v0
	v_cmp_gt_i32_e64 s[2:3], s14, v0
	v_lshlrev_b64 v[24:25], 2, v[22:23]
	s_and_b64 s[2:3], vcc, s[2:3]
	v_lshl_add_u64 v[26:27], s[20:21], 0, v[24:25]
	v_subrev_u32_e32 v1, s13, v0
	global_store_dword v[26:27], v21, off
	v_ashrrev_i32_e32 v26, 31, v1
	s_and_b64 vcc, s[22:23], s[2:3]
	v_cndmask_b32_e32 v27, 0, v26, vcc
	v_cndmask_b32_e32 v26, v19, v1, vcc
	v_lshl_add_u64 v[22:23], v[22:23], 3, s[16:17]
	v_add_f32_e32 v1, v6, v21
	global_store_dwordx2 v[22:23], v[26:27], off
	v_lshl_add_u64 v[22:23], s[18:19], 0, v[24:25]
	v_cndmask_b32_e64 v6, v6, v1, s[4:5]
	global_store_dword v[22:23], v20, off
.LBB157_51:                             ;   in Loop: Header=BB157_23 Depth=1
	s_or_b64 exec, exec, s[26:27]
	v_ashrrev_i32_e32 v1, 31, v0
	v_lshrrev_b32_e32 v21, 30, v1
	s_waitcnt lgkmcnt(0)
	v_add_u32_e32 v22, v0, v21
	v_ashrrev_i32_e32 v21, 2, v22
	v_ashrrev_i32_e32 v22, 31, v22
	v_lshrrev_b32_e32 v22, 26, v22
	v_add_u32_e32 v22, v21, v22
	s_add_i32 s31, s31, 1
	v_and_b32_e32 v22, 0xffffffc0, v22
	s_cmp_lt_i32 s31, s12
	v_sub_u32_e32 v22, v21, v22
	s_cselect_b64 s[2:3], -1, 0
	v_cmp_eq_u32_e32 vcc, v3, v22
	s_and_b64 s[26:27], s[2:3], vcc
	s_and_saveexec_b64 s[2:3], s[26:27]
	s_cbranch_execz .LBB157_22
; %bb.52:                               ;   in Loop: Header=BB157_23 Depth=1
	v_add_u32_sdwa v1, v0, v1 dst_sel:DWORD dst_unused:UNUSED_PAD src0_sel:DWORD src1_sel:BYTE_3
	v_lshlrev_b32_e32 v21, 2, v21
	v_ashrrev_i32_e32 v1, 8, v1
	v_sub_u32_e32 v0, v0, v21
	v_lshl_add_u32 v0, v1, 2, v0
	v_lshl_add_u32 v0, v0, 2, v4
	ds_write_b32 v0, v18
	s_branch .LBB157_22
.LBB157_53:
	v_mov_b32_e32 v6, 0
.LBB157_54:
	v_cmp_eq_u32_e32 vcc, 0, v3
	s_and_b64 exec, exec, vcc
	s_cbranch_execz .LBB157_67
; %bb.55:
	s_andn2_b64 vcc, exec, s[4:5]
	v_cvt_f32_f64_e32 v0, s[8:9]
	s_cbranch_vccnz .LBB157_57
; %bb.56:
	v_cmp_lt_f32_e32 vcc, 0, v6
	s_nop 1
	v_cndmask_b32_e32 v1, 1.0, v6, vcc
	v_div_scale_f32 v3, s[0:1], v1, v1, v0
	v_rcp_f32_e32 v4, v3
	s_nop 0
	v_fma_f32 v5, -v3, v4, 1.0
	v_fmac_f32_e32 v4, v5, v4
	v_div_scale_f32 v5, vcc, v0, v1, v0
	v_mul_f32_e32 v6, v5, v4
	v_fma_f32 v7, -v3, v6, v5
	v_fmac_f32_e32 v6, v7, v4
	v_fma_f32 v3, -v3, v6, v5
	v_div_fmas_f32 v3, v3, v4, v6
	v_div_fixup_f32 v0, v3, v1, v0
.LBB157_57:
	s_andn2_b64 vcc, exec, s[24:25]
	s_cbranch_vccnz .LBB157_67
; %bb.58:
	v_mul_lo_u32 v2, v2, s12
	s_cmp_gt_u32 s12, 3
	v_ashrrev_i32_e32 v3, 31, v2
	s_cbranch_scc0 .LBB157_62
; %bb.59:
	s_and_b32 s0, s12, 0x7ffffffc
	v_lshl_add_u64 v[4:5], v[2:3], 2, s[20:21]
	v_mov_b32_e32 v1, v0
	v_lshl_add_u64 v[4:5], v[4:5], 0, 8
	s_mov_b32 s1, s0
.LBB157_60:                             ; =>This Inner Loop Header: Depth=1
	global_load_dwordx4 v[6:9], v[4:5], off offset:-8
	s_add_i32 s1, s1, -4
	s_cmp_lg_u32 s1, 0
	s_waitcnt vmcnt(0)
	v_pk_mul_f32 v[6:7], v[0:1], v[6:7]
	v_pk_mul_f32 v[8:9], v[0:1], v[8:9]
	global_store_dwordx4 v[4:5], v[6:9], off offset:-8
	v_lshl_add_u64 v[4:5], v[4:5], 0, 16
	s_cbranch_scc1 .LBB157_60
; %bb.61:
	s_cmp_lg_u32 s0, s12
	s_cselect_b64 s[2:3], -1, 0
	s_branch .LBB157_64
.LBB157_62:
	s_mov_b64 s[2:3], 0
                                        ; implicit-def: $sgpr0
	s_cbranch_execz .LBB157_64
; %bb.63:
	s_mov_b64 s[2:3], -1
	s_mov_b32 s0, 0
.LBB157_64:
	s_andn2_b64 vcc, exec, s[2:3]
	s_cbranch_vccnz .LBB157_67
; %bb.65:
	s_mov_b32 s1, 0
	v_lshl_add_u64 v[2:3], v[2:3], 0, s[0:1]
	s_sub_i32 s2, s12, s0
	v_lshl_add_u64 v[2:3], v[2:3], 2, s[20:21]
.LBB157_66:                             ; =>This Inner Loop Header: Depth=1
	global_load_dword v1, v[2:3], off
	s_add_i32 s2, s2, -1
	s_cmp_lg_u32 s2, 0
	s_waitcnt vmcnt(0)
	v_mul_f32_e32 v1, v0, v1
	global_store_dword v[2:3], v1, off
	v_lshl_add_u64 v[2:3], v[2:3], 0, 4
	s_cbranch_scc1 .LBB157_66
.LBB157_67:
	s_endpgm
	.section	.rodata,"a",@progbits
	.p2align	6, 0x0
	.amdhsa_kernel _ZN4vllm3moe22topkGatingSoftplusSqrtILi8ELi512ELi4ELi16ELi64ELb0ElfEEvPKT6_PKbPfiPT5_PiiiibdPKfPKS8_SE_
		.amdhsa_group_segment_fixed_size 8192
		.amdhsa_private_segment_fixed_size 0
		.amdhsa_kernarg_size 96
		.amdhsa_user_sgpr_count 4
		.amdhsa_user_sgpr_dispatch_ptr 1
		.amdhsa_user_sgpr_queue_ptr 0
		.amdhsa_user_sgpr_kernarg_segment_ptr 1
		.amdhsa_user_sgpr_dispatch_id 0
		.amdhsa_user_sgpr_kernarg_preload_length 0
		.amdhsa_user_sgpr_kernarg_preload_offset 0
		.amdhsa_user_sgpr_private_segment_size 0
		.amdhsa_uses_dynamic_stack 0
		.amdhsa_enable_private_segment 0
		.amdhsa_system_sgpr_workgroup_id_x 1
		.amdhsa_system_sgpr_workgroup_id_y 0
		.amdhsa_system_sgpr_workgroup_id_z 0
		.amdhsa_system_sgpr_workgroup_info 0
		.amdhsa_system_vgpr_workitem_id 2
		.amdhsa_next_free_vgpr 30
		.amdhsa_next_free_sgpr 32
		.amdhsa_accum_offset 32
		.amdhsa_reserve_vcc 1
		.amdhsa_float_round_mode_32 0
		.amdhsa_float_round_mode_16_64 0
		.amdhsa_float_denorm_mode_32 3
		.amdhsa_float_denorm_mode_16_64 3
		.amdhsa_dx10_clamp 1
		.amdhsa_ieee_mode 1
		.amdhsa_fp16_overflow 0
		.amdhsa_tg_split 0
		.amdhsa_exception_fp_ieee_invalid_op 0
		.amdhsa_exception_fp_denorm_src 0
		.amdhsa_exception_fp_ieee_div_zero 0
		.amdhsa_exception_fp_ieee_overflow 0
		.amdhsa_exception_fp_ieee_underflow 0
		.amdhsa_exception_fp_ieee_inexact 0
		.amdhsa_exception_int_div_zero 0
	.end_amdhsa_kernel
	.section	.text._ZN4vllm3moe22topkGatingSoftplusSqrtILi8ELi512ELi4ELi16ELi64ELb0ElfEEvPKT6_PKbPfiPT5_PiiiibdPKfPKS8_SE_,"axG",@progbits,_ZN4vllm3moe22topkGatingSoftplusSqrtILi8ELi512ELi4ELi16ELi64ELb0ElfEEvPKT6_PKbPfiPT5_PiiiibdPKfPKS8_SE_,comdat
.Lfunc_end157:
	.size	_ZN4vllm3moe22topkGatingSoftplusSqrtILi8ELi512ELi4ELi16ELi64ELb0ElfEEvPKT6_PKbPfiPT5_PiiiibdPKfPKS8_SE_, .Lfunc_end157-_ZN4vllm3moe22topkGatingSoftplusSqrtILi8ELi512ELi4ELi16ELi64ELb0ElfEEvPKT6_PKbPfiPT5_PiiiibdPKfPKS8_SE_
                                        ; -- End function
	.section	.AMDGPU.csdata,"",@progbits
; Kernel info:
; codeLenInByte = 4436
; NumSgprs: 38
; NumVgprs: 30
; NumAgprs: 0
; TotalNumVgprs: 30
; ScratchSize: 0
; MemoryBound: 0
; FloatMode: 240
; IeeeMode: 1
; LDSByteSize: 8192 bytes/workgroup (compile time only)
; SGPRBlocks: 4
; VGPRBlocks: 3
; NumSGPRsForWavesPerEU: 38
; NumVGPRsForWavesPerEU: 30
; AccumOffset: 32
; Occupancy: 8
; WaveLimiterHint : 0
; COMPUTE_PGM_RSRC2:SCRATCH_EN: 0
; COMPUTE_PGM_RSRC2:USER_SGPR: 4
; COMPUTE_PGM_RSRC2:TRAP_HANDLER: 0
; COMPUTE_PGM_RSRC2:TGID_X_EN: 1
; COMPUTE_PGM_RSRC2:TGID_Y_EN: 0
; COMPUTE_PGM_RSRC2:TGID_Z_EN: 0
; COMPUTE_PGM_RSRC2:TIDIG_COMP_CNT: 2
; COMPUTE_PGM_RSRC3_GFX90A:ACCUM_OFFSET: 7
; COMPUTE_PGM_RSRC3_GFX90A:TG_SPLIT: 0
	.section	.text._ZN4vllm3moe22topkGatingSoftplusSqrtILi16ELi512ELi4ELi16ELi32ELb1ElfEEvPKT6_PKbPfiPT5_PiiiibdPKfPKS8_SE_,"axG",@progbits,_ZN4vllm3moe22topkGatingSoftplusSqrtILi16ELi512ELi4ELi16ELi32ELb1ElfEEvPKT6_PKbPfiPT5_PiiiibdPKfPKS8_SE_,comdat
	.protected	_ZN4vllm3moe22topkGatingSoftplusSqrtILi16ELi512ELi4ELi16ELi32ELb1ElfEEvPKT6_PKbPfiPT5_PiiiibdPKfPKS8_SE_ ; -- Begin function _ZN4vllm3moe22topkGatingSoftplusSqrtILi16ELi512ELi4ELi16ELi32ELb1ElfEEvPKT6_PKbPfiPT5_PiiiibdPKfPKS8_SE_
	.globl	_ZN4vllm3moe22topkGatingSoftplusSqrtILi16ELi512ELi4ELi16ELi32ELb1ElfEEvPKT6_PKbPfiPT5_PiiiibdPKfPKS8_SE_
	.p2align	8
	.type	_ZN4vllm3moe22topkGatingSoftplusSqrtILi16ELi512ELi4ELi16ELi32ELb1ElfEEvPKT6_PKbPfiPT5_PiiiibdPKfPKS8_SE_,@function
_ZN4vllm3moe22topkGatingSoftplusSqrtILi16ELi512ELi4ELi16ELi32ELb1ElfEEvPKT6_PKbPfiPT5_PiiiibdPKfPKS8_SE_: ; @_ZN4vllm3moe22topkGatingSoftplusSqrtILi16ELi512ELi4ELi16ELi32ELb1ElfEEvPKT6_PKbPfiPT5_PiiiibdPKfPKS8_SE_
; %bb.0:
	s_load_dword s3, s[0:1], 0x18
	v_and_b32_e32 v1, 0x3ff, v0
	s_lshl_b32 s2, s2, 2
	v_lshrrev_b32_e32 v2, 5, v1
	v_bfe_u32 v0, v0, 10, 10
	v_add3_u32 v14, s2, v0, v2
	s_waitcnt lgkmcnt(0)
	v_cmp_gt_i32_e32 vcc, s3, v14
	s_and_saveexec_b64 s[2:3], vcc
	s_cbranch_execz .LBB158_67
; %bb.1:
	s_load_dwordx4 s[4:7], s[0:1], 0x50
	s_load_dwordx2 s[2:3], s[0:1], 0x0
	s_load_dword s28, s[0:1], 0x30
	v_lshlrev_b32_e32 v2, 9, v14
	v_lshlrev_b32_e32 v0, 2, v1
	v_ashrrev_i32_e32 v3, 31, v2
	v_and_b32_e32 v20, 0x7c, v0
	s_waitcnt lgkmcnt(0)
	v_mov_b32_e32 v4, s4
	v_mov_b32_e32 v5, s5
	v_lshl_add_u64 v[2:3], v[2:3], 2, s[2:3]
	v_lshlrev_b32_e32 v12, 2, v20
	v_mov_b32_e32 v13, 0
	v_ashrrev_i32_e32 v15, 31, v14
	v_lshl_add_u64 v[0:1], v[14:15], 3, v[4:5]
	v_lshl_add_u64 v[28:29], v[2:3], 0, v[12:13]
	global_load_dwordx2 v[18:19], v[0:1], off
	global_load_dwordx4 v[24:27], v[28:29], off
	global_load_dwordx4 v[8:11], v[28:29], off offset:512
	global_load_dwordx4 v[4:7], v[28:29], off offset:1024
	s_nop 0
	global_load_dwordx4 v[0:3], v[28:29], off offset:1536
	s_mov_b32 s17, 0x800000
	s_ashr_i32 s29, s28, 31
	v_mov_b32_e32 v21, 0x4f800000
	s_mov_b32 s15, 0x3f317217
	s_mov_b32 s16, 0x7f800000
	v_mov_b32_e32 v22, 0x41b17218
	s_mov_b32 s11, 0x41a00000
	s_mov_b32 s14, 0xf800000
	v_mov_b32_e32 v16, s6
	v_mov_b32_e32 v17, s7
	;; [unrolled: 1-line block ×3, first 2 shown]
	v_cmp_lt_i64_e64 s[12:13], s[28:29], 1
	v_mov_b32_e32 v12, 0
	s_mov_b32 s10, 0
	v_cmp_gt_i64_e64 s[8:9], s[28:29], 0
	s_waitcnt vmcnt(4)
	v_mul_lo_u32 v23, v19, s28
	s_waitcnt vmcnt(3)
	v_mul_f32_e32 v19, 0x3fb8aa3b, v24
	v_mul_f32_e32 v29, 0x3fb8aa3b, v25
	v_exp_f32_e32 v28, v19
	v_exp_f32_e32 v29, v29
	v_mul_f32_e32 v30, 0x3fb8aa3b, v26
	v_mul_f32_e32 v31, 0x3fb8aa3b, v27
	v_mul_lo_u32 v32, v18, s29
	v_pk_add_f32 v[28:29], v[28:29], 1.0 op_sel_hi:[1,0]
	v_exp_f32_e32 v30, v30
	v_exp_f32_e32 v31, v31
	v_mad_u64_u32 v[18:19], s[2:3], v18, s28, 0
	v_cmp_gt_f32_e32 vcc, s17, v29
	v_add3_u32 v19, v19, v32, v23
	v_cmp_gt_f32_e64 s[2:3], s17, v28
	v_cndmask_b32_e32 v23, 1.0, v21, vcc
	v_mul_f32_e32 v23, v29, v23
	v_cndmask_b32_e64 v32, 1.0, v21, s[2:3]
	v_mul_f32_e32 v28, v28, v32
	v_log_f32_e32 v23, v23
	v_pk_add_f32 v[30:31], v[30:31], 1.0 op_sel_hi:[1,0]
	v_log_f32_e32 v28, v28
	v_cmp_gt_f32_e64 s[4:5], s17, v31
	v_cndmask_b32_e32 v29, 0, v22, vcc
	v_cmp_lt_f32_e64 vcc, |v23|, s16
	v_cndmask_b32_e64 v33, 1.0, v21, s[4:5]
	v_mul_f32_e32 v31, v31, v33
	v_mul_f32_e32 v33, 0x3f317217, v23
	;; [unrolled: 1-line block ×3, first 2 shown]
	v_fma_f32 v33, v23, s15, -v33
	v_fma_f32 v34, v28, s15, -v34
	v_fmac_f32_e32 v33, 0x3377d1cf, v23
	v_fmac_f32_e32 v34, 0x3377d1cf, v28
	;; [unrolled: 1-line block ×4, first 2 shown]
	v_cndmask_b32_e32 v23, v23, v33, vcc
	v_cmp_lt_f32_e64 vcc, |v28|, s16
	v_cndmask_b32_e64 v32, 0, v22, s[2:3]
	v_sub_f32_e32 v23, v23, v29
	v_cndmask_b32_e32 v28, v28, v34, vcc
	v_sub_f32_e32 v28, v28, v32
	v_cmp_lt_f32_e32 vcc, s11, v24
	v_log_f32_e32 v31, v31
	s_nop 0
	v_cndmask_b32_e32 v24, v28, v24, vcc
	v_cmp_lt_f32_e32 vcc, s11, v25
	v_mul_f32_e32 v28, 0x4f800000, v24
	v_cmp_gt_f32_e64 s[2:3], s14, v24
	v_cndmask_b32_e32 v23, v23, v25, vcc
	v_mul_f32_e32 v25, 0x4f800000, v23
	v_cmp_gt_f32_e32 vcc, s14, v23
	v_cndmask_b32_e64 v24, v24, v28, s[2:3]
	v_sqrt_f32_e32 v28, v24
	v_cndmask_b32_e32 v23, v23, v25, vcc
	v_sqrt_f32_e32 v25, v23
	v_mul_f32_e32 v35, 0x3f317217, v31
	v_add_u32_e32 v33, -1, v28
	v_fma_f32 v38, -v33, v28, v24
	v_add_u32_e32 v29, -1, v25
	v_fma_f32 v36, -v29, v25, v23
	v_add_u32_e32 v32, 1, v25
	v_cmp_ge_f32_e64 s[6:7], 0, v36
	v_add_u32_e32 v34, 1, v28
	v_fma_f32 v37, -v32, v25, v23
	v_cndmask_b32_e64 v25, v25, v29, s[6:7]
	v_cmp_ge_f32_e64 s[6:7], 0, v38
	v_fma_f32 v39, -v34, v28, v24
	v_fma_f32 v35, v31, s15, -v35
	v_cndmask_b32_e64 v28, v28, v33, s[6:7]
	v_cmp_lt_f32_e64 s[6:7], 0, v37
	v_fmac_f32_e32 v35, 0x3377d1cf, v31
	v_fmac_f32_e32 v35, 0x3f317217, v31
	v_cndmask_b32_e64 v25, v25, v32, s[6:7]
	v_cmp_lt_f32_e64 s[6:7], 0, v39
	v_mul_f32_e32 v29, 0x37800000, v25
	v_cndmask_b32_e32 v25, v25, v29, vcc
	v_cndmask_b32_e64 v28, v28, v34, s[6:7]
	v_mul_f32_e32 v32, 0x37800000, v28
	v_cmp_class_f32_e32 vcc, v23, v15
	v_cndmask_b32_e64 v28, v28, v32, s[2:3]
	v_cmp_lt_f32_e64 s[2:3], |v31|, s16
	v_cndmask_b32_e32 v25, v25, v23, vcc
	v_cmp_class_f32_e32 vcc, v24, v15
	v_cndmask_b32_e64 v29, 0, v22, s[4:5]
	s_nop 0
	v_cndmask_b32_e32 v24, v28, v24, vcc
	v_cmp_gt_f32_e32 vcc, s17, v30
	v_cndmask_b32_e64 v28, v31, v35, s[2:3]
	v_sub_f32_e32 v28, v28, v29
	v_cndmask_b32_e32 v23, 1.0, v21, vcc
	v_mul_f32_e32 v23, v30, v23
	v_log_f32_e32 v23, v23
	s_nop 0
	v_mul_f32_e32 v29, 0x3f317217, v23
	v_fma_f32 v29, v23, s15, -v29
	v_fmac_f32_e32 v29, 0x3377d1cf, v23
	v_fmac_f32_e32 v29, 0x3f317217, v23
	v_cmp_lt_f32_e64 s[2:3], |v23|, s16
	s_nop 1
	v_cndmask_b32_e64 v23, v23, v29, s[2:3]
	v_cndmask_b32_e32 v29, 0, v22, vcc
	v_cmp_lt_f32_e32 vcc, s11, v27
	v_sub_f32_e32 v23, v23, v29
	v_cmp_lt_f32_e64 s[2:3], s11, v26
	v_cndmask_b32_e32 v27, v28, v27, vcc
	v_mul_f32_e32 v28, 0x4f800000, v27
	v_cmp_gt_f32_e32 vcc, s14, v27
	v_cndmask_b32_e64 v23, v23, v26, s[2:3]
	s_nop 0
	v_cndmask_b32_e32 v27, v27, v28, vcc
	v_sqrt_f32_e32 v28, v27
	s_nop 0
	v_add_u32_e32 v26, -1, v28
	v_fma_f32 v29, -v26, v28, v27
	v_cmp_ge_f32_e64 s[2:3], 0, v29
	v_add_u32_e32 v29, 1, v28
	s_nop 0
	v_cndmask_b32_e64 v26, v28, v26, s[2:3]
	v_fma_f32 v28, -v29, v28, v27
	v_cmp_lt_f32_e64 s[2:3], 0, v28
	s_nop 1
	v_cndmask_b32_e64 v26, v26, v29, s[2:3]
	v_mul_f32_e32 v29, 0x4f800000, v23
	v_cmp_gt_f32_e64 s[2:3], s14, v23
	v_mul_f32_e32 v28, 0x37800000, v26
	v_cndmask_b32_e32 v26, v26, v28, vcc
	v_cndmask_b32_e64 v23, v23, v29, s[2:3]
	v_sqrt_f32_e32 v29, v23
	v_cmp_class_f32_e32 vcc, v27, v15
	v_add_u32_e32 v30, 1, v29
	s_nop 0
	v_cndmask_b32_e32 v27, v26, v27, vcc
	v_add_u32_e32 v26, -1, v29
	v_fma_f32 v28, -v26, v29, v23
	v_cmp_ge_f32_e32 vcc, 0, v28
	v_fma_f32 v31, -v30, v29, v23
	s_waitcnt vmcnt(2)
	v_mul_f32_e32 v28, 0x3fb8aa3b, v8
	v_cndmask_b32_e32 v26, v29, v26, vcc
	v_mul_f32_e32 v29, 0x3fb8aa3b, v9
	v_exp_f32_e32 v28, v28
	v_exp_f32_e32 v29, v29
	v_cmp_lt_f32_e32 vcc, 0, v31
	v_pk_add_f32 v[28:29], v[28:29], 1.0 op_sel_hi:[1,0]
	s_nop 0
	v_cndmask_b32_e32 v26, v26, v30, vcc
	v_mul_f32_e32 v30, 0x37800000, v26
	v_cmp_gt_f32_e32 vcc, s17, v29
	v_cndmask_b32_e64 v26, v26, v30, s[2:3]
	v_cmp_class_f32_e64 s[2:3], v23, v15
	v_cndmask_b32_e32 v30, 1.0, v21, vcc
	v_mul_f32_e32 v29, v29, v30
	v_log_f32_e32 v29, v29
	v_cndmask_b32_e64 v26, v26, v23, s[2:3]
	v_cmp_gt_f32_e64 s[2:3], s17, v28
	scratch_store_dwordx4 off, v[24:27], off
	v_mul_f32_e32 v23, 0x3f317217, v29
	v_fma_f32 v23, v29, s15, -v23
	v_cndmask_b32_e64 v24, 1.0, v21, s[2:3]
	v_mul_f32_e32 v24, v28, v24
	v_log_f32_e32 v24, v24
	v_fmac_f32_e32 v23, 0x3377d1cf, v29
	v_fmac_f32_e32 v23, 0x3f317217, v29
	v_cmp_lt_f32_e64 s[4:5], |v29|, s16
	v_cndmask_b32_e32 v25, 0, v22, vcc
	v_cmp_lt_f32_e64 vcc, |v24|, s16
	v_cndmask_b32_e64 v23, v29, v23, s[4:5]
	v_sub_f32_e32 v23, v23, v25
	v_mul_f32_e32 v25, 0x3f317217, v24
	v_fma_f32 v25, v24, s15, -v25
	v_fmac_f32_e32 v25, 0x3377d1cf, v24
	v_fmac_f32_e32 v25, 0x3f317217, v24
	v_cndmask_b32_e32 v24, v24, v25, vcc
	v_cmp_lt_f32_e32 vcc, s11, v9
	v_cndmask_b32_e64 v25, 0, v22, s[2:3]
	v_sub_f32_e32 v24, v24, v25
	v_cndmask_b32_e32 v9, v23, v9, vcc
	v_mul_f32_e32 v23, 0x4f800000, v9
	v_cmp_gt_f32_e32 vcc, s14, v9
	v_cmp_lt_f32_e64 s[2:3], s11, v8
	s_nop 0
	v_cndmask_b32_e32 v9, v9, v23, vcc
	v_sqrt_f32_e32 v23, v9
	v_cndmask_b32_e64 v8, v24, v8, s[2:3]
	v_add_u32_e32 v24, -1, v23
	v_fma_f32 v25, -v24, v23, v9
	v_cmp_ge_f32_e64 s[2:3], 0, v25
	v_add_u32_e32 v25, 1, v23
	s_nop 0
	v_cndmask_b32_e64 v24, v23, v24, s[2:3]
	v_fma_f32 v23, -v25, v23, v9
	v_cmp_lt_f32_e64 s[2:3], 0, v23
	s_nop 1
	v_cndmask_b32_e64 v23, v24, v25, s[2:3]
	v_mul_f32_e32 v25, 0x4f800000, v8
	v_cmp_gt_f32_e64 s[2:3], s14, v8
	v_mul_f32_e32 v24, 0x37800000, v23
	v_cndmask_b32_e32 v23, v23, v24, vcc
	v_cndmask_b32_e64 v8, v8, v25, s[2:3]
	v_sqrt_f32_e32 v25, v8
	v_cmp_class_f32_e32 vcc, v9, v15
	v_add_u32_e32 v26, 1, v25
	s_nop 0
	v_cndmask_b32_e32 v9, v23, v9, vcc
	v_add_u32_e32 v23, -1, v25
	v_fma_f32 v24, -v23, v25, v8
	v_cmp_ge_f32_e32 vcc, 0, v24
	v_fma_f32 v27, -v26, v25, v8
	v_mul_f32_e32 v24, 0x3fb8aa3b, v10
	v_cndmask_b32_e32 v23, v25, v23, vcc
	v_mul_f32_e32 v25, 0x3fb8aa3b, v11
	v_exp_f32_e32 v24, v24
	v_exp_f32_e32 v25, v25
	v_cmp_lt_f32_e32 vcc, 0, v27
	v_pk_add_f32 v[24:25], v[24:25], 1.0 op_sel_hi:[1,0]
	s_nop 0
	v_cndmask_b32_e32 v23, v23, v26, vcc
	v_cmp_gt_f32_e32 vcc, s17, v25
	v_mul_f32_e32 v26, 0x37800000, v23
	v_cndmask_b32_e64 v23, v23, v26, s[2:3]
	v_cndmask_b32_e32 v27, 1.0, v21, vcc
	v_mul_f32_e32 v25, v25, v27
	v_log_f32_e32 v25, v25
	v_cmp_class_f32_e64 s[2:3], v8, v15
	v_cmp_lt_f32_e64 s[4:5], |v25|, s16
	s_nop 0
	v_cndmask_b32_e64 v8, v23, v8, s[2:3]
	v_cmp_gt_f32_e64 s[2:3], s17, v24
	v_mul_f32_e32 v23, 0x3f317217, v25
	v_fma_f32 v23, v25, s15, -v23
	v_cndmask_b32_e64 v26, 1.0, v21, s[2:3]
	v_mul_f32_e32 v24, v24, v26
	v_log_f32_e32 v24, v24
	v_fmac_f32_e32 v23, 0x3377d1cf, v25
	v_fmac_f32_e32 v23, 0x3f317217, v25
	v_cndmask_b32_e64 v23, v25, v23, s[4:5]
	v_cndmask_b32_e32 v25, 0, v22, vcc
	v_sub_f32_e32 v23, v23, v25
	v_mul_f32_e32 v25, 0x3f317217, v24
	v_fma_f32 v25, v24, s15, -v25
	v_fmac_f32_e32 v25, 0x3377d1cf, v24
	v_fmac_f32_e32 v25, 0x3f317217, v24
	v_cmp_lt_f32_e64 vcc, |v24|, s16
	s_nop 1
	v_cndmask_b32_e32 v24, v24, v25, vcc
	v_cmp_lt_f32_e32 vcc, s11, v11
	v_cndmask_b32_e64 v25, 0, v22, s[2:3]
	v_sub_f32_e32 v24, v24, v25
	v_cndmask_b32_e32 v11, v23, v11, vcc
	v_mul_f32_e32 v23, 0x4f800000, v11
	v_cmp_gt_f32_e32 vcc, s14, v11
	v_cmp_lt_f32_e64 s[2:3], s11, v10
	s_nop 0
	v_cndmask_b32_e32 v11, v11, v23, vcc
	v_sqrt_f32_e32 v23, v11
	v_cndmask_b32_e64 v10, v24, v10, s[2:3]
	v_add_u32_e32 v24, -1, v23
	v_fma_f32 v25, -v24, v23, v11
	v_cmp_ge_f32_e64 s[2:3], 0, v25
	v_add_u32_e32 v25, 1, v23
	s_nop 0
	v_cndmask_b32_e64 v24, v23, v24, s[2:3]
	v_fma_f32 v23, -v25, v23, v11
	v_cmp_lt_f32_e64 s[2:3], 0, v23
	s_nop 1
	v_cndmask_b32_e64 v23, v24, v25, s[2:3]
	v_mul_f32_e32 v25, 0x4f800000, v10
	v_cmp_gt_f32_e64 s[2:3], s14, v10
	v_mul_f32_e32 v24, 0x37800000, v23
	v_cndmask_b32_e32 v23, v23, v24, vcc
	v_cndmask_b32_e64 v10, v10, v25, s[2:3]
	v_sqrt_f32_e32 v25, v10
	v_cmp_class_f32_e32 vcc, v11, v15
	v_add_u32_e32 v26, 1, v25
	s_nop 0
	v_cndmask_b32_e32 v11, v23, v11, vcc
	v_add_u32_e32 v23, -1, v25
	v_fma_f32 v24, -v23, v25, v10
	v_cmp_ge_f32_e32 vcc, 0, v24
	v_fma_f32 v27, -v26, v25, v10
	s_waitcnt vmcnt(2)
	v_mul_f32_e32 v24, 0x3fb8aa3b, v4
	v_cndmask_b32_e32 v23, v25, v23, vcc
	v_mul_f32_e32 v25, 0x3fb8aa3b, v5
	v_exp_f32_e32 v24, v24
	v_exp_f32_e32 v25, v25
	v_cmp_lt_f32_e32 vcc, 0, v27
	v_pk_add_f32 v[24:25], v[24:25], 1.0 op_sel_hi:[1,0]
	s_nop 0
	v_cndmask_b32_e32 v23, v23, v26, vcc
	v_mul_f32_e32 v26, 0x37800000, v23
	v_cmp_gt_f32_e32 vcc, s17, v25
	v_cndmask_b32_e64 v23, v23, v26, s[2:3]
	v_cmp_class_f32_e64 s[2:3], v10, v15
	v_cndmask_b32_e32 v26, 1.0, v21, vcc
	v_mul_f32_e32 v25, v25, v26
	v_log_f32_e32 v25, v25
	v_cndmask_b32_e64 v10, v23, v10, s[2:3]
	v_cmp_gt_f32_e64 s[2:3], s17, v24
	scratch_store_dwordx4 off, v[8:11], off offset:16
	v_cmp_lt_f32_e64 s[4:5], |v25|, s16
	s_nop 0
	v_cndmask_b32_e64 v9, 1.0, v21, s[2:3]
	v_mul_f32_e32 v8, 0x3f317217, v25
	v_mul_f32_e32 v9, v24, v9
	v_fma_f32 v8, v25, s15, -v8
	v_log_f32_e32 v9, v9
	v_fmac_f32_e32 v8, 0x3377d1cf, v25
	v_fmac_f32_e32 v8, 0x3f317217, v25
	v_cndmask_b32_e64 v8, v25, v8, s[4:5]
	v_cndmask_b32_e32 v10, 0, v22, vcc
	v_sub_f32_e32 v8, v8, v10
	v_mul_f32_e32 v10, 0x3f317217, v9
	v_fma_f32 v10, v9, s15, -v10
	v_fmac_f32_e32 v10, 0x3377d1cf, v9
	v_fmac_f32_e32 v10, 0x3f317217, v9
	v_cmp_lt_f32_e64 vcc, |v9|, s16
	s_nop 1
	v_cndmask_b32_e32 v9, v9, v10, vcc
	v_cmp_lt_f32_e32 vcc, s11, v5
	v_cndmask_b32_e64 v10, 0, v22, s[2:3]
	v_sub_f32_e32 v9, v9, v10
	v_cndmask_b32_e32 v5, v8, v5, vcc
	v_mul_f32_e32 v8, 0x4f800000, v5
	v_cmp_gt_f32_e32 vcc, s14, v5
	v_cmp_lt_f32_e64 s[2:3], s11, v4
	s_nop 0
	v_cndmask_b32_e32 v5, v5, v8, vcc
	v_sqrt_f32_e32 v8, v5
	v_cndmask_b32_e64 v4, v9, v4, s[2:3]
	v_add_u32_e32 v9, -1, v8
	v_fma_f32 v10, -v9, v8, v5
	v_cmp_ge_f32_e64 s[2:3], 0, v10
	v_add_u32_e32 v10, 1, v8
	s_nop 0
	v_cndmask_b32_e64 v9, v8, v9, s[2:3]
	v_fma_f32 v8, -v10, v8, v5
	v_cmp_lt_f32_e64 s[2:3], 0, v8
	s_nop 1
	v_cndmask_b32_e64 v8, v9, v10, s[2:3]
	v_mul_f32_e32 v10, 0x4f800000, v4
	v_cmp_gt_f32_e64 s[2:3], s14, v4
	v_mul_f32_e32 v9, 0x37800000, v8
	v_cndmask_b32_e32 v8, v8, v9, vcc
	v_cndmask_b32_e64 v4, v4, v10, s[2:3]
	v_sqrt_f32_e32 v10, v4
	v_cmp_class_f32_e32 vcc, v5, v15
	v_add_u32_e32 v23, 1, v10
	s_nop 0
	v_cndmask_b32_e32 v5, v8, v5, vcc
	v_add_u32_e32 v8, -1, v10
	v_fma_f32 v9, -v8, v10, v4
	v_cmp_ge_f32_e32 vcc, 0, v9
	v_mul_f32_e32 v9, 0x3fb8aa3b, v7
	v_exp_f32_e32 v9, v9
	v_cndmask_b32_e32 v11, v10, v8, vcc
	v_mul_f32_e32 v8, 0x3fb8aa3b, v6
	v_exp_f32_e32 v8, v8
	v_fma_f32 v10, -v23, v10, v4
	v_cmp_lt_f32_e32 vcc, 0, v10
	v_pk_add_f32 v[8:9], v[8:9], 1.0 op_sel_hi:[1,0]
	s_nop 0
	v_cndmask_b32_e32 v10, v11, v23, vcc
	v_cmp_gt_f32_e32 vcc, s17, v9
	v_mul_f32_e32 v11, 0x37800000, v10
	v_cndmask_b32_e64 v10, v10, v11, s[2:3]
	v_cndmask_b32_e32 v23, 1.0, v21, vcc
	v_mul_f32_e32 v9, v9, v23
	v_log_f32_e32 v9, v9
	v_cmp_class_f32_e64 s[2:3], v4, v15
	v_cmp_lt_f32_e64 s[4:5], |v9|, s16
	s_nop 0
	v_cndmask_b32_e64 v4, v10, v4, s[2:3]
	v_cmp_gt_f32_e64 s[2:3], s17, v8
	v_mul_f32_e32 v10, 0x3f317217, v9
	v_fma_f32 v10, v9, s15, -v10
	v_cndmask_b32_e64 v11, 1.0, v21, s[2:3]
	v_mul_f32_e32 v8, v8, v11
	v_log_f32_e32 v8, v8
	v_fmac_f32_e32 v10, 0x3377d1cf, v9
	v_fmac_f32_e32 v10, 0x3f317217, v9
	v_cndmask_b32_e64 v9, v9, v10, s[4:5]
	v_cndmask_b32_e32 v10, 0, v22, vcc
	v_sub_f32_e32 v9, v9, v10
	v_mul_f32_e32 v10, 0x3f317217, v8
	v_fma_f32 v10, v8, s15, -v10
	v_fmac_f32_e32 v10, 0x3377d1cf, v8
	v_fmac_f32_e32 v10, 0x3f317217, v8
	v_cmp_lt_f32_e64 vcc, |v8|, s16
	s_nop 1
	v_cndmask_b32_e32 v8, v8, v10, vcc
	v_cmp_lt_f32_e32 vcc, s11, v7
	v_cndmask_b32_e64 v10, 0, v22, s[2:3]
	v_sub_f32_e32 v8, v8, v10
	v_cndmask_b32_e32 v7, v9, v7, vcc
	v_mul_f32_e32 v9, 0x4f800000, v7
	v_cmp_gt_f32_e32 vcc, s14, v7
	v_cmp_lt_f32_e64 s[2:3], s11, v6
	s_nop 0
	v_cndmask_b32_e32 v7, v7, v9, vcc
	v_sqrt_f32_e32 v9, v7
	v_cndmask_b32_e64 v6, v8, v6, s[2:3]
	v_add_u32_e32 v8, -1, v9
	v_fma_f32 v10, -v8, v9, v7
	v_cmp_ge_f32_e64 s[2:3], 0, v10
	v_add_u32_e32 v10, 1, v9
	s_nop 0
	v_cndmask_b32_e64 v8, v9, v8, s[2:3]
	v_fma_f32 v9, -v10, v9, v7
	v_cmp_lt_f32_e64 s[2:3], 0, v9
	s_nop 1
	v_cndmask_b32_e64 v8, v8, v10, s[2:3]
	v_mul_f32_e32 v10, 0x4f800000, v6
	v_cmp_gt_f32_e64 s[2:3], s14, v6
	v_mul_f32_e32 v9, 0x37800000, v8
	v_cndmask_b32_e32 v8, v8, v9, vcc
	v_cndmask_b32_e64 v6, v6, v10, s[2:3]
	v_sqrt_f32_e32 v10, v6
	v_cmp_class_f32_e32 vcc, v7, v15
	v_add_u32_e32 v23, 1, v10
	s_nop 0
	v_cndmask_b32_e32 v7, v8, v7, vcc
	v_add_u32_e32 v8, -1, v10
	v_fma_f32 v9, -v8, v10, v6
	v_cmp_ge_f32_e32 vcc, 0, v9
	s_waitcnt vmcnt(2)
	v_mul_f32_e32 v9, 0x3fb8aa3b, v1
	v_exp_f32_e32 v9, v9
	v_cndmask_b32_e32 v11, v10, v8, vcc
	v_mul_f32_e32 v8, 0x3fb8aa3b, v0
	v_exp_f32_e32 v8, v8
	v_fma_f32 v10, -v23, v10, v6
	v_cmp_lt_f32_e32 vcc, 0, v10
	v_pk_add_f32 v[8:9], v[8:9], 1.0 op_sel_hi:[1,0]
	s_nop 0
	v_cndmask_b32_e32 v10, v11, v23, vcc
	v_mul_f32_e32 v11, 0x37800000, v10
	v_cmp_gt_f32_e32 vcc, s17, v9
	v_cndmask_b32_e64 v10, v10, v11, s[2:3]
	v_cmp_class_f32_e64 s[2:3], v6, v15
	v_cndmask_b32_e32 v11, 1.0, v21, vcc
	v_mul_f32_e32 v9, v9, v11
	v_log_f32_e32 v9, v9
	v_cndmask_b32_e64 v6, v10, v6, s[2:3]
	v_cmp_gt_f32_e64 s[2:3], s17, v8
	scratch_store_dwordx4 off, v[4:7], off offset:32
	v_cmp_lt_f32_e64 s[4:5], |v9|, s16
	s_nop 0
	v_cndmask_b32_e64 v5, 1.0, v21, s[2:3]
	v_mul_f32_e32 v4, 0x3f317217, v9
	v_mul_f32_e32 v5, v8, v5
	v_fma_f32 v4, v9, s15, -v4
	v_log_f32_e32 v5, v5
	v_fmac_f32_e32 v4, 0x3377d1cf, v9
	v_fmac_f32_e32 v4, 0x3f317217, v9
	v_cndmask_b32_e64 v4, v9, v4, s[4:5]
	v_cndmask_b32_e32 v6, 0, v22, vcc
	v_sub_f32_e32 v4, v4, v6
	v_mul_f32_e32 v6, 0x3f317217, v5
	v_fma_f32 v6, v5, s15, -v6
	v_fmac_f32_e32 v6, 0x3377d1cf, v5
	v_fmac_f32_e32 v6, 0x3f317217, v5
	v_cmp_lt_f32_e64 vcc, |v5|, s16
	s_nop 1
	v_cndmask_b32_e32 v5, v5, v6, vcc
	v_cmp_lt_f32_e32 vcc, s11, v1
	v_cndmask_b32_e64 v6, 0, v22, s[2:3]
	v_sub_f32_e32 v5, v5, v6
	v_cndmask_b32_e32 v1, v4, v1, vcc
	v_mul_f32_e32 v4, 0x4f800000, v1
	v_cmp_gt_f32_e32 vcc, s14, v1
	v_cmp_lt_f32_e64 s[2:3], s11, v0
	s_nop 0
	v_cndmask_b32_e32 v1, v1, v4, vcc
	v_sqrt_f32_e32 v4, v1
	v_cndmask_b32_e64 v0, v5, v0, s[2:3]
	v_add_u32_e32 v5, -1, v4
	v_fma_f32 v6, -v5, v4, v1
	v_cmp_ge_f32_e64 s[2:3], 0, v6
	v_add_u32_e32 v6, 1, v4
	s_nop 0
	v_cndmask_b32_e64 v5, v4, v5, s[2:3]
	v_fma_f32 v4, -v6, v4, v1
	v_cmp_lt_f32_e64 s[2:3], 0, v4
	s_nop 1
	v_cndmask_b32_e64 v4, v5, v6, s[2:3]
	v_mul_f32_e32 v6, 0x4f800000, v0
	v_cmp_gt_f32_e64 s[2:3], s14, v0
	v_mul_f32_e32 v5, 0x37800000, v4
	v_cndmask_b32_e32 v4, v4, v5, vcc
	v_cndmask_b32_e64 v0, v0, v6, s[2:3]
	v_sqrt_f32_e32 v6, v0
	v_cmp_class_f32_e32 vcc, v1, v15
	v_add_u32_e32 v8, 1, v6
	s_nop 0
	v_cndmask_b32_e32 v1, v4, v1, vcc
	v_add_u32_e32 v4, -1, v6
	v_fma_f32 v5, -v4, v6, v0
	v_cmp_ge_f32_e32 vcc, 0, v5
	v_mul_f32_e32 v5, 0x3fb8aa3b, v3
	v_exp_f32_e32 v5, v5
	v_cndmask_b32_e32 v7, v6, v4, vcc
	v_mul_f32_e32 v4, 0x3fb8aa3b, v2
	v_exp_f32_e32 v4, v4
	v_fma_f32 v6, -v8, v6, v0
	v_cmp_lt_f32_e32 vcc, 0, v6
	v_pk_add_f32 v[4:5], v[4:5], 1.0 op_sel_hi:[1,0]
	s_nop 0
	v_cndmask_b32_e32 v6, v7, v8, vcc
	v_cmp_gt_f32_e32 vcc, s17, v5
	v_mul_f32_e32 v7, 0x37800000, v6
	v_cndmask_b32_e64 v6, v6, v7, s[2:3]
	v_cndmask_b32_e32 v8, 1.0, v21, vcc
	v_mul_f32_e32 v5, v5, v8
	v_log_f32_e32 v5, v5
	v_cmp_class_f32_e64 s[2:3], v0, v15
	v_cmp_lt_f32_e64 s[4:5], |v5|, s16
	s_nop 0
	v_cndmask_b32_e64 v0, v6, v0, s[2:3]
	v_cmp_gt_f32_e64 s[2:3], s17, v4
	v_mul_f32_e32 v6, 0x3f317217, v5
	v_fma_f32 v6, v5, s15, -v6
	v_cndmask_b32_e64 v7, 1.0, v21, s[2:3]
	v_mul_f32_e32 v4, v4, v7
	v_log_f32_e32 v4, v4
	v_fmac_f32_e32 v6, 0x3377d1cf, v5
	v_fmac_f32_e32 v6, 0x3f317217, v5
	v_cndmask_b32_e64 v5, v5, v6, s[4:5]
	v_cndmask_b32_e32 v6, 0, v22, vcc
	v_sub_f32_e32 v5, v5, v6
	v_mul_f32_e32 v6, 0x3f317217, v4
	v_fma_f32 v6, v4, s15, -v6
	v_fmac_f32_e32 v6, 0x3377d1cf, v4
	v_fmac_f32_e32 v6, 0x3f317217, v4
	v_cmp_lt_f32_e64 vcc, |v4|, s16
	s_nop 1
	v_cndmask_b32_e32 v4, v4, v6, vcc
	v_cmp_lt_f32_e32 vcc, s11, v3
	v_cndmask_b32_e64 v6, 0, v22, s[2:3]
	v_sub_f32_e32 v4, v4, v6
	v_cndmask_b32_e32 v3, v5, v3, vcc
	v_mul_f32_e32 v5, 0x4f800000, v3
	v_cmp_gt_f32_e32 vcc, s14, v3
	v_cmp_lt_f32_e64 s[2:3], s11, v2
	s_nop 0
	v_cndmask_b32_e32 v3, v3, v5, vcc
	v_sqrt_f32_e32 v5, v3
	v_cndmask_b32_e64 v2, v4, v2, s[2:3]
	v_add_u32_e32 v4, -1, v5
	v_fma_f32 v6, -v4, v5, v3
	v_cmp_ge_f32_e64 s[2:3], 0, v6
	v_add_u32_e32 v6, 1, v5
	s_nop 0
	v_cndmask_b32_e64 v4, v5, v4, s[2:3]
	v_fma_f32 v5, -v6, v5, v3
	v_cmp_lt_f32_e64 s[2:3], 0, v5
	s_nop 1
	v_cndmask_b32_e64 v4, v4, v6, s[2:3]
	v_mul_f32_e32 v6, 0x4f800000, v2
	v_cmp_gt_f32_e64 s[2:3], s14, v2
	v_mul_f32_e32 v5, 0x37800000, v4
	v_cndmask_b32_e32 v4, v4, v5, vcc
	v_cndmask_b32_e64 v2, v2, v6, s[2:3]
	v_sqrt_f32_e32 v6, v2
	v_cmp_class_f32_e32 vcc, v3, v15
	s_nop 1
	v_cndmask_b32_e32 v3, v4, v3, vcc
	v_add_u32_e32 v4, -1, v6
	v_fma_f32 v5, -v4, v6, v2
	v_cmp_ge_f32_e32 vcc, 0, v5
	v_add_u32_e32 v5, 1, v6
	s_nop 0
	v_cndmask_b32_e32 v4, v6, v4, vcc
	v_fma_f32 v6, -v5, v6, v2
	v_cmp_lt_f32_e32 vcc, 0, v6
	s_nop 1
	v_cndmask_b32_e32 v4, v4, v5, vcc
	v_mul_f32_e32 v5, 0x37800000, v4
	v_cndmask_b32_e64 v4, v4, v5, s[2:3]
	v_cmp_class_f32_e32 vcc, v2, v15
	s_nop 1
	v_cndmask_b32_e32 v2, v4, v2, vcc
	scratch_store_dwordx4 off, v[0:3], off offset:48
	s_and_b64 vcc, exec, s[12:13]
	s_nop 0
	v_lshl_add_u64 v[0:1], v[18:19], 3, v[16:17]
	v_mul_lo_u32 v2, v14, s28
	s_cbranch_vccnz .LBB158_28
; %bb.2:
	s_load_dwordx2 s[4:5], s[0:1], 0x20
	s_cmp_lt_u32 s28, 4
	v_mul_lo_u32 v4, v14, s28
	s_cbranch_scc1 .LBB158_21
; %bb.3:
	s_mov_b32 s7, 0
	s_and_b32 s10, s28, 0x7ffffffc
	v_ashrrev_i32_e32 v5, 31, v4
	v_mov_b32_e32 v13, 0
	s_mov_b32 s6, s7
	s_branch .LBB158_5
.LBB158_4:                              ;   in Loop: Header=BB158_5 Depth=1
	s_or_b64 exec, exec, s[12:13]
	s_add_i32 s6, s6, 4
	s_cmp_eq_u32 s6, s10
	s_cbranch_scc1 .LBB158_21
.LBB158_5:                              ; =>This Loop Header: Depth=1
                                        ;     Child Loop BB158_7 Depth 2
                                        ;     Child Loop BB158_11 Depth 2
	;; [unrolled: 1-line block ×4, first 2 shown]
	v_lshl_add_u64 v[6:7], s[6:7], 3, v[0:1]
	global_load_dwordx2 v[8:9], v[6:7], off
	v_add_u32_e32 v10, s6, v4
	v_ashrrev_i32_e32 v11, 31, v10
	v_mov_b32_e32 v3, 0
	s_mov_b64 s[12:13], 0
	s_mov_b32 s11, 0
	s_waitcnt lgkmcnt(0)
	v_lshl_add_u64 v[10:11], v[10:11], 3, s[4:5]
	s_mov_b32 s16, 0
	s_waitcnt vmcnt(0)
	v_ashrrev_i32_e32 v9, 31, v8
	s_branch .LBB158_7
.LBB158_6:                              ;   in Loop: Header=BB158_7 Depth=2
	s_or_b64 exec, exec, s[14:15]
	s_add_i32 s17, s16, 1
	s_cmp_gt_u32 s16, 14
	s_cselect_b64 s[2:3], -1, 0
	s_xor_b64 s[14:15], vcc, -1
	s_or_b64 s[2:3], s[14:15], s[2:3]
	s_add_i32 s11, s11, 32
	s_and_b64 s[2:3], exec, s[2:3]
	v_add_u32_e32 v3, 4, v3
	s_or_b64 s[12:13], s[2:3], s[12:13]
	s_mov_b32 s16, s17
	s_andn2_b64 exec, exec, s[12:13]
	s_cbranch_execz .LBB158_9
.LBB158_7:                              ;   Parent Loop BB158_5 Depth=1
                                        ; =>  This Inner Loop Header: Depth=2
	s_and_b32 s2, s16, 3
	s_and_b32 s3, s11, 0x180
	s_or_b32 s2, s2, s3
	v_or_b32_e32 v14, s2, v20
	v_cmp_ne_u32_e32 vcc, v14, v8
	v_cmp_eq_u32_e64 s[2:3], v14, v8
	s_and_saveexec_b64 s[14:15], s[2:3]
	s_cbranch_execz .LBB158_6
; %bb.8:                                ;   in Loop: Header=BB158_7 Depth=2
	scratch_load_dword v14, v3, off
	s_waitcnt vmcnt(0)
	v_add_f32_e32 v13, v13, v14
	global_store_dwordx2 v[10:11], v[8:9], off
	s_branch .LBB158_6
.LBB158_9:                              ;   in Loop: Header=BB158_5 Depth=1
	s_or_b64 exec, exec, s[12:13]
	global_load_dwordx2 v[10:11], v[6:7], off offset:8
	s_ashr_i32 s3, s6, 31
	s_mov_b32 s2, s6
	v_lshl_add_u64 v[8:9], s[2:3], 0, v[4:5]
	v_mov_b32_e32 v3, 0
	s_mov_b32 s11, 0
	s_mov_b64 s[12:13], 0
	v_lshl_add_u64 v[8:9], v[8:9], 3, s[4:5]
	s_mov_b32 s16, 0
	s_waitcnt vmcnt(0)
	v_ashrrev_i32_e32 v11, 31, v10
	s_branch .LBB158_11
.LBB158_10:                             ;   in Loop: Header=BB158_11 Depth=2
	s_or_b64 exec, exec, s[14:15]
	s_add_i32 s17, s16, 1
	s_cmp_gt_u32 s16, 14
	s_cselect_b64 s[2:3], -1, 0
	s_xor_b64 s[14:15], vcc, -1
	s_or_b64 s[2:3], s[14:15], s[2:3]
	s_add_i32 s11, s11, 32
	s_and_b64 s[2:3], exec, s[2:3]
	v_add_u32_e32 v3, 4, v3
	s_or_b64 s[12:13], s[2:3], s[12:13]
	s_mov_b32 s16, s17
	s_andn2_b64 exec, exec, s[12:13]
	s_cbranch_execz .LBB158_13
.LBB158_11:                             ;   Parent Loop BB158_5 Depth=1
                                        ; =>  This Inner Loop Header: Depth=2
	s_and_b32 s2, s16, 3
	s_and_b32 s3, s11, 0x180
	s_or_b32 s2, s2, s3
	v_or_b32_e32 v14, s2, v20
	v_cmp_ne_u32_e32 vcc, v14, v10
	v_cmp_eq_u32_e64 s[2:3], v14, v10
	s_and_saveexec_b64 s[14:15], s[2:3]
	s_cbranch_execz .LBB158_10
; %bb.12:                               ;   in Loop: Header=BB158_11 Depth=2
	scratch_load_dword v14, v3, off
	s_waitcnt vmcnt(0)
	v_add_f32_e32 v13, v13, v14
	global_store_dwordx2 v[8:9], v[10:11], off offset:8
	s_branch .LBB158_10
.LBB158_13:                             ;   in Loop: Header=BB158_5 Depth=1
	s_or_b64 exec, exec, s[12:13]
	global_load_dwordx2 v[10:11], v[6:7], off offset:16
	v_mov_b32_e32 v3, 0
	s_mov_b32 s11, 0
	s_mov_b64 s[12:13], 0
	s_mov_b32 s16, 0
	s_waitcnt vmcnt(0)
	v_ashrrev_i32_e32 v11, 31, v10
	s_branch .LBB158_15
.LBB158_14:                             ;   in Loop: Header=BB158_15 Depth=2
	s_or_b64 exec, exec, s[14:15]
	s_add_i32 s17, s16, 1
	s_cmp_gt_u32 s16, 14
	s_cselect_b64 s[2:3], -1, 0
	s_xor_b64 s[14:15], vcc, -1
	s_or_b64 s[2:3], s[14:15], s[2:3]
	s_add_i32 s11, s11, 32
	s_and_b64 s[2:3], exec, s[2:3]
	v_add_u32_e32 v3, 4, v3
	s_or_b64 s[12:13], s[2:3], s[12:13]
	s_mov_b32 s16, s17
	s_andn2_b64 exec, exec, s[12:13]
	s_cbranch_execz .LBB158_17
.LBB158_15:                             ;   Parent Loop BB158_5 Depth=1
                                        ; =>  This Inner Loop Header: Depth=2
	s_and_b32 s2, s16, 3
	s_and_b32 s3, s11, 0x180
	s_or_b32 s2, s2, s3
	v_or_b32_e32 v14, s2, v20
	v_cmp_ne_u32_e32 vcc, v14, v10
	v_cmp_eq_u32_e64 s[2:3], v14, v10
	s_and_saveexec_b64 s[14:15], s[2:3]
	s_cbranch_execz .LBB158_14
; %bb.16:                               ;   in Loop: Header=BB158_15 Depth=2
	scratch_load_dword v14, v3, off
	s_waitcnt vmcnt(0)
	v_add_f32_e32 v13, v13, v14
	global_store_dwordx2 v[8:9], v[10:11], off offset:16
	s_branch .LBB158_14
.LBB158_17:                             ;   in Loop: Header=BB158_5 Depth=1
	s_or_b64 exec, exec, s[12:13]
	global_load_dwordx2 v[6:7], v[6:7], off offset:24
	v_mov_b32_e32 v3, 0
	s_mov_b32 s11, 0
	s_mov_b64 s[12:13], 0
	s_mov_b32 s16, 0
	s_waitcnt vmcnt(0)
	v_ashrrev_i32_e32 v7, 31, v6
	s_branch .LBB158_19
.LBB158_18:                             ;   in Loop: Header=BB158_19 Depth=2
	s_or_b64 exec, exec, s[14:15]
	s_add_i32 s17, s16, 1
	s_cmp_gt_u32 s16, 14
	s_cselect_b64 s[2:3], -1, 0
	s_xor_b64 s[14:15], vcc, -1
	s_or_b64 s[2:3], s[14:15], s[2:3]
	s_add_i32 s11, s11, 32
	s_and_b64 s[2:3], exec, s[2:3]
	v_add_u32_e32 v3, 4, v3
	s_or_b64 s[12:13], s[2:3], s[12:13]
	s_mov_b32 s16, s17
	s_andn2_b64 exec, exec, s[12:13]
	s_cbranch_execz .LBB158_4
.LBB158_19:                             ;   Parent Loop BB158_5 Depth=1
                                        ; =>  This Inner Loop Header: Depth=2
	s_and_b32 s2, s16, 3
	s_and_b32 s3, s11, 0x180
	s_or_b32 s2, s2, s3
	v_or_b32_e32 v10, s2, v20
	v_cmp_ne_u32_e32 vcc, v10, v6
	v_cmp_eq_u32_e64 s[2:3], v10, v6
	s_and_saveexec_b64 s[14:15], s[2:3]
	s_cbranch_execz .LBB158_18
; %bb.20:                               ;   in Loop: Header=BB158_19 Depth=2
	scratch_load_dword v10, v3, off
	s_waitcnt vmcnt(0)
	v_add_f32_e32 v13, v13, v10
	global_store_dwordx2 v[8:9], v[6:7], off offset:24
	s_branch .LBB158_18
.LBB158_21:
	s_and_b32 s14, s28, 3
	s_cmp_eq_u32 s14, 0
	s_mov_b32 s11, 0
	s_cbranch_scc1 .LBB158_28
; %bb.22:
	s_mov_b32 s15, s11
	s_branch .LBB158_24
.LBB158_23:                             ;   in Loop: Header=BB158_24 Depth=1
	s_or_b64 exec, exec, s[6:7]
	s_add_i32 s10, s10, 1
	s_add_i32 s15, s15, 1
	s_cmp_lg_u32 s15, s14
	s_cbranch_scc0 .LBB158_28
.LBB158_24:                             ; =>This Loop Header: Depth=1
                                        ;     Child Loop BB158_26 Depth 2
	v_lshl_add_u64 v[6:7], s[10:11], 3, v[0:1]
	global_load_dwordx2 v[6:7], v[6:7], off
	v_add_u32_e32 v8, s10, v4
	v_ashrrev_i32_e32 v9, 31, v8
	v_mov_b32_e32 v3, 0
	s_mov_b32 s16, 0
	s_mov_b64 s[6:7], 0
	s_waitcnt lgkmcnt(0)
	v_lshl_add_u64 v[8:9], v[8:9], 3, s[4:5]
	s_mov_b32 s17, 0
	s_waitcnt vmcnt(0)
	v_ashrrev_i32_e32 v7, 31, v6
	s_branch .LBB158_26
.LBB158_25:                             ;   in Loop: Header=BB158_26 Depth=2
	s_or_b64 exec, exec, s[12:13]
	s_add_i32 s18, s17, 1
	s_cmp_gt_u32 s17, 14
	s_cselect_b64 s[2:3], -1, 0
	s_xor_b64 s[12:13], vcc, -1
	s_or_b64 s[2:3], s[12:13], s[2:3]
	s_add_i32 s16, s16, 32
	s_and_b64 s[2:3], exec, s[2:3]
	v_add_u32_e32 v3, 4, v3
	s_or_b64 s[6:7], s[2:3], s[6:7]
	s_mov_b32 s17, s18
	s_andn2_b64 exec, exec, s[6:7]
	s_cbranch_execz .LBB158_23
.LBB158_26:                             ;   Parent Loop BB158_24 Depth=1
                                        ; =>  This Inner Loop Header: Depth=2
	s_and_b32 s2, s17, 3
	s_and_b32 s3, s16, 0x180
	s_or_b32 s2, s2, s3
	v_or_b32_e32 v5, s2, v20
	v_cmp_ne_u32_e32 vcc, v5, v6
	v_cmp_eq_u32_e64 s[2:3], v5, v6
	s_and_saveexec_b64 s[12:13], s[2:3]
	s_cbranch_execz .LBB158_25
; %bb.27:                               ;   in Loop: Header=BB158_26 Depth=2
	scratch_load_dword v5, v3, off
	s_waitcnt vmcnt(0)
	v_add_f32_e32 v13, v13, v5
	global_store_dwordx2 v[8:9], v[6:7], off
	s_branch .LBB158_25
.LBB158_28:
	s_waitcnt lgkmcnt(0)
	s_load_dword s4, s[0:1], 0x3c
	v_add_u32_e32 v4, 16, v12
	v_add_u32_e32 v5, 32, v12
	;; [unrolled: 1-line block ×3, first 2 shown]
	s_waitcnt lgkmcnt(0)
	s_bitcmp1_b32 s4, 0
	s_cselect_b64 s[2:3], -1, 0
	s_bitcmp0_b32 s4, 0
	s_cbranch_scc0 .LBB158_31
; %bb.29:
	s_load_dwordx2 s[4:5], s[0:1], 0x40
	s_andn2_b64 vcc, exec, s[2:3]
	s_waitcnt lgkmcnt(0)
	v_cvt_f32_f64_e32 v7, s[4:5]
	s_cbranch_vccz .LBB158_32
.LBB158_30:
	s_andn2_b64 vcc, exec, s[8:9]
	s_cbranch_vccz .LBB158_33
	s_branch .LBB158_67
.LBB158_31:
	v_mbcnt_lo_u32_b32 v3, -1, 0
	v_mbcnt_hi_u32_b32 v3, -1, v3
	v_and_b32_e32 v7, 0x60, v3
	v_add_u32_e32 v7, 32, v7
	v_xor_b32_e32 v8, 16, v3
	v_cmp_lt_i32_e32 vcc, v8, v7
	v_xor_b32_e32 v9, 8, v3
	v_xor_b32_e32 v10, 4, v3
	v_cndmask_b32_e32 v8, v3, v8, vcc
	v_lshlrev_b32_e32 v8, 2, v8
	ds_bpermute_b32 v8, v8, v13
	v_cmp_lt_i32_e32 vcc, v9, v7
	s_waitcnt lgkmcnt(0)
	v_add_f32_e32 v8, v13, v8
	v_cndmask_b32_e32 v9, v3, v9, vcc
	v_lshlrev_b32_e32 v9, 2, v9
	ds_bpermute_b32 v9, v9, v8
	v_cmp_lt_i32_e32 vcc, v10, v7
	s_waitcnt lgkmcnt(0)
	v_add_f32_e32 v8, v8, v9
	v_cndmask_b32_e32 v9, v3, v10, vcc
	v_lshlrev_b32_e32 v9, 2, v9
	ds_bpermute_b32 v9, v9, v8
	v_xor_b32_e32 v10, 2, v3
	v_cmp_lt_i32_e32 vcc, v10, v7
	s_waitcnt lgkmcnt(0)
	v_add_f32_e32 v8, v8, v9
	v_cndmask_b32_e32 v9, v3, v10, vcc
	v_lshlrev_b32_e32 v9, 2, v9
	ds_bpermute_b32 v9, v9, v8
	v_xor_b32_e32 v10, 1, v3
	v_cmp_lt_i32_e32 vcc, v10, v7
	s_waitcnt lgkmcnt(0)
	v_add_f32_e32 v8, v8, v9
	v_cndmask_b32_e32 v3, v3, v10, vcc
	v_lshlrev_b32_e32 v3, 2, v3
	ds_bpermute_b32 v3, v3, v8
	s_waitcnt lgkmcnt(0)
	v_add_f32_e32 v13, v8, v3
	s_load_dwordx2 s[4:5], s[0:1], 0x40
	s_andn2_b64 vcc, exec, s[2:3]
	s_waitcnt lgkmcnt(0)
	v_cvt_f32_f64_e32 v7, s[4:5]
	s_cbranch_vccnz .LBB158_30
.LBB158_32:
	v_cmp_lt_f32_e32 vcc, 0, v13
	s_nop 1
	v_cndmask_b32_e32 v3, 1.0, v13, vcc
	v_div_scale_f32 v8, s[2:3], v3, v3, v7
	v_rcp_f32_e32 v9, v8
	s_nop 0
	v_fma_f32 v10, -v8, v9, 1.0
	v_fmac_f32_e32 v9, v10, v9
	v_div_scale_f32 v10, vcc, v7, v3, v7
	v_mul_f32_e32 v11, v10, v9
	v_fma_f32 v12, -v8, v11, v10
	v_fmac_f32_e32 v11, v12, v9
	v_fma_f32 v8, -v8, v11, v10
	v_div_fmas_f32 v8, v8, v9, v11
	v_div_fixup_f32 v7, v8, v3, v7
	s_andn2_b64 vcc, exec, s[8:9]
	s_cbranch_vccnz .LBB158_67
.LBB158_33:
	s_load_dwordx2 s[30:31], s[0:1], 0x10
	v_mov_b32_e32 v3, 0
	v_or_b32_e32 v8, 4, v3
	v_or_b32_e32 v9, 8, v3
	;; [unrolled: 1-line block ×3, first 2 shown]
	v_add_u32_e32 v11, 20, v3
	v_add_u32_e32 v12, 24, v3
	;; [unrolled: 1-line block ×9, first 2 shown]
	v_or_b32_e32 v21, 1, v20
	v_or_b32_e32 v22, 2, v20
	;; [unrolled: 1-line block ×15, first 2 shown]
	s_branch .LBB158_35
.LBB158_34:                             ;   in Loop: Header=BB158_35 Depth=1
	s_or_b64 exec, exec, s[0:1]
	s_add_i32 s28, s28, -1
	v_add_u32_e32 v2, 1, v2
	s_cmp_eq_u32 s28, 0
	v_lshl_add_u64 v[0:1], v[0:1], 0, 8
	s_cbranch_scc1 .LBB158_67
.LBB158_35:                             ; =>This Inner Loop Header: Depth=1
	global_load_dword v36, v[0:1], off
	v_mov_b32_e32 v3, 0
	s_waitcnt vmcnt(0)
	v_cmp_eq_u32_e32 vcc, v20, v36
	v_cmp_ne_u32_e64 s[0:1], v20, v36
	s_and_saveexec_b64 s[34:35], s[0:1]
	s_cbranch_execz .LBB158_65
; %bb.36:                               ;   in Loop: Header=BB158_35 Depth=1
	v_cmp_eq_u32_e64 s[0:1], v21, v36
	v_cmp_ne_u32_e64 s[2:3], v21, v36
	v_mov_b32_e32 v3, v8
	s_and_saveexec_b64 s[36:37], s[2:3]
	s_cbranch_execz .LBB158_64
; %bb.37:                               ;   in Loop: Header=BB158_35 Depth=1
	v_cmp_eq_u32_e64 s[2:3], v22, v36
	v_cmp_ne_u32_e64 s[4:5], v22, v36
	v_mov_b32_e32 v3, v9
	;; [unrolled: 6-line block ×14, first 2 shown]
	s_and_saveexec_b64 s[64:65], s[26:27]
	s_xor_b64 s[64:65], exec, s[64:65]
; %bb.50:                               ;   in Loop: Header=BB158_35 Depth=1
	v_cmp_eq_u32_e64 s[26:27], v35, v36
	s_andn2_b64 s[62:63], s[62:63], exec
	s_and_b64 s[26:27], s[26:27], exec
	s_or_b64 s[62:63], s[62:63], s[26:27]
	v_mov_b32_e32 v3, v19
; %bb.51:                               ;   in Loop: Header=BB158_35 Depth=1
	s_or_b64 exec, exec, s[64:65]
	s_andn2_b64 s[24:25], s[24:25], exec
	s_and_b64 s[26:27], s[62:63], exec
	s_or_b64 s[24:25], s[24:25], s[26:27]
.LBB158_52:                             ;   in Loop: Header=BB158_35 Depth=1
	s_or_b64 exec, exec, s[60:61]
	s_andn2_b64 s[22:23], s[22:23], exec
	s_and_b64 s[24:25], s[24:25], exec
	s_or_b64 s[22:23], s[22:23], s[24:25]
.LBB158_53:                             ;   in Loop: Header=BB158_35 Depth=1
	s_or_b64 exec, exec, s[58:59]
	s_andn2_b64 s[20:21], s[20:21], exec
	s_and_b64 s[22:23], s[22:23], exec
	s_or_b64 s[20:21], s[20:21], s[22:23]
.LBB158_54:                             ;   in Loop: Header=BB158_35 Depth=1
	s_or_b64 exec, exec, s[56:57]
	s_andn2_b64 s[18:19], s[18:19], exec
	s_and_b64 s[20:21], s[20:21], exec
	s_or_b64 s[18:19], s[18:19], s[20:21]
.LBB158_55:                             ;   in Loop: Header=BB158_35 Depth=1
	s_or_b64 exec, exec, s[54:55]
	s_andn2_b64 s[16:17], s[16:17], exec
	s_and_b64 s[18:19], s[18:19], exec
	s_or_b64 s[16:17], s[16:17], s[18:19]
.LBB158_56:                             ;   in Loop: Header=BB158_35 Depth=1
	s_or_b64 exec, exec, s[52:53]
	s_andn2_b64 s[14:15], s[14:15], exec
	s_and_b64 s[16:17], s[16:17], exec
	s_or_b64 s[14:15], s[14:15], s[16:17]
.LBB158_57:                             ;   in Loop: Header=BB158_35 Depth=1
	s_or_b64 exec, exec, s[50:51]
	s_andn2_b64 s[12:13], s[12:13], exec
	s_and_b64 s[14:15], s[14:15], exec
	s_or_b64 s[12:13], s[12:13], s[14:15]
.LBB158_58:                             ;   in Loop: Header=BB158_35 Depth=1
	s_or_b64 exec, exec, s[48:49]
	s_andn2_b64 s[10:11], s[10:11], exec
	s_and_b64 s[12:13], s[12:13], exec
	s_or_b64 s[10:11], s[10:11], s[12:13]
.LBB158_59:                             ;   in Loop: Header=BB158_35 Depth=1
	s_or_b64 exec, exec, s[46:47]
	s_andn2_b64 s[8:9], s[8:9], exec
	s_and_b64 s[10:11], s[10:11], exec
	s_or_b64 s[8:9], s[8:9], s[10:11]
.LBB158_60:                             ;   in Loop: Header=BB158_35 Depth=1
	s_or_b64 exec, exec, s[44:45]
	s_andn2_b64 s[6:7], s[6:7], exec
	s_and_b64 s[8:9], s[8:9], exec
	s_or_b64 s[6:7], s[6:7], s[8:9]
.LBB158_61:                             ;   in Loop: Header=BB158_35 Depth=1
	s_or_b64 exec, exec, s[42:43]
	s_andn2_b64 s[4:5], s[4:5], exec
	s_and_b64 s[6:7], s[6:7], exec
	s_or_b64 s[4:5], s[4:5], s[6:7]
.LBB158_62:                             ;   in Loop: Header=BB158_35 Depth=1
	s_or_b64 exec, exec, s[40:41]
	s_andn2_b64 s[2:3], s[2:3], exec
	s_and_b64 s[4:5], s[4:5], exec
	s_or_b64 s[2:3], s[2:3], s[4:5]
.LBB158_63:                             ;   in Loop: Header=BB158_35 Depth=1
	s_or_b64 exec, exec, s[38:39]
	s_andn2_b64 s[0:1], s[0:1], exec
	s_and_b64 s[2:3], s[2:3], exec
	s_or_b64 s[0:1], s[0:1], s[2:3]
.LBB158_64:                             ;   in Loop: Header=BB158_35 Depth=1
	s_or_b64 exec, exec, s[36:37]
	s_andn2_b64 s[2:3], vcc, exec
	s_and_b64 s[0:1], s[0:1], exec
	s_or_b64 vcc, s[2:3], s[0:1]
.LBB158_65:                             ;   in Loop: Header=BB158_35 Depth=1
	s_or_b64 exec, exec, s[34:35]
	s_and_saveexec_b64 s[0:1], vcc
	s_cbranch_execz .LBB158_34
; %bb.66:                               ;   in Loop: Header=BB158_35 Depth=1
	scratch_load_dword v36, v3, off
	v_ashrrev_i32_e32 v3, 31, v2
	s_waitcnt vmcnt(0)
	v_mul_f32_e32 v38, v7, v36
	s_waitcnt lgkmcnt(0)
	v_lshl_add_u64 v[36:37], v[2:3], 2, s[30:31]
	global_store_dword v[36:37], v38, off
	s_branch .LBB158_34
.LBB158_67:
	s_endpgm
	.section	.rodata,"a",@progbits
	.p2align	6, 0x0
	.amdhsa_kernel _ZN4vllm3moe22topkGatingSoftplusSqrtILi16ELi512ELi4ELi16ELi32ELb1ElfEEvPKT6_PKbPfiPT5_PiiiibdPKfPKS8_SE_
		.amdhsa_group_segment_fixed_size 0
		.amdhsa_private_segment_fixed_size 80
		.amdhsa_kernarg_size 96
		.amdhsa_user_sgpr_count 2
		.amdhsa_user_sgpr_dispatch_ptr 0
		.amdhsa_user_sgpr_queue_ptr 0
		.amdhsa_user_sgpr_kernarg_segment_ptr 1
		.amdhsa_user_sgpr_dispatch_id 0
		.amdhsa_user_sgpr_kernarg_preload_length 0
		.amdhsa_user_sgpr_kernarg_preload_offset 0
		.amdhsa_user_sgpr_private_segment_size 0
		.amdhsa_uses_dynamic_stack 0
		.amdhsa_enable_private_segment 1
		.amdhsa_system_sgpr_workgroup_id_x 1
		.amdhsa_system_sgpr_workgroup_id_y 0
		.amdhsa_system_sgpr_workgroup_id_z 0
		.amdhsa_system_sgpr_workgroup_info 0
		.amdhsa_system_vgpr_workitem_id 1
		.amdhsa_next_free_vgpr 40
		.amdhsa_next_free_sgpr 66
		.amdhsa_accum_offset 40
		.amdhsa_reserve_vcc 1
		.amdhsa_float_round_mode_32 0
		.amdhsa_float_round_mode_16_64 0
		.amdhsa_float_denorm_mode_32 3
		.amdhsa_float_denorm_mode_16_64 3
		.amdhsa_dx10_clamp 1
		.amdhsa_ieee_mode 1
		.amdhsa_fp16_overflow 0
		.amdhsa_tg_split 0
		.amdhsa_exception_fp_ieee_invalid_op 0
		.amdhsa_exception_fp_denorm_src 0
		.amdhsa_exception_fp_ieee_div_zero 0
		.amdhsa_exception_fp_ieee_overflow 0
		.amdhsa_exception_fp_ieee_underflow 0
		.amdhsa_exception_fp_ieee_inexact 0
		.amdhsa_exception_int_div_zero 0
	.end_amdhsa_kernel
	.section	.text._ZN4vllm3moe22topkGatingSoftplusSqrtILi16ELi512ELi4ELi16ELi32ELb1ElfEEvPKT6_PKbPfiPT5_PiiiibdPKfPKS8_SE_,"axG",@progbits,_ZN4vllm3moe22topkGatingSoftplusSqrtILi16ELi512ELi4ELi16ELi32ELb1ElfEEvPKT6_PKbPfiPT5_PiiiibdPKfPKS8_SE_,comdat
.Lfunc_end158:
	.size	_ZN4vllm3moe22topkGatingSoftplusSqrtILi16ELi512ELi4ELi16ELi32ELb1ElfEEvPKT6_PKbPfiPT5_PiiiibdPKfPKS8_SE_, .Lfunc_end158-_ZN4vllm3moe22topkGatingSoftplusSqrtILi16ELi512ELi4ELi16ELi32ELb1ElfEEvPKT6_PKbPfiPT5_PiiiibdPKfPKS8_SE_
                                        ; -- End function
	.section	.AMDGPU.csdata,"",@progbits
; Kernel info:
; codeLenInByte = 6144
; NumSgprs: 72
; NumVgprs: 40
; NumAgprs: 0
; TotalNumVgprs: 40
; ScratchSize: 80
; MemoryBound: 0
; FloatMode: 240
; IeeeMode: 1
; LDSByteSize: 0 bytes/workgroup (compile time only)
; SGPRBlocks: 8
; VGPRBlocks: 4
; NumSGPRsForWavesPerEU: 72
; NumVGPRsForWavesPerEU: 40
; AccumOffset: 40
; Occupancy: 8
; WaveLimiterHint : 1
; COMPUTE_PGM_RSRC2:SCRATCH_EN: 1
; COMPUTE_PGM_RSRC2:USER_SGPR: 2
; COMPUTE_PGM_RSRC2:TRAP_HANDLER: 0
; COMPUTE_PGM_RSRC2:TGID_X_EN: 1
; COMPUTE_PGM_RSRC2:TGID_Y_EN: 0
; COMPUTE_PGM_RSRC2:TGID_Z_EN: 0
; COMPUTE_PGM_RSRC2:TIDIG_COMP_CNT: 1
; COMPUTE_PGM_RSRC3_GFX90A:ACCUM_OFFSET: 9
; COMPUTE_PGM_RSRC3_GFX90A:TG_SPLIT: 0
	.section	.text._ZN4vllm3moe22topkGatingSoftplusSqrtILi16ELi512ELi4ELi16ELi32ELb0ElfEEvPKT6_PKbPfiPT5_PiiiibdPKfPKS8_SE_,"axG",@progbits,_ZN4vllm3moe22topkGatingSoftplusSqrtILi16ELi512ELi4ELi16ELi32ELb0ElfEEvPKT6_PKbPfiPT5_PiiiibdPKfPKS8_SE_,comdat
	.protected	_ZN4vllm3moe22topkGatingSoftplusSqrtILi16ELi512ELi4ELi16ELi32ELb0ElfEEvPKT6_PKbPfiPT5_PiiiibdPKfPKS8_SE_ ; -- Begin function _ZN4vllm3moe22topkGatingSoftplusSqrtILi16ELi512ELi4ELi16ELi32ELb0ElfEEvPKT6_PKbPfiPT5_PiiiibdPKfPKS8_SE_
	.globl	_ZN4vllm3moe22topkGatingSoftplusSqrtILi16ELi512ELi4ELi16ELi32ELb0ElfEEvPKT6_PKbPfiPT5_PiiiibdPKfPKS8_SE_
	.p2align	8
	.type	_ZN4vllm3moe22topkGatingSoftplusSqrtILi16ELi512ELi4ELi16ELi32ELb0ElfEEvPKT6_PKbPfiPT5_PiiiibdPKfPKS8_SE_,@function
_ZN4vllm3moe22topkGatingSoftplusSqrtILi16ELi512ELi4ELi16ELi32ELb0ElfEEvPKT6_PKbPfiPT5_PiiiibdPKfPKS8_SE_: ; @_ZN4vllm3moe22topkGatingSoftplusSqrtILi16ELi512ELi4ELi16ELi32ELb0ElfEEvPKT6_PKbPfiPT5_PiiiibdPKfPKS8_SE_
; %bb.0:
	s_load_dword s30, s[0:1], 0x18
	v_and_b32_e32 v2, 0x3ff, v0
	s_lshl_b32 s2, s2, 2
	v_lshrrev_b32_e32 v1, 5, v2
	v_bfe_u32 v0, v0, 10, 10
	v_add3_u32 v0, s2, v0, v1
	s_waitcnt lgkmcnt(0)
	v_cmp_gt_i32_e32 vcc, s30, v0
	s_and_saveexec_b64 s[2:3], vcc
	s_cbranch_execz .LBB159_79
; %bb.1:
	s_load_dwordx4 s[4:7], s[0:1], 0x0
	s_load_dwordx2 s[20:21], s[0:1], 0x10
	s_waitcnt lgkmcnt(0)
	s_cmp_eq_u64 s[6:7], 0
	s_cbranch_scc1 .LBB159_3
; %bb.2:
	v_ashrrev_i32_e32 v1, 31, v0
	v_lshl_add_u64 v[4:5], s[6:7], 0, v[0:1]
	global_load_ubyte v1, v[4:5], off
	s_waitcnt vmcnt(0)
	v_and_b32_e32 v1, 1, v1
	v_cmp_eq_u32_e32 vcc, 1, v1
	s_xor_b64 s[2:3], vcc, -1
	s_orn2_b64 s[22:23], s[2:3], exec
	s_branch .LBB159_4
.LBB159_3:
	s_mov_b64 s[22:23], -1
.LBB159_4:
	v_lshlrev_b32_e32 v6, 9, v0
	v_mov_b32_e32 v4, s4
	v_mov_b32_e32 v5, s5
	v_ashrrev_i32_e32 v7, 31, v6
	v_and_b32_e32 v1, 31, v2
	v_lshl_add_u64 v[4:5], v[6:7], 2, v[4:5]
	v_mov_b32_e32 v3, 0
	v_lshlrev_b32_e32 v2, 4, v1
	v_lshl_add_u64 v[6:7], v[4:5], 0, v[2:3]
	global_load_dwordx4 v[2:5], v[6:7], off
	global_load_dwordx4 v[8:11], v[6:7], off offset:512
	s_mov_b32 s16, 0x800000
	s_mov_b32 s13, 0x3f317217
	;; [unrolled: 1-line block ×5, first 2 shown]
	s_load_dwordx4 s[8:11], s[0:1], 0x40
	s_waitcnt lgkmcnt(0)
	s_cmp_lg_u64 s[10:11], 0
	s_cselect_b64 s[6:7], -1, 0
	s_and_b64 s[2:3], exec, s[6:7]
	s_waitcnt vmcnt(1)
	scratch_store_dwordx4 off, v[2:5], off
	scratch_load_dword v20, off, off
	global_load_dwordx4 v[12:15], v[6:7], off offset:1024
	global_load_dwordx4 v[16:19], v[6:7], off offset:1536
	v_mov_b32_e32 v5, 0x4f800000
	v_mov_b32_e32 v6, 0x41b17218
	;; [unrolled: 1-line block ×3, first 2 shown]
	v_lshlrev_b32_e32 v4, 2, v1
	s_waitcnt vmcnt(4)
	scratch_store_dwordx4 off, v[8:11], off offset:16
	s_waitcnt vmcnt(2)
	scratch_store_dwordx4 off, v[12:15], off offset:32
	;; [unrolled: 2-line block ×3, first 2 shown]
	v_mul_f32_e32 v2, 0x3fb8aa3b, v20
	v_exp_f32_e32 v7, v2
	v_lshlrev_b32_e32 v2, 2, v4
	v_add_f32_e32 v7, 1.0, v7
	v_cmp_gt_f32_e32 vcc, s16, v7
	s_nop 1
	v_cndmask_b32_e32 v21, 1.0, v5, vcc
	v_mul_f32_e32 v7, v7, v21
	v_log_f32_e32 v7, v7
	v_cndmask_b32_e32 v21, 0, v6, vcc
	v_mul_f32_e32 v22, 0x3f317217, v7
	v_fma_f32 v22, v7, s13, -v22
	v_fmac_f32_e32 v22, 0x3377d1cf, v7
	v_fmac_f32_e32 v22, 0x3f317217, v7
	v_cmp_lt_f32_e64 vcc, |v7|, s14
	s_nop 1
	v_cndmask_b32_e32 v7, v7, v22, vcc
	v_sub_f32_e32 v7, v7, v21
	v_cmp_lt_f32_e32 vcc, s12, v20
	s_nop 1
	v_cndmask_b32_e32 v7, v7, v20, vcc
	v_mul_f32_e32 v20, 0x4f800000, v7
	v_cmp_gt_f32_e32 vcc, s15, v7
	s_nop 1
	v_cndmask_b32_e32 v7, v7, v20, vcc
	v_sqrt_f32_e32 v20, v7
	s_nop 0
	v_add_u32_e32 v8, -1, v20
	v_add_u32_e32 v9, 1, v20
	v_fma_f32 v10, -v8, v20, v7
	v_fma_f32 v11, -v9, v20, v7
	v_cmp_ge_f32_e64 s[4:5], 0, v10
	s_nop 1
	v_cndmask_b32_e64 v8, v20, v8, s[4:5]
	v_cmp_lt_f32_e64 s[4:5], 0, v11
	s_nop 1
	v_cndmask_b32_e64 v8, v8, v9, s[4:5]
	v_mul_f32_e32 v9, 0x37800000, v8
	v_cndmask_b32_e32 v8, v8, v9, vcc
	v_cmp_class_f32_e32 vcc, v7, v3
	s_nop 1
	v_cndmask_b32_e32 v7, v8, v7, vcc
	s_mov_b64 vcc, s[2:3]
	s_cbranch_vccz .LBB159_6
; %bb.5:
	global_load_dword v8, v2, s[10:11]
	s_waitcnt vmcnt(0)
	v_add_f32_e32 v7, v7, v8
.LBB159_6:
	scratch_load_dword v8, off, off offset:4
	s_waitcnt vmcnt(0)
	v_mul_f32_e32 v9, 0x3fb8aa3b, v8
	v_exp_f32_e32 v9, v9
	scratch_store_dword off, v7, off
	v_add_f32_e32 v9, 1.0, v9
	v_cmp_gt_f32_e32 vcc, s16, v9
	s_nop 1
	v_cndmask_b32_e32 v5, 1.0, v5, vcc
	v_mul_f32_e32 v5, v9, v5
	v_log_f32_e32 v5, v5
	v_cndmask_b32_e32 v6, 0, v6, vcc
	v_mul_f32_e32 v7, 0x3f317217, v5
	v_fma_f32 v7, v5, s13, -v7
	v_fmac_f32_e32 v7, 0x3377d1cf, v5
	v_fmac_f32_e32 v7, 0x3f317217, v5
	v_cmp_lt_f32_e64 vcc, |v5|, s14
	s_nop 1
	v_cndmask_b32_e32 v5, v5, v7, vcc
	v_sub_f32_e32 v5, v5, v6
	v_cmp_lt_f32_e32 vcc, s12, v8
	v_cndmask_b32_e64 v7, 0, 1, s[6:7]
	v_cmp_ne_u32_e64 s[2:3], 1, v7
	v_cndmask_b32_e32 v5, v5, v8, vcc
	v_mul_f32_e32 v6, 0x4f800000, v5
	v_cmp_gt_f32_e64 s[4:5], s15, v5
	s_andn2_b64 vcc, exec, s[6:7]
	s_nop 0
	v_cndmask_b32_e64 v5, v5, v6, s[4:5]
	v_sqrt_f32_e32 v6, v5
	s_nop 0
	v_add_u32_e32 v7, -1, v6
	v_add_u32_e32 v8, 1, v6
	v_fma_f32 v9, -v7, v6, v5
	v_fma_f32 v10, -v8, v6, v5
	v_cmp_ge_f32_e64 s[6:7], 0, v9
	s_nop 1
	v_cndmask_b32_e64 v6, v6, v7, s[6:7]
	v_cmp_lt_f32_e64 s[6:7], 0, v10
	s_nop 1
	v_cndmask_b32_e64 v6, v6, v8, s[6:7]
	v_mul_f32_e32 v7, 0x37800000, v6
	v_cndmask_b32_e64 v6, v6, v7, s[4:5]
	v_cmp_class_f32_e64 s[4:5], v5, v3
	s_nop 1
	v_cndmask_b32_e64 v5, v6, v5, s[4:5]
	s_cbranch_vccnz .LBB159_8
; %bb.7:
	global_load_dword v3, v2, s[10:11] offset:4
	s_waitcnt vmcnt(0)
	v_add_f32_e32 v5, v5, v3
.LBB159_8:
	scratch_load_dword v7, off, off offset:8
	s_mov_b32 s15, 0x800000
	s_mov_b32 s16, 0xf800000
	scratch_store_dword off, v5, off offset:4
	v_mov_b32_e32 v5, 0x260
	s_waitcnt vmcnt(1)
	v_mul_f32_e32 v3, 0x3fb8aa3b, v7
	v_exp_f32_e32 v6, v3
	v_mov_b32_e32 v3, 0x4f800000
	v_add_f32_e32 v6, 1.0, v6
	v_cmp_gt_f32_e32 vcc, s15, v6
	s_nop 1
	v_cndmask_b32_e32 v8, 1.0, v3, vcc
	v_mul_f32_e32 v6, v6, v8
	v_log_f32_e32 v8, v6
	v_mov_b32_e32 v6, 0x41b17218
	v_cndmask_b32_e32 v9, 0, v6, vcc
	v_mul_f32_e32 v10, 0x3f317217, v8
	v_fma_f32 v10, v8, s13, -v10
	v_fmac_f32_e32 v10, 0x3377d1cf, v8
	v_fmac_f32_e32 v10, 0x3f317217, v8
	v_cmp_lt_f32_e64 vcc, |v8|, s14
	s_nop 1
	v_cndmask_b32_e32 v8, v8, v10, vcc
	v_sub_f32_e32 v8, v8, v9
	v_cmp_lt_f32_e32 vcc, s12, v7
	s_nop 1
	v_cndmask_b32_e32 v7, v8, v7, vcc
	v_mul_f32_e32 v8, 0x4f800000, v7
	v_cmp_gt_f32_e64 s[4:5], s16, v7
	s_and_b64 vcc, exec, s[2:3]
	s_nop 0
	v_cndmask_b32_e64 v7, v7, v8, s[4:5]
	v_sqrt_f32_e32 v8, v7
	s_nop 0
	v_add_u32_e32 v9, -1, v8
	v_add_u32_e32 v10, 1, v8
	v_fma_f32 v11, -v9, v8, v7
	v_fma_f32 v12, -v10, v8, v7
	v_cmp_ge_f32_e64 s[6:7], 0, v11
	s_nop 1
	v_cndmask_b32_e64 v8, v8, v9, s[6:7]
	v_cmp_lt_f32_e64 s[6:7], 0, v12
	s_nop 1
	v_cndmask_b32_e64 v8, v8, v10, s[6:7]
	v_mul_f32_e32 v9, 0x37800000, v8
	v_cndmask_b32_e64 v8, v8, v9, s[4:5]
	v_cmp_class_f32_e64 s[4:5], v7, v5
	s_nop 1
	v_cndmask_b32_e64 v7, v8, v7, s[4:5]
	s_cbranch_vccnz .LBB159_10
; %bb.9:
	global_load_dword v8, v2, s[10:11] offset:8
	s_waitcnt vmcnt(0)
	v_add_f32_e32 v7, v7, v8
.LBB159_10:
	scratch_load_dword v8, off, off offset:12
	s_waitcnt vmcnt(0)
	v_mul_f32_e32 v9, 0x3fb8aa3b, v8
	v_exp_f32_e32 v9, v9
	scratch_store_dword off, v7, off offset:8
	v_add_f32_e32 v9, 1.0, v9
	v_cmp_gt_f32_e32 vcc, s15, v9
	s_nop 1
	v_cndmask_b32_e32 v3, 1.0, v3, vcc
	v_mul_f32_e32 v3, v9, v3
	v_log_f32_e32 v3, v3
	v_cndmask_b32_e32 v6, 0, v6, vcc
	v_mul_f32_e32 v9, 0x3f317217, v3
	v_fma_f32 v9, v3, s13, -v9
	v_fmac_f32_e32 v9, 0x3377d1cf, v3
	v_fmac_f32_e32 v9, 0x3f317217, v3
	v_cmp_lt_f32_e64 vcc, |v3|, s14
	s_nop 1
	v_cndmask_b32_e32 v3, v3, v9, vcc
	v_sub_f32_e32 v3, v3, v6
	v_cmp_lt_f32_e32 vcc, s12, v8
	s_nop 1
	v_cndmask_b32_e32 v3, v3, v8, vcc
	v_mul_f32_e32 v6, 0x4f800000, v3
	v_cmp_gt_f32_e64 s[4:5], s16, v3
	s_and_b64 vcc, exec, s[2:3]
	s_nop 0
	v_cndmask_b32_e64 v3, v3, v6, s[4:5]
	v_sqrt_f32_e32 v6, v3
	s_nop 0
	v_add_u32_e32 v7, -1, v6
	v_add_u32_e32 v8, 1, v6
	v_fma_f32 v9, -v7, v6, v3
	v_fma_f32 v10, -v8, v6, v3
	v_cmp_ge_f32_e64 s[6:7], 0, v9
	s_nop 1
	v_cndmask_b32_e64 v6, v6, v7, s[6:7]
	v_cmp_lt_f32_e64 s[6:7], 0, v10
	s_nop 1
	v_cndmask_b32_e64 v6, v6, v8, s[6:7]
	v_mul_f32_e32 v7, 0x37800000, v6
	v_cndmask_b32_e64 v6, v6, v7, s[4:5]
	v_cmp_class_f32_e64 s[4:5], v3, v5
	s_nop 1
	v_cndmask_b32_e64 v5, v6, v3, s[4:5]
	s_cbranch_vccnz .LBB159_12
; %bb.11:
	global_load_dword v3, v2, s[10:11] offset:12
	s_waitcnt vmcnt(0)
	v_add_f32_e32 v5, v5, v3
.LBB159_12:
	scratch_load_dword v7, off, off offset:16
	s_waitcnt vmcnt(0)
	v_mul_f32_e32 v3, 0x3fb8aa3b, v7
	v_exp_f32_e32 v6, v3
	v_mov_b32_e32 v3, 0x4f800000
	scratch_store_dword off, v5, off offset:12
	v_mov_b32_e32 v5, 0x260
	v_add_f32_e32 v6, 1.0, v6
	v_cmp_gt_f32_e32 vcc, s15, v6
	s_nop 1
	v_cndmask_b32_e32 v8, 1.0, v3, vcc
	v_mul_f32_e32 v6, v6, v8
	v_log_f32_e32 v8, v6
	v_mov_b32_e32 v6, 0x41b17218
	v_cndmask_b32_e32 v9, 0, v6, vcc
	v_mul_f32_e32 v10, 0x3f317217, v8
	v_fma_f32 v10, v8, s13, -v10
	v_fmac_f32_e32 v10, 0x3377d1cf, v8
	v_fmac_f32_e32 v10, 0x3f317217, v8
	v_cmp_lt_f32_e64 vcc, |v8|, s14
	s_nop 1
	v_cndmask_b32_e32 v8, v8, v10, vcc
	v_sub_f32_e32 v8, v8, v9
	v_cmp_lt_f32_e32 vcc, s12, v7
	s_nop 1
	v_cndmask_b32_e32 v7, v8, v7, vcc
	v_mul_f32_e32 v8, 0x4f800000, v7
	v_cmp_gt_f32_e64 s[4:5], s16, v7
	s_and_b64 vcc, exec, s[2:3]
	s_nop 0
	v_cndmask_b32_e64 v7, v7, v8, s[4:5]
	v_sqrt_f32_e32 v8, v7
	s_nop 0
	v_add_u32_e32 v9, -1, v8
	v_add_u32_e32 v10, 1, v8
	v_fma_f32 v11, -v9, v8, v7
	v_fma_f32 v12, -v10, v8, v7
	v_cmp_ge_f32_e64 s[6:7], 0, v11
	s_nop 1
	v_cndmask_b32_e64 v8, v8, v9, s[6:7]
	v_cmp_lt_f32_e64 s[6:7], 0, v12
	s_nop 1
	v_cndmask_b32_e64 v8, v8, v10, s[6:7]
	v_mul_f32_e32 v9, 0x37800000, v8
	v_cndmask_b32_e64 v8, v8, v9, s[4:5]
	v_cmp_class_f32_e64 s[4:5], v7, v5
	s_nop 1
	v_cndmask_b32_e64 v7, v8, v7, s[4:5]
	s_cbranch_vccnz .LBB159_14
; %bb.13:
	global_load_dword v8, v2, s[10:11] offset:512
	s_waitcnt vmcnt(0)
	v_add_f32_e32 v7, v7, v8
.LBB159_14:
	scratch_load_dword v8, off, off offset:20
	s_waitcnt vmcnt(0)
	v_mul_f32_e32 v9, 0x3fb8aa3b, v8
	v_exp_f32_e32 v9, v9
	scratch_store_dword off, v7, off offset:16
	v_add_f32_e32 v9, 1.0, v9
	v_cmp_gt_f32_e32 vcc, s15, v9
	s_nop 1
	v_cndmask_b32_e32 v3, 1.0, v3, vcc
	v_mul_f32_e32 v3, v9, v3
	v_log_f32_e32 v3, v3
	v_cndmask_b32_e32 v6, 0, v6, vcc
	v_mul_f32_e32 v9, 0x3f317217, v3
	v_fma_f32 v9, v3, s13, -v9
	v_fmac_f32_e32 v9, 0x3377d1cf, v3
	v_fmac_f32_e32 v9, 0x3f317217, v3
	v_cmp_lt_f32_e64 vcc, |v3|, s14
	s_nop 1
	v_cndmask_b32_e32 v3, v3, v9, vcc
	v_sub_f32_e32 v3, v3, v6
	v_cmp_lt_f32_e32 vcc, s12, v8
	s_nop 1
	v_cndmask_b32_e32 v3, v3, v8, vcc
	v_mul_f32_e32 v6, 0x4f800000, v3
	v_cmp_gt_f32_e64 s[4:5], s16, v3
	s_and_b64 vcc, exec, s[2:3]
	s_nop 0
	v_cndmask_b32_e64 v3, v3, v6, s[4:5]
	v_sqrt_f32_e32 v6, v3
	s_nop 0
	v_add_u32_e32 v7, -1, v6
	v_add_u32_e32 v8, 1, v6
	v_fma_f32 v9, -v7, v6, v3
	v_fma_f32 v10, -v8, v6, v3
	v_cmp_ge_f32_e64 s[6:7], 0, v9
	s_nop 1
	v_cndmask_b32_e64 v6, v6, v7, s[6:7]
	v_cmp_lt_f32_e64 s[6:7], 0, v10
	s_nop 1
	v_cndmask_b32_e64 v6, v6, v8, s[6:7]
	v_mul_f32_e32 v7, 0x37800000, v6
	v_cndmask_b32_e64 v6, v6, v7, s[4:5]
	v_cmp_class_f32_e64 s[4:5], v3, v5
	s_nop 1
	v_cndmask_b32_e64 v5, v6, v3, s[4:5]
	s_cbranch_vccnz .LBB159_16
; %bb.15:
	global_load_dword v3, v2, s[10:11] offset:516
	s_waitcnt vmcnt(0)
	v_add_f32_e32 v5, v5, v3
.LBB159_16:
	scratch_load_dword v7, off, off offset:24
	s_waitcnt vmcnt(0)
	v_mul_f32_e32 v3, 0x3fb8aa3b, v7
	v_exp_f32_e32 v6, v3
	v_mov_b32_e32 v3, 0x4f800000
	scratch_store_dword off, v5, off offset:20
	v_mov_b32_e32 v5, 0x260
	v_add_f32_e32 v6, 1.0, v6
	v_cmp_gt_f32_e32 vcc, s15, v6
	s_nop 1
	v_cndmask_b32_e32 v8, 1.0, v3, vcc
	v_mul_f32_e32 v6, v6, v8
	v_log_f32_e32 v8, v6
	v_mov_b32_e32 v6, 0x41b17218
	v_cndmask_b32_e32 v9, 0, v6, vcc
	v_mul_f32_e32 v10, 0x3f317217, v8
	v_fma_f32 v10, v8, s13, -v10
	v_fmac_f32_e32 v10, 0x3377d1cf, v8
	v_fmac_f32_e32 v10, 0x3f317217, v8
	v_cmp_lt_f32_e64 vcc, |v8|, s14
	s_nop 1
	v_cndmask_b32_e32 v8, v8, v10, vcc
	v_sub_f32_e32 v8, v8, v9
	v_cmp_lt_f32_e32 vcc, s12, v7
	s_nop 1
	v_cndmask_b32_e32 v7, v8, v7, vcc
	v_mul_f32_e32 v8, 0x4f800000, v7
	v_cmp_gt_f32_e64 s[4:5], s16, v7
	s_and_b64 vcc, exec, s[2:3]
	s_nop 0
	v_cndmask_b32_e64 v7, v7, v8, s[4:5]
	v_sqrt_f32_e32 v8, v7
	s_nop 0
	v_add_u32_e32 v9, -1, v8
	v_add_u32_e32 v10, 1, v8
	v_fma_f32 v11, -v9, v8, v7
	v_fma_f32 v12, -v10, v8, v7
	v_cmp_ge_f32_e64 s[6:7], 0, v11
	s_nop 1
	v_cndmask_b32_e64 v8, v8, v9, s[6:7]
	v_cmp_lt_f32_e64 s[6:7], 0, v12
	s_nop 1
	v_cndmask_b32_e64 v8, v8, v10, s[6:7]
	v_mul_f32_e32 v9, 0x37800000, v8
	v_cndmask_b32_e64 v8, v8, v9, s[4:5]
	v_cmp_class_f32_e64 s[4:5], v7, v5
	s_nop 1
	v_cndmask_b32_e64 v7, v8, v7, s[4:5]
	s_cbranch_vccnz .LBB159_18
; %bb.17:
	global_load_dword v8, v2, s[10:11] offset:520
	s_waitcnt vmcnt(0)
	v_add_f32_e32 v7, v7, v8
.LBB159_18:
	scratch_load_dword v8, off, off offset:28
	s_waitcnt vmcnt(0)
	v_mul_f32_e32 v9, 0x3fb8aa3b, v8
	v_exp_f32_e32 v9, v9
	scratch_store_dword off, v7, off offset:24
	v_add_f32_e32 v9, 1.0, v9
	v_cmp_gt_f32_e32 vcc, s15, v9
	s_nop 1
	v_cndmask_b32_e32 v3, 1.0, v3, vcc
	v_mul_f32_e32 v3, v9, v3
	v_log_f32_e32 v3, v3
	v_cndmask_b32_e32 v6, 0, v6, vcc
	v_mul_f32_e32 v9, 0x3f317217, v3
	v_fma_f32 v9, v3, s13, -v9
	v_fmac_f32_e32 v9, 0x3377d1cf, v3
	v_fmac_f32_e32 v9, 0x3f317217, v3
	v_cmp_lt_f32_e64 vcc, |v3|, s14
	s_nop 1
	v_cndmask_b32_e32 v3, v3, v9, vcc
	v_sub_f32_e32 v3, v3, v6
	v_cmp_lt_f32_e32 vcc, s12, v8
	s_nop 1
	v_cndmask_b32_e32 v3, v3, v8, vcc
	v_mul_f32_e32 v6, 0x4f800000, v3
	v_cmp_gt_f32_e64 s[4:5], s16, v3
	s_and_b64 vcc, exec, s[2:3]
	s_nop 0
	v_cndmask_b32_e64 v3, v3, v6, s[4:5]
	v_sqrt_f32_e32 v6, v3
	s_nop 0
	v_add_u32_e32 v7, -1, v6
	v_add_u32_e32 v8, 1, v6
	v_fma_f32 v9, -v7, v6, v3
	v_fma_f32 v10, -v8, v6, v3
	v_cmp_ge_f32_e64 s[6:7], 0, v9
	s_nop 1
	v_cndmask_b32_e64 v6, v6, v7, s[6:7]
	v_cmp_lt_f32_e64 s[6:7], 0, v10
	s_nop 1
	v_cndmask_b32_e64 v6, v6, v8, s[6:7]
	v_mul_f32_e32 v7, 0x37800000, v6
	v_cndmask_b32_e64 v6, v6, v7, s[4:5]
	v_cmp_class_f32_e64 s[4:5], v3, v5
	s_nop 1
	v_cndmask_b32_e64 v5, v6, v3, s[4:5]
	s_cbranch_vccnz .LBB159_20
; %bb.19:
	global_load_dword v3, v2, s[10:11] offset:524
	s_waitcnt vmcnt(0)
	v_add_f32_e32 v5, v5, v3
.LBB159_20:
	scratch_load_dword v7, off, off offset:32
	s_waitcnt vmcnt(0)
	v_mul_f32_e32 v3, 0x3fb8aa3b, v7
	v_exp_f32_e32 v6, v3
	v_mov_b32_e32 v3, 0x4f800000
	scratch_store_dword off, v5, off offset:28
	v_mov_b32_e32 v5, 0x260
	v_add_f32_e32 v6, 1.0, v6
	v_cmp_gt_f32_e32 vcc, s15, v6
	s_nop 1
	v_cndmask_b32_e32 v8, 1.0, v3, vcc
	v_mul_f32_e32 v6, v6, v8
	v_log_f32_e32 v8, v6
	v_mov_b32_e32 v6, 0x41b17218
	v_cndmask_b32_e32 v9, 0, v6, vcc
	v_mul_f32_e32 v10, 0x3f317217, v8
	v_fma_f32 v10, v8, s13, -v10
	v_fmac_f32_e32 v10, 0x3377d1cf, v8
	v_fmac_f32_e32 v10, 0x3f317217, v8
	v_cmp_lt_f32_e64 vcc, |v8|, s14
	s_nop 1
	v_cndmask_b32_e32 v8, v8, v10, vcc
	v_sub_f32_e32 v8, v8, v9
	v_cmp_lt_f32_e32 vcc, s12, v7
	s_nop 1
	v_cndmask_b32_e32 v7, v8, v7, vcc
	v_mul_f32_e32 v8, 0x4f800000, v7
	v_cmp_gt_f32_e64 s[4:5], s16, v7
	s_and_b64 vcc, exec, s[2:3]
	s_nop 0
	v_cndmask_b32_e64 v7, v7, v8, s[4:5]
	v_sqrt_f32_e32 v8, v7
	s_nop 0
	v_add_u32_e32 v9, -1, v8
	v_add_u32_e32 v10, 1, v8
	v_fma_f32 v11, -v9, v8, v7
	v_fma_f32 v12, -v10, v8, v7
	v_cmp_ge_f32_e64 s[6:7], 0, v11
	s_nop 1
	v_cndmask_b32_e64 v8, v8, v9, s[6:7]
	v_cmp_lt_f32_e64 s[6:7], 0, v12
	s_nop 1
	v_cndmask_b32_e64 v8, v8, v10, s[6:7]
	v_mul_f32_e32 v9, 0x37800000, v8
	v_cndmask_b32_e64 v8, v8, v9, s[4:5]
	v_cmp_class_f32_e64 s[4:5], v7, v5
	s_nop 1
	v_cndmask_b32_e64 v7, v8, v7, s[4:5]
	s_cbranch_vccnz .LBB159_22
; %bb.21:
	global_load_dword v8, v2, s[10:11] offset:1024
	s_waitcnt vmcnt(0)
	v_add_f32_e32 v7, v7, v8
.LBB159_22:
	scratch_load_dword v8, off, off offset:36
	s_waitcnt vmcnt(0)
	v_mul_f32_e32 v9, 0x3fb8aa3b, v8
	v_exp_f32_e32 v9, v9
	scratch_store_dword off, v7, off offset:32
	v_add_f32_e32 v9, 1.0, v9
	v_cmp_gt_f32_e32 vcc, s15, v9
	s_nop 1
	v_cndmask_b32_e32 v3, 1.0, v3, vcc
	v_mul_f32_e32 v3, v9, v3
	v_log_f32_e32 v3, v3
	v_cndmask_b32_e32 v6, 0, v6, vcc
	v_mul_f32_e32 v9, 0x3f317217, v3
	v_fma_f32 v9, v3, s13, -v9
	v_fmac_f32_e32 v9, 0x3377d1cf, v3
	v_fmac_f32_e32 v9, 0x3f317217, v3
	v_cmp_lt_f32_e64 vcc, |v3|, s14
	s_nop 1
	v_cndmask_b32_e32 v3, v3, v9, vcc
	v_sub_f32_e32 v3, v3, v6
	v_cmp_lt_f32_e32 vcc, s12, v8
	s_nop 1
	v_cndmask_b32_e32 v3, v3, v8, vcc
	v_mul_f32_e32 v6, 0x4f800000, v3
	v_cmp_gt_f32_e64 s[4:5], s16, v3
	s_and_b64 vcc, exec, s[2:3]
	s_nop 0
	v_cndmask_b32_e64 v3, v3, v6, s[4:5]
	v_sqrt_f32_e32 v6, v3
	s_nop 0
	v_add_u32_e32 v7, -1, v6
	v_add_u32_e32 v8, 1, v6
	v_fma_f32 v9, -v7, v6, v3
	v_fma_f32 v10, -v8, v6, v3
	v_cmp_ge_f32_e64 s[6:7], 0, v9
	s_nop 1
	v_cndmask_b32_e64 v6, v6, v7, s[6:7]
	v_cmp_lt_f32_e64 s[6:7], 0, v10
	s_nop 1
	v_cndmask_b32_e64 v6, v6, v8, s[6:7]
	v_mul_f32_e32 v7, 0x37800000, v6
	v_cndmask_b32_e64 v6, v6, v7, s[4:5]
	v_cmp_class_f32_e64 s[4:5], v3, v5
	s_nop 1
	v_cndmask_b32_e64 v5, v6, v3, s[4:5]
	s_cbranch_vccnz .LBB159_24
; %bb.23:
	global_load_dword v3, v2, s[10:11] offset:1028
	s_waitcnt vmcnt(0)
	v_add_f32_e32 v5, v5, v3
.LBB159_24:
	scratch_load_dword v7, off, off offset:40
	s_waitcnt vmcnt(0)
	v_mul_f32_e32 v3, 0x3fb8aa3b, v7
	v_exp_f32_e32 v6, v3
	v_mov_b32_e32 v3, 0x4f800000
	scratch_store_dword off, v5, off offset:36
	v_mov_b32_e32 v5, 0x260
	v_add_f32_e32 v6, 1.0, v6
	v_cmp_gt_f32_e32 vcc, s15, v6
	s_nop 1
	v_cndmask_b32_e32 v8, 1.0, v3, vcc
	v_mul_f32_e32 v6, v6, v8
	v_log_f32_e32 v8, v6
	v_mov_b32_e32 v6, 0x41b17218
	v_cndmask_b32_e32 v9, 0, v6, vcc
	v_mul_f32_e32 v10, 0x3f317217, v8
	v_fma_f32 v10, v8, s13, -v10
	v_fmac_f32_e32 v10, 0x3377d1cf, v8
	v_fmac_f32_e32 v10, 0x3f317217, v8
	v_cmp_lt_f32_e64 vcc, |v8|, s14
	s_nop 1
	v_cndmask_b32_e32 v8, v8, v10, vcc
	v_sub_f32_e32 v8, v8, v9
	v_cmp_lt_f32_e32 vcc, s12, v7
	s_nop 1
	v_cndmask_b32_e32 v7, v8, v7, vcc
	v_mul_f32_e32 v8, 0x4f800000, v7
	v_cmp_gt_f32_e64 s[4:5], s16, v7
	s_and_b64 vcc, exec, s[2:3]
	s_nop 0
	v_cndmask_b32_e64 v7, v7, v8, s[4:5]
	v_sqrt_f32_e32 v8, v7
	s_nop 0
	v_add_u32_e32 v9, -1, v8
	v_add_u32_e32 v10, 1, v8
	v_fma_f32 v11, -v9, v8, v7
	v_fma_f32 v12, -v10, v8, v7
	v_cmp_ge_f32_e64 s[6:7], 0, v11
	s_nop 1
	v_cndmask_b32_e64 v8, v8, v9, s[6:7]
	v_cmp_lt_f32_e64 s[6:7], 0, v12
	s_nop 1
	v_cndmask_b32_e64 v8, v8, v10, s[6:7]
	v_mul_f32_e32 v9, 0x37800000, v8
	v_cndmask_b32_e64 v8, v8, v9, s[4:5]
	v_cmp_class_f32_e64 s[4:5], v7, v5
	s_nop 1
	v_cndmask_b32_e64 v7, v8, v7, s[4:5]
	s_cbranch_vccnz .LBB159_26
; %bb.25:
	global_load_dword v8, v2, s[10:11] offset:1032
	s_waitcnt vmcnt(0)
	v_add_f32_e32 v7, v7, v8
.LBB159_26:
	scratch_load_dword v8, off, off offset:44
	s_waitcnt vmcnt(0)
	v_mul_f32_e32 v9, 0x3fb8aa3b, v8
	v_exp_f32_e32 v9, v9
	scratch_store_dword off, v7, off offset:40
	v_add_f32_e32 v9, 1.0, v9
	v_cmp_gt_f32_e32 vcc, s15, v9
	s_nop 1
	v_cndmask_b32_e32 v3, 1.0, v3, vcc
	v_mul_f32_e32 v3, v9, v3
	v_log_f32_e32 v3, v3
	v_cndmask_b32_e32 v6, 0, v6, vcc
	v_mul_f32_e32 v9, 0x3f317217, v3
	v_fma_f32 v9, v3, s13, -v9
	v_fmac_f32_e32 v9, 0x3377d1cf, v3
	v_fmac_f32_e32 v9, 0x3f317217, v3
	v_cmp_lt_f32_e64 vcc, |v3|, s14
	s_nop 1
	v_cndmask_b32_e32 v3, v3, v9, vcc
	v_sub_f32_e32 v3, v3, v6
	v_cmp_lt_f32_e32 vcc, s12, v8
	s_nop 1
	v_cndmask_b32_e32 v3, v3, v8, vcc
	v_mul_f32_e32 v6, 0x4f800000, v3
	v_cmp_gt_f32_e64 s[4:5], s16, v3
	s_and_b64 vcc, exec, s[2:3]
	s_nop 0
	v_cndmask_b32_e64 v3, v3, v6, s[4:5]
	v_sqrt_f32_e32 v6, v3
	s_nop 0
	v_add_u32_e32 v7, -1, v6
	v_add_u32_e32 v8, 1, v6
	v_fma_f32 v9, -v7, v6, v3
	v_fma_f32 v10, -v8, v6, v3
	v_cmp_ge_f32_e64 s[6:7], 0, v9
	s_nop 1
	v_cndmask_b32_e64 v6, v6, v7, s[6:7]
	v_cmp_lt_f32_e64 s[6:7], 0, v10
	s_nop 1
	v_cndmask_b32_e64 v6, v6, v8, s[6:7]
	v_mul_f32_e32 v7, 0x37800000, v6
	v_cndmask_b32_e64 v6, v6, v7, s[4:5]
	v_cmp_class_f32_e64 s[4:5], v3, v5
	s_nop 1
	v_cndmask_b32_e64 v5, v6, v3, s[4:5]
	s_cbranch_vccnz .LBB159_28
; %bb.27:
	global_load_dword v3, v2, s[10:11] offset:1036
	s_waitcnt vmcnt(0)
	v_add_f32_e32 v5, v5, v3
.LBB159_28:
	scratch_load_dword v7, off, off offset:48
	s_waitcnt vmcnt(0)
	v_mul_f32_e32 v3, 0x3fb8aa3b, v7
	v_exp_f32_e32 v6, v3
	v_mov_b32_e32 v3, 0x4f800000
	scratch_store_dword off, v5, off offset:44
	v_mov_b32_e32 v5, 0x260
	v_add_f32_e32 v6, 1.0, v6
	v_cmp_gt_f32_e32 vcc, s15, v6
	s_nop 1
	v_cndmask_b32_e32 v8, 1.0, v3, vcc
	v_mul_f32_e32 v6, v6, v8
	v_log_f32_e32 v8, v6
	v_mov_b32_e32 v6, 0x41b17218
	v_cndmask_b32_e32 v9, 0, v6, vcc
	v_mul_f32_e32 v10, 0x3f317217, v8
	v_fma_f32 v10, v8, s13, -v10
	v_fmac_f32_e32 v10, 0x3377d1cf, v8
	v_fmac_f32_e32 v10, 0x3f317217, v8
	v_cmp_lt_f32_e64 vcc, |v8|, s14
	s_nop 1
	v_cndmask_b32_e32 v8, v8, v10, vcc
	v_sub_f32_e32 v8, v8, v9
	v_cmp_lt_f32_e32 vcc, s12, v7
	s_nop 1
	v_cndmask_b32_e32 v7, v8, v7, vcc
	v_mul_f32_e32 v8, 0x4f800000, v7
	v_cmp_gt_f32_e64 s[4:5], s16, v7
	s_and_b64 vcc, exec, s[2:3]
	s_nop 0
	v_cndmask_b32_e64 v7, v7, v8, s[4:5]
	v_sqrt_f32_e32 v8, v7
	s_nop 0
	v_add_u32_e32 v9, -1, v8
	v_add_u32_e32 v10, 1, v8
	v_fma_f32 v11, -v9, v8, v7
	v_fma_f32 v12, -v10, v8, v7
	v_cmp_ge_f32_e64 s[6:7], 0, v11
	s_nop 1
	v_cndmask_b32_e64 v8, v8, v9, s[6:7]
	v_cmp_lt_f32_e64 s[6:7], 0, v12
	s_nop 1
	v_cndmask_b32_e64 v8, v8, v10, s[6:7]
	v_mul_f32_e32 v9, 0x37800000, v8
	v_cndmask_b32_e64 v8, v8, v9, s[4:5]
	v_cmp_class_f32_e64 s[4:5], v7, v5
	s_nop 1
	v_cndmask_b32_e64 v7, v8, v7, s[4:5]
	s_cbranch_vccnz .LBB159_30
; %bb.29:
	global_load_dword v8, v2, s[10:11] offset:1536
	s_waitcnt vmcnt(0)
	v_add_f32_e32 v7, v7, v8
.LBB159_30:
	scratch_load_dword v8, off, off offset:52
	s_waitcnt vmcnt(0)
	v_mul_f32_e32 v9, 0x3fb8aa3b, v8
	v_exp_f32_e32 v9, v9
	scratch_store_dword off, v7, off offset:48
	v_add_f32_e32 v9, 1.0, v9
	v_cmp_gt_f32_e32 vcc, s15, v9
	s_nop 1
	v_cndmask_b32_e32 v3, 1.0, v3, vcc
	v_mul_f32_e32 v3, v9, v3
	v_log_f32_e32 v3, v3
	v_cndmask_b32_e32 v6, 0, v6, vcc
	v_mul_f32_e32 v9, 0x3f317217, v3
	v_fma_f32 v9, v3, s13, -v9
	v_fmac_f32_e32 v9, 0x3377d1cf, v3
	v_fmac_f32_e32 v9, 0x3f317217, v3
	v_cmp_lt_f32_e64 vcc, |v3|, s14
	s_nop 1
	v_cndmask_b32_e32 v3, v3, v9, vcc
	v_sub_f32_e32 v3, v3, v6
	v_cmp_lt_f32_e32 vcc, s12, v8
	s_nop 1
	v_cndmask_b32_e32 v3, v3, v8, vcc
	v_mul_f32_e32 v6, 0x4f800000, v3
	v_cmp_gt_f32_e64 s[4:5], s16, v3
	s_and_b64 vcc, exec, s[2:3]
	s_nop 0
	v_cndmask_b32_e64 v3, v3, v6, s[4:5]
	v_sqrt_f32_e32 v6, v3
	s_nop 0
	v_add_u32_e32 v7, -1, v6
	v_add_u32_e32 v8, 1, v6
	v_fma_f32 v9, -v7, v6, v3
	v_fma_f32 v10, -v8, v6, v3
	v_cmp_ge_f32_e64 s[6:7], 0, v9
	s_nop 1
	v_cndmask_b32_e64 v6, v6, v7, s[6:7]
	v_cmp_lt_f32_e64 s[6:7], 0, v10
	s_nop 1
	v_cndmask_b32_e64 v6, v6, v8, s[6:7]
	v_mul_f32_e32 v7, 0x37800000, v6
	v_cndmask_b32_e64 v6, v6, v7, s[4:5]
	v_cmp_class_f32_e64 s[4:5], v3, v5
	s_nop 1
	v_cndmask_b32_e64 v5, v6, v3, s[4:5]
	s_cbranch_vccnz .LBB159_32
; %bb.31:
	global_load_dword v3, v2, s[10:11] offset:1540
	s_waitcnt vmcnt(0)
	v_add_f32_e32 v5, v5, v3
.LBB159_32:
	scratch_load_dword v7, off, off offset:56
	s_waitcnt vmcnt(0)
	v_mul_f32_e32 v3, 0x3fb8aa3b, v7
	v_exp_f32_e32 v6, v3
	v_mov_b32_e32 v3, 0x4f800000
	scratch_store_dword off, v5, off offset:52
	v_mov_b32_e32 v5, 0x260
	v_add_f32_e32 v6, 1.0, v6
	v_cmp_gt_f32_e32 vcc, s15, v6
	s_nop 1
	v_cndmask_b32_e32 v8, 1.0, v3, vcc
	v_mul_f32_e32 v6, v6, v8
	v_log_f32_e32 v8, v6
	v_mov_b32_e32 v6, 0x41b17218
	v_cndmask_b32_e32 v9, 0, v6, vcc
	v_mul_f32_e32 v10, 0x3f317217, v8
	v_fma_f32 v10, v8, s13, -v10
	v_fmac_f32_e32 v10, 0x3377d1cf, v8
	v_fmac_f32_e32 v10, 0x3f317217, v8
	v_cmp_lt_f32_e64 vcc, |v8|, s14
	s_nop 1
	v_cndmask_b32_e32 v8, v8, v10, vcc
	v_sub_f32_e32 v8, v8, v9
	v_cmp_lt_f32_e32 vcc, s12, v7
	s_nop 1
	v_cndmask_b32_e32 v7, v8, v7, vcc
	v_mul_f32_e32 v8, 0x4f800000, v7
	v_cmp_gt_f32_e64 s[4:5], s16, v7
	s_and_b64 vcc, exec, s[2:3]
	s_nop 0
	v_cndmask_b32_e64 v7, v7, v8, s[4:5]
	v_sqrt_f32_e32 v8, v7
	s_nop 0
	v_add_u32_e32 v9, -1, v8
	v_add_u32_e32 v10, 1, v8
	v_fma_f32 v11, -v9, v8, v7
	v_fma_f32 v12, -v10, v8, v7
	v_cmp_ge_f32_e64 s[6:7], 0, v11
	s_nop 1
	v_cndmask_b32_e64 v8, v8, v9, s[6:7]
	v_cmp_lt_f32_e64 s[6:7], 0, v12
	s_nop 1
	v_cndmask_b32_e64 v8, v8, v10, s[6:7]
	v_mul_f32_e32 v9, 0x37800000, v8
	v_cndmask_b32_e64 v8, v8, v9, s[4:5]
	v_cmp_class_f32_e64 s[4:5], v7, v5
	s_nop 1
	v_cndmask_b32_e64 v7, v8, v7, s[4:5]
	s_cbranch_vccnz .LBB159_34
; %bb.33:
	global_load_dword v8, v2, s[10:11] offset:1544
	s_waitcnt vmcnt(0)
	v_add_f32_e32 v7, v7, v8
.LBB159_34:
	scratch_load_dword v8, off, off offset:60
	s_waitcnt vmcnt(0)
	v_mul_f32_e32 v9, 0x3fb8aa3b, v8
	v_exp_f32_e32 v9, v9
	scratch_store_dword off, v7, off offset:56
	v_add_f32_e32 v9, 1.0, v9
	v_cmp_gt_f32_e32 vcc, s15, v9
	s_nop 1
	v_cndmask_b32_e32 v3, 1.0, v3, vcc
	v_mul_f32_e32 v3, v9, v3
	v_log_f32_e32 v3, v3
	v_cndmask_b32_e32 v6, 0, v6, vcc
	v_mul_f32_e32 v9, 0x3f317217, v3
	v_fma_f32 v9, v3, s13, -v9
	v_fmac_f32_e32 v9, 0x3377d1cf, v3
	v_fmac_f32_e32 v9, 0x3f317217, v3
	v_cmp_lt_f32_e64 vcc, |v3|, s14
	s_nop 1
	v_cndmask_b32_e32 v3, v3, v9, vcc
	v_sub_f32_e32 v3, v3, v6
	v_cmp_lt_f32_e32 vcc, s12, v8
	s_nop 1
	v_cndmask_b32_e32 v3, v3, v8, vcc
	v_mul_f32_e32 v6, 0x4f800000, v3
	v_cmp_gt_f32_e64 s[4:5], s16, v3
	s_and_b64 vcc, exec, s[2:3]
	s_nop 0
	v_cndmask_b32_e64 v3, v3, v6, s[4:5]
	v_sqrt_f32_e32 v6, v3
	s_nop 0
	v_add_u32_e32 v7, -1, v6
	v_add_u32_e32 v8, 1, v6
	v_fma_f32 v9, -v7, v6, v3
	v_fma_f32 v10, -v8, v6, v3
	v_cmp_ge_f32_e64 s[6:7], 0, v9
	s_nop 1
	v_cndmask_b32_e64 v6, v6, v7, s[6:7]
	v_cmp_lt_f32_e64 s[6:7], 0, v10
	s_nop 1
	v_cndmask_b32_e64 v6, v6, v8, s[6:7]
	v_mul_f32_e32 v7, 0x37800000, v6
	v_cndmask_b32_e64 v6, v6, v7, s[4:5]
	v_cmp_class_f32_e64 s[4:5], v3, v5
	s_nop 1
	v_cndmask_b32_e64 v3, v6, v3, s[4:5]
	s_cbranch_vccnz .LBB159_36
; %bb.35:
	global_load_dword v2, v2, s[10:11] offset:1548
	s_waitcnt vmcnt(0)
	v_add_f32_e32 v3, v3, v2
.LBB159_36:
	s_load_dwordx4 s[12:15], s[0:1], 0x30
	s_mov_b32 s31, 0
	v_cmp_eq_u32_e64 s[6:7], 0, v1
	scratch_store_dword off, v3, off offset:60
	s_waitcnt lgkmcnt(0)
	s_bitcmp1_b32 s15, 0
	s_cselect_b64 s[4:5], -1, 0
	s_cmp_gt_i32 s12, 0
	s_cselect_b64 s[24:25], -1, 0
	s_and_b64 vcc, exec, s[24:25]
	s_cbranch_vccz .LBB159_65
; %bb.37:
	v_mbcnt_lo_u32_b32 v2, -1, 0
	v_mbcnt_hi_u32_b32 v2, -1, v2
	v_and_b32_e32 v3, 0x60, v2
	v_add_u32_e32 v3, 32, v3
	v_xor_b32_e32 v5, 16, v2
	v_cmp_lt_i32_e32 vcc, v5, v3
	s_load_dwordx4 s[16:19], s[0:1], 0x20
	v_mul_lo_u32 v6, v0, s12
	v_cndmask_b32_e32 v5, v2, v5, vcc
	v_lshlrev_b32_e32 v7, 2, v5
	v_xor_b32_e32 v5, 8, v2
	v_cmp_lt_i32_e32 vcc, v5, v3
	v_mov_b32_e32 v12, 0x80
	v_mov_b32_e32 v13, 0x81
	v_cndmask_b32_e32 v5, v2, v5, vcc
	v_lshlrev_b32_e32 v8, 2, v5
	v_xor_b32_e32 v5, 4, v2
	v_cmp_lt_i32_e32 vcc, v5, v3
	v_mov_b32_e32 v14, 0x82
	v_mov_b32_e32 v15, 0x83
	;; [unrolled: 6-line block ×3, first 2 shown]
	v_cndmask_b32_e32 v5, v2, v5, vcc
	v_lshlrev_b32_e32 v10, 2, v5
	v_xor_b32_e32 v5, 1, v2
	v_cmp_lt_i32_e32 vcc, v5, v3
	v_bfrev_b32_e32 v18, 4.0
	v_bfrev_b32_e32 v19, -4.0
	v_cndmask_b32_e32 v2, v2, v5, vcc
	v_lshlrev_b32_e32 v11, 2, v2
	v_mov_b32_e32 v5, 0
	v_mov_b32_e32 v20, 0x180
	;; [unrolled: 1-line block ×9, first 2 shown]
	s_branch .LBB159_39
.LBB159_38:                             ;   in Loop: Header=BB159_39 Depth=1
	s_or_b64 exec, exec, s[0:1]
	s_cmp_eq_u32 s12, s31
	v_add_u32_e32 v27, s30, v27
	s_cbranch_scc1 .LBB159_66
.LBB159_39:                             ; =>This Inner Loop Header: Depth=1
	scratch_load_dwordx4 v[28:31], off, off
	scratch_load_dwordx4 v[32:35], off, off offset:16
	scratch_load_dwordx4 v[36:39], off, off offset:32
	;; [unrolled: 1-line block ×3, first 2 shown]
	s_waitcnt vmcnt(3)
	v_cmp_gt_f32_e32 vcc, v29, v28
	s_nop 1
	v_cndmask_b32_e32 v3, v28, v29, vcc
	v_cndmask_b32_e64 v2, 0, 1, vcc
	v_cmp_gt_f32_e32 vcc, v30, v3
	s_nop 1
	v_cndmask_b32_e32 v3, v3, v30, vcc
	v_cndmask_b32_e64 v2, v2, 2, vcc
	;; [unrolled: 4-line block ×3, first 2 shown]
	s_waitcnt vmcnt(2)
	v_cmp_gt_f32_e32 vcc, v32, v3
	s_nop 1
	v_cndmask_b32_e32 v3, v3, v32, vcc
	v_cndmask_b32_e32 v2, v2, v12, vcc
	v_cmp_gt_f32_e32 vcc, v33, v3
	s_nop 1
	v_cndmask_b32_e32 v3, v3, v33, vcc
	v_cndmask_b32_e32 v2, v2, v13, vcc
	v_cmp_gt_f32_e32 vcc, v34, v3
	s_nop 1
	v_cndmask_b32_e32 v3, v3, v34, vcc
	v_cndmask_b32_e32 v2, v2, v14, vcc
	v_cmp_gt_f32_e32 vcc, v35, v3
	s_nop 1
	v_cndmask_b32_e32 v3, v3, v35, vcc
	v_cndmask_b32_e32 v2, v2, v15, vcc
	s_waitcnt vmcnt(1)
	v_cmp_gt_f32_e32 vcc, v36, v3
	s_nop 1
	v_cndmask_b32_e32 v3, v3, v36, vcc
	v_cndmask_b32_e32 v2, v2, v16, vcc
	v_cmp_gt_f32_e32 vcc, v37, v3
	s_nop 1
	v_cndmask_b32_e32 v3, v3, v37, vcc
	v_cndmask_b32_e32 v2, v2, v17, vcc
	v_cmp_gt_f32_e32 vcc, v38, v3
	s_nop 1
	v_cndmask_b32_e32 v3, v3, v38, vcc
	v_cndmask_b32_e32 v2, v2, v18, vcc
	v_cmp_gt_f32_e32 vcc, v39, v3
	s_nop 1
	v_cndmask_b32_e32 v3, v3, v39, vcc
	v_cndmask_b32_e32 v2, v2, v19, vcc
	;; [unrolled: 17-line block ×3, first 2 shown]
	ds_bpermute_b32 v3, v7, v28
	v_or_b32_e32 v2, v4, v2
	ds_bpermute_b32 v29, v7, v2
	s_waitcnt lgkmcnt(0)
	v_cmp_lt_f32_e64 s[26:27], v28, v3
	v_cmp_nlt_f32_e32 vcc, v28, v3
	s_and_saveexec_b64 s[28:29], vcc
; %bb.40:                               ;   in Loop: Header=BB159_39 Depth=1
	v_cmp_eq_f32_e32 vcc, v28, v3
	v_cmp_lt_i32_e64 s[0:1], v29, v2
	s_and_b64 s[0:1], vcc, s[0:1]
	s_andn2_b64 s[26:27], s[26:27], exec
	s_and_b64 s[0:1], s[0:1], exec
	s_or_b64 s[26:27], s[26:27], s[0:1]
; %bb.41:                               ;   in Loop: Header=BB159_39 Depth=1
	s_or_b64 exec, exec, s[28:29]
	s_and_saveexec_b64 s[0:1], s[26:27]
; %bb.42:                               ;   in Loop: Header=BB159_39 Depth=1
	v_mov_b32_e32 v28, v3
	v_mov_b32_e32 v2, v29
; %bb.43:                               ;   in Loop: Header=BB159_39 Depth=1
	s_or_b64 exec, exec, s[0:1]
	ds_bpermute_b32 v3, v8, v28
	ds_bpermute_b32 v29, v8, v2
	s_waitcnt lgkmcnt(1)
	v_cmp_lt_f32_e64 s[26:27], v28, v3
	v_cmp_nlt_f32_e32 vcc, v28, v3
	s_and_saveexec_b64 s[28:29], vcc
	s_cbranch_execz .LBB159_45
; %bb.44:                               ;   in Loop: Header=BB159_39 Depth=1
	v_cmp_eq_f32_e32 vcc, v28, v3
	s_waitcnt lgkmcnt(0)
	v_cmp_lt_i32_e64 s[0:1], v29, v2
	s_and_b64 s[0:1], vcc, s[0:1]
	s_andn2_b64 s[26:27], s[26:27], exec
	s_and_b64 s[0:1], s[0:1], exec
	s_or_b64 s[26:27], s[26:27], s[0:1]
.LBB159_45:                             ;   in Loop: Header=BB159_39 Depth=1
	s_or_b64 exec, exec, s[28:29]
	s_and_saveexec_b64 s[0:1], s[26:27]
	s_cbranch_execz .LBB159_47
; %bb.46:                               ;   in Loop: Header=BB159_39 Depth=1
	v_mov_b32_e32 v28, v3
	s_waitcnt lgkmcnt(0)
	v_mov_b32_e32 v2, v29
.LBB159_47:                             ;   in Loop: Header=BB159_39 Depth=1
	s_or_b64 exec, exec, s[0:1]
	ds_bpermute_b32 v3, v9, v28
	s_waitcnt lgkmcnt(1)
	ds_bpermute_b32 v29, v9, v2
	s_waitcnt lgkmcnt(1)
	v_cmp_lt_f32_e64 s[26:27], v28, v3
	v_cmp_nlt_f32_e32 vcc, v28, v3
	s_and_saveexec_b64 s[28:29], vcc
	s_cbranch_execz .LBB159_49
; %bb.48:                               ;   in Loop: Header=BB159_39 Depth=1
	v_cmp_eq_f32_e32 vcc, v28, v3
	s_waitcnt lgkmcnt(0)
	v_cmp_lt_i32_e64 s[0:1], v29, v2
	s_and_b64 s[0:1], vcc, s[0:1]
	s_andn2_b64 s[26:27], s[26:27], exec
	s_and_b64 s[0:1], s[0:1], exec
	s_or_b64 s[26:27], s[26:27], s[0:1]
.LBB159_49:                             ;   in Loop: Header=BB159_39 Depth=1
	s_or_b64 exec, exec, s[28:29]
	s_and_saveexec_b64 s[0:1], s[26:27]
	s_cbranch_execz .LBB159_51
; %bb.50:                               ;   in Loop: Header=BB159_39 Depth=1
	v_mov_b32_e32 v28, v3
	s_waitcnt lgkmcnt(0)
	v_mov_b32_e32 v2, v29
.LBB159_51:                             ;   in Loop: Header=BB159_39 Depth=1
	s_or_b64 exec, exec, s[0:1]
	ds_bpermute_b32 v3, v10, v28
	s_waitcnt lgkmcnt(1)
	ds_bpermute_b32 v29, v10, v2
	s_waitcnt lgkmcnt(1)
	v_cmp_lt_f32_e64 s[26:27], v28, v3
	v_cmp_nlt_f32_e32 vcc, v28, v3
	s_and_saveexec_b64 s[28:29], vcc
	s_cbranch_execz .LBB159_53
; %bb.52:                               ;   in Loop: Header=BB159_39 Depth=1
	v_cmp_eq_f32_e32 vcc, v28, v3
	s_waitcnt lgkmcnt(0)
	v_cmp_lt_i32_e64 s[0:1], v29, v2
	s_and_b64 s[0:1], vcc, s[0:1]
	s_andn2_b64 s[26:27], s[26:27], exec
	s_and_b64 s[0:1], s[0:1], exec
	s_or_b64 s[26:27], s[26:27], s[0:1]
.LBB159_53:                             ;   in Loop: Header=BB159_39 Depth=1
	s_or_b64 exec, exec, s[28:29]
	s_and_saveexec_b64 s[0:1], s[26:27]
	s_cbranch_execz .LBB159_55
; %bb.54:                               ;   in Loop: Header=BB159_39 Depth=1
	v_mov_b32_e32 v28, v3
	s_waitcnt lgkmcnt(0)
	v_mov_b32_e32 v2, v29
.LBB159_55:                             ;   in Loop: Header=BB159_39 Depth=1
	s_or_b64 exec, exec, s[0:1]
	ds_bpermute_b32 v3, v11, v28
	s_waitcnt lgkmcnt(1)
	ds_bpermute_b32 v29, v11, v2
	s_waitcnt lgkmcnt(1)
	v_cmp_lt_f32_e64 s[26:27], v28, v3
	v_cmp_nlt_f32_e32 vcc, v28, v3
	s_and_saveexec_b64 s[28:29], vcc
	s_cbranch_execnz .LBB159_58
; %bb.56:                               ;   in Loop: Header=BB159_39 Depth=1
	s_or_b64 exec, exec, s[28:29]
	s_and_saveexec_b64 s[0:1], s[26:27]
	s_cbranch_execnz .LBB159_59
.LBB159_57:                             ;   in Loop: Header=BB159_39 Depth=1
	s_or_b64 exec, exec, s[0:1]
	s_and_saveexec_b64 s[26:27], s[6:7]
	s_cbranch_execnz .LBB159_60
	s_branch .LBB159_63
.LBB159_58:                             ;   in Loop: Header=BB159_39 Depth=1
	v_cmp_eq_f32_e32 vcc, v28, v3
	s_waitcnt lgkmcnt(0)
	v_cmp_lt_i32_e64 s[0:1], v29, v2
	s_and_b64 s[0:1], vcc, s[0:1]
	s_andn2_b64 s[26:27], s[26:27], exec
	s_and_b64 s[0:1], s[0:1], exec
	s_or_b64 s[26:27], s[26:27], s[0:1]
	s_or_b64 exec, exec, s[28:29]
	s_and_saveexec_b64 s[0:1], s[26:27]
	s_cbranch_execz .LBB159_57
.LBB159_59:                             ;   in Loop: Header=BB159_39 Depth=1
	s_waitcnt lgkmcnt(0)
	v_mov_b32_e32 v2, v29
	v_mov_b32_e32 v28, v3
	s_or_b64 exec, exec, s[0:1]
	s_and_saveexec_b64 s[26:27], s[6:7]
	s_cbranch_execz .LBB159_63
.LBB159_60:                             ;   in Loop: Header=BB159_39 Depth=1
	s_and_b64 vcc, exec, s[2:3]
	s_cbranch_vccnz .LBB159_62
; %bb.61:                               ;   in Loop: Header=BB159_39 Depth=1
	v_ashrrev_i32_e32 v3, 31, v2
	v_lshl_add_u64 v[30:31], v[2:3], 2, s[10:11]
	global_load_dword v3, v[30:31], off
	s_waitcnt vmcnt(0)
	v_sub_f32_e32 v28, v28, v3
.LBB159_62:                             ;   in Loop: Header=BB159_39 Depth=1
	v_add_u32_e32 v30, s31, v6
	v_cmp_le_i32_e32 vcc, s13, v2
	v_cmp_gt_i32_e64 s[0:1], s14, v2
	v_ashrrev_i32_e32 v31, 31, v30
	s_and_b64 s[0:1], vcc, s[0:1]
	v_lshlrev_b64 v[32:33], 2, v[30:31]
	v_subrev_u32_e32 v3, s13, v2
	v_lshl_add_u64 v[34:35], s[20:21], 0, v[32:33]
	s_waitcnt lgkmcnt(0)
	v_ashrrev_i32_e32 v29, 31, v3
	s_and_b64 vcc, s[22:23], s[0:1]
	global_store_dword v[34:35], v28, off
	v_cndmask_b32_e32 v35, 0, v29, vcc
	v_cndmask_b32_e32 v34, v26, v3, vcc
	v_lshl_add_u64 v[30:31], v[30:31], 3, s[16:17]
	v_add_f32_e32 v3, v5, v28
	global_store_dwordx2 v[30:31], v[34:35], off
	v_lshl_add_u64 v[30:31], s[18:19], 0, v[32:33]
	v_cndmask_b32_e64 v5, v5, v3, s[4:5]
	global_store_dword v[30:31], v27, off
.LBB159_63:                             ;   in Loop: Header=BB159_39 Depth=1
	s_or_b64 exec, exec, s[26:27]
	v_ashrrev_i32_e32 v28, 31, v2
	v_lshrrev_b32_e32 v3, 30, v28
	s_waitcnt lgkmcnt(0)
	v_add_u32_e32 v29, v2, v3
	v_ashrrev_i32_e32 v3, 2, v29
	v_ashrrev_i32_e32 v29, 31, v29
	v_lshrrev_b32_e32 v29, 27, v29
	v_add_u32_e32 v29, v3, v29
	s_add_i32 s31, s31, 1
	v_and_b32_e32 v29, 0xffffffe0, v29
	s_cmp_lt_i32 s31, s12
	v_sub_u32_e32 v29, v3, v29
	s_cselect_b64 s[0:1], -1, 0
	v_cmp_eq_u32_e32 vcc, v1, v29
	s_and_b64 s[26:27], s[0:1], vcc
	s_and_saveexec_b64 s[0:1], s[26:27]
	s_cbranch_execz .LBB159_38
; %bb.64:                               ;   in Loop: Header=BB159_39 Depth=1
	v_lshrrev_b32_e32 v28, 25, v28
	v_add_u32_e32 v28, v2, v28
	v_lshlrev_b32_e32 v3, 2, v3
	v_ashrrev_i32_e32 v28, 7, v28
	v_sub_u32_e32 v2, v2, v3
	v_lshl_add_u32 v2, v28, 2, v2
	v_lshl_add_u32 v2, v2, 2, v24
	scratch_store_dword v2, v25, off
	s_branch .LBB159_38
.LBB159_65:
	v_mov_b32_e32 v5, 0
.LBB159_66:
	v_cmp_eq_u32_e32 vcc, 0, v1
	s_and_b64 exec, exec, vcc
	s_cbranch_execz .LBB159_79
; %bb.67:
	s_andn2_b64 vcc, exec, s[4:5]
	v_cvt_f32_f64_e32 v2, s[8:9]
	s_cbranch_vccnz .LBB159_69
; %bb.68:
	v_cmp_lt_f32_e32 vcc, 0, v5
	s_nop 1
	v_cndmask_b32_e32 v1, 1.0, v5, vcc
	v_div_scale_f32 v3, s[0:1], v1, v1, v2
	v_rcp_f32_e32 v4, v3
	s_nop 0
	v_fma_f32 v5, -v3, v4, 1.0
	v_fmac_f32_e32 v4, v5, v4
	v_div_scale_f32 v5, vcc, v2, v1, v2
	v_mul_f32_e32 v6, v5, v4
	v_fma_f32 v7, -v3, v6, v5
	v_fmac_f32_e32 v6, v7, v4
	v_fma_f32 v3, -v3, v6, v5
	v_div_fmas_f32 v3, v3, v4, v6
	v_div_fixup_f32 v2, v3, v1, v2
.LBB159_69:
	s_andn2_b64 vcc, exec, s[24:25]
	s_cbranch_vccnz .LBB159_79
; %bb.70:
	v_mul_lo_u32 v0, v0, s12
	s_cmp_gt_u32 s12, 3
	v_ashrrev_i32_e32 v1, 31, v0
	s_cbranch_scc0 .LBB159_74
; %bb.71:
	s_and_b32 s0, s12, 0x7ffffffc
	v_lshl_add_u64 v[4:5], v[0:1], 2, s[20:21]
	v_mov_b32_e32 v3, v2
	v_lshl_add_u64 v[4:5], v[4:5], 0, 8
	s_mov_b32 s1, s0
.LBB159_72:                             ; =>This Inner Loop Header: Depth=1
	global_load_dwordx4 v[6:9], v[4:5], off offset:-8
	s_add_i32 s1, s1, -4
	s_cmp_lg_u32 s1, 0
	s_waitcnt vmcnt(0)
	v_pk_mul_f32 v[6:7], v[2:3], v[6:7]
	v_pk_mul_f32 v[8:9], v[2:3], v[8:9]
	global_store_dwordx4 v[4:5], v[6:9], off offset:-8
	v_lshl_add_u64 v[4:5], v[4:5], 0, 16
	s_cbranch_scc1 .LBB159_72
; %bb.73:
	s_cmp_lg_u32 s0, s12
	s_cselect_b64 s[2:3], -1, 0
	s_branch .LBB159_76
.LBB159_74:
	s_mov_b64 s[2:3], 0
                                        ; implicit-def: $sgpr0
	s_cbranch_execz .LBB159_76
; %bb.75:
	s_mov_b64 s[2:3], -1
	s_mov_b32 s0, 0
.LBB159_76:
	s_andn2_b64 vcc, exec, s[2:3]
	s_cbranch_vccnz .LBB159_79
; %bb.77:
	s_mov_b32 s1, 0
	v_lshl_add_u64 v[0:1], v[0:1], 0, s[0:1]
	s_sub_i32 s2, s12, s0
	v_lshl_add_u64 v[0:1], v[0:1], 2, s[20:21]
.LBB159_78:                             ; =>This Inner Loop Header: Depth=1
	global_load_dword v3, v[0:1], off
	s_add_i32 s2, s2, -1
	s_cmp_lg_u32 s2, 0
	s_waitcnt vmcnt(0)
	v_mul_f32_e32 v3, v2, v3
	global_store_dword v[0:1], v3, off
	v_lshl_add_u64 v[0:1], v[0:1], 0, 4
	s_cbranch_scc1 .LBB159_78
.LBB159_79:
	s_endpgm
	.section	.rodata,"a",@progbits
	.p2align	6, 0x0
	.amdhsa_kernel _ZN4vllm3moe22topkGatingSoftplusSqrtILi16ELi512ELi4ELi16ELi32ELb0ElfEEvPKT6_PKbPfiPT5_PiiiibdPKfPKS8_SE_
		.amdhsa_group_segment_fixed_size 0
		.amdhsa_private_segment_fixed_size 80
		.amdhsa_kernarg_size 96
		.amdhsa_user_sgpr_count 2
		.amdhsa_user_sgpr_dispatch_ptr 0
		.amdhsa_user_sgpr_queue_ptr 0
		.amdhsa_user_sgpr_kernarg_segment_ptr 1
		.amdhsa_user_sgpr_dispatch_id 0
		.amdhsa_user_sgpr_kernarg_preload_length 0
		.amdhsa_user_sgpr_kernarg_preload_offset 0
		.amdhsa_user_sgpr_private_segment_size 0
		.amdhsa_uses_dynamic_stack 0
		.amdhsa_enable_private_segment 1
		.amdhsa_system_sgpr_workgroup_id_x 1
		.amdhsa_system_sgpr_workgroup_id_y 0
		.amdhsa_system_sgpr_workgroup_id_z 0
		.amdhsa_system_sgpr_workgroup_info 0
		.amdhsa_system_vgpr_workitem_id 1
		.amdhsa_next_free_vgpr 44
		.amdhsa_next_free_sgpr 32
		.amdhsa_accum_offset 44
		.amdhsa_reserve_vcc 1
		.amdhsa_float_round_mode_32 0
		.amdhsa_float_round_mode_16_64 0
		.amdhsa_float_denorm_mode_32 3
		.amdhsa_float_denorm_mode_16_64 3
		.amdhsa_dx10_clamp 1
		.amdhsa_ieee_mode 1
		.amdhsa_fp16_overflow 0
		.amdhsa_tg_split 0
		.amdhsa_exception_fp_ieee_invalid_op 0
		.amdhsa_exception_fp_denorm_src 0
		.amdhsa_exception_fp_ieee_div_zero 0
		.amdhsa_exception_fp_ieee_overflow 0
		.amdhsa_exception_fp_ieee_underflow 0
		.amdhsa_exception_fp_ieee_inexact 0
		.amdhsa_exception_int_div_zero 0
	.end_amdhsa_kernel
	.section	.text._ZN4vllm3moe22topkGatingSoftplusSqrtILi16ELi512ELi4ELi16ELi32ELb0ElfEEvPKT6_PKbPfiPT5_PiiiibdPKfPKS8_SE_,"axG",@progbits,_ZN4vllm3moe22topkGatingSoftplusSqrtILi16ELi512ELi4ELi16ELi32ELb0ElfEEvPKT6_PKbPfiPT5_PiiiibdPKfPKS8_SE_,comdat
.Lfunc_end159:
	.size	_ZN4vllm3moe22topkGatingSoftplusSqrtILi16ELi512ELi4ELi16ELi32ELb0ElfEEvPKT6_PKbPfiPT5_PiiiibdPKfPKS8_SE_, .Lfunc_end159-_ZN4vllm3moe22topkGatingSoftplusSqrtILi16ELi512ELi4ELi16ELi32ELb0ElfEEvPKT6_PKbPfiPT5_PiiiibdPKfPKS8_SE_
                                        ; -- End function
	.section	.AMDGPU.csdata,"",@progbits
; Kernel info:
; codeLenInByte = 6828
; NumSgprs: 38
; NumVgprs: 44
; NumAgprs: 0
; TotalNumVgprs: 44
; ScratchSize: 80
; MemoryBound: 0
; FloatMode: 240
; IeeeMode: 1
; LDSByteSize: 0 bytes/workgroup (compile time only)
; SGPRBlocks: 4
; VGPRBlocks: 5
; NumSGPRsForWavesPerEU: 38
; NumVGPRsForWavesPerEU: 44
; AccumOffset: 44
; Occupancy: 8
; WaveLimiterHint : 0
; COMPUTE_PGM_RSRC2:SCRATCH_EN: 1
; COMPUTE_PGM_RSRC2:USER_SGPR: 2
; COMPUTE_PGM_RSRC2:TRAP_HANDLER: 0
; COMPUTE_PGM_RSRC2:TGID_X_EN: 1
; COMPUTE_PGM_RSRC2:TGID_Y_EN: 0
; COMPUTE_PGM_RSRC2:TGID_Z_EN: 0
; COMPUTE_PGM_RSRC2:TIDIG_COMP_CNT: 1
; COMPUTE_PGM_RSRC3_GFX90A:ACCUM_OFFSET: 10
; COMPUTE_PGM_RSRC3_GFX90A:TG_SPLIT: 0
	.section	.text._ZN4vllm3moe22topkGatingSoftplusSqrtILi3ELi192ELi4ELi4ELi64ELb1ElfEEvPKT6_PKbPfiPT5_PiiiibdPKfPKS8_SE_,"axG",@progbits,_ZN4vllm3moe22topkGatingSoftplusSqrtILi3ELi192ELi4ELi4ELi64ELb1ElfEEvPKT6_PKbPfiPT5_PiiiibdPKfPKS8_SE_,comdat
	.protected	_ZN4vllm3moe22topkGatingSoftplusSqrtILi3ELi192ELi4ELi4ELi64ELb1ElfEEvPKT6_PKbPfiPT5_PiiiibdPKfPKS8_SE_ ; -- Begin function _ZN4vllm3moe22topkGatingSoftplusSqrtILi3ELi192ELi4ELi4ELi64ELb1ElfEEvPKT6_PKbPfiPT5_PiiiibdPKfPKS8_SE_
	.globl	_ZN4vllm3moe22topkGatingSoftplusSqrtILi3ELi192ELi4ELi4ELi64ELb1ElfEEvPKT6_PKbPfiPT5_PiiiibdPKfPKS8_SE_
	.p2align	8
	.type	_ZN4vllm3moe22topkGatingSoftplusSqrtILi3ELi192ELi4ELi4ELi64ELb1ElfEEvPKT6_PKbPfiPT5_PiiiibdPKfPKS8_SE_,@function
_ZN4vllm3moe22topkGatingSoftplusSqrtILi3ELi192ELi4ELi4ELi64ELb1ElfEEvPKT6_PKbPfiPT5_PiiiibdPKfPKS8_SE_: ; @_ZN4vllm3moe22topkGatingSoftplusSqrtILi3ELi192ELi4ELi4ELi64ELb1ElfEEvPKT6_PKbPfiPT5_PiiiibdPKfPKS8_SE_
; %bb.0:
	s_load_dword s3, s[0:1], 0x18
	v_and_b32_e32 v1, 0x3ff, v0
	s_lshl_b32 s2, s2, 2
	v_lshrrev_b32_e32 v2, 6, v1
	v_bfe_u32 v0, v0, 10, 10
	v_add3_u32 v2, s2, v0, v2
	s_waitcnt lgkmcnt(0)
	v_cmp_gt_i32_e32 vcc, s3, v2
	s_and_saveexec_b64 s[2:3], vcc
	s_cbranch_execz .LBB160_69
; %bb.1:
	s_load_dwordx4 s[8:11], s[0:1], 0x50
	s_load_dwordx2 s[2:3], s[0:1], 0x0
	s_load_dword s12, s[0:1], 0x30
	s_movk_i32 s4, 0xc0
	v_mul_lo_u32 v4, v2, s4
	s_waitcnt lgkmcnt(0)
	v_mov_b32_e32 v6, s8
	v_mov_b32_e32 v7, s9
	v_ashrrev_i32_e32 v5, 31, v4
	v_and_b32_e32 v14, 63, v1
	v_ashrrev_i32_e32 v3, 31, v2
	v_lshl_add_u64 v[8:9], v[4:5], 2, s[2:3]
	v_lshlrev_b32_e32 v4, 2, v14
	v_mov_b32_e32 v5, 0
	v_lshl_add_u64 v[0:1], v[2:3], 3, v[6:7]
	global_load_dwordx2 v[0:1], v[0:1], off
	v_lshl_add_u64 v[6:7], v[8:9], 0, v[4:5]
	global_load_dword v3, v[6:7], off
	global_load_dword v4, v[6:7], off offset:256
	global_load_dword v8, v[6:7], off offset:512
	s_mov_b32 s4, 0x800000
	s_ashr_i32 s13, s12, 31
	v_mov_b32_e32 v9, 0x4f800000
	s_mov_b32 s7, 0x3f317217
	s_mov_b32 s15, 0x7f800000
	v_mov_b32_e32 v10, 0x41b17218
	s_mov_b32 s6, 0x41a00000
	s_mov_b32 s18, 0xf800000
	v_mov_b32_e32 v11, 0x260
	v_cmp_lt_i64_e64 s[16:17], s[12:13], 1
	s_mov_b32 s14, 0
	v_cmp_gt_i64_e64 s[8:9], s[12:13], 0
	v_mul_lo_u32 v2, v2, s12
	s_waitcnt vmcnt(3)
	v_mul_lo_u32 v12, v1, s12
	s_waitcnt vmcnt(2)
	v_mul_f32_e32 v1, 0x3fb8aa3b, v3
	s_waitcnt vmcnt(1)
	v_mul_f32_e32 v7, 0x3fb8aa3b, v4
	v_exp_f32_e32 v6, v1
	v_exp_f32_e32 v7, v7
	s_waitcnt vmcnt(0)
	v_mul_f32_e32 v15, 0x3fb8aa3b, v8
	v_exp_f32_e32 v15, v15
	v_mul_lo_u32 v13, v0, s13
	v_pk_add_f32 v[6:7], v[6:7], 1.0 op_sel_hi:[1,0]
	v_mad_u64_u32 v[0:1], s[2:3], v0, s12, 0
	v_cmp_gt_f32_e32 vcc, s4, v7
	v_add3_u32 v1, v1, v13, v12
	v_add_f32_e32 v12, 1.0, v15
	v_cndmask_b32_e32 v13, 1.0, v9, vcc
	v_cmp_gt_f32_e64 s[2:3], s4, v6
	v_cmp_gt_f32_e64 s[4:5], s4, v12
	v_mul_f32_e32 v7, v7, v13
	v_cndmask_b32_e64 v15, 1.0, v9, s[2:3]
	v_cndmask_b32_e64 v9, 1.0, v9, s[4:5]
	v_mul_f32_e32 v6, v6, v15
	v_log_f32_e32 v7, v7
	v_mul_f32_e32 v9, v12, v9
	v_log_f32_e32 v6, v6
	v_log_f32_e32 v9, v9
	v_mul_f32_e32 v12, 0x3f317217, v7
	v_fma_f32 v12, v7, s7, -v12
	v_mul_f32_e32 v16, 0x3f317217, v6
	v_mul_f32_e32 v17, 0x3f317217, v9
	v_fma_f32 v16, v6, s7, -v16
	v_fmac_f32_e32 v12, 0x3377d1cf, v7
	v_cndmask_b32_e32 v13, 0, v10, vcc
	v_fma_f32 v17, v9, s7, -v17
	v_fmac_f32_e32 v16, 0x3377d1cf, v6
	v_fmac_f32_e32 v12, 0x3f317217, v7
	v_cmp_lt_f32_e64 vcc, |v7|, s15
	v_fmac_f32_e32 v17, 0x3377d1cf, v9
	v_fmac_f32_e32 v16, 0x3f317217, v6
	v_cndmask_b32_e32 v7, v7, v12, vcc
	v_cmp_lt_f32_e64 vcc, |v6|, s15
	v_cndmask_b32_e64 v15, 0, v10, s[2:3]
	v_fmac_f32_e32 v17, 0x3f317217, v9
	v_cndmask_b32_e32 v6, v6, v16, vcc
	v_cmp_lt_f32_e64 vcc, |v9|, s15
	v_sub_f32_e32 v6, v6, v15
	v_cndmask_b32_e64 v10, 0, v10, s[4:5]
	v_cndmask_b32_e32 v9, v9, v17, vcc
	v_cmp_lt_f32_e32 vcc, s6, v3
	v_sub_f32_e32 v7, v7, v13
	v_sub_f32_e32 v9, v9, v10
	v_cndmask_b32_e32 v3, v6, v3, vcc
	v_cmp_lt_f32_e32 vcc, s6, v4
	v_cmp_gt_f32_e64 s[2:3], s18, v3
	s_nop 0
	v_cndmask_b32_e32 v4, v7, v4, vcc
	v_cmp_lt_f32_e32 vcc, s6, v8
	v_mul_f32_e32 v7, 0x4f800000, v4
	s_nop 0
	v_cndmask_b32_e32 v6, v9, v8, vcc
	v_cmp_gt_f32_e32 vcc, s18, v4
	v_mul_f32_e32 v8, 0x4f800000, v3
	v_cndmask_b32_e64 v3, v3, v8, s[2:3]
	v_cndmask_b32_e32 v4, v4, v7, vcc
	v_sqrt_f32_e32 v7, v4
	v_sqrt_f32_e32 v8, v3
	v_mul_f32_e32 v9, 0x4f800000, v6
	v_cmp_gt_f32_e64 s[4:5], s18, v6
	v_add_u32_e32 v10, -1, v7
	v_add_u32_e32 v13, -1, v8
	v_fma_f32 v16, -v10, v7, v4
	v_add_u32_e32 v12, 1, v7
	v_fma_f32 v18, -v13, v8, v3
	v_cmp_ge_f32_e64 s[6:7], 0, v16
	v_add_u32_e32 v15, 1, v8
	v_fma_f32 v17, -v12, v7, v4
	v_cndmask_b32_e64 v7, v7, v10, s[6:7]
	v_cmp_ge_f32_e64 s[6:7], 0, v18
	v_cndmask_b32_e64 v6, v6, v9, s[4:5]
	v_fma_f32 v19, -v15, v8, v3
	v_cndmask_b32_e64 v8, v8, v13, s[6:7]
	v_cmp_lt_f32_e64 s[6:7], 0, v17
	v_sqrt_f32_e32 v9, v6
	s_nop 0
	v_cndmask_b32_e64 v7, v7, v12, s[6:7]
	v_cmp_lt_f32_e64 s[6:7], 0, v19
	v_mul_f32_e32 v10, 0x37800000, v7
	v_cndmask_b32_e32 v7, v7, v10, vcc
	v_cndmask_b32_e64 v8, v8, v15, s[6:7]
	v_mul_f32_e32 v12, 0x37800000, v8
	v_cmp_class_f32_e32 vcc, v4, v11
	s_nop 1
	v_cndmask_b32_e32 v15, v7, v4, vcc
	v_cndmask_b32_e64 v4, v8, v12, s[2:3]
	v_cmp_class_f32_e32 vcc, v3, v11
	s_nop 1
	v_cndmask_b32_e32 v16, v4, v3, vcc
	v_add_u32_e32 v3, -1, v9
	v_fma_f32 v4, -v3, v9, v6
	v_cmp_ge_f32_e32 vcc, 0, v4
	v_add_u32_e32 v4, 1, v9
	v_fma_f32 v7, -v4, v9, v6
	v_cndmask_b32_e32 v3, v9, v3, vcc
	v_cmp_lt_f32_e32 vcc, 0, v7
	s_nop 1
	v_cndmask_b32_e32 v3, v3, v4, vcc
	v_mul_f32_e32 v4, 0x37800000, v3
	v_cndmask_b32_e64 v3, v3, v4, s[4:5]
	v_cmp_class_f32_e32 vcc, v6, v11
	s_nop 1
	v_cndmask_b32_e32 v17, v3, v6, vcc
	s_and_b64 vcc, exec, s[16:17]
	s_cbranch_vccnz .LBB160_28
; %bb.2:
	s_load_dwordx2 s[4:5], s[0:1], 0x20
	v_lshl_add_u64 v[6:7], v[0:1], 3, s[10:11]
	s_cmp_lt_u32 s12, 4
	v_sub_u32_e32 v4, 0, v14
	s_cbranch_scc1 .LBB160_21
; %bb.3:
	s_mov_b32 s7, 0
	s_and_b32 s14, s12, 0x7ffffffc
	v_ashrrev_i32_e32 v3, 31, v2
	v_mov_b32_e32 v5, 0
	s_mov_b32 s6, s7
	s_branch .LBB160_5
.LBB160_4:                              ;   in Loop: Header=BB160_5 Depth=1
	s_or_b64 exec, exec, s[16:17]
	s_add_i32 s6, s6, 4
	s_cmp_eq_u32 s6, s14
	s_cbranch_scc1 .LBB160_21
.LBB160_5:                              ; =>This Loop Header: Depth=1
                                        ;     Child Loop BB160_7 Depth 2
                                        ;     Child Loop BB160_11 Depth 2
	;; [unrolled: 1-line block ×4, first 2 shown]
	v_lshl_add_u64 v[8:9], s[6:7], 3, v[6:7]
	global_load_dwordx2 v[10:11], v[8:9], off
	v_add_u32_e32 v12, s6, v2
	v_ashrrev_i32_e32 v13, 31, v12
	s_mov_b64 s[16:17], 0
	s_waitcnt lgkmcnt(0)
	v_lshl_add_u64 v[12:13], v[12:13], 3, s[4:5]
	s_mov_b64 s[18:19], 0
	s_waitcnt vmcnt(0)
	v_ashrrev_i32_e32 v11, 31, v10
	v_add_u32_e32 v18, v4, v10
	s_branch .LBB160_7
.LBB160_6:                              ;   in Loop: Header=BB160_7 Depth=2
	s_or_b64 exec, exec, s[20:21]
	s_cmp_gt_u32 s18, 1
	s_cselect_b64 s[2:3], -1, 0
	s_xor_b64 s[20:21], vcc, -1
	s_or_b64 s[2:3], s[20:21], s[2:3]
	s_add_u32 s18, s18, 1
	s_addc_u32 s19, s19, 0
	s_and_b64 s[2:3], exec, s[2:3]
	s_or_b64 s[16:17], s[2:3], s[16:17]
	v_subrev_u32_e32 v18, 64, v18
	s_andn2_b64 exec, exec, s[16:17]
	s_cbranch_execz .LBB160_9
.LBB160_7:                              ;   Parent Loop BB160_5 Depth=1
                                        ; =>  This Inner Loop Header: Depth=2
	v_cmp_ne_u32_e32 vcc, 0, v18
	v_cmp_eq_u32_e64 s[2:3], 0, v18
	s_and_saveexec_b64 s[20:21], s[2:3]
	s_cbranch_execz .LBB160_6
; %bb.8:                                ;   in Loop: Header=BB160_7 Depth=2
	s_cmp_eq_u32 s18, 1
	s_cselect_b64 s[2:3], -1, 0
	s_cmp_eq_u32 s18, 2
	v_cndmask_b32_e64 v19, v16, v15, s[2:3]
	s_cselect_b64 s[2:3], -1, 0
	v_cndmask_b32_e64 v19, v19, v17, s[2:3]
	v_add_f32_e32 v5, v5, v19
	global_store_dwordx2 v[12:13], v[10:11], off
	s_branch .LBB160_6
.LBB160_9:                              ;   in Loop: Header=BB160_5 Depth=1
	s_or_b64 exec, exec, s[16:17]
	global_load_dwordx2 v[12:13], v[8:9], off offset:8
	s_ashr_i32 s3, s6, 31
	s_mov_b32 s2, s6
	v_lshl_add_u64 v[10:11], s[2:3], 0, v[2:3]
	s_mov_b64 s[16:17], 0
	v_lshl_add_u64 v[10:11], v[10:11], 3, s[4:5]
	s_mov_b64 s[18:19], 0
	s_waitcnt vmcnt(0)
	v_ashrrev_i32_e32 v13, 31, v12
	v_add_u32_e32 v18, v4, v12
	s_branch .LBB160_11
.LBB160_10:                             ;   in Loop: Header=BB160_11 Depth=2
	s_or_b64 exec, exec, s[20:21]
	s_cmp_gt_u32 s18, 1
	s_cselect_b64 s[2:3], -1, 0
	s_xor_b64 s[20:21], vcc, -1
	s_or_b64 s[2:3], s[20:21], s[2:3]
	s_add_u32 s18, s18, 1
	s_addc_u32 s19, s19, 0
	s_and_b64 s[2:3], exec, s[2:3]
	s_or_b64 s[16:17], s[2:3], s[16:17]
	v_subrev_u32_e32 v18, 64, v18
	s_andn2_b64 exec, exec, s[16:17]
	s_cbranch_execz .LBB160_13
.LBB160_11:                             ;   Parent Loop BB160_5 Depth=1
                                        ; =>  This Inner Loop Header: Depth=2
	v_cmp_ne_u32_e32 vcc, 0, v18
	v_cmp_eq_u32_e64 s[2:3], 0, v18
	s_and_saveexec_b64 s[20:21], s[2:3]
	s_cbranch_execz .LBB160_10
; %bb.12:                               ;   in Loop: Header=BB160_11 Depth=2
	s_cmp_eq_u32 s18, 1
	s_cselect_b64 s[2:3], -1, 0
	s_cmp_eq_u32 s18, 2
	v_cndmask_b32_e64 v19, v16, v15, s[2:3]
	s_cselect_b64 s[2:3], -1, 0
	v_cndmask_b32_e64 v19, v19, v17, s[2:3]
	v_add_f32_e32 v5, v5, v19
	global_store_dwordx2 v[10:11], v[12:13], off offset:8
	s_branch .LBB160_10
.LBB160_13:                             ;   in Loop: Header=BB160_5 Depth=1
	s_or_b64 exec, exec, s[16:17]
	global_load_dwordx2 v[12:13], v[8:9], off offset:16
	s_mov_b64 s[16:17], 0
	s_mov_b64 s[18:19], 0
	s_waitcnt vmcnt(0)
	v_ashrrev_i32_e32 v13, 31, v12
	v_add_u32_e32 v18, v4, v12
	s_branch .LBB160_15
.LBB160_14:                             ;   in Loop: Header=BB160_15 Depth=2
	s_or_b64 exec, exec, s[20:21]
	s_cmp_gt_u32 s18, 1
	s_cselect_b64 s[2:3], -1, 0
	s_xor_b64 s[20:21], vcc, -1
	s_or_b64 s[2:3], s[20:21], s[2:3]
	s_add_u32 s18, s18, 1
	s_addc_u32 s19, s19, 0
	s_and_b64 s[2:3], exec, s[2:3]
	s_or_b64 s[16:17], s[2:3], s[16:17]
	v_subrev_u32_e32 v18, 64, v18
	s_andn2_b64 exec, exec, s[16:17]
	s_cbranch_execz .LBB160_17
.LBB160_15:                             ;   Parent Loop BB160_5 Depth=1
                                        ; =>  This Inner Loop Header: Depth=2
	v_cmp_ne_u32_e32 vcc, 0, v18
	v_cmp_eq_u32_e64 s[2:3], 0, v18
	s_and_saveexec_b64 s[20:21], s[2:3]
	s_cbranch_execz .LBB160_14
; %bb.16:                               ;   in Loop: Header=BB160_15 Depth=2
	s_cmp_eq_u32 s18, 1
	s_cselect_b64 s[2:3], -1, 0
	s_cmp_eq_u32 s18, 2
	v_cndmask_b32_e64 v19, v16, v15, s[2:3]
	s_cselect_b64 s[2:3], -1, 0
	v_cndmask_b32_e64 v19, v19, v17, s[2:3]
	v_add_f32_e32 v5, v5, v19
	global_store_dwordx2 v[10:11], v[12:13], off offset:16
	s_branch .LBB160_14
.LBB160_17:                             ;   in Loop: Header=BB160_5 Depth=1
	s_or_b64 exec, exec, s[16:17]
	global_load_dwordx2 v[8:9], v[8:9], off offset:24
	s_mov_b64 s[16:17], 0
	s_mov_b64 s[18:19], 0
	s_waitcnt vmcnt(0)
	v_ashrrev_i32_e32 v9, 31, v8
	v_add_u32_e32 v12, v4, v8
	s_branch .LBB160_19
.LBB160_18:                             ;   in Loop: Header=BB160_19 Depth=2
	s_or_b64 exec, exec, s[20:21]
	s_cmp_gt_u32 s18, 1
	s_cselect_b64 s[2:3], -1, 0
	s_xor_b64 s[20:21], vcc, -1
	s_or_b64 s[2:3], s[20:21], s[2:3]
	s_add_u32 s18, s18, 1
	s_addc_u32 s19, s19, 0
	s_and_b64 s[2:3], exec, s[2:3]
	s_or_b64 s[16:17], s[2:3], s[16:17]
	v_subrev_u32_e32 v12, 64, v12
	s_andn2_b64 exec, exec, s[16:17]
	s_cbranch_execz .LBB160_4
.LBB160_19:                             ;   Parent Loop BB160_5 Depth=1
                                        ; =>  This Inner Loop Header: Depth=2
	v_cmp_ne_u32_e32 vcc, 0, v12
	v_cmp_eq_u32_e64 s[2:3], 0, v12
	s_and_saveexec_b64 s[20:21], s[2:3]
	s_cbranch_execz .LBB160_18
; %bb.20:                               ;   in Loop: Header=BB160_19 Depth=2
	s_cmp_eq_u32 s18, 1
	s_cselect_b64 s[2:3], -1, 0
	s_cmp_eq_u32 s18, 2
	v_cndmask_b32_e64 v13, v16, v15, s[2:3]
	s_cselect_b64 s[2:3], -1, 0
	v_cndmask_b32_e64 v13, v13, v17, s[2:3]
	v_add_f32_e32 v5, v5, v13
	global_store_dwordx2 v[10:11], v[8:9], off offset:24
	s_branch .LBB160_18
.LBB160_21:
	s_and_b32 s13, s12, 3
	s_cmp_eq_u32 s13, 0
	s_mov_b32 s15, 0
	s_cbranch_scc1 .LBB160_28
; %bb.22:
	s_mov_b32 s20, s15
	s_branch .LBB160_24
.LBB160_23:                             ;   in Loop: Header=BB160_24 Depth=1
	s_or_b64 exec, exec, s[6:7]
	s_add_i32 s14, s14, 1
	s_add_i32 s20, s20, 1
	s_cmp_lg_u32 s20, s13
	s_cbranch_scc0 .LBB160_28
.LBB160_24:                             ; =>This Loop Header: Depth=1
                                        ;     Child Loop BB160_26 Depth 2
	v_lshl_add_u64 v[8:9], s[14:15], 3, v[6:7]
	global_load_dwordx2 v[8:9], v[8:9], off
	v_add_u32_e32 v10, s14, v2
	v_ashrrev_i32_e32 v11, 31, v10
	s_mov_b64 s[6:7], 0
	s_waitcnt lgkmcnt(0)
	v_lshl_add_u64 v[10:11], v[10:11], 3, s[4:5]
	s_mov_b64 s[16:17], 0
	s_waitcnt vmcnt(0)
	v_ashrrev_i32_e32 v9, 31, v8
	v_add_u32_e32 v3, v4, v8
	s_branch .LBB160_26
.LBB160_25:                             ;   in Loop: Header=BB160_26 Depth=2
	s_or_b64 exec, exec, s[18:19]
	s_cmp_gt_u32 s16, 1
	s_cselect_b64 s[2:3], -1, 0
	s_xor_b64 s[18:19], vcc, -1
	s_or_b64 s[2:3], s[18:19], s[2:3]
	s_add_u32 s16, s16, 1
	s_addc_u32 s17, s17, 0
	s_and_b64 s[2:3], exec, s[2:3]
	s_or_b64 s[6:7], s[2:3], s[6:7]
	v_subrev_u32_e32 v3, 64, v3
	s_andn2_b64 exec, exec, s[6:7]
	s_cbranch_execz .LBB160_23
.LBB160_26:                             ;   Parent Loop BB160_24 Depth=1
                                        ; =>  This Inner Loop Header: Depth=2
	v_cmp_ne_u32_e32 vcc, 0, v3
	v_cmp_eq_u32_e64 s[2:3], 0, v3
	s_and_saveexec_b64 s[18:19], s[2:3]
	s_cbranch_execz .LBB160_25
; %bb.27:                               ;   in Loop: Header=BB160_26 Depth=2
	s_cmp_eq_u32 s16, 1
	s_cselect_b64 s[2:3], -1, 0
	s_cmp_eq_u32 s16, 2
	v_cndmask_b32_e64 v12, v16, v15, s[2:3]
	s_cselect_b64 s[2:3], -1, 0
	v_cndmask_b32_e64 v12, v12, v17, s[2:3]
	v_add_f32_e32 v5, v5, v12
	global_store_dwordx2 v[10:11], v[8:9], off
	s_branch .LBB160_25
.LBB160_28:
	s_waitcnt lgkmcnt(0)
	s_load_dword s4, s[0:1], 0x3c
	s_waitcnt lgkmcnt(0)
	s_bitcmp1_b32 s4, 0
	s_cselect_b64 s[2:3], -1, 0
	s_bitcmp0_b32 s4, 0
	s_cbranch_scc0 .LBB160_31
; %bb.29:
	s_load_dwordx2 s[4:5], s[0:1], 0x40
	s_andn2_b64 vcc, exec, s[2:3]
	s_waitcnt lgkmcnt(0)
	v_cvt_f32_f64_e32 v10, s[4:5]
	s_cbranch_vccz .LBB160_32
.LBB160_30:
	s_andn2_b64 vcc, exec, s[8:9]
	s_cbranch_vccz .LBB160_33
	s_branch .LBB160_69
.LBB160_31:
	v_mbcnt_lo_u32_b32 v3, -1, 0
	v_mbcnt_hi_u32_b32 v3, -1, v3
	v_and_b32_e32 v4, 64, v3
	v_add_u32_e32 v4, 64, v4
	v_xor_b32_e32 v6, 32, v3
	v_cmp_lt_i32_e32 vcc, v6, v4
	v_xor_b32_e32 v7, 16, v3
	s_nop 0
	v_cndmask_b32_e32 v6, v3, v6, vcc
	v_lshlrev_b32_e32 v6, 2, v6
	ds_bpermute_b32 v6, v6, v5
	v_cmp_lt_i32_e32 vcc, v7, v4
	s_waitcnt lgkmcnt(0)
	v_add_f32_e32 v5, v5, v6
	v_cndmask_b32_e32 v6, v3, v7, vcc
	v_lshlrev_b32_e32 v6, 2, v6
	ds_bpermute_b32 v6, v6, v5
	v_xor_b32_e32 v7, 8, v3
	v_cmp_lt_i32_e32 vcc, v7, v4
	s_waitcnt lgkmcnt(0)
	v_add_f32_e32 v5, v5, v6
	v_cndmask_b32_e32 v6, v3, v7, vcc
	v_lshlrev_b32_e32 v6, 2, v6
	ds_bpermute_b32 v6, v6, v5
	v_xor_b32_e32 v7, 4, v3
	v_cmp_lt_i32_e32 vcc, v7, v4
	s_waitcnt lgkmcnt(0)
	v_add_f32_e32 v5, v5, v6
	v_cndmask_b32_e32 v6, v3, v7, vcc
	v_lshlrev_b32_e32 v6, 2, v6
	ds_bpermute_b32 v6, v6, v5
	v_xor_b32_e32 v7, 2, v3
	v_cmp_lt_i32_e32 vcc, v7, v4
	s_waitcnt lgkmcnt(0)
	v_add_f32_e32 v5, v5, v6
	v_cndmask_b32_e32 v6, v3, v7, vcc
	v_lshlrev_b32_e32 v6, 2, v6
	ds_bpermute_b32 v6, v6, v5
	v_xor_b32_e32 v7, 1, v3
	v_cmp_lt_i32_e32 vcc, v7, v4
	s_waitcnt lgkmcnt(0)
	v_add_f32_e32 v5, v5, v6
	v_cndmask_b32_e32 v3, v3, v7, vcc
	v_lshlrev_b32_e32 v3, 2, v3
	ds_bpermute_b32 v3, v3, v5
	s_waitcnt lgkmcnt(0)
	v_add_f32_e32 v5, v5, v3
	s_load_dwordx2 s[4:5], s[0:1], 0x40
	s_andn2_b64 vcc, exec, s[2:3]
	s_waitcnt lgkmcnt(0)
	v_cvt_f32_f64_e32 v10, s[4:5]
	s_cbranch_vccnz .LBB160_30
.LBB160_32:
	v_cmp_lt_f32_e32 vcc, 0, v5
	s_nop 1
	v_cndmask_b32_e32 v3, 1.0, v5, vcc
	v_div_scale_f32 v4, s[2:3], v3, v3, v10
	v_rcp_f32_e32 v5, v4
	s_nop 0
	v_fma_f32 v6, -v4, v5, 1.0
	v_fmac_f32_e32 v5, v6, v5
	v_div_scale_f32 v6, vcc, v10, v3, v10
	v_mul_f32_e32 v7, v6, v5
	v_fma_f32 v8, -v4, v7, v6
	v_fmac_f32_e32 v7, v8, v5
	v_fma_f32 v4, -v4, v7, v6
	v_div_fmas_f32 v4, v4, v5, v7
	v_div_fixup_f32 v10, v4, v3, v10
	s_andn2_b64 vcc, exec, s[8:9]
	s_cbranch_vccnz .LBB160_69
.LBB160_33:
	s_load_dwordx2 s[0:1], s[0:1], 0x10
	v_or_b32_e32 v11, 64, v14
	v_or_b32_e32 v12, 0x80, v14
	s_cmp_lt_u32 s12, 4
	s_mov_b32 s2, 0
	s_cbranch_scc1 .LBB160_60
; %bb.34:
	v_ashrrev_i32_e32 v3, 31, v2
	s_waitcnt lgkmcnt(0)
	v_lshl_add_u64 v[4:5], v[2:3], 2, s[0:1]
	v_lshl_add_u64 v[6:7], v[0:1], 3, s[10:11]
	s_and_b32 s2, s12, 0x7ffffffc
	v_lshl_add_u64 v[4:5], v[4:5], 0, 12
	v_lshl_add_u64 v[6:7], v[6:7], 0, 16
	s_mov_b32 s3, 0
	s_branch .LBB160_36
.LBB160_35:                             ;   in Loop: Header=BB160_36 Depth=1
	s_or_b64 exec, exec, s[6:7]
	s_add_i32 s3, s3, 4
	v_lshl_add_u64 v[4:5], v[4:5], 0, 16
	s_cmp_lg_u32 s2, s3
	v_lshl_add_u64 v[6:7], v[6:7], 0, 32
	s_cbranch_scc0 .LBB160_60
.LBB160_36:                             ; =>This Inner Loop Header: Depth=1
	global_load_dword v3, v[6:7], off offset:-16
	v_mov_b64_e32 v[8:9], 0
	s_waitcnt vmcnt(0)
	v_cmp_eq_u32_e64 s[4:5], v14, v3
	v_cmp_ne_u32_e32 vcc, v14, v3
	s_and_saveexec_b64 s[6:7], vcc
	s_cbranch_execz .LBB160_40
; %bb.37:                               ;   in Loop: Header=BB160_36 Depth=1
	v_cmp_eq_u32_e64 s[8:9], v11, v3
	v_cmp_ne_u32_e32 vcc, v11, v3
	v_mov_b64_e32 v[8:9], 1
	s_and_saveexec_b64 s[14:15], vcc
	s_xor_b64 s[14:15], exec, s[14:15]
; %bb.38:                               ;   in Loop: Header=BB160_36 Depth=1
	v_cmp_eq_u32_e32 vcc, v12, v3
	s_andn2_b64 s[8:9], s[8:9], exec
	s_and_b64 s[16:17], vcc, exec
	v_mov_b64_e32 v[8:9], 2
	s_or_b64 s[8:9], s[8:9], s[16:17]
; %bb.39:                               ;   in Loop: Header=BB160_36 Depth=1
	s_or_b64 exec, exec, s[14:15]
	s_andn2_b64 s[4:5], s[4:5], exec
	s_and_b64 s[8:9], s[8:9], exec
	s_or_b64 s[4:5], s[4:5], s[8:9]
.LBB160_40:                             ;   in Loop: Header=BB160_36 Depth=1
	s_or_b64 exec, exec, s[6:7]
	s_and_saveexec_b64 s[6:7], s[4:5]
	s_cbranch_execz .LBB160_42
; %bb.41:                               ;   in Loop: Header=BB160_36 Depth=1
	v_cmp_eq_u32_e32 vcc, 1, v8
	v_add_u32_e32 v18, s3, v2
	v_ashrrev_i32_e32 v19, 31, v18
	v_cndmask_b32_e32 v3, v16, v15, vcc
	v_cmp_eq_u32_e32 vcc, 2, v8
	v_lshl_add_u64 v[8:9], v[18:19], 2, s[0:1]
	s_nop 0
	v_cndmask_b32_e32 v3, v3, v17, vcc
	v_mul_f32_e32 v3, v10, v3
	global_store_dword v[8:9], v3, off
.LBB160_42:                             ;   in Loop: Header=BB160_36 Depth=1
	s_or_b64 exec, exec, s[6:7]
	global_load_dword v3, v[6:7], off offset:-8
	v_mov_b64_e32 v[8:9], 0
	s_waitcnt vmcnt(0)
	v_cmp_eq_u32_e64 s[4:5], v14, v3
	v_cmp_ne_u32_e32 vcc, v14, v3
	s_and_saveexec_b64 s[6:7], vcc
	s_cbranch_execz .LBB160_46
; %bb.43:                               ;   in Loop: Header=BB160_36 Depth=1
	v_cmp_eq_u32_e64 s[8:9], v11, v3
	v_cmp_ne_u32_e32 vcc, v11, v3
	v_mov_b64_e32 v[8:9], 1
	s_and_saveexec_b64 s[14:15], vcc
; %bb.44:                               ;   in Loop: Header=BB160_36 Depth=1
	v_cmp_eq_u32_e32 vcc, v12, v3
	s_andn2_b64 s[8:9], s[8:9], exec
	s_and_b64 s[16:17], vcc, exec
	v_mov_b64_e32 v[8:9], 2
	s_or_b64 s[8:9], s[8:9], s[16:17]
; %bb.45:                               ;   in Loop: Header=BB160_36 Depth=1
	s_or_b64 exec, exec, s[14:15]
	s_andn2_b64 s[4:5], s[4:5], exec
	s_and_b64 s[8:9], s[8:9], exec
	s_or_b64 s[4:5], s[4:5], s[8:9]
.LBB160_46:                             ;   in Loop: Header=BB160_36 Depth=1
	s_or_b64 exec, exec, s[6:7]
	s_and_saveexec_b64 s[6:7], s[4:5]
	s_cbranch_execz .LBB160_48
; %bb.47:                               ;   in Loop: Header=BB160_36 Depth=1
	v_cmp_eq_u32_e32 vcc, 1, v8
	s_nop 1
	v_cndmask_b32_e32 v3, v16, v15, vcc
	v_cmp_eq_u32_e32 vcc, 2, v8
	s_nop 1
	v_cndmask_b32_e32 v3, v3, v17, vcc
	v_mul_f32_e32 v3, v10, v3
	global_store_dword v[4:5], v3, off offset:-8
.LBB160_48:                             ;   in Loop: Header=BB160_36 Depth=1
	s_or_b64 exec, exec, s[6:7]
	global_load_dword v3, v[6:7], off
	v_mov_b64_e32 v[8:9], 0
	s_waitcnt vmcnt(0)
	v_cmp_eq_u32_e64 s[4:5], v14, v3
	v_cmp_ne_u32_e32 vcc, v14, v3
	s_and_saveexec_b64 s[6:7], vcc
	s_cbranch_execz .LBB160_52
; %bb.49:                               ;   in Loop: Header=BB160_36 Depth=1
	v_cmp_eq_u32_e64 s[8:9], v11, v3
	v_cmp_ne_u32_e32 vcc, v11, v3
	v_mov_b64_e32 v[8:9], 1
	s_and_saveexec_b64 s[14:15], vcc
; %bb.50:                               ;   in Loop: Header=BB160_36 Depth=1
	v_cmp_eq_u32_e32 vcc, v12, v3
	s_andn2_b64 s[8:9], s[8:9], exec
	s_and_b64 s[16:17], vcc, exec
	v_mov_b64_e32 v[8:9], 2
	s_or_b64 s[8:9], s[8:9], s[16:17]
; %bb.51:                               ;   in Loop: Header=BB160_36 Depth=1
	s_or_b64 exec, exec, s[14:15]
	s_andn2_b64 s[4:5], s[4:5], exec
	s_and_b64 s[8:9], s[8:9], exec
	s_or_b64 s[4:5], s[4:5], s[8:9]
.LBB160_52:                             ;   in Loop: Header=BB160_36 Depth=1
	s_or_b64 exec, exec, s[6:7]
	s_and_saveexec_b64 s[6:7], s[4:5]
	s_cbranch_execz .LBB160_54
; %bb.53:                               ;   in Loop: Header=BB160_36 Depth=1
	v_cmp_eq_u32_e32 vcc, 1, v8
	s_nop 1
	v_cndmask_b32_e32 v3, v16, v15, vcc
	v_cmp_eq_u32_e32 vcc, 2, v8
	s_nop 1
	v_cndmask_b32_e32 v3, v3, v17, vcc
	v_mul_f32_e32 v3, v10, v3
	global_store_dword v[4:5], v3, off offset:-4
.LBB160_54:                             ;   in Loop: Header=BB160_36 Depth=1
	s_or_b64 exec, exec, s[6:7]
	global_load_dword v3, v[6:7], off offset:8
	v_mov_b64_e32 v[8:9], 0
	s_waitcnt vmcnt(0)
	v_cmp_eq_u32_e64 s[4:5], v14, v3
	v_cmp_ne_u32_e32 vcc, v14, v3
	s_and_saveexec_b64 s[6:7], vcc
	s_cbranch_execz .LBB160_58
; %bb.55:                               ;   in Loop: Header=BB160_36 Depth=1
	v_cmp_eq_u32_e64 s[8:9], v11, v3
	v_cmp_ne_u32_e32 vcc, v11, v3
	v_mov_b64_e32 v[8:9], 1
	s_and_saveexec_b64 s[14:15], vcc
; %bb.56:                               ;   in Loop: Header=BB160_36 Depth=1
	v_cmp_eq_u32_e32 vcc, v12, v3
	s_andn2_b64 s[8:9], s[8:9], exec
	s_and_b64 s[16:17], vcc, exec
	v_mov_b64_e32 v[8:9], 2
	s_or_b64 s[8:9], s[8:9], s[16:17]
; %bb.57:                               ;   in Loop: Header=BB160_36 Depth=1
	s_or_b64 exec, exec, s[14:15]
	s_andn2_b64 s[4:5], s[4:5], exec
	s_and_b64 s[8:9], s[8:9], exec
	s_or_b64 s[4:5], s[4:5], s[8:9]
.LBB160_58:                             ;   in Loop: Header=BB160_36 Depth=1
	s_or_b64 exec, exec, s[6:7]
	s_and_saveexec_b64 s[6:7], s[4:5]
	s_cbranch_execz .LBB160_35
; %bb.59:                               ;   in Loop: Header=BB160_36 Depth=1
	v_cmp_eq_u32_e32 vcc, 1, v8
	s_nop 1
	v_cndmask_b32_e32 v3, v16, v15, vcc
	v_cmp_eq_u32_e32 vcc, 2, v8
	s_nop 1
	v_cndmask_b32_e32 v3, v3, v17, vcc
	v_mul_f32_e32 v3, v10, v3
	global_store_dword v[4:5], v3, off
	s_branch .LBB160_35
.LBB160_60:
	s_and_b32 s12, s12, 3
	s_cmp_eq_u32 s12, 0
	s_mov_b32 s3, 0
	s_cbranch_scc1 .LBB160_69
; %bb.61:
	v_add_u32_e32 v2, s2, v2
	s_lshl_b64 s[2:3], s[2:3], 3
	s_add_u32 s2, s10, s2
	s_addc_u32 s3, s11, s3
	v_lshl_add_u64 v[0:1], v[0:1], 3, s[2:3]
	s_branch .LBB160_63
.LBB160_62:                             ;   in Loop: Header=BB160_63 Depth=1
	s_or_b64 exec, exec, s[4:5]
	s_add_i32 s12, s12, -1
	v_add_u32_e32 v2, 1, v2
	s_cmp_lg_u32 s12, 0
	v_lshl_add_u64 v[0:1], v[0:1], 0, 8
	s_cbranch_scc0 .LBB160_69
.LBB160_63:                             ; =>This Inner Loop Header: Depth=1
	global_load_dword v3, v[0:1], off
	v_mov_b64_e32 v[4:5], 0
	s_waitcnt vmcnt(0)
	v_cmp_eq_u32_e64 s[2:3], v14, v3
	v_cmp_ne_u32_e32 vcc, v14, v3
	s_and_saveexec_b64 s[4:5], vcc
	s_cbranch_execz .LBB160_67
; %bb.64:                               ;   in Loop: Header=BB160_63 Depth=1
	v_cmp_eq_u32_e64 s[6:7], v11, v3
	v_cmp_ne_u32_e32 vcc, v11, v3
	v_mov_b64_e32 v[4:5], 1
	s_and_saveexec_b64 s[8:9], vcc
; %bb.65:                               ;   in Loop: Header=BB160_63 Depth=1
	v_cmp_eq_u32_e32 vcc, v12, v3
	s_andn2_b64 s[6:7], s[6:7], exec
	s_and_b64 s[10:11], vcc, exec
	v_mov_b64_e32 v[4:5], 2
	s_or_b64 s[6:7], s[6:7], s[10:11]
; %bb.66:                               ;   in Loop: Header=BB160_63 Depth=1
	s_or_b64 exec, exec, s[8:9]
	s_andn2_b64 s[2:3], s[2:3], exec
	s_and_b64 s[6:7], s[6:7], exec
	s_or_b64 s[2:3], s[2:3], s[6:7]
.LBB160_67:                             ;   in Loop: Header=BB160_63 Depth=1
	s_or_b64 exec, exec, s[4:5]
	s_and_saveexec_b64 s[4:5], s[2:3]
	s_cbranch_execz .LBB160_62
; %bb.68:                               ;   in Loop: Header=BB160_63 Depth=1
	v_cmp_eq_u32_e32 vcc, 1, v4
	s_nop 1
	v_cndmask_b32_e32 v3, v16, v15, vcc
	v_cmp_eq_u32_e32 vcc, 2, v4
	s_nop 1
	v_cndmask_b32_e32 v3, v3, v17, vcc
	v_mul_f32_e32 v6, v10, v3
	v_ashrrev_i32_e32 v3, 31, v2
	s_waitcnt lgkmcnt(0)
	v_lshl_add_u64 v[4:5], v[2:3], 2, s[0:1]
	global_store_dword v[4:5], v6, off
	s_branch .LBB160_62
.LBB160_69:
	s_endpgm
	.section	.rodata,"a",@progbits
	.p2align	6, 0x0
	.amdhsa_kernel _ZN4vllm3moe22topkGatingSoftplusSqrtILi3ELi192ELi4ELi4ELi64ELb1ElfEEvPKT6_PKbPfiPT5_PiiiibdPKfPKS8_SE_
		.amdhsa_group_segment_fixed_size 0
		.amdhsa_private_segment_fixed_size 0
		.amdhsa_kernarg_size 96
		.amdhsa_user_sgpr_count 2
		.amdhsa_user_sgpr_dispatch_ptr 0
		.amdhsa_user_sgpr_queue_ptr 0
		.amdhsa_user_sgpr_kernarg_segment_ptr 1
		.amdhsa_user_sgpr_dispatch_id 0
		.amdhsa_user_sgpr_kernarg_preload_length 0
		.amdhsa_user_sgpr_kernarg_preload_offset 0
		.amdhsa_user_sgpr_private_segment_size 0
		.amdhsa_uses_dynamic_stack 0
		.amdhsa_enable_private_segment 0
		.amdhsa_system_sgpr_workgroup_id_x 1
		.amdhsa_system_sgpr_workgroup_id_y 0
		.amdhsa_system_sgpr_workgroup_id_z 0
		.amdhsa_system_sgpr_workgroup_info 0
		.amdhsa_system_vgpr_workitem_id 1
		.amdhsa_next_free_vgpr 20
		.amdhsa_next_free_sgpr 22
		.amdhsa_accum_offset 20
		.amdhsa_reserve_vcc 1
		.amdhsa_float_round_mode_32 0
		.amdhsa_float_round_mode_16_64 0
		.amdhsa_float_denorm_mode_32 3
		.amdhsa_float_denorm_mode_16_64 3
		.amdhsa_dx10_clamp 1
		.amdhsa_ieee_mode 1
		.amdhsa_fp16_overflow 0
		.amdhsa_tg_split 0
		.amdhsa_exception_fp_ieee_invalid_op 0
		.amdhsa_exception_fp_denorm_src 0
		.amdhsa_exception_fp_ieee_div_zero 0
		.amdhsa_exception_fp_ieee_overflow 0
		.amdhsa_exception_fp_ieee_underflow 0
		.amdhsa_exception_fp_ieee_inexact 0
		.amdhsa_exception_int_div_zero 0
	.end_amdhsa_kernel
	.section	.text._ZN4vllm3moe22topkGatingSoftplusSqrtILi3ELi192ELi4ELi4ELi64ELb1ElfEEvPKT6_PKbPfiPT5_PiiiibdPKfPKS8_SE_,"axG",@progbits,_ZN4vllm3moe22topkGatingSoftplusSqrtILi3ELi192ELi4ELi4ELi64ELb1ElfEEvPKT6_PKbPfiPT5_PiiiibdPKfPKS8_SE_,comdat
.Lfunc_end160:
	.size	_ZN4vllm3moe22topkGatingSoftplusSqrtILi3ELi192ELi4ELi4ELi64ELb1ElfEEvPKT6_PKbPfiPT5_PiiiibdPKfPKS8_SE_, .Lfunc_end160-_ZN4vllm3moe22topkGatingSoftplusSqrtILi3ELi192ELi4ELi4ELi64ELb1ElfEEvPKT6_PKbPfiPT5_PiiiibdPKfPKS8_SE_
                                        ; -- End function
	.section	.AMDGPU.csdata,"",@progbits
; Kernel info:
; codeLenInByte = 3260
; NumSgprs: 28
; NumVgprs: 20
; NumAgprs: 0
; TotalNumVgprs: 20
; ScratchSize: 0
; MemoryBound: 0
; FloatMode: 240
; IeeeMode: 1
; LDSByteSize: 0 bytes/workgroup (compile time only)
; SGPRBlocks: 3
; VGPRBlocks: 2
; NumSGPRsForWavesPerEU: 28
; NumVGPRsForWavesPerEU: 20
; AccumOffset: 20
; Occupancy: 8
; WaveLimiterHint : 1
; COMPUTE_PGM_RSRC2:SCRATCH_EN: 0
; COMPUTE_PGM_RSRC2:USER_SGPR: 2
; COMPUTE_PGM_RSRC2:TRAP_HANDLER: 0
; COMPUTE_PGM_RSRC2:TGID_X_EN: 1
; COMPUTE_PGM_RSRC2:TGID_Y_EN: 0
; COMPUTE_PGM_RSRC2:TGID_Z_EN: 0
; COMPUTE_PGM_RSRC2:TIDIG_COMP_CNT: 1
; COMPUTE_PGM_RSRC3_GFX90A:ACCUM_OFFSET: 4
; COMPUTE_PGM_RSRC3_GFX90A:TG_SPLIT: 0
	.section	.text._ZN4vllm3moe22topkGatingSoftplusSqrtILi3ELi192ELi4ELi4ELi64ELb0ElfEEvPKT6_PKbPfiPT5_PiiiibdPKfPKS8_SE_,"axG",@progbits,_ZN4vllm3moe22topkGatingSoftplusSqrtILi3ELi192ELi4ELi4ELi64ELb0ElfEEvPKT6_PKbPfiPT5_PiiiibdPKfPKS8_SE_,comdat
	.protected	_ZN4vllm3moe22topkGatingSoftplusSqrtILi3ELi192ELi4ELi4ELi64ELb0ElfEEvPKT6_PKbPfiPT5_PiiiibdPKfPKS8_SE_ ; -- Begin function _ZN4vllm3moe22topkGatingSoftplusSqrtILi3ELi192ELi4ELi4ELi64ELb0ElfEEvPKT6_PKbPfiPT5_PiiiibdPKfPKS8_SE_
	.globl	_ZN4vllm3moe22topkGatingSoftplusSqrtILi3ELi192ELi4ELi4ELi64ELb0ElfEEvPKT6_PKbPfiPT5_PiiiibdPKfPKS8_SE_
	.p2align	8
	.type	_ZN4vllm3moe22topkGatingSoftplusSqrtILi3ELi192ELi4ELi4ELi64ELb0ElfEEvPKT6_PKbPfiPT5_PiiiibdPKfPKS8_SE_,@function
_ZN4vllm3moe22topkGatingSoftplusSqrtILi3ELi192ELi4ELi4ELi64ELb0ElfEEvPKT6_PKbPfiPT5_PiiiibdPKfPKS8_SE_: ; @_ZN4vllm3moe22topkGatingSoftplusSqrtILi3ELi192ELi4ELi4ELi64ELb0ElfEEvPKT6_PKbPfiPT5_PiiiibdPKfPKS8_SE_
; %bb.0:
	s_load_dword s30, s[0:1], 0x18
	v_and_b32_e32 v1, 0x3ff, v0
	s_lshl_b32 s2, s2, 2
	v_lshrrev_b32_e32 v2, 6, v1
	v_bfe_u32 v0, v0, 10, 10
	v_add3_u32 v4, s2, v0, v2
	s_waitcnt lgkmcnt(0)
	v_cmp_gt_i32_e32 vcc, s30, v4
	s_and_saveexec_b64 s[2:3], vcc
	s_cbranch_execz .LBB161_55
; %bb.1:
	s_load_dwordx4 s[4:7], s[0:1], 0x0
	s_load_dwordx2 s[20:21], s[0:1], 0x10
	s_waitcnt lgkmcnt(0)
	s_cmp_eq_u64 s[6:7], 0
	s_cbranch_scc1 .LBB161_3
; %bb.2:
	v_ashrrev_i32_e32 v5, 31, v4
	v_lshl_add_u64 v[2:3], s[6:7], 0, v[4:5]
	global_load_ubyte v0, v[2:3], off
	s_waitcnt vmcnt(0)
	v_and_b32_e32 v0, 1, v0
	v_cmp_eq_u32_e32 vcc, 1, v0
	s_xor_b64 s[2:3], vcc, -1
	s_orn2_b64 s[22:23], s[2:3], exec
	s_branch .LBB161_4
.LBB161_3:
	s_mov_b64 s[22:23], -1
.LBB161_4:
	s_movk_i32 s2, 0xc0
	v_mul_lo_u32 v6, v4, s2
	v_mov_b32_e32 v2, s4
	v_mov_b32_e32 v3, s5
	v_ashrrev_i32_e32 v7, 31, v6
	v_lshl_add_u64 v[2:3], v[6:7], 2, v[2:3]
	v_and_b32_e32 v6, 63, v1
	v_mov_b32_e32 v9, 0
	v_lshlrev_b32_e32 v8, 2, v6
	v_lshl_add_u64 v[10:11], v[2:3], 0, v[8:9]
	global_load_dword v0, v[10:11], off
	global_load_dword v1, v[10:11], off offset:256
	global_load_dword v2, v[10:11], off offset:512
	s_mov_b32 s16, 0x800000
	v_mov_b32_e32 v7, 0x4f800000
	s_mov_b32 s7, 0x3f317217
	s_mov_b32 s14, 0x7f800000
	v_mov_b32_e32 v5, 0x41b17218
	s_mov_b32 s6, 0x41a00000
	s_mov_b32 s15, 0xf800000
	s_load_dwordx4 s[8:11], s[0:1], 0x40
	s_waitcnt lgkmcnt(0)
	s_cmp_lg_u64 s[10:11], 0
	s_cselect_b64 s[12:13], -1, 0
	s_and_b64 s[2:3], exec, s[12:13]
	s_waitcnt vmcnt(2)
	v_mul_f32_e32 v3, 0x3fb8aa3b, v0
	v_exp_f32_e32 v3, v3
	s_nop 0
	v_add_f32_e32 v3, 1.0, v3
	v_cmp_gt_f32_e32 vcc, s16, v3
	s_nop 1
	v_cndmask_b32_e32 v9, 1.0, v7, vcc
	v_mul_f32_e32 v3, v3, v9
	v_log_f32_e32 v9, v3
	v_cndmask_b32_e32 v10, 0, v5, vcc
	v_mov_b32_e32 v3, 0x260
	v_mul_f32_e32 v11, 0x3f317217, v9
	v_fma_f32 v11, v9, s7, -v11
	v_fmac_f32_e32 v11, 0x3377d1cf, v9
	v_fmac_f32_e32 v11, 0x3f317217, v9
	v_cmp_lt_f32_e64 vcc, |v9|, s14
	s_nop 1
	v_cndmask_b32_e32 v9, v9, v11, vcc
	v_sub_f32_e32 v9, v9, v10
	v_cmp_lt_f32_e32 vcc, s6, v0
	s_nop 1
	v_cndmask_b32_e32 v0, v9, v0, vcc
	v_mul_f32_e32 v9, 0x4f800000, v0
	v_cmp_gt_f32_e32 vcc, s15, v0
	s_nop 1
	v_cndmask_b32_e32 v0, v0, v9, vcc
	v_sqrt_f32_e32 v9, v0
	s_nop 0
	v_add_u32_e32 v10, -1, v9
	v_add_u32_e32 v11, 1, v9
	v_fma_f32 v12, -v10, v9, v0
	v_fma_f32 v13, -v11, v9, v0
	v_cmp_ge_f32_e64 s[4:5], 0, v12
	s_nop 1
	v_cndmask_b32_e64 v9, v9, v10, s[4:5]
	v_cmp_lt_f32_e64 s[4:5], 0, v13
	s_nop 1
	v_cndmask_b32_e64 v9, v9, v11, s[4:5]
	v_mul_f32_e32 v10, 0x37800000, v9
	v_cndmask_b32_e32 v9, v9, v10, vcc
	v_cmp_class_f32_e32 vcc, v0, v3
	s_nop 1
	v_cndmask_b32_e32 v0, v9, v0, vcc
	s_mov_b64 vcc, s[2:3]
	s_cbranch_vccz .LBB161_6
; %bb.5:
	global_load_dword v9, v8, s[10:11]
	s_waitcnt vmcnt(0)
	v_add_f32_e32 v0, v0, v9
.LBB161_6:
	s_waitcnt vmcnt(1)
	v_mul_f32_e32 v9, 0x3fb8aa3b, v1
	v_exp_f32_e32 v9, v9
	s_nop 0
	v_add_f32_e32 v9, 1.0, v9
	v_cmp_gt_f32_e32 vcc, s16, v9
	s_nop 1
	v_cndmask_b32_e32 v7, 1.0, v7, vcc
	v_mul_f32_e32 v7, v9, v7
	v_log_f32_e32 v7, v7
	v_cndmask_b32_e32 v5, 0, v5, vcc
	v_mul_f32_e32 v9, 0x3f317217, v7
	v_fma_f32 v9, v7, s7, -v9
	v_fmac_f32_e32 v9, 0x3377d1cf, v7
	v_fmac_f32_e32 v9, 0x3f317217, v7
	v_cmp_lt_f32_e64 vcc, |v7|, s14
	s_nop 1
	v_cndmask_b32_e32 v7, v7, v9, vcc
	v_sub_f32_e32 v5, v7, v5
	v_cmp_lt_f32_e32 vcc, s6, v1
	s_nop 1
	v_cndmask_b32_e32 v1, v5, v1, vcc
	v_mul_f32_e32 v5, 0x4f800000, v1
	v_cmp_gt_f32_e32 vcc, s15, v1
	s_nop 1
	v_cndmask_b32_e32 v1, v1, v5, vcc
	v_sqrt_f32_e32 v5, v1
	s_nop 0
	v_add_u32_e32 v7, -1, v5
	v_add_u32_e32 v9, 1, v5
	v_fma_f32 v10, -v7, v5, v1
	v_fma_f32 v11, -v9, v5, v1
	v_cmp_ge_f32_e64 s[2:3], 0, v10
	s_nop 1
	v_cndmask_b32_e64 v5, v5, v7, s[2:3]
	v_cmp_lt_f32_e64 s[2:3], 0, v11
	s_nop 1
	v_cndmask_b32_e64 v5, v5, v9, s[2:3]
	v_mul_f32_e32 v7, 0x37800000, v5
	v_cndmask_b32_e32 v5, v5, v7, vcc
	v_cndmask_b32_e64 v7, 0, 1, s[12:13]
	v_cmp_class_f32_e64 s[2:3], v1, v3
	v_cmp_ne_u32_e64 s[6:7], 1, v7
	s_andn2_b64 vcc, exec, s[12:13]
	v_cndmask_b32_e64 v1, v5, v1, s[2:3]
	s_cbranch_vccnz .LBB161_8
; %bb.7:
	global_load_dword v3, v8, s[10:11] offset:256
	s_waitcnt vmcnt(0)
	v_add_f32_e32 v1, v1, v3
.LBB161_8:
	s_waitcnt vmcnt(0)
	v_mul_f32_e32 v3, 0x3fb8aa3b, v2
	v_exp_f32_e32 v3, v3
	s_mov_b32 s2, 0x800000
	v_mov_b32_e32 v5, 0x4f800000
	s_mov_b32 s3, 0x7f800000
	v_add_f32_e32 v3, 1.0, v3
	v_cmp_gt_f32_e32 vcc, s2, v3
	s_mov_b32 s2, 0x3f317217
	s_mov_b32 s4, 0x41a00000
	v_cndmask_b32_e32 v5, 1.0, v5, vcc
	v_mul_f32_e32 v3, v3, v5
	v_log_f32_e32 v3, v3
	s_nop 0
	v_mul_f32_e32 v5, 0x3f317217, v3
	v_fma_f32 v5, v3, s2, -v5
	v_fmamk_f32 v5, v3, 0x3377d1cf, v5
	v_fmac_f32_e32 v5, 0x3f317217, v3
	v_cmp_lt_f32_e64 s[2:3], |v3|, s3
	s_nop 1
	v_cndmask_b32_e64 v3, v3, v5, s[2:3]
	v_mov_b32_e32 v5, 0x41b17218
	v_cndmask_b32_e32 v5, 0, v5, vcc
	v_sub_f32_e32 v3, v3, v5
	v_cmp_lt_f32_e32 vcc, s4, v2
	s_mov_b32 s2, 0xf800000
	s_nop 0
	v_cndmask_b32_e32 v2, v3, v2, vcc
	v_mul_f32_e32 v3, 0x4f800000, v2
	v_cmp_gt_f32_e32 vcc, s2, v2
	s_nop 1
	v_cndmask_b32_e32 v2, v2, v3, vcc
	v_sqrt_f32_e32 v3, v2
	s_nop 0
	v_add_u32_e32 v5, -1, v3
	v_fma_f32 v7, -v5, v3, v2
	v_cmp_ge_f32_e64 s[2:3], 0, v7
	v_add_u32_e32 v7, 1, v3
	s_nop 0
	v_cndmask_b32_e64 v5, v3, v5, s[2:3]
	v_fma_f32 v3, -v7, v3, v2
	v_cmp_lt_f32_e64 s[2:3], 0, v3
	s_nop 1
	v_cndmask_b32_e64 v3, v5, v7, s[2:3]
	v_mul_f32_e32 v5, 0x37800000, v3
	v_cndmask_b32_e32 v3, v3, v5, vcc
	v_mov_b32_e32 v5, 0x260
	v_cmp_class_f32_e64 s[2:3], v2, v5
	s_and_b64 vcc, exec, s[6:7]
	s_nop 0
	v_cndmask_b32_e64 v2, v3, v2, s[2:3]
	s_cbranch_vccnz .LBB161_10
; %bb.9:
	global_load_dword v3, v8, s[10:11] offset:512
	s_waitcnt vmcnt(0)
	v_add_f32_e32 v2, v2, v3
.LBB161_10:
	s_load_dwordx4 s[12:15], s[0:1], 0x30
	v_cmp_eq_u32_e64 s[4:5], 0, v6
	s_waitcnt lgkmcnt(0)
	s_bitcmp1_b32 s15, 0
	s_cselect_b64 s[2:3], -1, 0
	s_cmp_gt_i32 s12, 0
	s_cselect_b64 s[24:25], -1, 0
	s_and_b64 vcc, exec, s[24:25]
	s_cbranch_vccz .LBB161_41
; %bb.11:
	v_mbcnt_lo_u32_b32 v3, -1, 0
	v_mbcnt_hi_u32_b32 v3, -1, v3
	v_and_b32_e32 v5, 64, v3
	v_add_u32_e32 v8, 64, v5
	v_xor_b32_e32 v9, 32, v3
	v_cmp_lt_i32_e32 vcc, v9, v8
	s_load_dwordx4 s[16:19], s[0:1], 0x20
	s_mov_b32 s15, 0
	v_cndmask_b32_e32 v9, v3, v9, vcc
	v_lshlrev_b32_e32 v11, 2, v9
	v_xor_b32_e32 v9, 16, v3
	v_cmp_lt_i32_e32 vcc, v9, v8
	v_mul_lo_u32 v5, v4, s12
	v_or_b32_e32 v7, 64, v6
	v_cndmask_b32_e32 v9, v3, v9, vcc
	v_lshlrev_b32_e32 v12, 2, v9
	v_xor_b32_e32 v9, 8, v3
	v_cmp_lt_i32_e32 vcc, v9, v8
	v_or_b32_e32 v10, 0x80, v6
	v_mov_b32_e32 v17, 0xc0
	v_cndmask_b32_e32 v9, v3, v9, vcc
	v_lshlrev_b32_e32 v13, 2, v9
	v_xor_b32_e32 v9, 4, v3
	v_cmp_lt_i32_e32 vcc, v9, v8
	v_mov_b32_e32 v18, 0xc61c4000
	v_mov_b32_e32 v19, v4
	v_cndmask_b32_e32 v9, v3, v9, vcc
	v_lshlrev_b32_e32 v14, 2, v9
	v_xor_b32_e32 v9, 2, v3
	v_cmp_lt_i32_e32 vcc, v9, v8
	s_nop 1
	v_cndmask_b32_e32 v9, v3, v9, vcc
	v_lshlrev_b32_e32 v15, 2, v9
	v_xor_b32_e32 v9, 1, v3
	v_cmp_lt_i32_e32 vcc, v9, v8
	s_nop 1
	v_cndmask_b32_e32 v3, v3, v9, vcc
	v_lshlrev_b32_e32 v16, 2, v3
	v_mov_b32_e32 v3, 0
	s_branch .LBB161_14
.LBB161_12:                             ;   in Loop: Header=BB161_14 Depth=1
	v_add_u32_e32 v22, s15, v5
	v_cmp_le_i32_e32 vcc, s13, v8
	v_cmp_gt_i32_e64 s[0:1], s14, v8
	v_ashrrev_i32_e32 v23, 31, v22
	s_and_b64 s[0:1], vcc, s[0:1]
	v_lshlrev_b64 v[24:25], 2, v[22:23]
	v_subrev_u32_e32 v9, s13, v8
	v_lshl_add_u64 v[26:27], s[20:21], 0, v[24:25]
	s_waitcnt lgkmcnt(0)
	v_ashrrev_i32_e32 v21, 31, v9
	s_and_b64 vcc, s[22:23], s[0:1]
	global_store_dword v[26:27], v20, off
	v_cndmask_b32_e32 v27, 0, v21, vcc
	v_cndmask_b32_e32 v26, v17, v9, vcc
	v_lshl_add_u64 v[22:23], v[22:23], 3, s[16:17]
	v_add_f32_e32 v9, v3, v20
	global_store_dwordx2 v[22:23], v[26:27], off
	v_lshl_add_u64 v[22:23], s[18:19], 0, v[24:25]
	v_cndmask_b32_e64 v3, v3, v9, s[2:3]
	global_store_dword v[22:23], v19, off
.LBB161_13:                             ;   in Loop: Header=BB161_14 Depth=1
	s_or_b64 exec, exec, s[26:27]
	v_ashrrev_i32_e32 v9, 31, v8
	v_lshrrev_b32_e32 v9, 26, v9
	v_add_u32_e32 v9, v8, v9
	v_ashrrev_i32_e32 v20, 6, v9
	v_and_b32_e32 v9, 0xffffffc0, v9
	s_add_i32 s15, s15, 1
	v_sub_u32_e32 v8, v8, v9
	v_cmp_ne_u32_e64 s[0:1], 0, v20
	s_cmp_lt_i32 s15, s12
	v_cmp_eq_u32_e32 vcc, v6, v8
	v_cndmask_b32_e64 v8, v18, v0, s[0:1]
	v_cmp_ne_u32_e64 s[0:1], 1, v20
	s_cselect_b64 s[26:27], -1, 0
	s_and_b64 vcc, s[26:27], vcc
	v_cndmask_b32_e64 v9, v18, v1, s[0:1]
	v_cmp_ne_u32_e64 s[0:1], 2, v20
	v_cndmask_b32_e32 v1, v1, v9, vcc
	v_cndmask_b32_e32 v0, v0, v8, vcc
	v_cndmask_b32_e64 v20, v18, v2, s[0:1]
	v_cndmask_b32_e32 v2, v2, v20, vcc
	s_cmp_eq_u32 s12, s15
	v_add_u32_e32 v19, s30, v19
	s_cbranch_scc1 .LBB161_42
.LBB161_14:                             ; =>This Inner Loop Header: Depth=1
	v_cmp_gt_f32_e32 vcc, v1, v0
	s_nop 1
	v_cndmask_b32_e32 v9, v0, v1, vcc
	v_cndmask_b32_e32 v8, v6, v7, vcc
	v_cmp_gt_f32_e32 vcc, v2, v9
	s_nop 1
	v_cndmask_b32_e32 v20, v9, v2, vcc
	v_cndmask_b32_e32 v8, v8, v10, vcc
	ds_bpermute_b32 v9, v11, v20
	s_waitcnt lgkmcnt(0)
	ds_bpermute_b32 v21, v11, v8
	s_waitcnt lgkmcnt(0)
	v_cmp_lt_f32_e64 s[26:27], v20, v9
	v_cmp_nlt_f32_e32 vcc, v20, v9
	s_and_saveexec_b64 s[28:29], vcc
; %bb.15:                               ;   in Loop: Header=BB161_14 Depth=1
	v_cmp_eq_f32_e32 vcc, v20, v9
	v_cmp_lt_i32_e64 s[0:1], v21, v8
	s_and_b64 s[0:1], vcc, s[0:1]
	s_andn2_b64 s[26:27], s[26:27], exec
	s_and_b64 s[0:1], s[0:1], exec
	s_or_b64 s[26:27], s[26:27], s[0:1]
; %bb.16:                               ;   in Loop: Header=BB161_14 Depth=1
	s_or_b64 exec, exec, s[28:29]
	s_and_saveexec_b64 s[0:1], s[26:27]
; %bb.17:                               ;   in Loop: Header=BB161_14 Depth=1
	v_mov_b32_e32 v20, v9
	v_mov_b32_e32 v8, v21
; %bb.18:                               ;   in Loop: Header=BB161_14 Depth=1
	s_or_b64 exec, exec, s[0:1]
	ds_bpermute_b32 v9, v12, v20
	ds_bpermute_b32 v21, v12, v8
	s_waitcnt lgkmcnt(1)
	v_cmp_lt_f32_e64 s[26:27], v20, v9
	v_cmp_nlt_f32_e32 vcc, v20, v9
	s_and_saveexec_b64 s[28:29], vcc
	s_cbranch_execz .LBB161_20
; %bb.19:                               ;   in Loop: Header=BB161_14 Depth=1
	v_cmp_eq_f32_e32 vcc, v20, v9
	s_waitcnt lgkmcnt(0)
	v_cmp_lt_i32_e64 s[0:1], v21, v8
	s_and_b64 s[0:1], vcc, s[0:1]
	s_andn2_b64 s[26:27], s[26:27], exec
	s_and_b64 s[0:1], s[0:1], exec
	s_or_b64 s[26:27], s[26:27], s[0:1]
.LBB161_20:                             ;   in Loop: Header=BB161_14 Depth=1
	s_or_b64 exec, exec, s[28:29]
	s_and_saveexec_b64 s[0:1], s[26:27]
	s_cbranch_execz .LBB161_22
; %bb.21:                               ;   in Loop: Header=BB161_14 Depth=1
	v_mov_b32_e32 v20, v9
	s_waitcnt lgkmcnt(0)
	v_mov_b32_e32 v8, v21
.LBB161_22:                             ;   in Loop: Header=BB161_14 Depth=1
	s_or_b64 exec, exec, s[0:1]
	ds_bpermute_b32 v9, v13, v20
	s_waitcnt lgkmcnt(1)
	ds_bpermute_b32 v21, v13, v8
	s_waitcnt lgkmcnt(1)
	v_cmp_lt_f32_e64 s[26:27], v20, v9
	v_cmp_nlt_f32_e32 vcc, v20, v9
	s_and_saveexec_b64 s[28:29], vcc
	s_cbranch_execz .LBB161_24
; %bb.23:                               ;   in Loop: Header=BB161_14 Depth=1
	v_cmp_eq_f32_e32 vcc, v20, v9
	s_waitcnt lgkmcnt(0)
	v_cmp_lt_i32_e64 s[0:1], v21, v8
	s_and_b64 s[0:1], vcc, s[0:1]
	s_andn2_b64 s[26:27], s[26:27], exec
	s_and_b64 s[0:1], s[0:1], exec
	s_or_b64 s[26:27], s[26:27], s[0:1]
.LBB161_24:                             ;   in Loop: Header=BB161_14 Depth=1
	s_or_b64 exec, exec, s[28:29]
	s_and_saveexec_b64 s[0:1], s[26:27]
	s_cbranch_execz .LBB161_26
; %bb.25:                               ;   in Loop: Header=BB161_14 Depth=1
	v_mov_b32_e32 v20, v9
	s_waitcnt lgkmcnt(0)
	v_mov_b32_e32 v8, v21
.LBB161_26:                             ;   in Loop: Header=BB161_14 Depth=1
	s_or_b64 exec, exec, s[0:1]
	ds_bpermute_b32 v9, v14, v20
	s_waitcnt lgkmcnt(1)
	;; [unrolled: 26-line block ×4, first 2 shown]
	ds_bpermute_b32 v21, v16, v8
	s_waitcnt lgkmcnt(1)
	v_cmp_lt_f32_e64 s[26:27], v20, v9
	v_cmp_nlt_f32_e32 vcc, v20, v9
	s_and_saveexec_b64 s[28:29], vcc
	s_cbranch_execnz .LBB161_37
; %bb.35:                               ;   in Loop: Header=BB161_14 Depth=1
	s_or_b64 exec, exec, s[28:29]
	s_and_saveexec_b64 s[0:1], s[26:27]
	s_cbranch_execnz .LBB161_38
.LBB161_36:                             ;   in Loop: Header=BB161_14 Depth=1
	s_or_b64 exec, exec, s[0:1]
	s_and_saveexec_b64 s[26:27], s[4:5]
	s_cbranch_execz .LBB161_13
	s_branch .LBB161_39
.LBB161_37:                             ;   in Loop: Header=BB161_14 Depth=1
	v_cmp_eq_f32_e32 vcc, v20, v9
	s_waitcnt lgkmcnt(0)
	v_cmp_lt_i32_e64 s[0:1], v21, v8
	s_and_b64 s[0:1], vcc, s[0:1]
	s_andn2_b64 s[26:27], s[26:27], exec
	s_and_b64 s[0:1], s[0:1], exec
	s_or_b64 s[26:27], s[26:27], s[0:1]
	s_or_b64 exec, exec, s[28:29]
	s_and_saveexec_b64 s[0:1], s[26:27]
	s_cbranch_execz .LBB161_36
.LBB161_38:                             ;   in Loop: Header=BB161_14 Depth=1
	s_waitcnt lgkmcnt(0)
	v_mov_b32_e32 v8, v21
	v_mov_b32_e32 v20, v9
	s_or_b64 exec, exec, s[0:1]
	s_and_saveexec_b64 s[26:27], s[4:5]
	s_cbranch_execz .LBB161_13
.LBB161_39:                             ;   in Loop: Header=BB161_14 Depth=1
	s_and_b64 vcc, exec, s[6:7]
	s_cbranch_vccnz .LBB161_12
; %bb.40:                               ;   in Loop: Header=BB161_14 Depth=1
	v_ashrrev_i32_e32 v9, 31, v8
	v_lshl_add_u64 v[22:23], v[8:9], 2, s[10:11]
	global_load_dword v9, v[22:23], off
	s_waitcnt vmcnt(0)
	v_sub_f32_e32 v20, v20, v9
	s_branch .LBB161_12
.LBB161_41:
	v_mov_b32_e32 v3, 0
.LBB161_42:
	v_cmp_eq_u32_e32 vcc, 0, v6
	s_and_b64 exec, exec, vcc
	s_cbranch_execz .LBB161_55
; %bb.43:
	s_andn2_b64 vcc, exec, s[2:3]
	v_cvt_f32_f64_e32 v0, s[8:9]
	s_cbranch_vccnz .LBB161_45
; %bb.44:
	v_cmp_lt_f32_e32 vcc, 0, v3
	s_nop 1
	v_cndmask_b32_e32 v1, 1.0, v3, vcc
	v_div_scale_f32 v2, s[0:1], v1, v1, v0
	v_rcp_f32_e32 v3, v2
	s_nop 0
	v_fma_f32 v5, -v2, v3, 1.0
	v_fmac_f32_e32 v3, v5, v3
	v_div_scale_f32 v5, vcc, v0, v1, v0
	v_mul_f32_e32 v6, v5, v3
	v_fma_f32 v7, -v2, v6, v5
	v_fmac_f32_e32 v6, v7, v3
	v_fma_f32 v2, -v2, v6, v5
	v_div_fmas_f32 v2, v2, v3, v6
	v_div_fixup_f32 v0, v2, v1, v0
.LBB161_45:
	s_andn2_b64 vcc, exec, s[24:25]
	s_cbranch_vccnz .LBB161_55
; %bb.46:
	v_mul_lo_u32 v2, v4, s12
	s_cmp_gt_u32 s12, 3
	v_ashrrev_i32_e32 v3, 31, v2
	s_cbranch_scc0 .LBB161_50
; %bb.47:
	s_and_b32 s0, s12, 0x7ffffffc
	v_lshl_add_u64 v[4:5], v[2:3], 2, s[20:21]
	v_mov_b32_e32 v1, v0
	v_lshl_add_u64 v[4:5], v[4:5], 0, 8
	s_mov_b32 s1, s0
.LBB161_48:                             ; =>This Inner Loop Header: Depth=1
	global_load_dwordx4 v[6:9], v[4:5], off offset:-8
	s_add_i32 s1, s1, -4
	s_cmp_lg_u32 s1, 0
	s_waitcnt vmcnt(0)
	v_pk_mul_f32 v[6:7], v[0:1], v[6:7]
	v_pk_mul_f32 v[8:9], v[0:1], v[8:9]
	global_store_dwordx4 v[4:5], v[6:9], off offset:-8
	v_lshl_add_u64 v[4:5], v[4:5], 0, 16
	s_cbranch_scc1 .LBB161_48
; %bb.49:
	s_cmp_lg_u32 s0, s12
	s_cselect_b64 s[2:3], -1, 0
	s_branch .LBB161_52
.LBB161_50:
	s_mov_b64 s[2:3], 0
                                        ; implicit-def: $sgpr0
	s_cbranch_execz .LBB161_52
; %bb.51:
	s_mov_b64 s[2:3], -1
	s_mov_b32 s0, 0
.LBB161_52:
	s_andn2_b64 vcc, exec, s[2:3]
	s_cbranch_vccnz .LBB161_55
; %bb.53:
	s_mov_b32 s1, 0
	v_lshl_add_u64 v[2:3], v[2:3], 0, s[0:1]
	s_sub_i32 s2, s12, s0
	v_lshl_add_u64 v[2:3], v[2:3], 2, s[20:21]
.LBB161_54:                             ; =>This Inner Loop Header: Depth=1
	global_load_dword v1, v[2:3], off
	s_add_i32 s2, s2, -1
	s_cmp_lg_u32 s2, 0
	s_waitcnt vmcnt(0)
	v_mul_f32_e32 v1, v0, v1
	global_store_dword v[2:3], v1, off
	v_lshl_add_u64 v[2:3], v[2:3], 0, 4
	s_cbranch_scc1 .LBB161_54
.LBB161_55:
	s_endpgm
	.section	.rodata,"a",@progbits
	.p2align	6, 0x0
	.amdhsa_kernel _ZN4vllm3moe22topkGatingSoftplusSqrtILi3ELi192ELi4ELi4ELi64ELb0ElfEEvPKT6_PKbPfiPT5_PiiiibdPKfPKS8_SE_
		.amdhsa_group_segment_fixed_size 0
		.amdhsa_private_segment_fixed_size 0
		.amdhsa_kernarg_size 96
		.amdhsa_user_sgpr_count 2
		.amdhsa_user_sgpr_dispatch_ptr 0
		.amdhsa_user_sgpr_queue_ptr 0
		.amdhsa_user_sgpr_kernarg_segment_ptr 1
		.amdhsa_user_sgpr_dispatch_id 0
		.amdhsa_user_sgpr_kernarg_preload_length 0
		.amdhsa_user_sgpr_kernarg_preload_offset 0
		.amdhsa_user_sgpr_private_segment_size 0
		.amdhsa_uses_dynamic_stack 0
		.amdhsa_enable_private_segment 0
		.amdhsa_system_sgpr_workgroup_id_x 1
		.amdhsa_system_sgpr_workgroup_id_y 0
		.amdhsa_system_sgpr_workgroup_id_z 0
		.amdhsa_system_sgpr_workgroup_info 0
		.amdhsa_system_vgpr_workitem_id 1
		.amdhsa_next_free_vgpr 28
		.amdhsa_next_free_sgpr 31
		.amdhsa_accum_offset 28
		.amdhsa_reserve_vcc 1
		.amdhsa_float_round_mode_32 0
		.amdhsa_float_round_mode_16_64 0
		.amdhsa_float_denorm_mode_32 3
		.amdhsa_float_denorm_mode_16_64 3
		.amdhsa_dx10_clamp 1
		.amdhsa_ieee_mode 1
		.amdhsa_fp16_overflow 0
		.amdhsa_tg_split 0
		.amdhsa_exception_fp_ieee_invalid_op 0
		.amdhsa_exception_fp_denorm_src 0
		.amdhsa_exception_fp_ieee_div_zero 0
		.amdhsa_exception_fp_ieee_overflow 0
		.amdhsa_exception_fp_ieee_underflow 0
		.amdhsa_exception_fp_ieee_inexact 0
		.amdhsa_exception_int_div_zero 0
	.end_amdhsa_kernel
	.section	.text._ZN4vllm3moe22topkGatingSoftplusSqrtILi3ELi192ELi4ELi4ELi64ELb0ElfEEvPKT6_PKbPfiPT5_PiiiibdPKfPKS8_SE_,"axG",@progbits,_ZN4vllm3moe22topkGatingSoftplusSqrtILi3ELi192ELi4ELi4ELi64ELb0ElfEEvPKT6_PKbPfiPT5_PiiiibdPKfPKS8_SE_,comdat
.Lfunc_end161:
	.size	_ZN4vllm3moe22topkGatingSoftplusSqrtILi3ELi192ELi4ELi4ELi64ELb0ElfEEvPKT6_PKbPfiPT5_PiiiibdPKfPKS8_SE_, .Lfunc_end161-_ZN4vllm3moe22topkGatingSoftplusSqrtILi3ELi192ELi4ELi4ELi64ELb0ElfEEvPKT6_PKbPfiPT5_PiiiibdPKfPKS8_SE_
                                        ; -- End function
	.section	.AMDGPU.csdata,"",@progbits
; Kernel info:
; codeLenInByte = 2668
; NumSgprs: 37
; NumVgprs: 28
; NumAgprs: 0
; TotalNumVgprs: 28
; ScratchSize: 0
; MemoryBound: 0
; FloatMode: 240
; IeeeMode: 1
; LDSByteSize: 0 bytes/workgroup (compile time only)
; SGPRBlocks: 4
; VGPRBlocks: 3
; NumSGPRsForWavesPerEU: 37
; NumVGPRsForWavesPerEU: 28
; AccumOffset: 28
; Occupancy: 8
; WaveLimiterHint : 1
; COMPUTE_PGM_RSRC2:SCRATCH_EN: 0
; COMPUTE_PGM_RSRC2:USER_SGPR: 2
; COMPUTE_PGM_RSRC2:TRAP_HANDLER: 0
; COMPUTE_PGM_RSRC2:TGID_X_EN: 1
; COMPUTE_PGM_RSRC2:TGID_Y_EN: 0
; COMPUTE_PGM_RSRC2:TGID_Z_EN: 0
; COMPUTE_PGM_RSRC2:TIDIG_COMP_CNT: 1
; COMPUTE_PGM_RSRC3_GFX90A:ACCUM_OFFSET: 6
; COMPUTE_PGM_RSRC3_GFX90A:TG_SPLIT: 0
	.section	.text._ZN4vllm3moe22topkGatingSoftplusSqrtILi6ELi192ELi4ELi4ELi32ELb1ElfEEvPKT6_PKbPfiPT5_PiiiibdPKfPKS8_SE_,"axG",@progbits,_ZN4vllm3moe22topkGatingSoftplusSqrtILi6ELi192ELi4ELi4ELi32ELb1ElfEEvPKT6_PKbPfiPT5_PiiiibdPKfPKS8_SE_,comdat
	.protected	_ZN4vllm3moe22topkGatingSoftplusSqrtILi6ELi192ELi4ELi4ELi32ELb1ElfEEvPKT6_PKbPfiPT5_PiiiibdPKfPKS8_SE_ ; -- Begin function _ZN4vllm3moe22topkGatingSoftplusSqrtILi6ELi192ELi4ELi4ELi32ELb1ElfEEvPKT6_PKbPfiPT5_PiiiibdPKfPKS8_SE_
	.globl	_ZN4vllm3moe22topkGatingSoftplusSqrtILi6ELi192ELi4ELi4ELi32ELb1ElfEEvPKT6_PKbPfiPT5_PiiiibdPKfPKS8_SE_
	.p2align	8
	.type	_ZN4vllm3moe22topkGatingSoftplusSqrtILi6ELi192ELi4ELi4ELi32ELb1ElfEEvPKT6_PKbPfiPT5_PiiiibdPKfPKS8_SE_,@function
_ZN4vllm3moe22topkGatingSoftplusSqrtILi6ELi192ELi4ELi4ELi32ELb1ElfEEvPKT6_PKbPfiPT5_PiiiibdPKfPKS8_SE_: ; @_ZN4vllm3moe22topkGatingSoftplusSqrtILi6ELi192ELi4ELi4ELi32ELb1ElfEEvPKT6_PKbPfiPT5_PiiiibdPKfPKS8_SE_
; %bb.0:
	s_load_dword s3, s[0:1], 0x18
	v_and_b32_e32 v1, 0x3ff, v0
	s_lshl_b32 s2, s2, 2
	v_lshrrev_b32_e32 v2, 5, v1
	v_bfe_u32 v0, v0, 10, 10
	v_add3_u32 v0, s2, v0, v2
	s_waitcnt lgkmcnt(0)
	v_cmp_gt_i32_e32 vcc, s3, v0
	s_and_saveexec_b64 s[2:3], vcc
	s_cbranch_execz .LBB162_31
; %bb.1:
	s_load_dwordx4 s[8:11], s[0:1], 0x50
	s_load_dwordx2 s[2:3], s[0:1], 0x0
	s_load_dword s12, s[0:1], 0x30
	s_movk_i32 s4, 0xc0
	v_mul_lo_u32 v4, v0, s4
	s_waitcnt lgkmcnt(0)
	v_mov_b32_e32 v2, s8
	v_mov_b32_e32 v3, s9
	v_and_b32_e32 v12, 31, v1
	v_ashrrev_i32_e32 v1, 31, v0
	v_ashrrev_i32_e32 v5, 31, v4
	v_lshl_add_u64 v[2:3], v[0:1], 3, v[2:3]
	v_lshl_add_u64 v[6:7], v[4:5], 2, s[2:3]
	v_lshlrev_b32_e32 v4, 2, v12
	v_mov_b32_e32 v5, 0
	global_load_dwordx2 v[2:3], v[2:3], off
	v_lshl_add_u64 v[6:7], v[6:7], 0, v[4:5]
	global_load_dword v1, v[6:7], off
	global_load_dword v4, v[6:7], off offset:128
	global_load_dword v10, v[6:7], off offset:256
	;; [unrolled: 1-line block ×5, first 2 shown]
	s_mov_b32 s23, 0x800000
	s_ashr_i32 s13, s12, 31
	v_mov_b32_e32 v17, 0x4f800000
	s_mov_b32 s21, 0x3f317217
	s_mov_b32 s22, 0x7f800000
	v_mov_b32_e32 v18, 0x41b17218
	s_mov_b32 s17, 0x41a00000
	s_mov_b32 s20, 0xf800000
	v_mov_b32_e32 v19, 0x260
	v_cmp_lt_i64_e64 s[18:19], s[12:13], 1
	s_mov_b32 s16, 0
	v_cmp_gt_i64_e64 s[14:15], s[12:13], 0
	v_mul_lo_u32 v0, v0, s12
	s_waitcnt vmcnt(4)
	v_mul_f32_e32 v7, 0x3fb8aa3b, v4
	v_mul_lo_u32 v13, v3, s12
	v_mul_f32_e32 v3, 0x3fb8aa3b, v1
	v_exp_f32_e32 v6, v3
	v_exp_f32_e32 v7, v7
	s_waitcnt vmcnt(3)
	v_mul_f32_e32 v8, 0x3fb8aa3b, v10
	s_waitcnt vmcnt(2)
	v_mul_f32_e32 v9, 0x3fb8aa3b, v11
	v_mul_lo_u32 v14, v2, s13
	v_pk_add_f32 v[6:7], v[6:7], 1.0 op_sel_hi:[1,0]
	v_exp_f32_e32 v8, v8
	v_exp_f32_e32 v9, v9
	v_mad_u64_u32 v[2:3], s[2:3], v2, s12, 0
	v_cmp_gt_f32_e32 vcc, s23, v7
	v_add3_u32 v3, v3, v14, v13
	v_cmp_gt_f32_e64 s[2:3], s23, v6
	v_cndmask_b32_e32 v13, 1.0, v17, vcc
	v_mul_f32_e32 v7, v7, v13
	v_cndmask_b32_e64 v14, 1.0, v17, s[2:3]
	v_mul_f32_e32 v6, v6, v14
	v_log_f32_e32 v7, v7
	v_pk_add_f32 v[8:9], v[8:9], 1.0 op_sel_hi:[1,0]
	v_log_f32_e32 v6, v6
	v_cmp_gt_f32_e64 s[4:5], s23, v9
	v_cndmask_b32_e32 v13, 0, v18, vcc
	v_cmp_lt_f32_e64 vcc, |v7|, s22
	v_cndmask_b32_e64 v15, 1.0, v17, s[4:5]
	v_mul_f32_e32 v9, v9, v15
	v_mul_f32_e32 v15, 0x3f317217, v7
	;; [unrolled: 1-line block ×3, first 2 shown]
	v_fma_f32 v15, v7, s21, -v15
	v_fma_f32 v22, v6, s21, -v22
	v_fmac_f32_e32 v15, 0x3377d1cf, v7
	v_fmac_f32_e32 v22, 0x3377d1cf, v6
	;; [unrolled: 1-line block ×4, first 2 shown]
	v_cndmask_b32_e32 v7, v7, v15, vcc
	v_cmp_lt_f32_e64 vcc, |v6|, s22
	v_cndmask_b32_e64 v14, 0, v18, s[2:3]
	v_sub_f32_e32 v7, v7, v13
	v_cndmask_b32_e32 v6, v6, v22, vcc
	v_sub_f32_e32 v6, v6, v14
	v_cmp_lt_f32_e32 vcc, s17, v1
	v_log_f32_e32 v9, v9
	v_cmp_gt_f32_e64 s[6:7], s23, v8
	v_cndmask_b32_e32 v1, v6, v1, vcc
	v_cmp_lt_f32_e32 vcc, s17, v4
	v_cmp_gt_f32_e64 s[2:3], s20, v1
	v_cndmask_b32_e64 v16, 1.0, v17, s[6:7]
	v_cndmask_b32_e32 v4, v7, v4, vcc
	v_mul_f32_e32 v6, 0x4f800000, v4
	v_cmp_gt_f32_e32 vcc, s20, v4
	v_mul_f32_e32 v7, 0x4f800000, v1
	v_cndmask_b32_e64 v1, v1, v7, s[2:3]
	v_cndmask_b32_e32 v4, v4, v6, vcc
	v_sqrt_f32_e32 v6, v4
	v_sqrt_f32_e32 v7, v1
	v_mul_f32_e32 v23, 0x3f317217, v9
	v_fma_f32 v23, v9, s21, -v23
	v_add_u32_e32 v13, -1, v6
	v_add_u32_e32 v15, -1, v7
	v_fma_f32 v24, -v13, v6, v4
	v_add_u32_e32 v14, 1, v6
	v_fma_f32 v26, -v15, v7, v1
	v_cmp_ge_f32_e64 s[8:9], 0, v24
	v_add_u32_e32 v22, 1, v7
	v_fma_f32 v25, -v14, v6, v4
	v_cndmask_b32_e64 v6, v6, v13, s[8:9]
	v_cmp_ge_f32_e64 s[8:9], 0, v26
	v_fma_f32 v27, -v22, v7, v1
	v_fmac_f32_e32 v23, 0x3377d1cf, v9
	v_cndmask_b32_e64 v7, v7, v15, s[8:9]
	v_cmp_lt_f32_e64 s[8:9], 0, v25
	v_fmac_f32_e32 v23, 0x3f317217, v9
	v_lshl_add_u64 v[2:3], v[2:3], 3, s[10:11]
	v_cndmask_b32_e64 v6, v6, v14, s[8:9]
	v_cmp_lt_f32_e64 s[8:9], 0, v27
	v_mul_f32_e32 v13, 0x37800000, v6
	v_cndmask_b32_e32 v6, v6, v13, vcc
	v_cndmask_b32_e64 v7, v7, v22, s[8:9]
	v_mul_f32_e32 v14, 0x37800000, v7
	v_cmp_class_f32_e32 vcc, v4, v19
	v_cndmask_b32_e64 v7, v7, v14, s[2:3]
	v_cmp_lt_f32_e64 s[2:3], s17, v10
	v_cndmask_b32_e32 v13, v6, v4, vcc
	v_cmp_class_f32_e32 vcc, v1, v19
	v_cndmask_b32_e64 v6, 0, v18, s[4:5]
	s_nop 0
	v_cndmask_b32_e32 v14, v7, v1, vcc
	v_mul_f32_e32 v1, v8, v16
	v_log_f32_e32 v1, v1
	v_cmp_lt_f32_e64 vcc, |v9|, s22
	s_nop 1
	v_cndmask_b32_e32 v4, v9, v23, vcc
	v_sub_f32_e32 v4, v4, v6
	v_mul_f32_e32 v6, 0x3f317217, v1
	v_fma_f32 v6, v1, s21, -v6
	v_fmac_f32_e32 v6, 0x3377d1cf, v1
	v_fmac_f32_e32 v6, 0x3f317217, v1
	v_cmp_lt_f32_e64 vcc, |v1|, s22
	s_nop 1
	v_cndmask_b32_e32 v1, v1, v6, vcc
	v_cmp_lt_f32_e32 vcc, s17, v11
	v_cndmask_b32_e64 v6, 0, v18, s[6:7]
	v_sub_f32_e32 v1, v1, v6
	v_cndmask_b32_e32 v4, v4, v11, vcc
	v_mul_f32_e32 v7, 0x4f800000, v4
	v_cmp_gt_f32_e32 vcc, s20, v4
	v_cndmask_b32_e64 v1, v1, v10, s[2:3]
	s_nop 0
	v_cndmask_b32_e32 v4, v4, v7, vcc
	v_sqrt_f32_e32 v7, v4
	s_nop 0
	v_add_u32_e32 v6, -1, v7
	v_fma_f32 v8, -v6, v7, v4
	v_cmp_ge_f32_e64 s[2:3], 0, v8
	v_add_u32_e32 v8, 1, v7
	s_nop 0
	v_cndmask_b32_e64 v6, v7, v6, s[2:3]
	v_fma_f32 v7, -v8, v7, v4
	v_cmp_lt_f32_e64 s[2:3], 0, v7
	s_nop 1
	v_cndmask_b32_e64 v6, v6, v8, s[2:3]
	v_mul_f32_e32 v8, 0x4f800000, v1
	v_cmp_gt_f32_e64 s[2:3], s20, v1
	v_mul_f32_e32 v7, 0x37800000, v6
	v_cndmask_b32_e32 v6, v6, v7, vcc
	v_cndmask_b32_e64 v1, v1, v8, s[2:3]
	v_sqrt_f32_e32 v8, v1
	v_cmp_class_f32_e32 vcc, v4, v19
	s_waitcnt vmcnt(0)
	v_mul_f32_e32 v7, 0x3fb8aa3b, v21
	v_exp_f32_e32 v7, v7
	v_cndmask_b32_e32 v15, v6, v4, vcc
	v_add_u32_e32 v4, -1, v8
	v_fma_f32 v6, -v4, v8, v1
	v_cmp_ge_f32_e32 vcc, 0, v6
	v_mul_f32_e32 v6, 0x3fb8aa3b, v20
	v_exp_f32_e32 v6, v6
	v_add_u32_e32 v9, 1, v8
	v_cndmask_b32_e32 v4, v8, v4, vcc
	v_fma_f32 v8, -v9, v8, v1
	v_cmp_lt_f32_e32 vcc, 0, v8
	v_pk_add_f32 v[6:7], v[6:7], 1.0 op_sel_hi:[1,0]
	s_nop 0
	v_cndmask_b32_e32 v4, v4, v9, vcc
	v_cmp_gt_f32_e32 vcc, s23, v7
	v_mul_f32_e32 v8, 0x37800000, v4
	v_cndmask_b32_e64 v4, v4, v8, s[2:3]
	v_cndmask_b32_e32 v9, 1.0, v17, vcc
	v_mul_f32_e32 v7, v7, v9
	v_log_f32_e32 v7, v7
	v_cmp_class_f32_e64 s[2:3], v1, v19
	v_cmp_lt_f32_e64 s[4:5], |v7|, s22
	s_nop 0
	v_cndmask_b32_e64 v16, v4, v1, s[2:3]
	v_cmp_gt_f32_e64 s[2:3], s23, v6
	v_mul_f32_e32 v1, 0x3f317217, v7
	v_fma_f32 v1, v7, s21, -v1
	v_cndmask_b32_e64 v4, 1.0, v17, s[2:3]
	v_mul_f32_e32 v4, v6, v4
	v_log_f32_e32 v4, v4
	v_fmac_f32_e32 v1, 0x3377d1cf, v7
	v_fmac_f32_e32 v1, 0x3f317217, v7
	v_cndmask_b32_e64 v1, v7, v1, s[4:5]
	v_cndmask_b32_e32 v6, 0, v18, vcc
	v_sub_f32_e32 v1, v1, v6
	v_mul_f32_e32 v6, 0x3f317217, v4
	v_fma_f32 v6, v4, s21, -v6
	v_fmac_f32_e32 v6, 0x3377d1cf, v4
	v_fmac_f32_e32 v6, 0x3f317217, v4
	v_cmp_lt_f32_e64 vcc, |v4|, s22
	s_nop 1
	v_cndmask_b32_e32 v4, v4, v6, vcc
	v_cmp_lt_f32_e32 vcc, s17, v21
	v_cndmask_b32_e64 v6, 0, v18, s[2:3]
	v_sub_f32_e32 v4, v4, v6
	v_cndmask_b32_e32 v1, v1, v21, vcc
	v_mul_f32_e32 v7, 0x4f800000, v1
	v_cmp_gt_f32_e32 vcc, s20, v1
	v_cmp_lt_f32_e64 s[2:3], s17, v20
	s_nop 0
	v_cndmask_b32_e32 v1, v1, v7, vcc
	v_sqrt_f32_e32 v7, v1
	v_cndmask_b32_e64 v4, v4, v20, s[2:3]
	v_add_u32_e32 v6, -1, v7
	v_fma_f32 v8, -v6, v7, v1
	v_cmp_ge_f32_e64 s[2:3], 0, v8
	v_add_u32_e32 v8, 1, v7
	s_nop 0
	v_cndmask_b32_e64 v6, v7, v6, s[2:3]
	v_fma_f32 v7, -v8, v7, v1
	v_cmp_lt_f32_e64 s[2:3], 0, v7
	s_nop 1
	v_cndmask_b32_e64 v6, v6, v8, s[2:3]
	v_mul_f32_e32 v8, 0x4f800000, v4
	v_cmp_gt_f32_e64 s[2:3], s20, v4
	v_mul_f32_e32 v7, 0x37800000, v6
	v_cndmask_b32_e32 v6, v6, v7, vcc
	v_cndmask_b32_e64 v4, v4, v8, s[2:3]
	v_sqrt_f32_e32 v8, v4
	v_cmp_class_f32_e32 vcc, v1, v19
	s_nop 1
	v_cndmask_b32_e32 v17, v6, v1, vcc
	v_add_u32_e32 v1, -1, v8
	v_fma_f32 v6, -v1, v8, v4
	v_cmp_ge_f32_e32 vcc, 0, v6
	v_add_u32_e32 v6, 1, v8
	v_fma_f32 v7, -v6, v8, v4
	v_cndmask_b32_e32 v1, v8, v1, vcc
	v_cmp_lt_f32_e32 vcc, 0, v7
	s_nop 1
	v_cndmask_b32_e32 v1, v1, v6, vcc
	v_mul_f32_e32 v6, 0x37800000, v1
	v_cndmask_b32_e64 v1, v1, v6, s[2:3]
	v_cmp_class_f32_e32 vcc, v4, v19
	s_nop 1
	v_cndmask_b32_e32 v18, v1, v4, vcc
	s_and_b64 vcc, exec, s[18:19]
	s_cbranch_vccnz .LBB162_28
; %bb.2:
	s_load_dwordx2 s[4:5], s[0:1], 0x20
	s_cmp_lt_u32 s12, 4
	v_sub_u32_e32 v4, 0, v12
	s_cbranch_scc1 .LBB162_21
; %bb.3:
	s_mov_b32 s7, 0
	s_and_b32 s16, s12, 0x7ffffffc
	v_ashrrev_i32_e32 v1, 31, v0
	v_mov_b32_e32 v5, 0
	s_mov_b32 s6, s7
	s_branch .LBB162_5
.LBB162_4:                              ;   in Loop: Header=BB162_5 Depth=1
	s_or_b64 exec, exec, s[8:9]
	s_add_i32 s6, s6, 4
	s_cmp_eq_u32 s6, s16
	s_cbranch_scc1 .LBB162_21
.LBB162_5:                              ; =>This Loop Header: Depth=1
                                        ;     Child Loop BB162_7 Depth 2
                                        ;     Child Loop BB162_11 Depth 2
	;; [unrolled: 1-line block ×4, first 2 shown]
	v_lshl_add_u64 v[6:7], s[6:7], 3, v[2:3]
	global_load_dwordx2 v[8:9], v[6:7], off
	v_add_u32_e32 v10, s6, v0
	v_ashrrev_i32_e32 v11, 31, v10
	s_mov_b64 s[8:9], 0
	s_waitcnt lgkmcnt(0)
	v_lshl_add_u64 v[10:11], v[10:11], 3, s[4:5]
	s_mov_b64 s[10:11], 0
	s_waitcnt vmcnt(0)
	v_ashrrev_i32_e32 v9, 31, v8
	v_add_u32_e32 v19, v4, v8
	s_branch .LBB162_7
.LBB162_6:                              ;   in Loop: Header=BB162_7 Depth=2
	s_or_b64 exec, exec, s[18:19]
	s_cmp_gt_u32 s10, 4
	s_cselect_b64 s[2:3], -1, 0
	s_xor_b64 s[18:19], vcc, -1
	s_or_b64 s[2:3], s[18:19], s[2:3]
	s_add_u32 s10, s10, 1
	s_addc_u32 s11, s11, 0
	s_and_b64 s[2:3], exec, s[2:3]
	s_or_b64 s[8:9], s[2:3], s[8:9]
	v_subrev_u32_e32 v19, 32, v19
	s_andn2_b64 exec, exec, s[8:9]
	s_cbranch_execz .LBB162_9
.LBB162_7:                              ;   Parent Loop BB162_5 Depth=1
                                        ; =>  This Inner Loop Header: Depth=2
	v_cmp_ne_u32_e32 vcc, 0, v19
	v_cmp_eq_u32_e64 s[2:3], 0, v19
	s_and_saveexec_b64 s[18:19], s[2:3]
	s_cbranch_execz .LBB162_6
; %bb.8:                                ;   in Loop: Header=BB162_7 Depth=2
	s_cmp_eq_u32 s10, 1
	s_cselect_b64 s[2:3], -1, 0
	s_cmp_eq_u32 s10, 2
	v_cndmask_b32_e64 v20, v14, v13, s[2:3]
	s_cselect_b64 s[2:3], -1, 0
	s_cmp_eq_u32 s10, 3
	v_cndmask_b32_e64 v20, v20, v16, s[2:3]
	;; [unrolled: 3-line block ×4, first 2 shown]
	s_cselect_b64 s[2:3], -1, 0
	v_cndmask_b32_e64 v20, v20, v17, s[2:3]
	v_add_f32_e32 v5, v5, v20
	global_store_dwordx2 v[10:11], v[8:9], off
	s_branch .LBB162_6
.LBB162_9:                              ;   in Loop: Header=BB162_5 Depth=1
	s_or_b64 exec, exec, s[8:9]
	global_load_dwordx2 v[10:11], v[6:7], off offset:8
	s_ashr_i32 s3, s6, 31
	s_mov_b32 s2, s6
	v_lshl_add_u64 v[8:9], s[2:3], 0, v[0:1]
	s_mov_b64 s[8:9], 0
	v_lshl_add_u64 v[8:9], v[8:9], 3, s[4:5]
	s_mov_b64 s[10:11], 0
	s_waitcnt vmcnt(0)
	v_ashrrev_i32_e32 v11, 31, v10
	v_add_u32_e32 v19, v4, v10
	s_branch .LBB162_11
.LBB162_10:                             ;   in Loop: Header=BB162_11 Depth=2
	s_or_b64 exec, exec, s[18:19]
	s_cmp_gt_u32 s10, 4
	s_cselect_b64 s[2:3], -1, 0
	s_xor_b64 s[18:19], vcc, -1
	s_or_b64 s[2:3], s[18:19], s[2:3]
	s_add_u32 s10, s10, 1
	s_addc_u32 s11, s11, 0
	s_and_b64 s[2:3], exec, s[2:3]
	s_or_b64 s[8:9], s[2:3], s[8:9]
	v_subrev_u32_e32 v19, 32, v19
	s_andn2_b64 exec, exec, s[8:9]
	s_cbranch_execz .LBB162_13
.LBB162_11:                             ;   Parent Loop BB162_5 Depth=1
                                        ; =>  This Inner Loop Header: Depth=2
	v_cmp_ne_u32_e32 vcc, 0, v19
	v_cmp_eq_u32_e64 s[2:3], 0, v19
	s_and_saveexec_b64 s[18:19], s[2:3]
	s_cbranch_execz .LBB162_10
; %bb.12:                               ;   in Loop: Header=BB162_11 Depth=2
	s_cmp_eq_u32 s10, 1
	s_cselect_b64 s[2:3], -1, 0
	s_cmp_eq_u32 s10, 2
	v_cndmask_b32_e64 v20, v14, v13, s[2:3]
	s_cselect_b64 s[2:3], -1, 0
	s_cmp_eq_u32 s10, 3
	v_cndmask_b32_e64 v20, v20, v16, s[2:3]
	;; [unrolled: 3-line block ×4, first 2 shown]
	s_cselect_b64 s[2:3], -1, 0
	v_cndmask_b32_e64 v20, v20, v17, s[2:3]
	v_add_f32_e32 v5, v5, v20
	global_store_dwordx2 v[8:9], v[10:11], off offset:8
	s_branch .LBB162_10
.LBB162_13:                             ;   in Loop: Header=BB162_5 Depth=1
	s_or_b64 exec, exec, s[8:9]
	global_load_dwordx2 v[10:11], v[6:7], off offset:16
	s_mov_b64 s[8:9], 0
	s_mov_b64 s[10:11], 0
	s_waitcnt vmcnt(0)
	v_ashrrev_i32_e32 v11, 31, v10
	v_add_u32_e32 v19, v4, v10
	s_branch .LBB162_15
.LBB162_14:                             ;   in Loop: Header=BB162_15 Depth=2
	s_or_b64 exec, exec, s[18:19]
	s_cmp_gt_u32 s10, 4
	s_cselect_b64 s[2:3], -1, 0
	s_xor_b64 s[18:19], vcc, -1
	s_or_b64 s[2:3], s[18:19], s[2:3]
	s_add_u32 s10, s10, 1
	s_addc_u32 s11, s11, 0
	s_and_b64 s[2:3], exec, s[2:3]
	s_or_b64 s[8:9], s[2:3], s[8:9]
	v_subrev_u32_e32 v19, 32, v19
	s_andn2_b64 exec, exec, s[8:9]
	s_cbranch_execz .LBB162_17
.LBB162_15:                             ;   Parent Loop BB162_5 Depth=1
                                        ; =>  This Inner Loop Header: Depth=2
	v_cmp_ne_u32_e32 vcc, 0, v19
	v_cmp_eq_u32_e64 s[2:3], 0, v19
	s_and_saveexec_b64 s[18:19], s[2:3]
	s_cbranch_execz .LBB162_14
; %bb.16:                               ;   in Loop: Header=BB162_15 Depth=2
	s_cmp_eq_u32 s10, 1
	s_cselect_b64 s[2:3], -1, 0
	s_cmp_eq_u32 s10, 2
	v_cndmask_b32_e64 v20, v14, v13, s[2:3]
	s_cselect_b64 s[2:3], -1, 0
	s_cmp_eq_u32 s10, 3
	v_cndmask_b32_e64 v20, v20, v16, s[2:3]
	;; [unrolled: 3-line block ×4, first 2 shown]
	s_cselect_b64 s[2:3], -1, 0
	v_cndmask_b32_e64 v20, v20, v17, s[2:3]
	v_add_f32_e32 v5, v5, v20
	global_store_dwordx2 v[8:9], v[10:11], off offset:16
	s_branch .LBB162_14
.LBB162_17:                             ;   in Loop: Header=BB162_5 Depth=1
	s_or_b64 exec, exec, s[8:9]
	global_load_dwordx2 v[6:7], v[6:7], off offset:24
	s_mov_b64 s[8:9], 0
	s_mov_b64 s[10:11], 0
	s_waitcnt vmcnt(0)
	v_ashrrev_i32_e32 v7, 31, v6
	v_add_u32_e32 v10, v4, v6
	s_branch .LBB162_19
.LBB162_18:                             ;   in Loop: Header=BB162_19 Depth=2
	s_or_b64 exec, exec, s[18:19]
	s_cmp_gt_u32 s10, 4
	s_cselect_b64 s[2:3], -1, 0
	s_xor_b64 s[18:19], vcc, -1
	s_or_b64 s[2:3], s[18:19], s[2:3]
	s_add_u32 s10, s10, 1
	s_addc_u32 s11, s11, 0
	s_and_b64 s[2:3], exec, s[2:3]
	s_or_b64 s[8:9], s[2:3], s[8:9]
	v_subrev_u32_e32 v10, 32, v10
	s_andn2_b64 exec, exec, s[8:9]
	s_cbranch_execz .LBB162_4
.LBB162_19:                             ;   Parent Loop BB162_5 Depth=1
                                        ; =>  This Inner Loop Header: Depth=2
	v_cmp_ne_u32_e32 vcc, 0, v10
	v_cmp_eq_u32_e64 s[2:3], 0, v10
	s_and_saveexec_b64 s[18:19], s[2:3]
	s_cbranch_execz .LBB162_18
; %bb.20:                               ;   in Loop: Header=BB162_19 Depth=2
	s_cmp_eq_u32 s10, 1
	s_cselect_b64 s[2:3], -1, 0
	s_cmp_eq_u32 s10, 2
	v_cndmask_b32_e64 v11, v14, v13, s[2:3]
	s_cselect_b64 s[2:3], -1, 0
	s_cmp_eq_u32 s10, 3
	v_cndmask_b32_e64 v11, v11, v16, s[2:3]
	s_cselect_b64 s[2:3], -1, 0
	s_cmp_eq_u32 s10, 4
	v_cndmask_b32_e64 v11, v11, v15, s[2:3]
	s_cselect_b64 s[2:3], -1, 0
	s_cmp_eq_u32 s10, 5
	v_cndmask_b32_e64 v11, v11, v18, s[2:3]
	s_cselect_b64 s[2:3], -1, 0
	v_cndmask_b32_e64 v11, v11, v17, s[2:3]
	v_add_f32_e32 v5, v5, v11
	global_store_dwordx2 v[8:9], v[6:7], off offset:24
	s_branch .LBB162_18
.LBB162_21:
	s_and_b32 s13, s12, 3
	s_cmp_eq_u32 s13, 0
	s_mov_b32 s17, 0
	s_cbranch_scc1 .LBB162_28
; %bb.22:
	s_mov_b32 s18, s17
	s_branch .LBB162_24
.LBB162_23:                             ;   in Loop: Header=BB162_24 Depth=1
	s_or_b64 exec, exec, s[6:7]
	s_add_i32 s16, s16, 1
	s_add_i32 s18, s18, 1
	s_cmp_lg_u32 s18, s13
	s_cbranch_scc0 .LBB162_28
.LBB162_24:                             ; =>This Loop Header: Depth=1
                                        ;     Child Loop BB162_26 Depth 2
	v_lshl_add_u64 v[6:7], s[16:17], 3, v[2:3]
	global_load_dwordx2 v[6:7], v[6:7], off
	v_add_u32_e32 v8, s16, v0
	v_ashrrev_i32_e32 v9, 31, v8
	s_mov_b64 s[6:7], 0
	s_waitcnt lgkmcnt(0)
	v_lshl_add_u64 v[8:9], v[8:9], 3, s[4:5]
	s_mov_b64 s[8:9], 0
	s_waitcnt vmcnt(0)
	v_ashrrev_i32_e32 v7, 31, v6
	v_add_u32_e32 v1, v4, v6
	s_branch .LBB162_26
.LBB162_25:                             ;   in Loop: Header=BB162_26 Depth=2
	s_or_b64 exec, exec, s[10:11]
	s_cmp_gt_u32 s8, 4
	s_cselect_b64 s[2:3], -1, 0
	s_xor_b64 s[10:11], vcc, -1
	s_or_b64 s[2:3], s[10:11], s[2:3]
	s_add_u32 s8, s8, 1
	s_addc_u32 s9, s9, 0
	s_and_b64 s[2:3], exec, s[2:3]
	s_or_b64 s[6:7], s[2:3], s[6:7]
	v_subrev_u32_e32 v1, 32, v1
	s_andn2_b64 exec, exec, s[6:7]
	s_cbranch_execz .LBB162_23
.LBB162_26:                             ;   Parent Loop BB162_24 Depth=1
                                        ; =>  This Inner Loop Header: Depth=2
	v_cmp_ne_u32_e32 vcc, 0, v1
	v_cmp_eq_u32_e64 s[2:3], 0, v1
	s_and_saveexec_b64 s[10:11], s[2:3]
	s_cbranch_execz .LBB162_25
; %bb.27:                               ;   in Loop: Header=BB162_26 Depth=2
	s_cmp_eq_u32 s8, 1
	s_cselect_b64 s[2:3], -1, 0
	s_cmp_eq_u32 s8, 2
	v_cndmask_b32_e64 v10, v14, v13, s[2:3]
	s_cselect_b64 s[2:3], -1, 0
	s_cmp_eq_u32 s8, 3
	v_cndmask_b32_e64 v10, v10, v16, s[2:3]
	;; [unrolled: 3-line block ×4, first 2 shown]
	s_cselect_b64 s[2:3], -1, 0
	v_cndmask_b32_e64 v10, v10, v17, s[2:3]
	v_add_f32_e32 v5, v5, v10
	global_store_dwordx2 v[8:9], v[6:7], off
	s_branch .LBB162_25
.LBB162_28:
	s_waitcnt lgkmcnt(0)
	s_load_dword s4, s[0:1], 0x3c
	s_waitcnt lgkmcnt(0)
	s_bitcmp1_b32 s4, 0
	s_cselect_b64 s[2:3], -1, 0
	s_bitcmp0_b32 s4, 0
	s_cbranch_scc0 .LBB162_32
; %bb.29:
	s_load_dwordx2 s[4:5], s[0:1], 0x40
	s_andn2_b64 vcc, exec, s[2:3]
	s_waitcnt lgkmcnt(0)
	v_cvt_f32_f64_e32 v10, s[4:5]
	s_cbranch_vccz .LBB162_33
.LBB162_30:
	s_andn2_b64 vcc, exec, s[14:15]
	s_cbranch_vccz .LBB162_34
.LBB162_31:
	s_endpgm
.LBB162_32:
	v_mbcnt_lo_u32_b32 v1, -1, 0
	v_mbcnt_hi_u32_b32 v1, -1, v1
	v_and_b32_e32 v4, 0x60, v1
	v_add_u32_e32 v4, 32, v4
	v_xor_b32_e32 v6, 16, v1
	v_cmp_lt_i32_e32 vcc, v6, v4
	v_xor_b32_e32 v7, 8, v1
	s_nop 0
	v_cndmask_b32_e32 v6, v1, v6, vcc
	v_lshlrev_b32_e32 v6, 2, v6
	ds_bpermute_b32 v6, v6, v5
	v_cmp_lt_i32_e32 vcc, v7, v4
	s_waitcnt lgkmcnt(0)
	v_add_f32_e32 v5, v5, v6
	v_cndmask_b32_e32 v6, v1, v7, vcc
	v_lshlrev_b32_e32 v6, 2, v6
	ds_bpermute_b32 v6, v6, v5
	v_xor_b32_e32 v7, 4, v1
	v_cmp_lt_i32_e32 vcc, v7, v4
	s_waitcnt lgkmcnt(0)
	v_add_f32_e32 v5, v5, v6
	v_cndmask_b32_e32 v6, v1, v7, vcc
	v_lshlrev_b32_e32 v6, 2, v6
	ds_bpermute_b32 v6, v6, v5
	v_xor_b32_e32 v7, 2, v1
	;; [unrolled: 7-line block ×3, first 2 shown]
	v_cmp_lt_i32_e32 vcc, v7, v4
	s_waitcnt lgkmcnt(0)
	v_add_f32_e32 v5, v5, v6
	v_cndmask_b32_e32 v1, v1, v7, vcc
	v_lshlrev_b32_e32 v1, 2, v1
	ds_bpermute_b32 v1, v1, v5
	s_waitcnt lgkmcnt(0)
	v_add_f32_e32 v5, v5, v1
	s_load_dwordx2 s[4:5], s[0:1], 0x40
	s_andn2_b64 vcc, exec, s[2:3]
	s_waitcnt lgkmcnt(0)
	v_cvt_f32_f64_e32 v10, s[4:5]
	s_cbranch_vccnz .LBB162_30
.LBB162_33:
	v_cmp_lt_f32_e32 vcc, 0, v5
	s_nop 1
	v_cndmask_b32_e32 v1, 1.0, v5, vcc
	v_div_scale_f32 v4, s[2:3], v1, v1, v10
	v_rcp_f32_e32 v5, v4
	s_nop 0
	v_fma_f32 v6, -v4, v5, 1.0
	v_fmac_f32_e32 v5, v6, v5
	v_div_scale_f32 v6, vcc, v10, v1, v10
	v_mul_f32_e32 v7, v6, v5
	v_fma_f32 v8, -v4, v7, v6
	v_fmac_f32_e32 v7, v8, v5
	v_fma_f32 v4, -v4, v7, v6
	v_div_fmas_f32 v4, v4, v5, v7
	v_div_fixup_f32 v10, v4, v1, v10
	s_andn2_b64 vcc, exec, s[14:15]
	s_cbranch_vccnz .LBB162_31
.LBB162_34:
	s_load_dwordx2 s[8:9], s[0:1], 0x10
	v_or_b32_e32 v22, 32, v12
	v_or_b32_e32 v21, 64, v12
	;; [unrolled: 1-line block ×5, first 2 shown]
	s_cmp_eq_u32 s12, 1
	s_mov_b32 s10, 0
	s_cbranch_scc1 .LBB162_61
; %bb.35:
	v_ashrrev_i32_e32 v1, 31, v0
	s_waitcnt lgkmcnt(0)
	v_lshl_add_u64 v[4:5], v[0:1], 2, s[8:9]
	s_and_b32 s10, s12, 0x7ffffffe
	v_lshl_add_u64 v[4:5], v[4:5], 0, 4
	v_lshl_add_u64 v[6:7], v[2:3], 0, 8
	s_mov_b32 s11, 0
	s_branch .LBB162_37
.LBB162_36:                             ;   in Loop: Header=BB162_37 Depth=1
	s_or_b64 exec, exec, s[0:1]
	s_add_i32 s11, s11, 2
	v_lshl_add_u64 v[4:5], v[4:5], 0, 8
	s_cmp_lg_u32 s10, s11
	v_lshl_add_u64 v[6:7], v[6:7], 0, 16
	s_cbranch_scc0 .LBB162_61
.LBB162_37:                             ; =>This Inner Loop Header: Depth=1
	global_load_dword v1, v[6:7], off offset:-8
	v_mov_b64_e32 v[8:9], 0
	s_waitcnt vmcnt(0)
	v_cmp_eq_u32_e32 vcc, v12, v1
	v_cmp_ne_u32_e64 s[0:1], v12, v1
	s_and_saveexec_b64 s[14:15], s[0:1]
	s_cbranch_execz .LBB162_47
; %bb.38:                               ;   in Loop: Header=BB162_37 Depth=1
	v_cmp_eq_u32_e64 s[0:1], v22, v1
	v_cmp_ne_u32_e64 s[2:3], v22, v1
	v_mov_b64_e32 v[8:9], 1
	s_and_saveexec_b64 s[16:17], s[2:3]
	s_cbranch_execz .LBB162_46
; %bb.39:                               ;   in Loop: Header=BB162_37 Depth=1
	v_cmp_eq_u32_e64 s[2:3], v21, v1
	v_cmp_ne_u32_e64 s[4:5], v21, v1
	v_mov_b64_e32 v[8:9], 2
	;; [unrolled: 6-line block ×4, first 2 shown]
	s_and_saveexec_b64 s[24:25], s[6:7]
	s_xor_b64 s[24:25], exec, s[24:25]
; %bb.42:                               ;   in Loop: Header=BB162_37 Depth=1
	v_cmp_eq_u32_e64 s[6:7], v11, v1
	s_andn2_b64 s[22:23], s[22:23], exec
	s_and_b64 s[6:7], s[6:7], exec
	v_mov_b64_e32 v[8:9], 5
	s_or_b64 s[22:23], s[22:23], s[6:7]
; %bb.43:                               ;   in Loop: Header=BB162_37 Depth=1
	s_or_b64 exec, exec, s[24:25]
	s_andn2_b64 s[4:5], s[4:5], exec
	s_and_b64 s[6:7], s[22:23], exec
	s_or_b64 s[4:5], s[4:5], s[6:7]
.LBB162_44:                             ;   in Loop: Header=BB162_37 Depth=1
	s_or_b64 exec, exec, s[20:21]
	s_andn2_b64 s[2:3], s[2:3], exec
	s_and_b64 s[4:5], s[4:5], exec
	s_or_b64 s[2:3], s[2:3], s[4:5]
.LBB162_45:                             ;   in Loop: Header=BB162_37 Depth=1
	s_or_b64 exec, exec, s[18:19]
	s_andn2_b64 s[0:1], s[0:1], exec
	s_and_b64 s[2:3], s[2:3], exec
	s_or_b64 s[0:1], s[0:1], s[2:3]
.LBB162_46:                             ;   in Loop: Header=BB162_37 Depth=1
	s_or_b64 exec, exec, s[16:17]
	s_andn2_b64 s[2:3], vcc, exec
	s_and_b64 s[0:1], s[0:1], exec
	s_or_b64 vcc, s[2:3], s[0:1]
.LBB162_47:                             ;   in Loop: Header=BB162_37 Depth=1
	s_or_b64 exec, exec, s[14:15]
	s_and_saveexec_b64 s[0:1], vcc
	s_cbranch_execz .LBB162_49
; %bb.48:                               ;   in Loop: Header=BB162_37 Depth=1
	v_cmp_eq_u32_e32 vcc, 1, v8
	v_add_u32_e32 v24, s11, v0
	v_ashrrev_i32_e32 v25, 31, v24
	v_cndmask_b32_e32 v1, v14, v13, vcc
	v_cmp_eq_u32_e32 vcc, 2, v8
	s_nop 1
	v_cndmask_b32_e32 v1, v1, v16, vcc
	v_cmp_eq_u32_e32 vcc, 3, v8
	s_nop 1
	;; [unrolled: 3-line block ×3, first 2 shown]
	v_cndmask_b32_e32 v1, v1, v18, vcc
	v_cmp_eq_u32_e32 vcc, 5, v8
	v_lshl_add_u64 v[8:9], v[24:25], 2, s[8:9]
	s_nop 0
	v_cndmask_b32_e32 v1, v1, v17, vcc
	v_mul_f32_e32 v1, v10, v1
	global_store_dword v[8:9], v1, off
.LBB162_49:                             ;   in Loop: Header=BB162_37 Depth=1
	s_or_b64 exec, exec, s[0:1]
	global_load_dword v1, v[6:7], off
	v_mov_b64_e32 v[8:9], 0
	s_waitcnt vmcnt(0)
	v_cmp_eq_u32_e64 s[4:5], v12, v1
	v_cmp_ne_u32_e32 vcc, v12, v1
	s_and_saveexec_b64 s[6:7], vcc
	s_cbranch_execz .LBB162_59
; %bb.50:                               ;   in Loop: Header=BB162_37 Depth=1
	v_cmp_eq_u32_e32 vcc, v22, v1
	v_cmp_ne_u32_e64 s[0:1], v22, v1
	v_mov_b64_e32 v[8:9], 1
	s_and_saveexec_b64 s[14:15], s[0:1]
	s_cbranch_execz .LBB162_58
; %bb.51:                               ;   in Loop: Header=BB162_37 Depth=1
	v_cmp_eq_u32_e64 s[0:1], v21, v1
	v_cmp_ne_u32_e64 s[2:3], v21, v1
	v_mov_b64_e32 v[8:9], 2
	s_and_saveexec_b64 s[16:17], s[2:3]
	s_cbranch_execz .LBB162_57
; %bb.52:                               ;   in Loop: Header=BB162_37 Depth=1
	v_cmp_eq_u32_e64 s[18:19], v20, v1
	;; [unrolled: 6-line block ×3, first 2 shown]
	v_cmp_ne_u32_e64 s[2:3], v19, v1
	v_mov_b64_e32 v[8:9], 4
	s_and_saveexec_b64 s[24:25], s[2:3]
; %bb.54:                               ;   in Loop: Header=BB162_37 Depth=1
	v_cmp_eq_u32_e64 s[2:3], v11, v1
	s_andn2_b64 s[22:23], s[22:23], exec
	s_and_b64 s[2:3], s[2:3], exec
	v_mov_b64_e32 v[8:9], 5
	s_or_b64 s[22:23], s[22:23], s[2:3]
; %bb.55:                               ;   in Loop: Header=BB162_37 Depth=1
	s_or_b64 exec, exec, s[24:25]
	s_andn2_b64 s[2:3], s[18:19], exec
	s_and_b64 s[18:19], s[22:23], exec
	s_or_b64 s[18:19], s[2:3], s[18:19]
.LBB162_56:                             ;   in Loop: Header=BB162_37 Depth=1
	s_or_b64 exec, exec, s[20:21]
	s_andn2_b64 s[0:1], s[0:1], exec
	s_and_b64 s[2:3], s[18:19], exec
	s_or_b64 s[0:1], s[0:1], s[2:3]
.LBB162_57:                             ;   in Loop: Header=BB162_37 Depth=1
	s_or_b64 exec, exec, s[16:17]
	s_andn2_b64 s[2:3], vcc, exec
	s_and_b64 s[0:1], s[0:1], exec
	s_or_b64 vcc, s[2:3], s[0:1]
.LBB162_58:                             ;   in Loop: Header=BB162_37 Depth=1
	s_or_b64 exec, exec, s[14:15]
	s_andn2_b64 s[0:1], s[4:5], exec
	s_and_b64 s[2:3], vcc, exec
	s_or_b64 s[4:5], s[0:1], s[2:3]
.LBB162_59:                             ;   in Loop: Header=BB162_37 Depth=1
	s_or_b64 exec, exec, s[6:7]
	s_and_saveexec_b64 s[0:1], s[4:5]
	s_cbranch_execz .LBB162_36
; %bb.60:                               ;   in Loop: Header=BB162_37 Depth=1
	v_cmp_eq_u32_e32 vcc, 1, v8
	s_nop 1
	v_cndmask_b32_e32 v1, v14, v13, vcc
	v_cmp_eq_u32_e32 vcc, 2, v8
	s_nop 1
	v_cndmask_b32_e32 v1, v1, v16, vcc
	;; [unrolled: 3-line block ×5, first 2 shown]
	v_mul_f32_e32 v1, v10, v1
	global_store_dword v[4:5], v1, off
	s_branch .LBB162_36
.LBB162_61:
	s_bitcmp0_b32 s12, 0
	s_mov_b32 s11, 0
	s_cbranch_scc1 .LBB162_31
; %bb.62:
	v_lshl_add_u64 v[2:3], s[10:11], 3, v[2:3]
	global_load_dword v1, v[2:3], off
	v_mov_b64_e32 v[2:3], 0
	s_waitcnt vmcnt(0)
	v_cmp_eq_u32_e64 s[4:5], v12, v1
	v_cmp_ne_u32_e32 vcc, v12, v1
	s_and_saveexec_b64 s[6:7], vcc
	s_cbranch_execz .LBB162_72
; %bb.63:
	v_cmp_eq_u32_e32 vcc, v22, v1
	v_cmp_ne_u32_e64 s[0:1], v22, v1
	v_mov_b64_e32 v[2:3], 1
	s_and_saveexec_b64 s[12:13], s[0:1]
	s_cbranch_execz .LBB162_71
; %bb.64:
	v_cmp_eq_u32_e64 s[0:1], v21, v1
	v_cmp_ne_u32_e64 s[2:3], v21, v1
	v_mov_b64_e32 v[2:3], 2
	s_and_saveexec_b64 s[14:15], s[2:3]
	s_cbranch_execz .LBB162_70
; %bb.65:
	v_cmp_eq_u32_e64 s[16:17], v20, v1
	v_cmp_ne_u32_e64 s[2:3], v20, v1
	v_mov_b64_e32 v[2:3], 3
	s_and_saveexec_b64 s[18:19], s[2:3]
	s_cbranch_execz .LBB162_69
; %bb.66:
	v_cmp_eq_u32_e64 s[20:21], v19, v1
	v_cmp_ne_u32_e64 s[2:3], v19, v1
	v_mov_b64_e32 v[2:3], 4
	s_and_saveexec_b64 s[22:23], s[2:3]
; %bb.67:
	v_cmp_eq_u32_e64 s[2:3], v11, v1
	s_andn2_b64 s[20:21], s[20:21], exec
	s_and_b64 s[2:3], s[2:3], exec
	v_mov_b64_e32 v[2:3], 5
	s_or_b64 s[20:21], s[20:21], s[2:3]
; %bb.68:
	s_or_b64 exec, exec, s[22:23]
	s_andn2_b64 s[2:3], s[16:17], exec
	s_and_b64 s[16:17], s[20:21], exec
	s_or_b64 s[16:17], s[2:3], s[16:17]
.LBB162_69:
	s_or_b64 exec, exec, s[18:19]
	s_andn2_b64 s[0:1], s[0:1], exec
	s_and_b64 s[2:3], s[16:17], exec
	s_or_b64 s[0:1], s[0:1], s[2:3]
.LBB162_70:
	s_or_b64 exec, exec, s[14:15]
	s_andn2_b64 s[2:3], vcc, exec
	s_and_b64 s[0:1], s[0:1], exec
	s_or_b64 vcc, s[2:3], s[0:1]
.LBB162_71:
	s_or_b64 exec, exec, s[12:13]
	s_andn2_b64 s[0:1], s[4:5], exec
	s_and_b64 s[2:3], vcc, exec
	s_or_b64 s[4:5], s[0:1], s[2:3]
.LBB162_72:
	s_or_b64 exec, exec, s[6:7]
	s_and_b64 exec, exec, s[4:5]
	s_cbranch_execz .LBB162_31
; %bb.73:
	v_cmp_eq_u32_e32 vcc, 1, v2
	v_add_u32_e32 v0, s10, v0
	s_nop 0
	v_cndmask_b32_e32 v1, v14, v13, vcc
	v_cmp_eq_u32_e32 vcc, 2, v2
	s_nop 1
	v_cndmask_b32_e32 v1, v1, v16, vcc
	v_cmp_eq_u32_e32 vcc, 3, v2
	;; [unrolled: 3-line block ×4, first 2 shown]
	s_nop 1
	v_cndmask_b32_e32 v1, v1, v17, vcc
	v_mul_f32_e32 v2, v10, v1
	v_ashrrev_i32_e32 v1, 31, v0
	s_waitcnt lgkmcnt(0)
	v_lshl_add_u64 v[0:1], v[0:1], 2, s[8:9]
	global_store_dword v[0:1], v2, off
	s_endpgm
	.section	.rodata,"a",@progbits
	.p2align	6, 0x0
	.amdhsa_kernel _ZN4vllm3moe22topkGatingSoftplusSqrtILi6ELi192ELi4ELi4ELi32ELb1ElfEEvPKT6_PKbPfiPT5_PiiiibdPKfPKS8_SE_
		.amdhsa_group_segment_fixed_size 0
		.amdhsa_private_segment_fixed_size 0
		.amdhsa_kernarg_size 96
		.amdhsa_user_sgpr_count 2
		.amdhsa_user_sgpr_dispatch_ptr 0
		.amdhsa_user_sgpr_queue_ptr 0
		.amdhsa_user_sgpr_kernarg_segment_ptr 1
		.amdhsa_user_sgpr_dispatch_id 0
		.amdhsa_user_sgpr_kernarg_preload_length 0
		.amdhsa_user_sgpr_kernarg_preload_offset 0
		.amdhsa_user_sgpr_private_segment_size 0
		.amdhsa_uses_dynamic_stack 0
		.amdhsa_enable_private_segment 0
		.amdhsa_system_sgpr_workgroup_id_x 1
		.amdhsa_system_sgpr_workgroup_id_y 0
		.amdhsa_system_sgpr_workgroup_id_z 0
		.amdhsa_system_sgpr_workgroup_info 0
		.amdhsa_system_vgpr_workitem_id 1
		.amdhsa_next_free_vgpr 28
		.amdhsa_next_free_sgpr 26
		.amdhsa_accum_offset 28
		.amdhsa_reserve_vcc 1
		.amdhsa_float_round_mode_32 0
		.amdhsa_float_round_mode_16_64 0
		.amdhsa_float_denorm_mode_32 3
		.amdhsa_float_denorm_mode_16_64 3
		.amdhsa_dx10_clamp 1
		.amdhsa_ieee_mode 1
		.amdhsa_fp16_overflow 0
		.amdhsa_tg_split 0
		.amdhsa_exception_fp_ieee_invalid_op 0
		.amdhsa_exception_fp_denorm_src 0
		.amdhsa_exception_fp_ieee_div_zero 0
		.amdhsa_exception_fp_ieee_overflow 0
		.amdhsa_exception_fp_ieee_underflow 0
		.amdhsa_exception_fp_ieee_inexact 0
		.amdhsa_exception_int_div_zero 0
	.end_amdhsa_kernel
	.section	.text._ZN4vllm3moe22topkGatingSoftplusSqrtILi6ELi192ELi4ELi4ELi32ELb1ElfEEvPKT6_PKbPfiPT5_PiiiibdPKfPKS8_SE_,"axG",@progbits,_ZN4vllm3moe22topkGatingSoftplusSqrtILi6ELi192ELi4ELi4ELi32ELb1ElfEEvPKT6_PKbPfiPT5_PiiiibdPKfPKS8_SE_,comdat
.Lfunc_end162:
	.size	_ZN4vllm3moe22topkGatingSoftplusSqrtILi6ELi192ELi4ELi4ELi32ELb1ElfEEvPKT6_PKbPfiPT5_PiiiibdPKfPKS8_SE_, .Lfunc_end162-_ZN4vllm3moe22topkGatingSoftplusSqrtILi6ELi192ELi4ELi4ELi32ELb1ElfEEvPKT6_PKbPfiPT5_PiiiibdPKfPKS8_SE_
                                        ; -- End function
	.section	.AMDGPU.csdata,"",@progbits
; Kernel info:
; codeLenInByte = 4336
; NumSgprs: 32
; NumVgprs: 28
; NumAgprs: 0
; TotalNumVgprs: 28
; ScratchSize: 0
; MemoryBound: 0
; FloatMode: 240
; IeeeMode: 1
; LDSByteSize: 0 bytes/workgroup (compile time only)
; SGPRBlocks: 3
; VGPRBlocks: 3
; NumSGPRsForWavesPerEU: 32
; NumVGPRsForWavesPerEU: 28
; AccumOffset: 28
; Occupancy: 8
; WaveLimiterHint : 1
; COMPUTE_PGM_RSRC2:SCRATCH_EN: 0
; COMPUTE_PGM_RSRC2:USER_SGPR: 2
; COMPUTE_PGM_RSRC2:TRAP_HANDLER: 0
; COMPUTE_PGM_RSRC2:TGID_X_EN: 1
; COMPUTE_PGM_RSRC2:TGID_Y_EN: 0
; COMPUTE_PGM_RSRC2:TGID_Z_EN: 0
; COMPUTE_PGM_RSRC2:TIDIG_COMP_CNT: 1
; COMPUTE_PGM_RSRC3_GFX90A:ACCUM_OFFSET: 6
; COMPUTE_PGM_RSRC3_GFX90A:TG_SPLIT: 0
	.section	.text._ZN4vllm3moe22topkGatingSoftplusSqrtILi6ELi192ELi4ELi4ELi32ELb0ElfEEvPKT6_PKbPfiPT5_PiiiibdPKfPKS8_SE_,"axG",@progbits,_ZN4vllm3moe22topkGatingSoftplusSqrtILi6ELi192ELi4ELi4ELi32ELb0ElfEEvPKT6_PKbPfiPT5_PiiiibdPKfPKS8_SE_,comdat
	.protected	_ZN4vllm3moe22topkGatingSoftplusSqrtILi6ELi192ELi4ELi4ELi32ELb0ElfEEvPKT6_PKbPfiPT5_PiiiibdPKfPKS8_SE_ ; -- Begin function _ZN4vllm3moe22topkGatingSoftplusSqrtILi6ELi192ELi4ELi4ELi32ELb0ElfEEvPKT6_PKbPfiPT5_PiiiibdPKfPKS8_SE_
	.globl	_ZN4vllm3moe22topkGatingSoftplusSqrtILi6ELi192ELi4ELi4ELi32ELb0ElfEEvPKT6_PKbPfiPT5_PiiiibdPKfPKS8_SE_
	.p2align	8
	.type	_ZN4vllm3moe22topkGatingSoftplusSqrtILi6ELi192ELi4ELi4ELi32ELb0ElfEEvPKT6_PKbPfiPT5_PiiiibdPKfPKS8_SE_,@function
_ZN4vllm3moe22topkGatingSoftplusSqrtILi6ELi192ELi4ELi4ELi32ELb0ElfEEvPKT6_PKbPfiPT5_PiiiibdPKfPKS8_SE_: ; @_ZN4vllm3moe22topkGatingSoftplusSqrtILi6ELi192ELi4ELi4ELi32ELb0ElfEEvPKT6_PKbPfiPT5_PiiiibdPKfPKS8_SE_
; %bb.0:
	s_load_dword s30, s[0:1], 0x18
	v_and_b32_e32 v1, 0x3ff, v0
	s_lshl_b32 s2, s2, 2
	v_lshrrev_b32_e32 v2, 5, v1
	v_bfe_u32 v0, v0, 10, 10
	v_add3_u32 v6, s2, v0, v2
	s_waitcnt lgkmcnt(0)
	v_cmp_gt_i32_e32 vcc, s30, v6
	s_and_saveexec_b64 s[2:3], vcc
	s_cbranch_execz .LBB163_57
; %bb.1:
	s_load_dwordx4 s[4:7], s[0:1], 0x0
	s_load_dwordx2 s[20:21], s[0:1], 0x10
	s_waitcnt lgkmcnt(0)
	s_cmp_eq_u64 s[6:7], 0
	s_cbranch_scc1 .LBB163_3
; %bb.2:
	v_ashrrev_i32_e32 v7, 31, v6
	v_lshl_add_u64 v[2:3], s[6:7], 0, v[6:7]
	global_load_ubyte v0, v[2:3], off
	s_waitcnt vmcnt(0)
	v_and_b32_e32 v0, 1, v0
	v_cmp_eq_u32_e32 vcc, 1, v0
	s_xor_b64 s[2:3], vcc, -1
	s_orn2_b64 s[22:23], s[2:3], exec
	s_branch .LBB163_4
.LBB163_3:
	s_mov_b64 s[22:23], -1
.LBB163_4:
	s_movk_i32 s2, 0xc0
	v_mul_lo_u32 v4, v6, s2
	v_mov_b32_e32 v2, s4
	v_mov_b32_e32 v3, s5
	v_ashrrev_i32_e32 v5, 31, v4
	v_and_b32_e32 v8, 31, v1
	v_lshl_add_u64 v[2:3], v[4:5], 2, v[2:3]
	v_mov_b32_e32 v11, 0
	v_lshlrev_b32_e32 v10, 2, v8
	v_lshl_add_u64 v[12:13], v[2:3], 0, v[10:11]
	global_load_dword v0, v[12:13], off
	global_load_dword v1, v[12:13], off offset:128
	global_load_dword v2, v[12:13], off offset:256
	global_load_dword v3, v[12:13], off offset:384
	global_load_dword v4, v[12:13], off offset:512
	global_load_dword v5, v[12:13], off offset:640
	s_mov_b32 s16, 0x800000
	v_mov_b32_e32 v11, 0x4f800000
	s_mov_b32 s13, 0x3f317217
	s_mov_b32 s14, 0x7f800000
	v_mov_b32_e32 v9, 0x41b17218
	s_mov_b32 s12, 0x41a00000
	s_mov_b32 s15, 0xf800000
	s_load_dwordx4 s[8:11], s[0:1], 0x40
	s_waitcnt lgkmcnt(0)
	s_cmp_lg_u64 s[10:11], 0
	s_cselect_b64 s[6:7], -1, 0
	s_and_b64 s[2:3], exec, s[6:7]
	s_waitcnt vmcnt(5)
	v_mul_f32_e32 v7, 0x3fb8aa3b, v0
	v_exp_f32_e32 v7, v7
	s_nop 0
	v_add_f32_e32 v7, 1.0, v7
	v_cmp_gt_f32_e32 vcc, s16, v7
	s_nop 1
	v_cndmask_b32_e32 v12, 1.0, v11, vcc
	v_mul_f32_e32 v7, v7, v12
	v_log_f32_e32 v12, v7
	v_cndmask_b32_e32 v13, 0, v9, vcc
	v_mov_b32_e32 v7, 0x260
	v_mul_f32_e32 v14, 0x3f317217, v12
	v_fma_f32 v14, v12, s13, -v14
	v_fmac_f32_e32 v14, 0x3377d1cf, v12
	v_fmac_f32_e32 v14, 0x3f317217, v12
	v_cmp_lt_f32_e64 vcc, |v12|, s14
	s_nop 1
	v_cndmask_b32_e32 v12, v12, v14, vcc
	v_sub_f32_e32 v12, v12, v13
	v_cmp_lt_f32_e32 vcc, s12, v0
	s_nop 1
	v_cndmask_b32_e32 v0, v12, v0, vcc
	v_mul_f32_e32 v12, 0x4f800000, v0
	v_cmp_gt_f32_e32 vcc, s15, v0
	s_nop 1
	v_cndmask_b32_e32 v0, v0, v12, vcc
	v_sqrt_f32_e32 v12, v0
	s_nop 0
	v_add_u32_e32 v13, -1, v12
	v_add_u32_e32 v14, 1, v12
	v_fma_f32 v15, -v13, v12, v0
	v_fma_f32 v16, -v14, v12, v0
	v_cmp_ge_f32_e64 s[4:5], 0, v15
	s_nop 1
	v_cndmask_b32_e64 v12, v12, v13, s[4:5]
	v_cmp_lt_f32_e64 s[4:5], 0, v16
	s_nop 1
	v_cndmask_b32_e64 v12, v12, v14, s[4:5]
	v_mul_f32_e32 v13, 0x37800000, v12
	v_cndmask_b32_e32 v12, v12, v13, vcc
	v_cmp_class_f32_e32 vcc, v0, v7
	s_nop 1
	v_cndmask_b32_e32 v0, v12, v0, vcc
	s_mov_b64 vcc, s[2:3]
	s_cbranch_vccz .LBB163_6
; %bb.5:
	global_load_dword v12, v10, s[10:11]
	s_waitcnt vmcnt(0)
	v_add_f32_e32 v0, v0, v12
.LBB163_6:
	s_waitcnt vmcnt(4)
	v_mul_f32_e32 v12, 0x3fb8aa3b, v1
	v_exp_f32_e32 v12, v12
	s_nop 0
	v_add_f32_e32 v12, 1.0, v12
	v_cmp_gt_f32_e32 vcc, s16, v12
	s_nop 1
	v_cndmask_b32_e32 v11, 1.0, v11, vcc
	v_mul_f32_e32 v11, v12, v11
	v_log_f32_e32 v11, v11
	v_cndmask_b32_e32 v9, 0, v9, vcc
	v_mul_f32_e32 v12, 0x3f317217, v11
	v_fma_f32 v12, v11, s13, -v12
	v_fmac_f32_e32 v12, 0x3377d1cf, v11
	v_fmac_f32_e32 v12, 0x3f317217, v11
	v_cmp_lt_f32_e64 vcc, |v11|, s14
	s_nop 1
	v_cndmask_b32_e32 v11, v11, v12, vcc
	v_sub_f32_e32 v9, v11, v9
	v_cmp_lt_f32_e32 vcc, s12, v1
	s_nop 1
	v_cndmask_b32_e32 v1, v9, v1, vcc
	v_mul_f32_e32 v9, 0x4f800000, v1
	v_cmp_gt_f32_e32 vcc, s15, v1
	s_nop 1
	v_cndmask_b32_e32 v1, v1, v9, vcc
	v_sqrt_f32_e32 v9, v1
	v_cmp_class_f32_e64 s[4:5], v1, v7
	v_add_u32_e32 v11, -1, v9
	v_add_u32_e32 v12, 1, v9
	v_fma_f32 v13, -v11, v9, v1
	v_fma_f32 v14, -v12, v9, v1
	v_cmp_ge_f32_e64 s[2:3], 0, v13
	s_nop 1
	v_cndmask_b32_e64 v9, v9, v11, s[2:3]
	v_cmp_lt_f32_e64 s[2:3], 0, v14
	s_nop 1
	v_cndmask_b32_e64 v9, v9, v12, s[2:3]
	v_mul_f32_e32 v11, 0x37800000, v9
	v_cndmask_b32_e32 v9, v9, v11, vcc
	v_cndmask_b32_e64 v11, 0, 1, s[6:7]
	v_cmp_ne_u32_e64 s[2:3], 1, v11
	s_andn2_b64 vcc, exec, s[6:7]
	v_cndmask_b32_e64 v1, v9, v1, s[4:5]
	s_cbranch_vccnz .LBB163_8
; %bb.7:
	global_load_dword v7, v10, s[10:11] offset:128
	s_waitcnt vmcnt(0)
	v_add_f32_e32 v1, v1, v7
.LBB163_8:
	s_waitcnt vmcnt(3)
	v_mul_f32_e32 v7, 0x3fb8aa3b, v2
	v_exp_f32_e32 v7, v7
	s_mov_b32 s14, 0x800000
	v_mov_b32_e32 v9, 0x4f800000
	s_mov_b32 s7, 0x3f317217
	v_add_f32_e32 v7, 1.0, v7
	v_cmp_gt_f32_e32 vcc, s14, v7
	s_mov_b32 s12, 0x7f800000
	s_mov_b32 s6, 0x41a00000
	v_cndmask_b32_e32 v11, 1.0, v9, vcc
	v_mul_f32_e32 v7, v7, v11
	v_log_f32_e32 v7, v7
	s_mov_b32 s13, 0xf800000
	v_mul_f32_e32 v11, 0x3f317217, v7
	v_fma_f32 v11, v7, s7, -v11
	v_fmac_f32_e32 v11, 0x3377d1cf, v7
	v_fmac_f32_e32 v11, 0x3f317217, v7
	v_cmp_lt_f32_e64 s[4:5], |v7|, s12
	s_nop 1
	v_cndmask_b32_e64 v7, v7, v11, s[4:5]
	v_mov_b32_e32 v11, 0x41b17218
	v_cndmask_b32_e32 v12, 0, v11, vcc
	v_sub_f32_e32 v7, v7, v12
	v_cmp_lt_f32_e32 vcc, s6, v2
	s_nop 1
	v_cndmask_b32_e32 v2, v7, v2, vcc
	v_mul_f32_e32 v7, 0x4f800000, v2
	v_cmp_gt_f32_e32 vcc, s13, v2
	s_nop 1
	v_cndmask_b32_e32 v2, v2, v7, vcc
	v_sqrt_f32_e32 v7, v2
	s_nop 0
	v_add_u32_e32 v12, -1, v7
	v_fma_f32 v13, -v12, v7, v2
	v_cmp_ge_f32_e64 s[4:5], 0, v13
	v_add_u32_e32 v13, 1, v7
	s_nop 0
	v_cndmask_b32_e64 v12, v7, v12, s[4:5]
	v_fma_f32 v7, -v13, v7, v2
	v_cmp_lt_f32_e64 s[4:5], 0, v7
	s_nop 1
	v_cndmask_b32_e64 v7, v12, v13, s[4:5]
	v_mul_f32_e32 v12, 0x37800000, v7
	v_cndmask_b32_e32 v12, v7, v12, vcc
	v_mov_b32_e32 v7, 0x260
	v_cmp_class_f32_e64 s[4:5], v2, v7
	s_and_b64 vcc, exec, s[2:3]
	s_nop 0
	v_cndmask_b32_e64 v2, v12, v2, s[4:5]
	s_cbranch_vccnz .LBB163_10
; %bb.9:
	global_load_dword v12, v10, s[10:11] offset:256
	s_waitcnt vmcnt(0)
	v_add_f32_e32 v2, v2, v12
.LBB163_10:
	s_waitcnt vmcnt(2)
	v_mul_f32_e32 v12, 0x3fb8aa3b, v3
	v_exp_f32_e32 v12, v12
	s_nop 0
	v_add_f32_e32 v12, 1.0, v12
	v_cmp_gt_f32_e32 vcc, s14, v12
	s_nop 1
	v_cndmask_b32_e32 v9, 1.0, v9, vcc
	v_mul_f32_e32 v9, v12, v9
	v_log_f32_e32 v9, v9
	v_cndmask_b32_e32 v11, 0, v11, vcc
	v_mul_f32_e32 v12, 0x3f317217, v9
	v_fma_f32 v12, v9, s7, -v12
	v_fmac_f32_e32 v12, 0x3377d1cf, v9
	v_fmac_f32_e32 v12, 0x3f317217, v9
	v_cmp_lt_f32_e64 vcc, |v9|, s12
	s_nop 1
	v_cndmask_b32_e32 v9, v9, v12, vcc
	v_sub_f32_e32 v9, v9, v11
	v_cmp_lt_f32_e32 vcc, s6, v3
	s_nop 1
	v_cndmask_b32_e32 v3, v9, v3, vcc
	v_mul_f32_e32 v9, 0x4f800000, v3
	v_cmp_gt_f32_e32 vcc, s13, v3
	s_nop 1
	v_cndmask_b32_e32 v3, v3, v9, vcc
	v_sqrt_f32_e32 v9, v3
	s_nop 0
	v_add_u32_e32 v11, -1, v9
	v_add_u32_e32 v12, 1, v9
	v_fma_f32 v13, -v11, v9, v3
	v_fma_f32 v14, -v12, v9, v3
	v_cmp_ge_f32_e64 s[4:5], 0, v13
	s_nop 1
	v_cndmask_b32_e64 v9, v9, v11, s[4:5]
	v_cmp_lt_f32_e64 s[4:5], 0, v14
	s_nop 1
	v_cndmask_b32_e64 v9, v9, v12, s[4:5]
	v_mul_f32_e32 v11, 0x37800000, v9
	v_cndmask_b32_e32 v9, v9, v11, vcc
	v_cmp_class_f32_e64 s[4:5], v3, v7
	s_and_b64 vcc, exec, s[2:3]
	s_nop 0
	v_cndmask_b32_e64 v3, v9, v3, s[4:5]
	s_cbranch_vccnz .LBB163_12
; %bb.11:
	global_load_dword v7, v10, s[10:11] offset:384
	s_waitcnt vmcnt(0)
	v_add_f32_e32 v3, v3, v7
.LBB163_12:
	s_waitcnt vmcnt(1)
	v_mul_f32_e32 v7, 0x3fb8aa3b, v4
	v_exp_f32_e32 v7, v7
	v_mov_b32_e32 v9, 0x4f800000
	v_add_f32_e32 v7, 1.0, v7
	v_cmp_gt_f32_e32 vcc, s14, v7
	s_nop 1
	v_cndmask_b32_e32 v11, 1.0, v9, vcc
	v_mul_f32_e32 v7, v7, v11
	v_log_f32_e32 v7, v7
	s_nop 0
	v_mul_f32_e32 v11, 0x3f317217, v7
	v_fma_f32 v11, v7, s7, -v11
	v_fmac_f32_e32 v11, 0x3377d1cf, v7
	v_fmac_f32_e32 v11, 0x3f317217, v7
	v_cmp_lt_f32_e64 s[4:5], |v7|, s12
	s_nop 1
	v_cndmask_b32_e64 v7, v7, v11, s[4:5]
	v_mov_b32_e32 v11, 0x41b17218
	v_cndmask_b32_e32 v12, 0, v11, vcc
	v_sub_f32_e32 v7, v7, v12
	v_cmp_lt_f32_e32 vcc, s6, v4
	s_nop 1
	v_cndmask_b32_e32 v4, v7, v4, vcc
	v_mul_f32_e32 v7, 0x4f800000, v4
	v_cmp_gt_f32_e32 vcc, s13, v4
	s_nop 1
	v_cndmask_b32_e32 v4, v4, v7, vcc
	v_sqrt_f32_e32 v7, v4
	s_nop 0
	v_add_u32_e32 v12, -1, v7
	v_fma_f32 v13, -v12, v7, v4
	v_cmp_ge_f32_e64 s[4:5], 0, v13
	v_add_u32_e32 v13, 1, v7
	s_nop 0
	v_cndmask_b32_e64 v12, v7, v12, s[4:5]
	v_fma_f32 v7, -v13, v7, v4
	v_cmp_lt_f32_e64 s[4:5], 0, v7
	s_nop 1
	v_cndmask_b32_e64 v7, v12, v13, s[4:5]
	v_mul_f32_e32 v12, 0x37800000, v7
	v_cndmask_b32_e32 v12, v7, v12, vcc
	v_mov_b32_e32 v7, 0x260
	v_cmp_class_f32_e64 s[4:5], v4, v7
	s_and_b64 vcc, exec, s[2:3]
	s_nop 0
	v_cndmask_b32_e64 v4, v12, v4, s[4:5]
	s_cbranch_vccnz .LBB163_14
; %bb.13:
	global_load_dword v12, v10, s[10:11] offset:512
	s_waitcnt vmcnt(0)
	v_add_f32_e32 v4, v4, v12
.LBB163_14:
	s_waitcnt vmcnt(0)
	v_mul_f32_e32 v12, 0x3fb8aa3b, v5
	v_exp_f32_e32 v12, v12
	s_nop 0
	v_add_f32_e32 v12, 1.0, v12
	v_cmp_gt_f32_e32 vcc, s14, v12
	s_nop 1
	v_cndmask_b32_e32 v9, 1.0, v9, vcc
	v_mul_f32_e32 v9, v12, v9
	v_log_f32_e32 v9, v9
	v_cndmask_b32_e32 v11, 0, v11, vcc
	v_mul_f32_e32 v12, 0x3f317217, v9
	v_fma_f32 v12, v9, s7, -v12
	v_fmac_f32_e32 v12, 0x3377d1cf, v9
	v_fmac_f32_e32 v12, 0x3f317217, v9
	v_cmp_lt_f32_e64 vcc, |v9|, s12
	s_nop 1
	v_cndmask_b32_e32 v9, v9, v12, vcc
	v_sub_f32_e32 v9, v9, v11
	v_cmp_lt_f32_e32 vcc, s6, v5
	s_nop 1
	v_cndmask_b32_e32 v5, v9, v5, vcc
	v_mul_f32_e32 v9, 0x4f800000, v5
	v_cmp_gt_f32_e32 vcc, s13, v5
	s_nop 1
	v_cndmask_b32_e32 v5, v5, v9, vcc
	v_sqrt_f32_e32 v9, v5
	s_nop 0
	v_add_u32_e32 v11, -1, v9
	v_add_u32_e32 v12, 1, v9
	v_fma_f32 v13, -v11, v9, v5
	v_fma_f32 v14, -v12, v9, v5
	v_cmp_ge_f32_e64 s[4:5], 0, v13
	s_nop 1
	v_cndmask_b32_e64 v9, v9, v11, s[4:5]
	v_cmp_lt_f32_e64 s[4:5], 0, v14
	s_nop 1
	v_cndmask_b32_e64 v9, v9, v12, s[4:5]
	v_mul_f32_e32 v11, 0x37800000, v9
	v_cndmask_b32_e32 v9, v9, v11, vcc
	v_cmp_class_f32_e64 s[4:5], v5, v7
	s_and_b64 vcc, exec, s[2:3]
	s_nop 0
	v_cndmask_b32_e64 v5, v9, v5, s[4:5]
	s_cbranch_vccnz .LBB163_16
; %bb.15:
	global_load_dword v7, v10, s[10:11] offset:640
	s_waitcnt vmcnt(0)
	v_add_f32_e32 v5, v5, v7
.LBB163_16:
	s_load_dwordx4 s[12:15], s[0:1], 0x30
	s_mov_b32 s31, 0
	v_cmp_eq_u32_e64 s[6:7], 0, v8
	s_waitcnt lgkmcnt(0)
	s_bitcmp1_b32 s15, 0
	s_cselect_b64 s[4:5], -1, 0
	s_cmp_gt_i32 s12, 0
	s_cselect_b64 s[24:25], -1, 0
	s_and_b64 vcc, exec, s[24:25]
	s_cbranch_vccz .LBB163_43
; %bb.17:
	v_mbcnt_lo_u32_b32 v7, -1, 0
	v_mbcnt_hi_u32_b32 v7, -1, v7
	v_and_b32_e32 v9, 0x60, v7
	v_add_u32_e32 v10, 32, v9
	v_xor_b32_e32 v11, 16, v7
	v_cmp_lt_i32_e32 vcc, v11, v10
	s_load_dwordx4 s[16:19], s[0:1], 0x20
	v_mul_lo_u32 v9, v6, s12
	v_cndmask_b32_e32 v11, v7, v11, vcc
	v_lshlrev_b32_e32 v17, 2, v11
	v_xor_b32_e32 v11, 8, v7
	v_cmp_lt_i32_e32 vcc, v11, v10
	v_or_b32_e32 v12, 32, v8
	v_or_b32_e32 v13, 64, v8
	v_cndmask_b32_e32 v11, v7, v11, vcc
	v_lshlrev_b32_e32 v18, 2, v11
	v_xor_b32_e32 v11, 4, v7
	v_cmp_lt_i32_e32 vcc, v11, v10
	v_or_b32_e32 v14, 0x60, v8
	v_or_b32_e32 v15, 0x80, v8
	v_cndmask_b32_e32 v11, v7, v11, vcc
	v_lshlrev_b32_e32 v19, 2, v11
	v_xor_b32_e32 v11, 2, v7
	v_cmp_lt_i32_e32 vcc, v11, v10
	v_or_b32_e32 v16, 0xa0, v8
	v_mov_b32_e32 v22, 0xc0
	v_cndmask_b32_e32 v11, v7, v11, vcc
	v_lshlrev_b32_e32 v20, 2, v11
	v_xor_b32_e32 v11, 1, v7
	v_cmp_lt_i32_e32 vcc, v11, v10
	v_mov_b32_e32 v23, 0xc61c4000
	v_mov_b32_e32 v24, v6
	v_cndmask_b32_e32 v7, v7, v11, vcc
	v_lshlrev_b32_e32 v21, 2, v7
	v_mov_b32_e32 v7, 0
	s_branch .LBB163_20
.LBB163_18:                             ;   in Loop: Header=BB163_20 Depth=1
	s_waitcnt lgkmcnt(0)
	v_add_u32_e32 v26, s31, v9
	v_ashrrev_i32_e32 v27, 31, v26
	v_cmp_le_i32_e32 vcc, s13, v10
	v_cmp_gt_i32_e64 s[0:1], s14, v10
	v_lshlrev_b64 v[28:29], 2, v[26:27]
	s_and_b64 s[0:1], vcc, s[0:1]
	v_lshl_add_u64 v[30:31], s[20:21], 0, v[28:29]
	v_subrev_u32_e32 v11, s13, v10
	global_store_dword v[30:31], v25, off
	v_ashrrev_i32_e32 v30, 31, v11
	s_and_b64 vcc, s[22:23], s[0:1]
	v_cndmask_b32_e32 v31, 0, v30, vcc
	v_cndmask_b32_e32 v30, v22, v11, vcc
	v_lshl_add_u64 v[26:27], v[26:27], 3, s[16:17]
	v_add_f32_e32 v11, v7, v25
	global_store_dwordx2 v[26:27], v[30:31], off
	v_lshl_add_u64 v[26:27], s[18:19], 0, v[28:29]
	v_cndmask_b32_e64 v7, v7, v11, s[4:5]
	global_store_dword v[26:27], v24, off
.LBB163_19:                             ;   in Loop: Header=BB163_20 Depth=1
	s_or_b64 exec, exec, s[26:27]
	v_ashrrev_i32_e32 v11, 31, v10
	v_lshrrev_b32_e32 v11, 27, v11
	v_add_u32_e32 v11, v10, v11
	v_ashrrev_i32_e32 v25, 5, v11
	v_and_b32_e32 v11, 0xffffffe0, v11
	v_sub_u32_e32 v10, v10, v11
	v_cmp_ne_u32_e64 s[0:1], 0, v25
	v_cmp_eq_u32_e32 vcc, v8, v10
	s_add_i32 s31, s31, 1
	v_cndmask_b32_e64 v10, v23, v0, s[0:1]
	v_cmp_ne_u32_e64 s[0:1], 1, v25
	s_cmp_lt_i32 s31, s12
	s_cselect_b64 s[26:27], -1, 0
	v_cndmask_b32_e64 v11, v23, v1, s[0:1]
	v_cmp_ne_u32_e64 s[0:1], 2, v25
	s_and_b64 vcc, s[26:27], vcc
	v_cndmask_b32_e32 v1, v1, v11, vcc
	s_waitcnt lgkmcnt(0)
	v_cndmask_b32_e64 v26, v23, v2, s[0:1]
	v_cmp_ne_u32_e64 s[0:1], 3, v25
	v_cndmask_b32_e32 v2, v2, v26, vcc
	v_cndmask_b32_e32 v0, v0, v10, vcc
	v_cndmask_b32_e64 v27, v23, v3, s[0:1]
	v_cmp_ne_u32_e64 s[0:1], 4, v25
	v_cndmask_b32_e32 v3, v3, v27, vcc
	s_cmp_eq_u32 s12, s31
	v_cndmask_b32_e64 v28, v23, v4, s[0:1]
	v_cmp_ne_u32_e64 s[0:1], 5, v25
	v_cndmask_b32_e32 v4, v4, v28, vcc
	v_add_u32_e32 v24, s30, v24
	v_cndmask_b32_e64 v25, v23, v5, s[0:1]
	v_cndmask_b32_e32 v5, v5, v25, vcc
	s_cbranch_scc1 .LBB163_44
.LBB163_20:                             ; =>This Inner Loop Header: Depth=1
	v_cmp_gt_f32_e32 vcc, v1, v0
	s_nop 1
	v_cndmask_b32_e32 v11, v0, v1, vcc
	v_cndmask_b32_e32 v10, v8, v12, vcc
	v_cmp_gt_f32_e32 vcc, v2, v11
	s_nop 1
	v_cndmask_b32_e32 v11, v11, v2, vcc
	v_cndmask_b32_e32 v10, v10, v13, vcc
	;; [unrolled: 4-line block ×5, first 2 shown]
	ds_bpermute_b32 v11, v17, v25
	ds_bpermute_b32 v26, v17, v10
	s_waitcnt lgkmcnt(0)
	v_cmp_lt_f32_e64 s[26:27], v25, v11
	v_cmp_nlt_f32_e32 vcc, v25, v11
	s_and_saveexec_b64 s[28:29], vcc
; %bb.21:                               ;   in Loop: Header=BB163_20 Depth=1
	v_cmp_eq_f32_e32 vcc, v25, v11
	v_cmp_lt_i32_e64 s[0:1], v26, v10
	s_and_b64 s[0:1], vcc, s[0:1]
	s_andn2_b64 s[26:27], s[26:27], exec
	s_and_b64 s[0:1], s[0:1], exec
	s_or_b64 s[26:27], s[26:27], s[0:1]
; %bb.22:                               ;   in Loop: Header=BB163_20 Depth=1
	s_or_b64 exec, exec, s[28:29]
	s_and_saveexec_b64 s[0:1], s[26:27]
; %bb.23:                               ;   in Loop: Header=BB163_20 Depth=1
	v_mov_b32_e32 v25, v11
	v_mov_b32_e32 v10, v26
; %bb.24:                               ;   in Loop: Header=BB163_20 Depth=1
	s_or_b64 exec, exec, s[0:1]
	ds_bpermute_b32 v11, v18, v25
	ds_bpermute_b32 v26, v18, v10
	s_waitcnt lgkmcnt(1)
	v_cmp_lt_f32_e64 s[26:27], v25, v11
	v_cmp_nlt_f32_e32 vcc, v25, v11
	s_and_saveexec_b64 s[28:29], vcc
	s_cbranch_execz .LBB163_26
; %bb.25:                               ;   in Loop: Header=BB163_20 Depth=1
	v_cmp_eq_f32_e32 vcc, v25, v11
	s_waitcnt lgkmcnt(0)
	v_cmp_lt_i32_e64 s[0:1], v26, v10
	s_and_b64 s[0:1], vcc, s[0:1]
	s_andn2_b64 s[26:27], s[26:27], exec
	s_and_b64 s[0:1], s[0:1], exec
	s_or_b64 s[26:27], s[26:27], s[0:1]
.LBB163_26:                             ;   in Loop: Header=BB163_20 Depth=1
	s_or_b64 exec, exec, s[28:29]
	s_and_saveexec_b64 s[0:1], s[26:27]
	s_cbranch_execz .LBB163_28
; %bb.27:                               ;   in Loop: Header=BB163_20 Depth=1
	v_mov_b32_e32 v25, v11
	s_waitcnt lgkmcnt(0)
	v_mov_b32_e32 v10, v26
.LBB163_28:                             ;   in Loop: Header=BB163_20 Depth=1
	s_or_b64 exec, exec, s[0:1]
	ds_bpermute_b32 v11, v19, v25
	s_waitcnt lgkmcnt(1)
	ds_bpermute_b32 v26, v19, v10
	s_waitcnt lgkmcnt(1)
	v_cmp_lt_f32_e64 s[26:27], v25, v11
	v_cmp_nlt_f32_e32 vcc, v25, v11
	s_and_saveexec_b64 s[28:29], vcc
	s_cbranch_execz .LBB163_30
; %bb.29:                               ;   in Loop: Header=BB163_20 Depth=1
	v_cmp_eq_f32_e32 vcc, v25, v11
	s_waitcnt lgkmcnt(0)
	v_cmp_lt_i32_e64 s[0:1], v26, v10
	s_and_b64 s[0:1], vcc, s[0:1]
	s_andn2_b64 s[26:27], s[26:27], exec
	s_and_b64 s[0:1], s[0:1], exec
	s_or_b64 s[26:27], s[26:27], s[0:1]
.LBB163_30:                             ;   in Loop: Header=BB163_20 Depth=1
	s_or_b64 exec, exec, s[28:29]
	s_and_saveexec_b64 s[0:1], s[26:27]
	s_cbranch_execz .LBB163_32
; %bb.31:                               ;   in Loop: Header=BB163_20 Depth=1
	v_mov_b32_e32 v25, v11
	s_waitcnt lgkmcnt(0)
	v_mov_b32_e32 v10, v26
.LBB163_32:                             ;   in Loop: Header=BB163_20 Depth=1
	s_or_b64 exec, exec, s[0:1]
	ds_bpermute_b32 v11, v20, v25
	s_waitcnt lgkmcnt(1)
	;; [unrolled: 26-line block ×3, first 2 shown]
	ds_bpermute_b32 v26, v21, v10
	s_waitcnt lgkmcnt(1)
	v_cmp_lt_f32_e64 s[26:27], v25, v11
	v_cmp_nlt_f32_e32 vcc, v25, v11
	s_and_saveexec_b64 s[28:29], vcc
	s_cbranch_execnz .LBB163_39
; %bb.37:                               ;   in Loop: Header=BB163_20 Depth=1
	s_or_b64 exec, exec, s[28:29]
	s_and_saveexec_b64 s[0:1], s[26:27]
	s_cbranch_execnz .LBB163_40
.LBB163_38:                             ;   in Loop: Header=BB163_20 Depth=1
	s_or_b64 exec, exec, s[0:1]
	s_and_saveexec_b64 s[26:27], s[6:7]
	s_cbranch_execz .LBB163_19
	s_branch .LBB163_41
.LBB163_39:                             ;   in Loop: Header=BB163_20 Depth=1
	v_cmp_eq_f32_e32 vcc, v25, v11
	s_waitcnt lgkmcnt(0)
	v_cmp_lt_i32_e64 s[0:1], v26, v10
	s_and_b64 s[0:1], vcc, s[0:1]
	s_andn2_b64 s[26:27], s[26:27], exec
	s_and_b64 s[0:1], s[0:1], exec
	s_or_b64 s[26:27], s[26:27], s[0:1]
	s_or_b64 exec, exec, s[28:29]
	s_and_saveexec_b64 s[0:1], s[26:27]
	s_cbranch_execz .LBB163_38
.LBB163_40:                             ;   in Loop: Header=BB163_20 Depth=1
	s_waitcnt lgkmcnt(0)
	v_mov_b32_e32 v10, v26
	v_mov_b32_e32 v25, v11
	s_or_b64 exec, exec, s[0:1]
	s_and_saveexec_b64 s[26:27], s[6:7]
	s_cbranch_execz .LBB163_19
.LBB163_41:                             ;   in Loop: Header=BB163_20 Depth=1
	s_and_b64 vcc, exec, s[2:3]
	s_cbranch_vccnz .LBB163_18
; %bb.42:                               ;   in Loop: Header=BB163_20 Depth=1
	v_ashrrev_i32_e32 v11, 31, v10
	s_waitcnt lgkmcnt(0)
	v_lshl_add_u64 v[26:27], v[10:11], 2, s[10:11]
	global_load_dword v11, v[26:27], off
	s_waitcnt vmcnt(0)
	v_sub_f32_e32 v25, v25, v11
	s_branch .LBB163_18
.LBB163_43:
	v_mov_b32_e32 v7, 0
.LBB163_44:
	v_cmp_eq_u32_e32 vcc, 0, v8
	s_and_b64 exec, exec, vcc
	s_cbranch_execz .LBB163_57
; %bb.45:
	s_andn2_b64 vcc, exec, s[4:5]
	v_cvt_f32_f64_e32 v0, s[8:9]
	s_cbranch_vccnz .LBB163_47
; %bb.46:
	v_cmp_lt_f32_e32 vcc, 0, v7
	s_nop 1
	v_cndmask_b32_e32 v1, 1.0, v7, vcc
	v_div_scale_f32 v2, s[0:1], v1, v1, v0
	v_rcp_f32_e32 v3, v2
	s_nop 0
	v_fma_f32 v4, -v2, v3, 1.0
	v_fmac_f32_e32 v3, v4, v3
	v_div_scale_f32 v4, vcc, v0, v1, v0
	v_mul_f32_e32 v5, v4, v3
	v_fma_f32 v7, -v2, v5, v4
	v_fmac_f32_e32 v5, v7, v3
	v_fma_f32 v2, -v2, v5, v4
	v_div_fmas_f32 v2, v2, v3, v5
	v_div_fixup_f32 v0, v2, v1, v0
.LBB163_47:
	s_andn2_b64 vcc, exec, s[24:25]
	s_cbranch_vccnz .LBB163_57
; %bb.48:
	v_mul_lo_u32 v2, v6, s12
	s_cmp_gt_u32 s12, 3
	v_ashrrev_i32_e32 v3, 31, v2
	s_cbranch_scc0 .LBB163_52
; %bb.49:
	s_and_b32 s0, s12, 0x7ffffffc
	v_lshl_add_u64 v[4:5], v[2:3], 2, s[20:21]
	v_mov_b32_e32 v1, v0
	v_lshl_add_u64 v[4:5], v[4:5], 0, 8
	s_mov_b32 s1, s0
.LBB163_50:                             ; =>This Inner Loop Header: Depth=1
	global_load_dwordx4 v[6:9], v[4:5], off offset:-8
	s_add_i32 s1, s1, -4
	s_cmp_lg_u32 s1, 0
	s_waitcnt vmcnt(0)
	v_pk_mul_f32 v[6:7], v[0:1], v[6:7]
	v_pk_mul_f32 v[8:9], v[0:1], v[8:9]
	global_store_dwordx4 v[4:5], v[6:9], off offset:-8
	v_lshl_add_u64 v[4:5], v[4:5], 0, 16
	s_cbranch_scc1 .LBB163_50
; %bb.51:
	s_cmp_lg_u32 s0, s12
	s_cselect_b64 s[2:3], -1, 0
	s_branch .LBB163_54
.LBB163_52:
	s_mov_b64 s[2:3], 0
                                        ; implicit-def: $sgpr0
	s_cbranch_execz .LBB163_54
; %bb.53:
	s_mov_b64 s[2:3], -1
	s_mov_b32 s0, 0
.LBB163_54:
	s_andn2_b64 vcc, exec, s[2:3]
	s_cbranch_vccnz .LBB163_57
; %bb.55:
	s_mov_b32 s1, 0
	v_lshl_add_u64 v[2:3], v[2:3], 0, s[0:1]
	s_sub_i32 s2, s12, s0
	v_lshl_add_u64 v[2:3], v[2:3], 2, s[20:21]
.LBB163_56:                             ; =>This Inner Loop Header: Depth=1
	global_load_dword v1, v[2:3], off
	s_add_i32 s2, s2, -1
	s_cmp_lg_u32 s2, 0
	s_waitcnt vmcnt(0)
	v_mul_f32_e32 v1, v0, v1
	global_store_dword v[2:3], v1, off
	v_lshl_add_u64 v[2:3], v[2:3], 0, 4
	s_cbranch_scc1 .LBB163_56
.LBB163_57:
	s_endpgm
	.section	.rodata,"a",@progbits
	.p2align	6, 0x0
	.amdhsa_kernel _ZN4vllm3moe22topkGatingSoftplusSqrtILi6ELi192ELi4ELi4ELi32ELb0ElfEEvPKT6_PKbPfiPT5_PiiiibdPKfPKS8_SE_
		.amdhsa_group_segment_fixed_size 0
		.amdhsa_private_segment_fixed_size 0
		.amdhsa_kernarg_size 96
		.amdhsa_user_sgpr_count 2
		.amdhsa_user_sgpr_dispatch_ptr 0
		.amdhsa_user_sgpr_queue_ptr 0
		.amdhsa_user_sgpr_kernarg_segment_ptr 1
		.amdhsa_user_sgpr_dispatch_id 0
		.amdhsa_user_sgpr_kernarg_preload_length 0
		.amdhsa_user_sgpr_kernarg_preload_offset 0
		.amdhsa_user_sgpr_private_segment_size 0
		.amdhsa_uses_dynamic_stack 0
		.amdhsa_enable_private_segment 0
		.amdhsa_system_sgpr_workgroup_id_x 1
		.amdhsa_system_sgpr_workgroup_id_y 0
		.amdhsa_system_sgpr_workgroup_id_z 0
		.amdhsa_system_sgpr_workgroup_info 0
		.amdhsa_system_vgpr_workitem_id 1
		.amdhsa_next_free_vgpr 32
		.amdhsa_next_free_sgpr 32
		.amdhsa_accum_offset 32
		.amdhsa_reserve_vcc 1
		.amdhsa_float_round_mode_32 0
		.amdhsa_float_round_mode_16_64 0
		.amdhsa_float_denorm_mode_32 3
		.amdhsa_float_denorm_mode_16_64 3
		.amdhsa_dx10_clamp 1
		.amdhsa_ieee_mode 1
		.amdhsa_fp16_overflow 0
		.amdhsa_tg_split 0
		.amdhsa_exception_fp_ieee_invalid_op 0
		.amdhsa_exception_fp_denorm_src 0
		.amdhsa_exception_fp_ieee_div_zero 0
		.amdhsa_exception_fp_ieee_overflow 0
		.amdhsa_exception_fp_ieee_underflow 0
		.amdhsa_exception_fp_ieee_inexact 0
		.amdhsa_exception_int_div_zero 0
	.end_amdhsa_kernel
	.section	.text._ZN4vllm3moe22topkGatingSoftplusSqrtILi6ELi192ELi4ELi4ELi32ELb0ElfEEvPKT6_PKbPfiPT5_PiiiibdPKfPKS8_SE_,"axG",@progbits,_ZN4vllm3moe22topkGatingSoftplusSqrtILi6ELi192ELi4ELi4ELi32ELb0ElfEEvPKT6_PKbPfiPT5_PiiiibdPKfPKS8_SE_,comdat
.Lfunc_end163:
	.size	_ZN4vllm3moe22topkGatingSoftplusSqrtILi6ELi192ELi4ELi4ELi32ELb0ElfEEvPKT6_PKbPfiPT5_PiiiibdPKfPKS8_SE_, .Lfunc_end163-_ZN4vllm3moe22topkGatingSoftplusSqrtILi6ELi192ELi4ELi4ELi32ELb0ElfEEvPKT6_PKbPfiPT5_PiiiibdPKfPKS8_SE_
                                        ; -- End function
	.section	.AMDGPU.csdata,"",@progbits
; Kernel info:
; codeLenInByte = 3500
; NumSgprs: 38
; NumVgprs: 32
; NumAgprs: 0
; TotalNumVgprs: 32
; ScratchSize: 0
; MemoryBound: 0
; FloatMode: 240
; IeeeMode: 1
; LDSByteSize: 0 bytes/workgroup (compile time only)
; SGPRBlocks: 4
; VGPRBlocks: 3
; NumSGPRsForWavesPerEU: 38
; NumVGPRsForWavesPerEU: 32
; AccumOffset: 32
; Occupancy: 8
; WaveLimiterHint : 1
; COMPUTE_PGM_RSRC2:SCRATCH_EN: 0
; COMPUTE_PGM_RSRC2:USER_SGPR: 2
; COMPUTE_PGM_RSRC2:TRAP_HANDLER: 0
; COMPUTE_PGM_RSRC2:TGID_X_EN: 1
; COMPUTE_PGM_RSRC2:TGID_Y_EN: 0
; COMPUTE_PGM_RSRC2:TGID_Z_EN: 0
; COMPUTE_PGM_RSRC2:TIDIG_COMP_CNT: 1
; COMPUTE_PGM_RSRC3_GFX90A:ACCUM_OFFSET: 7
; COMPUTE_PGM_RSRC3_GFX90A:TG_SPLIT: 0
	.section	.text._ZN4vllm3moe22topkGatingSoftplusSqrtILi5ELi320ELi4ELi4ELi64ELb1ElfEEvPKT6_PKbPfiPT5_PiiiibdPKfPKS8_SE_,"axG",@progbits,_ZN4vllm3moe22topkGatingSoftplusSqrtILi5ELi320ELi4ELi4ELi64ELb1ElfEEvPKT6_PKbPfiPT5_PiiiibdPKfPKS8_SE_,comdat
	.protected	_ZN4vllm3moe22topkGatingSoftplusSqrtILi5ELi320ELi4ELi4ELi64ELb1ElfEEvPKT6_PKbPfiPT5_PiiiibdPKfPKS8_SE_ ; -- Begin function _ZN4vllm3moe22topkGatingSoftplusSqrtILi5ELi320ELi4ELi4ELi64ELb1ElfEEvPKT6_PKbPfiPT5_PiiiibdPKfPKS8_SE_
	.globl	_ZN4vllm3moe22topkGatingSoftplusSqrtILi5ELi320ELi4ELi4ELi64ELb1ElfEEvPKT6_PKbPfiPT5_PiiiibdPKfPKS8_SE_
	.p2align	8
	.type	_ZN4vllm3moe22topkGatingSoftplusSqrtILi5ELi320ELi4ELi4ELi64ELb1ElfEEvPKT6_PKbPfiPT5_PiiiibdPKfPKS8_SE_,@function
_ZN4vllm3moe22topkGatingSoftplusSqrtILi5ELi320ELi4ELi4ELi64ELb1ElfEEvPKT6_PKbPfiPT5_PiiiibdPKfPKS8_SE_: ; @_ZN4vllm3moe22topkGatingSoftplusSqrtILi5ELi320ELi4ELi4ELi64ELb1ElfEEvPKT6_PKbPfiPT5_PiiiibdPKfPKS8_SE_
; %bb.0:
	s_load_dword s3, s[0:1], 0x18
	v_and_b32_e32 v1, 0x3ff, v0
	s_lshl_b32 s2, s2, 2
	v_lshrrev_b32_e32 v2, 6, v1
	v_bfe_u32 v0, v0, 10, 10
	v_add3_u32 v0, s2, v0, v2
	s_waitcnt lgkmcnt(0)
	v_cmp_gt_i32_e32 vcc, s3, v0
	s_and_saveexec_b64 s[2:3], vcc
	s_cbranch_execz .LBB164_31
; %bb.1:
	s_load_dwordx4 s[8:11], s[0:1], 0x50
	s_load_dwordx2 s[2:3], s[0:1], 0x0
	s_load_dword s12, s[0:1], 0x30
	s_movk_i32 s4, 0x140
	v_mul_lo_u32 v4, v0, s4
	s_waitcnt lgkmcnt(0)
	v_mov_b32_e32 v2, s8
	v_mov_b32_e32 v3, s9
	v_and_b32_e32 v12, 63, v1
	v_ashrrev_i32_e32 v1, 31, v0
	v_ashrrev_i32_e32 v5, 31, v4
	v_lshl_add_u64 v[2:3], v[0:1], 3, v[2:3]
	v_lshl_add_u64 v[6:7], v[4:5], 2, s[2:3]
	v_lshlrev_b32_e32 v4, 2, v12
	v_mov_b32_e32 v5, 0
	global_load_dwordx2 v[2:3], v[2:3], off
	v_lshl_add_u64 v[6:7], v[6:7], 0, v[4:5]
	global_load_dword v1, v[6:7], off
	global_load_dword v4, v[6:7], off offset:256
	global_load_dword v10, v[6:7], off offset:512
	global_load_dword v11, v[6:7], off offset:768
	global_load_dword v19, v[6:7], off offset:1024
	s_mov_b32 s21, 0x800000
	s_ashr_i32 s13, s12, 31
	v_mov_b32_e32 v16, 0x4f800000
	s_mov_b32 s20, 0x3f317217
	s_mov_b32 s22, 0x7f800000
	v_mov_b32_e32 v17, 0x41b17218
	s_mov_b32 s17, 0x41a00000
	s_mov_b32 s23, 0xf800000
	v_mov_b32_e32 v18, 0x260
	v_cmp_lt_i64_e64 s[18:19], s[12:13], 1
	s_mov_b32 s16, 0
	v_cmp_gt_i64_e64 s[14:15], s[12:13], 0
	v_mul_lo_u32 v0, v0, s12
	s_waitcnt vmcnt(3)
	v_mul_f32_e32 v7, 0x3fb8aa3b, v4
	v_mul_lo_u32 v13, v3, s12
	v_mul_f32_e32 v3, 0x3fb8aa3b, v1
	v_exp_f32_e32 v6, v3
	v_exp_f32_e32 v7, v7
	s_waitcnt vmcnt(2)
	v_mul_f32_e32 v8, 0x3fb8aa3b, v10
	s_waitcnt vmcnt(1)
	v_mul_f32_e32 v9, 0x3fb8aa3b, v11
	v_mul_lo_u32 v14, v2, s13
	v_pk_add_f32 v[6:7], v[6:7], 1.0 op_sel_hi:[1,0]
	v_exp_f32_e32 v8, v8
	v_exp_f32_e32 v9, v9
	v_mad_u64_u32 v[2:3], s[2:3], v2, s12, 0
	v_cmp_gt_f32_e32 vcc, s21, v7
	v_add3_u32 v3, v3, v14, v13
	v_cmp_gt_f32_e64 s[2:3], s21, v6
	v_cndmask_b32_e32 v13, 1.0, v16, vcc
	v_mul_f32_e32 v7, v7, v13
	v_cndmask_b32_e64 v14, 1.0, v16, s[2:3]
	v_mul_f32_e32 v6, v6, v14
	v_log_f32_e32 v7, v7
	v_pk_add_f32 v[8:9], v[8:9], 1.0 op_sel_hi:[1,0]
	v_log_f32_e32 v6, v6
	v_cmp_gt_f32_e64 s[4:5], s21, v9
	v_cmp_gt_f32_e64 s[6:7], s21, v8
	v_cndmask_b32_e32 v13, 0, v17, vcc
	v_cndmask_b32_e64 v15, 1.0, v16, s[4:5]
	v_cndmask_b32_e64 v20, 1.0, v16, s[6:7]
	v_mul_f32_e32 v9, v9, v15
	v_mul_f32_e32 v15, 0x3f317217, v7
	v_mul_f32_e32 v8, v8, v20
	v_mul_f32_e32 v20, 0x3f317217, v6
	v_fma_f32 v15, v7, s20, -v15
	v_fma_f32 v20, v6, s20, -v20
	v_fmac_f32_e32 v15, 0x3377d1cf, v7
	v_fmac_f32_e32 v20, 0x3377d1cf, v6
	;; [unrolled: 1-line block ×3, first 2 shown]
	v_cmp_lt_f32_e64 vcc, |v7|, s22
	v_fmac_f32_e32 v20, 0x3f317217, v6
	v_cndmask_b32_e64 v14, 0, v17, s[2:3]
	v_cndmask_b32_e32 v7, v7, v15, vcc
	v_cmp_lt_f32_e64 vcc, |v6|, s22
	v_sub_f32_e32 v7, v7, v13
	v_log_f32_e32 v9, v9
	v_cndmask_b32_e32 v6, v6, v20, vcc
	v_sub_f32_e32 v6, v6, v14
	v_cmp_lt_f32_e32 vcc, s17, v1
	v_mul_f32_e32 v21, 0x3f317217, v9
	v_fma_f32 v21, v9, s20, -v21
	v_cndmask_b32_e32 v1, v6, v1, vcc
	v_cmp_lt_f32_e32 vcc, s17, v4
	v_cmp_gt_f32_e64 s[2:3], s23, v1
	v_fmac_f32_e32 v21, 0x3377d1cf, v9
	v_cndmask_b32_e32 v4, v7, v4, vcc
	v_mul_f32_e32 v6, 0x4f800000, v4
	v_cmp_gt_f32_e32 vcc, s23, v4
	v_mul_f32_e32 v7, 0x4f800000, v1
	v_cndmask_b32_e64 v1, v1, v7, s[2:3]
	v_cndmask_b32_e32 v4, v4, v6, vcc
	v_sqrt_f32_e32 v6, v4
	v_sqrt_f32_e32 v7, v1
	v_fmac_f32_e32 v21, 0x3f317217, v9
	v_lshl_add_u64 v[2:3], v[2:3], 3, s[10:11]
	v_add_u32_e32 v13, -1, v6
	v_add_u32_e32 v15, -1, v7
	v_fma_f32 v22, -v13, v6, v4
	v_add_u32_e32 v14, 1, v6
	v_fma_f32 v24, -v15, v7, v1
	v_cmp_ge_f32_e64 s[8:9], 0, v22
	v_add_u32_e32 v20, 1, v7
	v_fma_f32 v23, -v14, v6, v4
	v_cndmask_b32_e64 v6, v6, v13, s[8:9]
	v_cmp_ge_f32_e64 s[8:9], 0, v24
	v_fma_f32 v25, -v20, v7, v1
	s_nop 0
	v_cndmask_b32_e64 v7, v7, v15, s[8:9]
	v_cmp_lt_f32_e64 s[8:9], 0, v23
	s_nop 1
	v_cndmask_b32_e64 v6, v6, v14, s[8:9]
	v_cmp_lt_f32_e64 s[8:9], 0, v25
	v_mul_f32_e32 v13, 0x37800000, v6
	v_cndmask_b32_e32 v6, v6, v13, vcc
	v_cndmask_b32_e64 v7, v7, v20, s[8:9]
	v_mul_f32_e32 v14, 0x37800000, v7
	v_cmp_class_f32_e32 vcc, v4, v18
	v_cndmask_b32_e64 v7, v7, v14, s[2:3]
	v_cmp_lt_f32_e64 s[2:3], s17, v10
	v_cndmask_b32_e32 v13, v6, v4, vcc
	v_cmp_class_f32_e32 vcc, v1, v18
	v_cndmask_b32_e64 v6, 0, v17, s[4:5]
	s_nop 0
	v_cndmask_b32_e32 v14, v7, v1, vcc
	v_log_f32_e32 v1, v8
	v_cmp_lt_f32_e64 vcc, |v9|, s22
	s_nop 1
	v_cndmask_b32_e32 v4, v9, v21, vcc
	v_sub_f32_e32 v4, v4, v6
	v_mul_f32_e32 v6, 0x3f317217, v1
	v_fma_f32 v6, v1, s20, -v6
	v_fmac_f32_e32 v6, 0x3377d1cf, v1
	v_fmac_f32_e32 v6, 0x3f317217, v1
	v_cmp_lt_f32_e64 vcc, |v1|, s22
	s_nop 1
	v_cndmask_b32_e32 v1, v1, v6, vcc
	v_cmp_lt_f32_e32 vcc, s17, v11
	v_cndmask_b32_e64 v6, 0, v17, s[6:7]
	v_sub_f32_e32 v1, v1, v6
	v_cndmask_b32_e32 v4, v4, v11, vcc
	v_mul_f32_e32 v7, 0x4f800000, v4
	v_cmp_gt_f32_e32 vcc, s23, v4
	v_cndmask_b32_e64 v1, v1, v10, s[2:3]
	s_nop 0
	v_cndmask_b32_e32 v4, v4, v7, vcc
	v_sqrt_f32_e32 v7, v4
	s_nop 0
	v_add_u32_e32 v6, -1, v7
	v_fma_f32 v8, -v6, v7, v4
	v_cmp_ge_f32_e64 s[2:3], 0, v8
	v_add_u32_e32 v8, 1, v7
	s_nop 0
	v_cndmask_b32_e64 v6, v7, v6, s[2:3]
	v_fma_f32 v7, -v8, v7, v4
	v_cmp_lt_f32_e64 s[2:3], 0, v7
	s_nop 1
	v_cndmask_b32_e64 v6, v6, v8, s[2:3]
	v_mul_f32_e32 v8, 0x4f800000, v1
	v_cmp_gt_f32_e64 s[2:3], s23, v1
	v_mul_f32_e32 v7, 0x37800000, v6
	v_cndmask_b32_e32 v6, v6, v7, vcc
	v_cndmask_b32_e64 v1, v1, v8, s[2:3]
	v_sqrt_f32_e32 v8, v1
	s_waitcnt vmcnt(0)
	v_mul_f32_e32 v7, 0x3fb8aa3b, v19
	v_exp_f32_e32 v7, v7
	v_cmp_class_f32_e32 vcc, v4, v18
	v_add_f32_e32 v7, 1.0, v7
	s_nop 0
	v_cndmask_b32_e32 v15, v6, v4, vcc
	v_add_u32_e32 v4, -1, v8
	v_fma_f32 v6, -v4, v8, v1
	v_cmp_ge_f32_e32 vcc, 0, v6
	v_add_u32_e32 v6, 1, v8
	s_nop 0
	v_cndmask_b32_e32 v4, v8, v4, vcc
	v_cmp_gt_f32_e32 vcc, s21, v7
	v_fma_f32 v8, -v6, v8, v1
	v_cmp_lt_f32_e64 s[4:5], 0, v8
	v_cndmask_b32_e32 v9, 1.0, v16, vcc
	v_mul_f32_e32 v7, v7, v9
	v_log_f32_e32 v7, v7
	v_cndmask_b32_e64 v4, v4, v6, s[4:5]
	v_mul_f32_e32 v6, 0x37800000, v4
	v_cndmask_b32_e64 v4, v4, v6, s[2:3]
	v_mul_f32_e32 v8, 0x3f317217, v7
	v_fma_f32 v8, v7, s20, -v8
	v_fmac_f32_e32 v8, 0x3377d1cf, v7
	v_fmac_f32_e32 v8, 0x3f317217, v7
	v_cmp_lt_f32_e64 s[4:5], |v7|, s22
	v_cmp_class_f32_e64 s[2:3], v1, v18
	s_nop 0
	v_cndmask_b32_e64 v7, v7, v8, s[4:5]
	v_cndmask_b32_e32 v8, 0, v17, vcc
	v_sub_f32_e32 v7, v7, v8
	v_cmp_lt_f32_e32 vcc, s17, v19
	v_cndmask_b32_e64 v16, v4, v1, s[2:3]
	s_nop 0
	v_cndmask_b32_e32 v7, v7, v19, vcc
	v_mul_f32_e32 v8, 0x4f800000, v7
	v_cmp_gt_f32_e32 vcc, s23, v7
	s_nop 1
	v_cndmask_b32_e32 v7, v7, v8, vcc
	v_sqrt_f32_e32 v8, v7
	s_nop 0
	v_add_u32_e32 v1, -1, v8
	v_fma_f32 v4, -v1, v8, v7
	v_cmp_ge_f32_e64 s[2:3], 0, v4
	v_add_u32_e32 v4, 1, v8
	v_fma_f32 v6, -v4, v8, v7
	v_cndmask_b32_e64 v1, v8, v1, s[2:3]
	v_cmp_lt_f32_e64 s[2:3], 0, v6
	s_nop 1
	v_cndmask_b32_e64 v1, v1, v4, s[2:3]
	v_mul_f32_e32 v4, 0x37800000, v1
	v_cndmask_b32_e32 v1, v1, v4, vcc
	v_cmp_class_f32_e32 vcc, v7, v18
	s_nop 1
	v_cndmask_b32_e32 v17, v1, v7, vcc
	s_and_b64 vcc, exec, s[18:19]
	s_cbranch_vccnz .LBB164_28
; %bb.2:
	s_load_dwordx2 s[4:5], s[0:1], 0x20
	s_cmp_lt_u32 s12, 4
	v_sub_u32_e32 v4, 0, v12
	s_cbranch_scc1 .LBB164_21
; %bb.3:
	s_mov_b32 s7, 0
	s_and_b32 s16, s12, 0x7ffffffc
	v_ashrrev_i32_e32 v1, 31, v0
	v_mov_b32_e32 v5, 0
	s_mov_b32 s6, s7
	s_branch .LBB164_5
.LBB164_4:                              ;   in Loop: Header=BB164_5 Depth=1
	s_or_b64 exec, exec, s[8:9]
	s_add_i32 s6, s6, 4
	s_cmp_eq_u32 s6, s16
	s_cbranch_scc1 .LBB164_21
.LBB164_5:                              ; =>This Loop Header: Depth=1
                                        ;     Child Loop BB164_7 Depth 2
                                        ;     Child Loop BB164_11 Depth 2
	;; [unrolled: 1-line block ×4, first 2 shown]
	v_lshl_add_u64 v[6:7], s[6:7], 3, v[2:3]
	global_load_dwordx2 v[8:9], v[6:7], off
	v_add_u32_e32 v10, s6, v0
	v_ashrrev_i32_e32 v11, 31, v10
	s_mov_b64 s[8:9], 0
	s_waitcnt lgkmcnt(0)
	v_lshl_add_u64 v[10:11], v[10:11], 3, s[4:5]
	s_mov_b64 s[10:11], 0
	s_waitcnt vmcnt(0)
	v_ashrrev_i32_e32 v9, 31, v8
	v_add_u32_e32 v18, v4, v8
	s_branch .LBB164_7
.LBB164_6:                              ;   in Loop: Header=BB164_7 Depth=2
	s_or_b64 exec, exec, s[18:19]
	s_cmp_gt_u32 s10, 3
	s_cselect_b64 s[2:3], -1, 0
	s_xor_b64 s[18:19], vcc, -1
	s_or_b64 s[2:3], s[18:19], s[2:3]
	s_add_u32 s10, s10, 1
	s_addc_u32 s11, s11, 0
	s_and_b64 s[2:3], exec, s[2:3]
	s_or_b64 s[8:9], s[2:3], s[8:9]
	v_subrev_u32_e32 v18, 64, v18
	s_andn2_b64 exec, exec, s[8:9]
	s_cbranch_execz .LBB164_9
.LBB164_7:                              ;   Parent Loop BB164_5 Depth=1
                                        ; =>  This Inner Loop Header: Depth=2
	v_cmp_ne_u32_e32 vcc, 0, v18
	v_cmp_eq_u32_e64 s[2:3], 0, v18
	s_and_saveexec_b64 s[18:19], s[2:3]
	s_cbranch_execz .LBB164_6
; %bb.8:                                ;   in Loop: Header=BB164_7 Depth=2
	s_cmp_eq_u32 s10, 1
	s_cselect_b64 s[2:3], -1, 0
	s_cmp_eq_u32 s10, 2
	v_cndmask_b32_e64 v19, v14, v13, s[2:3]
	s_cselect_b64 s[2:3], -1, 0
	s_cmp_eq_u32 s10, 3
	v_cndmask_b32_e64 v19, v19, v16, s[2:3]
	s_cselect_b64 s[2:3], -1, 0
	s_cmp_eq_u32 s10, 4
	v_cndmask_b32_e64 v19, v19, v15, s[2:3]
	s_cselect_b64 s[2:3], -1, 0
	v_cndmask_b32_e64 v19, v19, v17, s[2:3]
	v_add_f32_e32 v5, v5, v19
	global_store_dwordx2 v[10:11], v[8:9], off
	s_branch .LBB164_6
.LBB164_9:                              ;   in Loop: Header=BB164_5 Depth=1
	s_or_b64 exec, exec, s[8:9]
	global_load_dwordx2 v[10:11], v[6:7], off offset:8
	s_ashr_i32 s3, s6, 31
	s_mov_b32 s2, s6
	v_lshl_add_u64 v[8:9], s[2:3], 0, v[0:1]
	s_mov_b64 s[8:9], 0
	v_lshl_add_u64 v[8:9], v[8:9], 3, s[4:5]
	s_mov_b64 s[10:11], 0
	s_waitcnt vmcnt(0)
	v_ashrrev_i32_e32 v11, 31, v10
	v_add_u32_e32 v18, v4, v10
	s_branch .LBB164_11
.LBB164_10:                             ;   in Loop: Header=BB164_11 Depth=2
	s_or_b64 exec, exec, s[18:19]
	s_cmp_gt_u32 s10, 3
	s_cselect_b64 s[2:3], -1, 0
	s_xor_b64 s[18:19], vcc, -1
	s_or_b64 s[2:3], s[18:19], s[2:3]
	s_add_u32 s10, s10, 1
	s_addc_u32 s11, s11, 0
	s_and_b64 s[2:3], exec, s[2:3]
	s_or_b64 s[8:9], s[2:3], s[8:9]
	v_subrev_u32_e32 v18, 64, v18
	s_andn2_b64 exec, exec, s[8:9]
	s_cbranch_execz .LBB164_13
.LBB164_11:                             ;   Parent Loop BB164_5 Depth=1
                                        ; =>  This Inner Loop Header: Depth=2
	v_cmp_ne_u32_e32 vcc, 0, v18
	v_cmp_eq_u32_e64 s[2:3], 0, v18
	s_and_saveexec_b64 s[18:19], s[2:3]
	s_cbranch_execz .LBB164_10
; %bb.12:                               ;   in Loop: Header=BB164_11 Depth=2
	s_cmp_eq_u32 s10, 1
	s_cselect_b64 s[2:3], -1, 0
	s_cmp_eq_u32 s10, 2
	v_cndmask_b32_e64 v19, v14, v13, s[2:3]
	s_cselect_b64 s[2:3], -1, 0
	s_cmp_eq_u32 s10, 3
	v_cndmask_b32_e64 v19, v19, v16, s[2:3]
	;; [unrolled: 3-line block ×3, first 2 shown]
	s_cselect_b64 s[2:3], -1, 0
	v_cndmask_b32_e64 v19, v19, v17, s[2:3]
	v_add_f32_e32 v5, v5, v19
	global_store_dwordx2 v[8:9], v[10:11], off offset:8
	s_branch .LBB164_10
.LBB164_13:                             ;   in Loop: Header=BB164_5 Depth=1
	s_or_b64 exec, exec, s[8:9]
	global_load_dwordx2 v[10:11], v[6:7], off offset:16
	s_mov_b64 s[8:9], 0
	s_mov_b64 s[10:11], 0
	s_waitcnt vmcnt(0)
	v_ashrrev_i32_e32 v11, 31, v10
	v_add_u32_e32 v18, v4, v10
	s_branch .LBB164_15
.LBB164_14:                             ;   in Loop: Header=BB164_15 Depth=2
	s_or_b64 exec, exec, s[18:19]
	s_cmp_gt_u32 s10, 3
	s_cselect_b64 s[2:3], -1, 0
	s_xor_b64 s[18:19], vcc, -1
	s_or_b64 s[2:3], s[18:19], s[2:3]
	s_add_u32 s10, s10, 1
	s_addc_u32 s11, s11, 0
	s_and_b64 s[2:3], exec, s[2:3]
	s_or_b64 s[8:9], s[2:3], s[8:9]
	v_subrev_u32_e32 v18, 64, v18
	s_andn2_b64 exec, exec, s[8:9]
	s_cbranch_execz .LBB164_17
.LBB164_15:                             ;   Parent Loop BB164_5 Depth=1
                                        ; =>  This Inner Loop Header: Depth=2
	v_cmp_ne_u32_e32 vcc, 0, v18
	v_cmp_eq_u32_e64 s[2:3], 0, v18
	s_and_saveexec_b64 s[18:19], s[2:3]
	s_cbranch_execz .LBB164_14
; %bb.16:                               ;   in Loop: Header=BB164_15 Depth=2
	s_cmp_eq_u32 s10, 1
	s_cselect_b64 s[2:3], -1, 0
	s_cmp_eq_u32 s10, 2
	v_cndmask_b32_e64 v19, v14, v13, s[2:3]
	s_cselect_b64 s[2:3], -1, 0
	s_cmp_eq_u32 s10, 3
	v_cndmask_b32_e64 v19, v19, v16, s[2:3]
	;; [unrolled: 3-line block ×3, first 2 shown]
	s_cselect_b64 s[2:3], -1, 0
	v_cndmask_b32_e64 v19, v19, v17, s[2:3]
	v_add_f32_e32 v5, v5, v19
	global_store_dwordx2 v[8:9], v[10:11], off offset:16
	s_branch .LBB164_14
.LBB164_17:                             ;   in Loop: Header=BB164_5 Depth=1
	s_or_b64 exec, exec, s[8:9]
	global_load_dwordx2 v[6:7], v[6:7], off offset:24
	s_mov_b64 s[8:9], 0
	s_mov_b64 s[10:11], 0
	s_waitcnt vmcnt(0)
	v_ashrrev_i32_e32 v7, 31, v6
	v_add_u32_e32 v10, v4, v6
	s_branch .LBB164_19
.LBB164_18:                             ;   in Loop: Header=BB164_19 Depth=2
	s_or_b64 exec, exec, s[18:19]
	s_cmp_gt_u32 s10, 3
	s_cselect_b64 s[2:3], -1, 0
	s_xor_b64 s[18:19], vcc, -1
	s_or_b64 s[2:3], s[18:19], s[2:3]
	s_add_u32 s10, s10, 1
	s_addc_u32 s11, s11, 0
	s_and_b64 s[2:3], exec, s[2:3]
	s_or_b64 s[8:9], s[2:3], s[8:9]
	v_subrev_u32_e32 v10, 64, v10
	s_andn2_b64 exec, exec, s[8:9]
	s_cbranch_execz .LBB164_4
.LBB164_19:                             ;   Parent Loop BB164_5 Depth=1
                                        ; =>  This Inner Loop Header: Depth=2
	v_cmp_ne_u32_e32 vcc, 0, v10
	v_cmp_eq_u32_e64 s[2:3], 0, v10
	s_and_saveexec_b64 s[18:19], s[2:3]
	s_cbranch_execz .LBB164_18
; %bb.20:                               ;   in Loop: Header=BB164_19 Depth=2
	s_cmp_eq_u32 s10, 1
	s_cselect_b64 s[2:3], -1, 0
	s_cmp_eq_u32 s10, 2
	v_cndmask_b32_e64 v11, v14, v13, s[2:3]
	s_cselect_b64 s[2:3], -1, 0
	s_cmp_eq_u32 s10, 3
	v_cndmask_b32_e64 v11, v11, v16, s[2:3]
	;; [unrolled: 3-line block ×3, first 2 shown]
	s_cselect_b64 s[2:3], -1, 0
	v_cndmask_b32_e64 v11, v11, v17, s[2:3]
	v_add_f32_e32 v5, v5, v11
	global_store_dwordx2 v[8:9], v[6:7], off offset:24
	s_branch .LBB164_18
.LBB164_21:
	s_and_b32 s13, s12, 3
	s_cmp_eq_u32 s13, 0
	s_mov_b32 s17, 0
	s_cbranch_scc1 .LBB164_28
; %bb.22:
	s_mov_b32 s18, s17
	s_branch .LBB164_24
.LBB164_23:                             ;   in Loop: Header=BB164_24 Depth=1
	s_or_b64 exec, exec, s[6:7]
	s_add_i32 s16, s16, 1
	s_add_i32 s18, s18, 1
	s_cmp_lg_u32 s18, s13
	s_cbranch_scc0 .LBB164_28
.LBB164_24:                             ; =>This Loop Header: Depth=1
                                        ;     Child Loop BB164_26 Depth 2
	v_lshl_add_u64 v[6:7], s[16:17], 3, v[2:3]
	global_load_dwordx2 v[6:7], v[6:7], off
	v_add_u32_e32 v8, s16, v0
	v_ashrrev_i32_e32 v9, 31, v8
	s_mov_b64 s[6:7], 0
	s_waitcnt lgkmcnt(0)
	v_lshl_add_u64 v[8:9], v[8:9], 3, s[4:5]
	s_mov_b64 s[8:9], 0
	s_waitcnt vmcnt(0)
	v_ashrrev_i32_e32 v7, 31, v6
	v_add_u32_e32 v1, v4, v6
	s_branch .LBB164_26
.LBB164_25:                             ;   in Loop: Header=BB164_26 Depth=2
	s_or_b64 exec, exec, s[10:11]
	s_cmp_gt_u32 s8, 3
	s_cselect_b64 s[2:3], -1, 0
	s_xor_b64 s[10:11], vcc, -1
	s_or_b64 s[2:3], s[10:11], s[2:3]
	s_add_u32 s8, s8, 1
	s_addc_u32 s9, s9, 0
	s_and_b64 s[2:3], exec, s[2:3]
	s_or_b64 s[6:7], s[2:3], s[6:7]
	v_subrev_u32_e32 v1, 64, v1
	s_andn2_b64 exec, exec, s[6:7]
	s_cbranch_execz .LBB164_23
.LBB164_26:                             ;   Parent Loop BB164_24 Depth=1
                                        ; =>  This Inner Loop Header: Depth=2
	v_cmp_ne_u32_e32 vcc, 0, v1
	v_cmp_eq_u32_e64 s[2:3], 0, v1
	s_and_saveexec_b64 s[10:11], s[2:3]
	s_cbranch_execz .LBB164_25
; %bb.27:                               ;   in Loop: Header=BB164_26 Depth=2
	s_cmp_eq_u32 s8, 1
	s_cselect_b64 s[2:3], -1, 0
	s_cmp_eq_u32 s8, 2
	v_cndmask_b32_e64 v10, v14, v13, s[2:3]
	s_cselect_b64 s[2:3], -1, 0
	s_cmp_eq_u32 s8, 3
	v_cndmask_b32_e64 v10, v10, v16, s[2:3]
	;; [unrolled: 3-line block ×3, first 2 shown]
	s_cselect_b64 s[2:3], -1, 0
	v_cndmask_b32_e64 v10, v10, v17, s[2:3]
	v_add_f32_e32 v5, v5, v10
	global_store_dwordx2 v[8:9], v[6:7], off
	s_branch .LBB164_25
.LBB164_28:
	s_waitcnt lgkmcnt(0)
	s_load_dword s4, s[0:1], 0x3c
	s_waitcnt lgkmcnt(0)
	s_bitcmp1_b32 s4, 0
	s_cselect_b64 s[2:3], -1, 0
	s_bitcmp0_b32 s4, 0
	s_cbranch_scc0 .LBB164_32
; %bb.29:
	s_load_dwordx2 s[4:5], s[0:1], 0x40
	s_andn2_b64 vcc, exec, s[2:3]
	s_waitcnt lgkmcnt(0)
	v_cvt_f32_f64_e32 v10, s[4:5]
	s_cbranch_vccz .LBB164_33
.LBB164_30:
	s_andn2_b64 vcc, exec, s[14:15]
	s_cbranch_vccz .LBB164_34
.LBB164_31:
	s_endpgm
.LBB164_32:
	v_mbcnt_lo_u32_b32 v1, -1, 0
	v_mbcnt_hi_u32_b32 v1, -1, v1
	v_and_b32_e32 v4, 64, v1
	v_add_u32_e32 v4, 64, v4
	v_xor_b32_e32 v6, 32, v1
	v_cmp_lt_i32_e32 vcc, v6, v4
	v_xor_b32_e32 v7, 16, v1
	s_nop 0
	v_cndmask_b32_e32 v6, v1, v6, vcc
	v_lshlrev_b32_e32 v6, 2, v6
	ds_bpermute_b32 v6, v6, v5
	v_cmp_lt_i32_e32 vcc, v7, v4
	s_waitcnt lgkmcnt(0)
	v_add_f32_e32 v5, v5, v6
	v_cndmask_b32_e32 v6, v1, v7, vcc
	v_lshlrev_b32_e32 v6, 2, v6
	ds_bpermute_b32 v6, v6, v5
	v_xor_b32_e32 v7, 8, v1
	v_cmp_lt_i32_e32 vcc, v7, v4
	s_waitcnt lgkmcnt(0)
	v_add_f32_e32 v5, v5, v6
	v_cndmask_b32_e32 v6, v1, v7, vcc
	v_lshlrev_b32_e32 v6, 2, v6
	ds_bpermute_b32 v6, v6, v5
	v_xor_b32_e32 v7, 4, v1
	;; [unrolled: 7-line block ×4, first 2 shown]
	v_cmp_lt_i32_e32 vcc, v7, v4
	s_waitcnt lgkmcnt(0)
	v_add_f32_e32 v5, v5, v6
	v_cndmask_b32_e32 v1, v1, v7, vcc
	v_lshlrev_b32_e32 v1, 2, v1
	ds_bpermute_b32 v1, v1, v5
	s_waitcnt lgkmcnt(0)
	v_add_f32_e32 v5, v5, v1
	s_load_dwordx2 s[4:5], s[0:1], 0x40
	s_andn2_b64 vcc, exec, s[2:3]
	s_waitcnt lgkmcnt(0)
	v_cvt_f32_f64_e32 v10, s[4:5]
	s_cbranch_vccnz .LBB164_30
.LBB164_33:
	v_cmp_lt_f32_e32 vcc, 0, v5
	s_nop 1
	v_cndmask_b32_e32 v1, 1.0, v5, vcc
	v_div_scale_f32 v4, s[2:3], v1, v1, v10
	v_rcp_f32_e32 v5, v4
	s_nop 0
	v_fma_f32 v6, -v4, v5, 1.0
	v_fmac_f32_e32 v5, v6, v5
	v_div_scale_f32 v6, vcc, v10, v1, v10
	v_mul_f32_e32 v7, v6, v5
	v_fma_f32 v8, -v4, v7, v6
	v_fmac_f32_e32 v7, v8, v5
	v_fma_f32 v4, -v4, v7, v6
	v_div_fmas_f32 v4, v4, v5, v7
	v_div_fixup_f32 v10, v4, v1, v10
	s_andn2_b64 vcc, exec, s[14:15]
	s_cbranch_vccnz .LBB164_31
.LBB164_34:
	s_load_dwordx2 s[6:7], s[0:1], 0x10
	v_or_b32_e32 v20, 64, v12
	v_or_b32_e32 v19, 0x80, v12
	;; [unrolled: 1-line block ×4, first 2 shown]
	s_cmp_eq_u32 s12, 1
	s_mov_b32 s8, 0
	s_cbranch_scc1 .LBB164_57
; %bb.35:
	v_ashrrev_i32_e32 v1, 31, v0
	s_waitcnt lgkmcnt(0)
	v_lshl_add_u64 v[4:5], v[0:1], 2, s[6:7]
	s_and_b32 s8, s12, 0x7ffffffe
	v_lshl_add_u64 v[4:5], v[4:5], 0, 4
	v_lshl_add_u64 v[6:7], v[2:3], 0, 8
	s_mov_b32 s9, 0
	s_branch .LBB164_37
.LBB164_36:                             ;   in Loop: Header=BB164_37 Depth=1
	s_or_b64 exec, exec, s[0:1]
	s_add_i32 s9, s9, 2
	v_lshl_add_u64 v[4:5], v[4:5], 0, 8
	s_cmp_lg_u32 s8, s9
	v_lshl_add_u64 v[6:7], v[6:7], 0, 16
	s_cbranch_scc0 .LBB164_57
.LBB164_37:                             ; =>This Inner Loop Header: Depth=1
	global_load_dword v1, v[6:7], off offset:-8
	v_mov_b64_e32 v[8:9], 0
	s_waitcnt vmcnt(0)
	v_cmp_eq_u32_e32 vcc, v12, v1
	v_cmp_ne_u32_e64 s[0:1], v12, v1
	s_and_saveexec_b64 s[10:11], s[0:1]
	s_cbranch_execz .LBB164_45
; %bb.38:                               ;   in Loop: Header=BB164_37 Depth=1
	v_cmp_eq_u32_e64 s[0:1], v20, v1
	v_cmp_ne_u32_e64 s[2:3], v20, v1
	v_mov_b64_e32 v[8:9], 1
	s_and_saveexec_b64 s[14:15], s[2:3]
	s_cbranch_execz .LBB164_44
; %bb.39:                               ;   in Loop: Header=BB164_37 Depth=1
	v_cmp_eq_u32_e64 s[2:3], v19, v1
	v_cmp_ne_u32_e64 s[4:5], v19, v1
	v_mov_b64_e32 v[8:9], 2
	;; [unrolled: 6-line block ×3, first 2 shown]
	s_and_saveexec_b64 s[20:21], s[4:5]
	s_xor_b64 s[20:21], exec, s[20:21]
; %bb.41:                               ;   in Loop: Header=BB164_37 Depth=1
	v_cmp_eq_u32_e64 s[4:5], v11, v1
	s_andn2_b64 s[18:19], s[18:19], exec
	s_and_b64 s[4:5], s[4:5], exec
	v_mov_b64_e32 v[8:9], 4
	s_or_b64 s[18:19], s[18:19], s[4:5]
; %bb.42:                               ;   in Loop: Header=BB164_37 Depth=1
	s_or_b64 exec, exec, s[20:21]
	s_andn2_b64 s[2:3], s[2:3], exec
	s_and_b64 s[4:5], s[18:19], exec
	s_or_b64 s[2:3], s[2:3], s[4:5]
.LBB164_43:                             ;   in Loop: Header=BB164_37 Depth=1
	s_or_b64 exec, exec, s[16:17]
	s_andn2_b64 s[0:1], s[0:1], exec
	s_and_b64 s[2:3], s[2:3], exec
	s_or_b64 s[0:1], s[0:1], s[2:3]
.LBB164_44:                             ;   in Loop: Header=BB164_37 Depth=1
	s_or_b64 exec, exec, s[14:15]
	s_andn2_b64 s[2:3], vcc, exec
	s_and_b64 s[0:1], s[0:1], exec
	s_or_b64 vcc, s[2:3], s[0:1]
.LBB164_45:                             ;   in Loop: Header=BB164_37 Depth=1
	s_or_b64 exec, exec, s[10:11]
	s_and_saveexec_b64 s[0:1], vcc
	s_cbranch_execz .LBB164_47
; %bb.46:                               ;   in Loop: Header=BB164_37 Depth=1
	v_cmp_eq_u32_e32 vcc, 1, v8
	v_add_u32_e32 v22, s9, v0
	v_ashrrev_i32_e32 v23, 31, v22
	v_cndmask_b32_e32 v1, v14, v13, vcc
	v_cmp_eq_u32_e32 vcc, 2, v8
	s_nop 1
	v_cndmask_b32_e32 v1, v1, v16, vcc
	v_cmp_eq_u32_e32 vcc, 3, v8
	s_nop 1
	v_cndmask_b32_e32 v1, v1, v15, vcc
	v_cmp_eq_u32_e32 vcc, 4, v8
	v_lshl_add_u64 v[8:9], v[22:23], 2, s[6:7]
	s_nop 0
	v_cndmask_b32_e32 v1, v1, v17, vcc
	v_mul_f32_e32 v1, v10, v1
	global_store_dword v[8:9], v1, off
.LBB164_47:                             ;   in Loop: Header=BB164_37 Depth=1
	s_or_b64 exec, exec, s[0:1]
	global_load_dword v1, v[6:7], off
	v_mov_b64_e32 v[8:9], 0
	s_waitcnt vmcnt(0)
	v_cmp_eq_u32_e64 s[2:3], v12, v1
	v_cmp_ne_u32_e32 vcc, v12, v1
	s_and_saveexec_b64 s[4:5], vcc
	s_cbranch_execz .LBB164_55
; %bb.48:                               ;   in Loop: Header=BB164_37 Depth=1
	v_cmp_eq_u32_e32 vcc, v20, v1
	v_cmp_ne_u32_e64 s[0:1], v20, v1
	v_mov_b64_e32 v[8:9], 1
	s_and_saveexec_b64 s[10:11], s[0:1]
	s_cbranch_execz .LBB164_54
; %bb.49:                               ;   in Loop: Header=BB164_37 Depth=1
	v_cmp_eq_u32_e64 s[14:15], v19, v1
	v_cmp_ne_u32_e64 s[0:1], v19, v1
	v_mov_b64_e32 v[8:9], 2
	s_and_saveexec_b64 s[16:17], s[0:1]
	s_cbranch_execz .LBB164_53
; %bb.50:                               ;   in Loop: Header=BB164_37 Depth=1
	v_cmp_eq_u32_e64 s[18:19], v18, v1
	v_cmp_ne_u32_e64 s[0:1], v18, v1
	v_mov_b64_e32 v[8:9], 3
	s_and_saveexec_b64 s[20:21], s[0:1]
; %bb.51:                               ;   in Loop: Header=BB164_37 Depth=1
	v_cmp_eq_u32_e64 s[0:1], v11, v1
	s_andn2_b64 s[18:19], s[18:19], exec
	s_and_b64 s[0:1], s[0:1], exec
	v_mov_b64_e32 v[8:9], 4
	s_or_b64 s[18:19], s[18:19], s[0:1]
; %bb.52:                               ;   in Loop: Header=BB164_37 Depth=1
	s_or_b64 exec, exec, s[20:21]
	s_andn2_b64 s[0:1], s[14:15], exec
	s_and_b64 s[14:15], s[18:19], exec
	s_or_b64 s[14:15], s[0:1], s[14:15]
.LBB164_53:                             ;   in Loop: Header=BB164_37 Depth=1
	s_or_b64 exec, exec, s[16:17]
	s_andn2_b64 s[0:1], vcc, exec
	s_and_b64 s[14:15], s[14:15], exec
	s_or_b64 vcc, s[0:1], s[14:15]
.LBB164_54:                             ;   in Loop: Header=BB164_37 Depth=1
	s_or_b64 exec, exec, s[10:11]
	s_andn2_b64 s[0:1], s[2:3], exec
	s_and_b64 s[2:3], vcc, exec
	s_or_b64 s[2:3], s[0:1], s[2:3]
.LBB164_55:                             ;   in Loop: Header=BB164_37 Depth=1
	s_or_b64 exec, exec, s[4:5]
	s_and_saveexec_b64 s[0:1], s[2:3]
	s_cbranch_execz .LBB164_36
; %bb.56:                               ;   in Loop: Header=BB164_37 Depth=1
	v_cmp_eq_u32_e32 vcc, 1, v8
	s_nop 1
	v_cndmask_b32_e32 v1, v14, v13, vcc
	v_cmp_eq_u32_e32 vcc, 2, v8
	s_nop 1
	v_cndmask_b32_e32 v1, v1, v16, vcc
	;; [unrolled: 3-line block ×4, first 2 shown]
	v_mul_f32_e32 v1, v10, v1
	global_store_dword v[4:5], v1, off
	s_branch .LBB164_36
.LBB164_57:
	s_bitcmp0_b32 s12, 0
	s_mov_b32 s9, 0
	s_cbranch_scc1 .LBB164_31
; %bb.58:
	v_lshl_add_u64 v[2:3], s[8:9], 3, v[2:3]
	global_load_dword v1, v[2:3], off
	v_mov_b64_e32 v[2:3], 0
	s_waitcnt vmcnt(0)
	v_cmp_eq_u32_e64 s[2:3], v12, v1
	v_cmp_ne_u32_e32 vcc, v12, v1
	s_and_saveexec_b64 s[4:5], vcc
	s_cbranch_execz .LBB164_66
; %bb.59:
	v_cmp_eq_u32_e32 vcc, v20, v1
	v_cmp_ne_u32_e64 s[0:1], v20, v1
	v_mov_b64_e32 v[2:3], 1
	s_and_saveexec_b64 s[10:11], s[0:1]
	s_cbranch_execz .LBB164_65
; %bb.60:
	v_cmp_eq_u32_e64 s[12:13], v19, v1
	v_cmp_ne_u32_e64 s[0:1], v19, v1
	v_mov_b64_e32 v[2:3], 2
	s_and_saveexec_b64 s[14:15], s[0:1]
	s_cbranch_execz .LBB164_64
; %bb.61:
	v_cmp_eq_u32_e64 s[16:17], v18, v1
	v_cmp_ne_u32_e64 s[0:1], v18, v1
	v_mov_b64_e32 v[2:3], 3
	s_and_saveexec_b64 s[18:19], s[0:1]
; %bb.62:
	v_cmp_eq_u32_e64 s[0:1], v11, v1
	s_andn2_b64 s[16:17], s[16:17], exec
	s_and_b64 s[0:1], s[0:1], exec
	v_mov_b64_e32 v[2:3], 4
	s_or_b64 s[16:17], s[16:17], s[0:1]
; %bb.63:
	s_or_b64 exec, exec, s[18:19]
	s_andn2_b64 s[0:1], s[12:13], exec
	s_and_b64 s[12:13], s[16:17], exec
	s_or_b64 s[12:13], s[0:1], s[12:13]
.LBB164_64:
	s_or_b64 exec, exec, s[14:15]
	s_andn2_b64 s[0:1], vcc, exec
	s_and_b64 s[12:13], s[12:13], exec
	s_or_b64 vcc, s[0:1], s[12:13]
.LBB164_65:
	s_or_b64 exec, exec, s[10:11]
	s_andn2_b64 s[0:1], s[2:3], exec
	s_and_b64 s[2:3], vcc, exec
	s_or_b64 s[2:3], s[0:1], s[2:3]
.LBB164_66:
	s_or_b64 exec, exec, s[4:5]
	s_and_b64 exec, exec, s[2:3]
	s_cbranch_execz .LBB164_31
; %bb.67:
	v_cmp_eq_u32_e32 vcc, 1, v2
	v_add_u32_e32 v0, s8, v0
	s_nop 0
	v_cndmask_b32_e32 v1, v14, v13, vcc
	v_cmp_eq_u32_e32 vcc, 2, v2
	s_nop 1
	v_cndmask_b32_e32 v1, v1, v16, vcc
	v_cmp_eq_u32_e32 vcc, 3, v2
	;; [unrolled: 3-line block ×3, first 2 shown]
	s_nop 1
	v_cndmask_b32_e32 v1, v1, v17, vcc
	v_mul_f32_e32 v2, v10, v1
	v_ashrrev_i32_e32 v1, 31, v0
	s_waitcnt lgkmcnt(0)
	v_lshl_add_u64 v[0:1], v[0:1], 2, s[6:7]
	global_store_dword v[0:1], v2, off
	s_endpgm
	.section	.rodata,"a",@progbits
	.p2align	6, 0x0
	.amdhsa_kernel _ZN4vllm3moe22topkGatingSoftplusSqrtILi5ELi320ELi4ELi4ELi64ELb1ElfEEvPKT6_PKbPfiPT5_PiiiibdPKfPKS8_SE_
		.amdhsa_group_segment_fixed_size 0
		.amdhsa_private_segment_fixed_size 0
		.amdhsa_kernarg_size 96
		.amdhsa_user_sgpr_count 2
		.amdhsa_user_sgpr_dispatch_ptr 0
		.amdhsa_user_sgpr_queue_ptr 0
		.amdhsa_user_sgpr_kernarg_segment_ptr 1
		.amdhsa_user_sgpr_dispatch_id 0
		.amdhsa_user_sgpr_kernarg_preload_length 0
		.amdhsa_user_sgpr_kernarg_preload_offset 0
		.amdhsa_user_sgpr_private_segment_size 0
		.amdhsa_uses_dynamic_stack 0
		.amdhsa_enable_private_segment 0
		.amdhsa_system_sgpr_workgroup_id_x 1
		.amdhsa_system_sgpr_workgroup_id_y 0
		.amdhsa_system_sgpr_workgroup_id_z 0
		.amdhsa_system_sgpr_workgroup_info 0
		.amdhsa_system_vgpr_workitem_id 1
		.amdhsa_next_free_vgpr 26
		.amdhsa_next_free_sgpr 24
		.amdhsa_accum_offset 28
		.amdhsa_reserve_vcc 1
		.amdhsa_float_round_mode_32 0
		.amdhsa_float_round_mode_16_64 0
		.amdhsa_float_denorm_mode_32 3
		.amdhsa_float_denorm_mode_16_64 3
		.amdhsa_dx10_clamp 1
		.amdhsa_ieee_mode 1
		.amdhsa_fp16_overflow 0
		.amdhsa_tg_split 0
		.amdhsa_exception_fp_ieee_invalid_op 0
		.amdhsa_exception_fp_denorm_src 0
		.amdhsa_exception_fp_ieee_div_zero 0
		.amdhsa_exception_fp_ieee_overflow 0
		.amdhsa_exception_fp_ieee_underflow 0
		.amdhsa_exception_fp_ieee_inexact 0
		.amdhsa_exception_int_div_zero 0
	.end_amdhsa_kernel
	.section	.text._ZN4vllm3moe22topkGatingSoftplusSqrtILi5ELi320ELi4ELi4ELi64ELb1ElfEEvPKT6_PKbPfiPT5_PiiiibdPKfPKS8_SE_,"axG",@progbits,_ZN4vllm3moe22topkGatingSoftplusSqrtILi5ELi320ELi4ELi4ELi64ELb1ElfEEvPKT6_PKbPfiPT5_PiiiibdPKfPKS8_SE_,comdat
.Lfunc_end164:
	.size	_ZN4vllm3moe22topkGatingSoftplusSqrtILi5ELi320ELi4ELi4ELi64ELb1ElfEEvPKT6_PKbPfiPT5_PiiiibdPKfPKS8_SE_, .Lfunc_end164-_ZN4vllm3moe22topkGatingSoftplusSqrtILi5ELi320ELi4ELi4ELi64ELb1ElfEEvPKT6_PKbPfiPT5_PiiiibdPKfPKS8_SE_
                                        ; -- End function
	.section	.AMDGPU.csdata,"",@progbits
; Kernel info:
; codeLenInByte = 3912
; NumSgprs: 30
; NumVgprs: 26
; NumAgprs: 0
; TotalNumVgprs: 26
; ScratchSize: 0
; MemoryBound: 0
; FloatMode: 240
; IeeeMode: 1
; LDSByteSize: 0 bytes/workgroup (compile time only)
; SGPRBlocks: 3
; VGPRBlocks: 3
; NumSGPRsForWavesPerEU: 30
; NumVGPRsForWavesPerEU: 26
; AccumOffset: 28
; Occupancy: 8
; WaveLimiterHint : 1
; COMPUTE_PGM_RSRC2:SCRATCH_EN: 0
; COMPUTE_PGM_RSRC2:USER_SGPR: 2
; COMPUTE_PGM_RSRC2:TRAP_HANDLER: 0
; COMPUTE_PGM_RSRC2:TGID_X_EN: 1
; COMPUTE_PGM_RSRC2:TGID_Y_EN: 0
; COMPUTE_PGM_RSRC2:TGID_Z_EN: 0
; COMPUTE_PGM_RSRC2:TIDIG_COMP_CNT: 1
; COMPUTE_PGM_RSRC3_GFX90A:ACCUM_OFFSET: 6
; COMPUTE_PGM_RSRC3_GFX90A:TG_SPLIT: 0
	.section	.text._ZN4vllm3moe22topkGatingSoftplusSqrtILi5ELi320ELi4ELi4ELi64ELb0ElfEEvPKT6_PKbPfiPT5_PiiiibdPKfPKS8_SE_,"axG",@progbits,_ZN4vllm3moe22topkGatingSoftplusSqrtILi5ELi320ELi4ELi4ELi64ELb0ElfEEvPKT6_PKbPfiPT5_PiiiibdPKfPKS8_SE_,comdat
	.protected	_ZN4vllm3moe22topkGatingSoftplusSqrtILi5ELi320ELi4ELi4ELi64ELb0ElfEEvPKT6_PKbPfiPT5_PiiiibdPKfPKS8_SE_ ; -- Begin function _ZN4vllm3moe22topkGatingSoftplusSqrtILi5ELi320ELi4ELi4ELi64ELb0ElfEEvPKT6_PKbPfiPT5_PiiiibdPKfPKS8_SE_
	.globl	_ZN4vllm3moe22topkGatingSoftplusSqrtILi5ELi320ELi4ELi4ELi64ELb0ElfEEvPKT6_PKbPfiPT5_PiiiibdPKfPKS8_SE_
	.p2align	8
	.type	_ZN4vllm3moe22topkGatingSoftplusSqrtILi5ELi320ELi4ELi4ELi64ELb0ElfEEvPKT6_PKbPfiPT5_PiiiibdPKfPKS8_SE_,@function
_ZN4vllm3moe22topkGatingSoftplusSqrtILi5ELi320ELi4ELi4ELi64ELb0ElfEEvPKT6_PKbPfiPT5_PiiiibdPKfPKS8_SE_: ; @_ZN4vllm3moe22topkGatingSoftplusSqrtILi5ELi320ELi4ELi4ELi64ELb0ElfEEvPKT6_PKbPfiPT5_PiiiibdPKfPKS8_SE_
; %bb.0:
	s_load_dword s30, s[0:1], 0x18
	v_and_b32_e32 v1, 0x3ff, v0
	s_lshl_b32 s2, s2, 2
	v_lshrrev_b32_e32 v2, 6, v1
	v_bfe_u32 v0, v0, 10, 10
	v_add3_u32 v6, s2, v0, v2
	s_waitcnt lgkmcnt(0)
	v_cmp_gt_i32_e32 vcc, s30, v6
	s_and_saveexec_b64 s[2:3], vcc
	s_cbranch_execz .LBB165_59
; %bb.1:
	s_load_dwordx4 s[4:7], s[0:1], 0x0
	s_load_dwordx2 s[20:21], s[0:1], 0x10
	s_waitcnt lgkmcnt(0)
	s_cmp_eq_u64 s[6:7], 0
	s_cbranch_scc1 .LBB165_3
; %bb.2:
	v_ashrrev_i32_e32 v7, 31, v6
	v_lshl_add_u64 v[2:3], s[6:7], 0, v[6:7]
	global_load_ubyte v0, v[2:3], off
	s_waitcnt vmcnt(0)
	v_and_b32_e32 v0, 1, v0
	v_cmp_eq_u32_e32 vcc, 1, v0
	s_xor_b64 s[2:3], vcc, -1
	s_orn2_b64 s[22:23], s[2:3], exec
	s_branch .LBB165_4
.LBB165_3:
	s_mov_b64 s[22:23], -1
.LBB165_4:
	s_movk_i32 s2, 0x140
	v_mul_lo_u32 v4, v6, s2
	v_mov_b32_e32 v2, s4
	v_mov_b32_e32 v3, s5
	v_ashrrev_i32_e32 v5, 31, v4
	v_and_b32_e32 v8, 63, v1
	v_lshl_add_u64 v[2:3], v[4:5], 2, v[2:3]
	v_mov_b32_e32 v11, 0
	v_lshlrev_b32_e32 v10, 2, v8
	v_lshl_add_u64 v[12:13], v[2:3], 0, v[10:11]
	global_load_dword v0, v[12:13], off
	global_load_dword v1, v[12:13], off offset:256
	global_load_dword v2, v[12:13], off offset:512
	;; [unrolled: 1-line block ×4, first 2 shown]
	s_mov_b32 s16, 0x800000
	v_mov_b32_e32 v9, 0x4f800000
	s_mov_b32 s7, 0x3f317217
	s_mov_b32 s14, 0x7f800000
	v_mov_b32_e32 v7, 0x41b17218
	s_mov_b32 s6, 0x41a00000
	s_mov_b32 s15, 0xf800000
	s_load_dwordx4 s[8:11], s[0:1], 0x40
	s_waitcnt lgkmcnt(0)
	s_cmp_lg_u64 s[10:11], 0
	s_cselect_b64 s[12:13], -1, 0
	s_and_b64 s[2:3], exec, s[12:13]
	s_waitcnt vmcnt(4)
	v_mul_f32_e32 v5, 0x3fb8aa3b, v0
	v_exp_f32_e32 v5, v5
	s_nop 0
	v_add_f32_e32 v5, 1.0, v5
	v_cmp_gt_f32_e32 vcc, s16, v5
	s_nop 1
	v_cndmask_b32_e32 v11, 1.0, v9, vcc
	v_mul_f32_e32 v5, v5, v11
	v_log_f32_e32 v11, v5
	v_cndmask_b32_e32 v12, 0, v7, vcc
	v_mov_b32_e32 v5, 0x260
	v_mul_f32_e32 v13, 0x3f317217, v11
	v_fma_f32 v13, v11, s7, -v13
	v_fmac_f32_e32 v13, 0x3377d1cf, v11
	v_fmac_f32_e32 v13, 0x3f317217, v11
	v_cmp_lt_f32_e64 vcc, |v11|, s14
	s_nop 1
	v_cndmask_b32_e32 v11, v11, v13, vcc
	v_sub_f32_e32 v11, v11, v12
	v_cmp_lt_f32_e32 vcc, s6, v0
	s_nop 1
	v_cndmask_b32_e32 v0, v11, v0, vcc
	v_mul_f32_e32 v11, 0x4f800000, v0
	v_cmp_gt_f32_e32 vcc, s15, v0
	s_nop 1
	v_cndmask_b32_e32 v0, v0, v11, vcc
	v_sqrt_f32_e32 v11, v0
	s_nop 0
	v_add_u32_e32 v12, -1, v11
	v_add_u32_e32 v13, 1, v11
	v_fma_f32 v14, -v12, v11, v0
	v_fma_f32 v15, -v13, v11, v0
	v_cmp_ge_f32_e64 s[4:5], 0, v14
	s_nop 1
	v_cndmask_b32_e64 v11, v11, v12, s[4:5]
	v_cmp_lt_f32_e64 s[4:5], 0, v15
	s_nop 1
	v_cndmask_b32_e64 v11, v11, v13, s[4:5]
	v_mul_f32_e32 v12, 0x37800000, v11
	v_cndmask_b32_e32 v11, v11, v12, vcc
	v_cmp_class_f32_e32 vcc, v0, v5
	s_nop 1
	v_cndmask_b32_e32 v0, v11, v0, vcc
	s_mov_b64 vcc, s[2:3]
	s_cbranch_vccz .LBB165_6
; %bb.5:
	global_load_dword v11, v10, s[10:11]
	s_waitcnt vmcnt(0)
	v_add_f32_e32 v0, v0, v11
.LBB165_6:
	s_waitcnt vmcnt(3)
	v_mul_f32_e32 v11, 0x3fb8aa3b, v1
	v_exp_f32_e32 v11, v11
	s_nop 0
	v_add_f32_e32 v11, 1.0, v11
	v_cmp_gt_f32_e32 vcc, s16, v11
	s_nop 1
	v_cndmask_b32_e32 v9, 1.0, v9, vcc
	v_mul_f32_e32 v9, v11, v9
	v_log_f32_e32 v9, v9
	v_cndmask_b32_e32 v7, 0, v7, vcc
	v_mul_f32_e32 v11, 0x3f317217, v9
	v_fma_f32 v11, v9, s7, -v11
	v_fmac_f32_e32 v11, 0x3377d1cf, v9
	v_fmac_f32_e32 v11, 0x3f317217, v9
	v_cmp_lt_f32_e64 vcc, |v9|, s14
	s_nop 1
	v_cndmask_b32_e32 v9, v9, v11, vcc
	v_sub_f32_e32 v7, v9, v7
	v_cmp_lt_f32_e32 vcc, s6, v1
	s_nop 1
	v_cndmask_b32_e32 v1, v7, v1, vcc
	v_mul_f32_e32 v7, 0x4f800000, v1
	v_cmp_gt_f32_e32 vcc, s15, v1
	s_nop 1
	v_cndmask_b32_e32 v1, v1, v7, vcc
	v_sqrt_f32_e32 v7, v1
	s_nop 0
	v_add_u32_e32 v9, -1, v7
	v_add_u32_e32 v11, 1, v7
	v_fma_f32 v12, -v9, v7, v1
	v_fma_f32 v13, -v11, v7, v1
	v_cmp_ge_f32_e64 s[2:3], 0, v12
	s_nop 1
	v_cndmask_b32_e64 v7, v7, v9, s[2:3]
	v_cmp_lt_f32_e64 s[2:3], 0, v13
	s_nop 1
	v_cndmask_b32_e64 v7, v7, v11, s[2:3]
	v_mul_f32_e32 v9, 0x37800000, v7
	v_cndmask_b32_e32 v7, v7, v9, vcc
	v_cndmask_b32_e64 v9, 0, 1, s[12:13]
	v_cmp_class_f32_e64 s[2:3], v1, v5
	v_cmp_ne_u32_e64 s[6:7], 1, v9
	s_andn2_b64 vcc, exec, s[12:13]
	v_cndmask_b32_e64 v1, v7, v1, s[2:3]
	s_cbranch_vccnz .LBB165_8
; %bb.7:
	global_load_dword v5, v10, s[10:11] offset:256
	s_waitcnt vmcnt(0)
	v_add_f32_e32 v1, v1, v5
.LBB165_8:
	s_waitcnt vmcnt(2)
	v_mul_f32_e32 v5, 0x3fb8aa3b, v2
	v_exp_f32_e32 v5, v5
	s_mov_b32 s14, 0x800000
	v_mov_b32_e32 v7, 0x4f800000
	s_mov_b32 s5, 0x3f317217
	v_add_f32_e32 v5, 1.0, v5
	v_cmp_gt_f32_e32 vcc, s14, v5
	s_mov_b32 s12, 0x7f800000
	s_mov_b32 s4, 0x41a00000
	v_cndmask_b32_e32 v9, 1.0, v7, vcc
	v_mul_f32_e32 v5, v5, v9
	v_log_f32_e32 v5, v5
	s_mov_b32 s13, 0xf800000
	v_mul_f32_e32 v9, 0x3f317217, v5
	v_fma_f32 v9, v5, s5, -v9
	v_fmac_f32_e32 v9, 0x3377d1cf, v5
	v_fmac_f32_e32 v9, 0x3f317217, v5
	v_cmp_lt_f32_e64 s[2:3], |v5|, s12
	s_nop 1
	v_cndmask_b32_e64 v5, v5, v9, s[2:3]
	v_mov_b32_e32 v9, 0x41b17218
	v_cndmask_b32_e32 v11, 0, v9, vcc
	v_sub_f32_e32 v5, v5, v11
	v_cmp_lt_f32_e32 vcc, s4, v2
	s_nop 1
	v_cndmask_b32_e32 v2, v5, v2, vcc
	v_mul_f32_e32 v5, 0x4f800000, v2
	v_cmp_gt_f32_e32 vcc, s13, v2
	s_nop 1
	v_cndmask_b32_e32 v2, v2, v5, vcc
	v_sqrt_f32_e32 v5, v2
	s_nop 0
	v_add_u32_e32 v11, -1, v5
	v_fma_f32 v12, -v11, v5, v2
	v_cmp_ge_f32_e64 s[2:3], 0, v12
	v_add_u32_e32 v12, 1, v5
	s_nop 0
	v_cndmask_b32_e64 v11, v5, v11, s[2:3]
	v_fma_f32 v5, -v12, v5, v2
	v_cmp_lt_f32_e64 s[2:3], 0, v5
	s_nop 1
	v_cndmask_b32_e64 v5, v11, v12, s[2:3]
	v_mul_f32_e32 v11, 0x37800000, v5
	v_cndmask_b32_e32 v11, v5, v11, vcc
	v_mov_b32_e32 v5, 0x260
	v_cmp_class_f32_e64 s[2:3], v2, v5
	s_and_b64 vcc, exec, s[6:7]
	s_nop 0
	v_cndmask_b32_e64 v2, v11, v2, s[2:3]
	s_cbranch_vccnz .LBB165_10
; %bb.9:
	global_load_dword v11, v10, s[10:11] offset:512
	s_waitcnt vmcnt(0)
	v_add_f32_e32 v2, v2, v11
.LBB165_10:
	s_waitcnt vmcnt(1)
	v_mul_f32_e32 v11, 0x3fb8aa3b, v3
	v_exp_f32_e32 v11, v11
	s_nop 0
	v_add_f32_e32 v11, 1.0, v11
	v_cmp_gt_f32_e32 vcc, s14, v11
	s_nop 1
	v_cndmask_b32_e32 v7, 1.0, v7, vcc
	v_mul_f32_e32 v7, v11, v7
	v_log_f32_e32 v7, v7
	v_cndmask_b32_e32 v9, 0, v9, vcc
	v_mul_f32_e32 v11, 0x3f317217, v7
	v_fma_f32 v11, v7, s5, -v11
	v_fmac_f32_e32 v11, 0x3377d1cf, v7
	v_fmac_f32_e32 v11, 0x3f317217, v7
	v_cmp_lt_f32_e64 vcc, |v7|, s12
	s_nop 1
	v_cndmask_b32_e32 v7, v7, v11, vcc
	v_sub_f32_e32 v7, v7, v9
	v_cmp_lt_f32_e32 vcc, s4, v3
	s_nop 1
	v_cndmask_b32_e32 v3, v7, v3, vcc
	v_mul_f32_e32 v7, 0x4f800000, v3
	v_cmp_gt_f32_e32 vcc, s13, v3
	s_nop 1
	v_cndmask_b32_e32 v3, v3, v7, vcc
	v_sqrt_f32_e32 v7, v3
	s_nop 0
	v_add_u32_e32 v9, -1, v7
	v_add_u32_e32 v11, 1, v7
	v_fma_f32 v12, -v9, v7, v3
	v_fma_f32 v13, -v11, v7, v3
	v_cmp_ge_f32_e64 s[2:3], 0, v12
	s_nop 1
	v_cndmask_b32_e64 v7, v7, v9, s[2:3]
	v_cmp_lt_f32_e64 s[2:3], 0, v13
	s_nop 1
	v_cndmask_b32_e64 v7, v7, v11, s[2:3]
	v_mul_f32_e32 v9, 0x37800000, v7
	v_cndmask_b32_e32 v7, v7, v9, vcc
	v_cmp_class_f32_e64 s[2:3], v3, v5
	s_and_b64 vcc, exec, s[6:7]
	s_nop 0
	v_cndmask_b32_e64 v3, v7, v3, s[2:3]
	s_cbranch_vccnz .LBB165_12
; %bb.11:
	global_load_dword v5, v10, s[10:11] offset:768
	s_waitcnt vmcnt(0)
	v_add_f32_e32 v3, v3, v5
.LBB165_12:
	s_waitcnt vmcnt(0)
	v_mul_f32_e32 v5, 0x3fb8aa3b, v4
	v_exp_f32_e32 v5, v5
	s_mov_b32 s2, 0x800000
	v_mov_b32_e32 v7, 0x4f800000
	s_mov_b32 s3, 0x7f800000
	v_add_f32_e32 v5, 1.0, v5
	v_cmp_gt_f32_e32 vcc, s2, v5
	s_mov_b32 s2, 0x3f317217
	s_nop 0
	v_cndmask_b32_e32 v7, 1.0, v7, vcc
	v_mul_f32_e32 v5, v5, v7
	v_log_f32_e32 v5, v5
	s_nop 0
	v_mul_f32_e32 v7, 0x3f317217, v5
	v_fma_f32 v7, v5, s2, -v7
	v_fmamk_f32 v7, v5, 0x3377d1cf, v7
	v_fmac_f32_e32 v7, 0x3f317217, v5
	v_cmp_lt_f32_e64 s[2:3], |v5|, s3
	s_nop 1
	v_cndmask_b32_e64 v5, v5, v7, s[2:3]
	v_mov_b32_e32 v7, 0x41b17218
	v_cndmask_b32_e32 v7, 0, v7, vcc
	v_sub_f32_e32 v5, v5, v7
	v_cmp_lt_f32_e32 vcc, s4, v4
	s_mov_b32 s2, 0xf800000
	s_nop 0
	v_cndmask_b32_e32 v4, v5, v4, vcc
	v_mul_f32_e32 v5, 0x4f800000, v4
	v_cmp_gt_f32_e32 vcc, s2, v4
	s_nop 1
	v_cndmask_b32_e32 v4, v4, v5, vcc
	v_sqrt_f32_e32 v5, v4
	s_nop 0
	v_add_u32_e32 v7, -1, v5
	v_fma_f32 v9, -v7, v5, v4
	v_cmp_ge_f32_e64 s[2:3], 0, v9
	v_add_u32_e32 v9, 1, v5
	s_nop 0
	v_cndmask_b32_e64 v7, v5, v7, s[2:3]
	v_fma_f32 v5, -v9, v5, v4
	v_cmp_lt_f32_e64 s[2:3], 0, v5
	s_nop 1
	v_cndmask_b32_e64 v5, v7, v9, s[2:3]
	v_mul_f32_e32 v7, 0x37800000, v5
	v_cndmask_b32_e32 v5, v5, v7, vcc
	v_mov_b32_e32 v7, 0x260
	v_cmp_class_f32_e64 s[2:3], v4, v7
	s_and_b64 vcc, exec, s[6:7]
	s_nop 0
	v_cndmask_b32_e64 v4, v5, v4, s[2:3]
	s_cbranch_vccnz .LBB165_14
; %bb.13:
	global_load_dword v5, v10, s[10:11] offset:1024
	s_waitcnt vmcnt(0)
	v_add_f32_e32 v4, v4, v5
.LBB165_14:
	s_load_dwordx4 s[12:15], s[0:1], 0x30
	v_cmp_eq_u32_e64 s[4:5], 0, v8
	s_waitcnt lgkmcnt(0)
	s_bitcmp1_b32 s15, 0
	s_cselect_b64 s[2:3], -1, 0
	s_cmp_gt_i32 s12, 0
	s_cselect_b64 s[24:25], -1, 0
	s_and_b64 vcc, exec, s[24:25]
	s_cbranch_vccz .LBB165_45
; %bb.15:
	v_mbcnt_lo_u32_b32 v5, -1, 0
	v_mbcnt_hi_u32_b32 v7, -1, v5
	v_and_b32_e32 v5, 64, v7
	v_add_u32_e32 v10, 64, v5
	v_xor_b32_e32 v11, 32, v7
	v_cmp_lt_i32_e32 vcc, v11, v10
	s_load_dwordx4 s[16:19], s[0:1], 0x20
	s_mov_b32 s15, 0
	v_cndmask_b32_e32 v11, v7, v11, vcc
	v_lshlrev_b32_e32 v15, 2, v11
	v_xor_b32_e32 v11, 16, v7
	v_cmp_lt_i32_e32 vcc, v11, v10
	v_mul_lo_u32 v5, v6, s12
	v_or_b32_e32 v9, 64, v8
	v_cndmask_b32_e32 v11, v7, v11, vcc
	v_lshlrev_b32_e32 v16, 2, v11
	v_xor_b32_e32 v11, 8, v7
	v_cmp_lt_i32_e32 vcc, v11, v10
	v_or_b32_e32 v12, 0x80, v8
	v_or_b32_e32 v13, 0xc0, v8
	v_cndmask_b32_e32 v11, v7, v11, vcc
	v_lshlrev_b32_e32 v17, 2, v11
	v_xor_b32_e32 v11, 4, v7
	v_cmp_lt_i32_e32 vcc, v11, v10
	v_or_b32_e32 v14, 0x100, v8
	v_mov_b32_e32 v21, 0x140
	v_cndmask_b32_e32 v11, v7, v11, vcc
	v_lshlrev_b32_e32 v18, 2, v11
	v_xor_b32_e32 v11, 2, v7
	v_cmp_lt_i32_e32 vcc, v11, v10
	v_mov_b32_e32 v22, 0xc61c4000
	v_mov_b32_e32 v23, v6
	v_cndmask_b32_e32 v11, v7, v11, vcc
	v_lshlrev_b32_e32 v19, 2, v11
	v_xor_b32_e32 v11, 1, v7
	v_cmp_lt_i32_e32 vcc, v11, v10
	s_nop 1
	v_cndmask_b32_e32 v7, v7, v11, vcc
	v_lshlrev_b32_e32 v20, 2, v7
	v_mov_b32_e32 v7, 0
	s_branch .LBB165_18
.LBB165_16:                             ;   in Loop: Header=BB165_18 Depth=1
	v_add_u32_e32 v26, s15, v5
	v_cmp_le_i32_e32 vcc, s13, v10
	v_cmp_gt_i32_e64 s[0:1], s14, v10
	v_ashrrev_i32_e32 v27, 31, v26
	s_and_b64 s[0:1], vcc, s[0:1]
	v_lshlrev_b64 v[28:29], 2, v[26:27]
	v_subrev_u32_e32 v11, s13, v10
	v_lshl_add_u64 v[30:31], s[20:21], 0, v[28:29]
	s_waitcnt lgkmcnt(0)
	v_ashrrev_i32_e32 v25, 31, v11
	s_and_b64 vcc, s[22:23], s[0:1]
	global_store_dword v[30:31], v24, off
	v_cndmask_b32_e32 v31, 0, v25, vcc
	v_cndmask_b32_e32 v30, v21, v11, vcc
	v_lshl_add_u64 v[26:27], v[26:27], 3, s[16:17]
	v_add_f32_e32 v11, v7, v24
	global_store_dwordx2 v[26:27], v[30:31], off
	v_lshl_add_u64 v[26:27], s[18:19], 0, v[28:29]
	v_cndmask_b32_e64 v7, v7, v11, s[2:3]
	global_store_dword v[26:27], v23, off
.LBB165_17:                             ;   in Loop: Header=BB165_18 Depth=1
	s_or_b64 exec, exec, s[26:27]
	v_ashrrev_i32_e32 v11, 31, v10
	v_lshrrev_b32_e32 v11, 26, v11
	v_add_u32_e32 v11, v10, v11
	v_ashrrev_i32_e32 v24, 6, v11
	v_and_b32_e32 v11, 0xffffffc0, v11
	v_sub_u32_e32 v10, v10, v11
	v_cmp_ne_u32_e64 s[0:1], 0, v24
	v_cmp_eq_u32_e32 vcc, v8, v10
	s_add_i32 s15, s15, 1
	v_cndmask_b32_e64 v10, v22, v0, s[0:1]
	v_cmp_ne_u32_e64 s[0:1], 1, v24
	s_cmp_lt_i32 s15, s12
	s_cselect_b64 s[26:27], -1, 0
	v_cndmask_b32_e64 v11, v22, v1, s[0:1]
	v_cmp_ne_u32_e64 s[0:1], 2, v24
	s_and_b64 vcc, s[26:27], vcc
	v_cndmask_b32_e32 v1, v1, v11, vcc
	s_waitcnt lgkmcnt(0)
	v_cndmask_b32_e64 v25, v22, v2, s[0:1]
	v_cmp_ne_u32_e64 s[0:1], 3, v24
	v_cndmask_b32_e32 v2, v2, v25, vcc
	v_cndmask_b32_e32 v0, v0, v10, vcc
	v_cndmask_b32_e64 v26, v22, v3, s[0:1]
	v_cmp_ne_u32_e64 s[0:1], 4, v24
	v_cndmask_b32_e32 v3, v3, v26, vcc
	s_cmp_eq_u32 s12, s15
	v_cndmask_b32_e64 v24, v22, v4, s[0:1]
	v_cndmask_b32_e32 v4, v4, v24, vcc
	v_add_u32_e32 v23, s30, v23
	s_cbranch_scc1 .LBB165_46
.LBB165_18:                             ; =>This Inner Loop Header: Depth=1
	v_cmp_gt_f32_e32 vcc, v1, v0
	s_nop 1
	v_cndmask_b32_e32 v11, v0, v1, vcc
	v_cndmask_b32_e32 v10, v8, v9, vcc
	v_cmp_gt_f32_e32 vcc, v2, v11
	s_nop 1
	v_cndmask_b32_e32 v11, v11, v2, vcc
	v_cndmask_b32_e32 v10, v10, v12, vcc
	;; [unrolled: 4-line block ×4, first 2 shown]
	ds_bpermute_b32 v11, v15, v24
	ds_bpermute_b32 v25, v15, v10
	s_waitcnt lgkmcnt(0)
	v_cmp_lt_f32_e64 s[26:27], v24, v11
	v_cmp_nlt_f32_e32 vcc, v24, v11
	s_and_saveexec_b64 s[28:29], vcc
; %bb.19:                               ;   in Loop: Header=BB165_18 Depth=1
	v_cmp_eq_f32_e32 vcc, v24, v11
	v_cmp_lt_i32_e64 s[0:1], v25, v10
	s_and_b64 s[0:1], vcc, s[0:1]
	s_andn2_b64 s[26:27], s[26:27], exec
	s_and_b64 s[0:1], s[0:1], exec
	s_or_b64 s[26:27], s[26:27], s[0:1]
; %bb.20:                               ;   in Loop: Header=BB165_18 Depth=1
	s_or_b64 exec, exec, s[28:29]
	s_and_saveexec_b64 s[0:1], s[26:27]
; %bb.21:                               ;   in Loop: Header=BB165_18 Depth=1
	v_mov_b32_e32 v24, v11
	v_mov_b32_e32 v10, v25
; %bb.22:                               ;   in Loop: Header=BB165_18 Depth=1
	s_or_b64 exec, exec, s[0:1]
	ds_bpermute_b32 v11, v16, v24
	ds_bpermute_b32 v25, v16, v10
	s_waitcnt lgkmcnt(1)
	v_cmp_lt_f32_e64 s[26:27], v24, v11
	v_cmp_nlt_f32_e32 vcc, v24, v11
	s_and_saveexec_b64 s[28:29], vcc
	s_cbranch_execz .LBB165_24
; %bb.23:                               ;   in Loop: Header=BB165_18 Depth=1
	v_cmp_eq_f32_e32 vcc, v24, v11
	s_waitcnt lgkmcnt(0)
	v_cmp_lt_i32_e64 s[0:1], v25, v10
	s_and_b64 s[0:1], vcc, s[0:1]
	s_andn2_b64 s[26:27], s[26:27], exec
	s_and_b64 s[0:1], s[0:1], exec
	s_or_b64 s[26:27], s[26:27], s[0:1]
.LBB165_24:                             ;   in Loop: Header=BB165_18 Depth=1
	s_or_b64 exec, exec, s[28:29]
	s_and_saveexec_b64 s[0:1], s[26:27]
	s_cbranch_execz .LBB165_26
; %bb.25:                               ;   in Loop: Header=BB165_18 Depth=1
	v_mov_b32_e32 v24, v11
	s_waitcnt lgkmcnt(0)
	v_mov_b32_e32 v10, v25
.LBB165_26:                             ;   in Loop: Header=BB165_18 Depth=1
	s_or_b64 exec, exec, s[0:1]
	ds_bpermute_b32 v11, v17, v24
	s_waitcnt lgkmcnt(1)
	ds_bpermute_b32 v25, v17, v10
	s_waitcnt lgkmcnt(1)
	v_cmp_lt_f32_e64 s[26:27], v24, v11
	v_cmp_nlt_f32_e32 vcc, v24, v11
	s_and_saveexec_b64 s[28:29], vcc
	s_cbranch_execz .LBB165_28
; %bb.27:                               ;   in Loop: Header=BB165_18 Depth=1
	v_cmp_eq_f32_e32 vcc, v24, v11
	s_waitcnt lgkmcnt(0)
	v_cmp_lt_i32_e64 s[0:1], v25, v10
	s_and_b64 s[0:1], vcc, s[0:1]
	s_andn2_b64 s[26:27], s[26:27], exec
	s_and_b64 s[0:1], s[0:1], exec
	s_or_b64 s[26:27], s[26:27], s[0:1]
.LBB165_28:                             ;   in Loop: Header=BB165_18 Depth=1
	s_or_b64 exec, exec, s[28:29]
	s_and_saveexec_b64 s[0:1], s[26:27]
	s_cbranch_execz .LBB165_30
; %bb.29:                               ;   in Loop: Header=BB165_18 Depth=1
	v_mov_b32_e32 v24, v11
	s_waitcnt lgkmcnt(0)
	v_mov_b32_e32 v10, v25
.LBB165_30:                             ;   in Loop: Header=BB165_18 Depth=1
	s_or_b64 exec, exec, s[0:1]
	ds_bpermute_b32 v11, v18, v24
	s_waitcnt lgkmcnt(1)
	;; [unrolled: 26-line block ×4, first 2 shown]
	ds_bpermute_b32 v25, v20, v10
	s_waitcnt lgkmcnt(1)
	v_cmp_lt_f32_e64 s[26:27], v24, v11
	v_cmp_nlt_f32_e32 vcc, v24, v11
	s_and_saveexec_b64 s[28:29], vcc
	s_cbranch_execnz .LBB165_41
; %bb.39:                               ;   in Loop: Header=BB165_18 Depth=1
	s_or_b64 exec, exec, s[28:29]
	s_and_saveexec_b64 s[0:1], s[26:27]
	s_cbranch_execnz .LBB165_42
.LBB165_40:                             ;   in Loop: Header=BB165_18 Depth=1
	s_or_b64 exec, exec, s[0:1]
	s_and_saveexec_b64 s[26:27], s[4:5]
	s_cbranch_execz .LBB165_17
	s_branch .LBB165_43
.LBB165_41:                             ;   in Loop: Header=BB165_18 Depth=1
	v_cmp_eq_f32_e32 vcc, v24, v11
	s_waitcnt lgkmcnt(0)
	v_cmp_lt_i32_e64 s[0:1], v25, v10
	s_and_b64 s[0:1], vcc, s[0:1]
	s_andn2_b64 s[26:27], s[26:27], exec
	s_and_b64 s[0:1], s[0:1], exec
	s_or_b64 s[26:27], s[26:27], s[0:1]
	s_or_b64 exec, exec, s[28:29]
	s_and_saveexec_b64 s[0:1], s[26:27]
	s_cbranch_execz .LBB165_40
.LBB165_42:                             ;   in Loop: Header=BB165_18 Depth=1
	s_waitcnt lgkmcnt(0)
	v_mov_b32_e32 v10, v25
	v_mov_b32_e32 v24, v11
	s_or_b64 exec, exec, s[0:1]
	s_and_saveexec_b64 s[26:27], s[4:5]
	s_cbranch_execz .LBB165_17
.LBB165_43:                             ;   in Loop: Header=BB165_18 Depth=1
	s_and_b64 vcc, exec, s[6:7]
	s_cbranch_vccnz .LBB165_16
; %bb.44:                               ;   in Loop: Header=BB165_18 Depth=1
	v_ashrrev_i32_e32 v11, 31, v10
	v_lshl_add_u64 v[26:27], v[10:11], 2, s[10:11]
	global_load_dword v11, v[26:27], off
	s_waitcnt vmcnt(0)
	v_sub_f32_e32 v24, v24, v11
	s_branch .LBB165_16
.LBB165_45:
	v_mov_b32_e32 v7, 0
.LBB165_46:
	v_cmp_eq_u32_e32 vcc, 0, v8
	s_and_b64 exec, exec, vcc
	s_cbranch_execz .LBB165_59
; %bb.47:
	s_andn2_b64 vcc, exec, s[2:3]
	v_cvt_f32_f64_e32 v0, s[8:9]
	s_cbranch_vccnz .LBB165_49
; %bb.48:
	v_cmp_lt_f32_e32 vcc, 0, v7
	s_nop 1
	v_cndmask_b32_e32 v1, 1.0, v7, vcc
	v_div_scale_f32 v2, s[0:1], v1, v1, v0
	v_rcp_f32_e32 v3, v2
	s_nop 0
	v_fma_f32 v4, -v2, v3, 1.0
	v_fmac_f32_e32 v3, v4, v3
	v_div_scale_f32 v4, vcc, v0, v1, v0
	v_mul_f32_e32 v5, v4, v3
	v_fma_f32 v7, -v2, v5, v4
	v_fmac_f32_e32 v5, v7, v3
	v_fma_f32 v2, -v2, v5, v4
	v_div_fmas_f32 v2, v2, v3, v5
	v_div_fixup_f32 v0, v2, v1, v0
.LBB165_49:
	s_andn2_b64 vcc, exec, s[24:25]
	s_cbranch_vccnz .LBB165_59
; %bb.50:
	v_mul_lo_u32 v2, v6, s12
	s_cmp_gt_u32 s12, 3
	v_ashrrev_i32_e32 v3, 31, v2
	s_cbranch_scc0 .LBB165_54
; %bb.51:
	s_and_b32 s0, s12, 0x7ffffffc
	v_lshl_add_u64 v[4:5], v[2:3], 2, s[20:21]
	v_mov_b32_e32 v1, v0
	v_lshl_add_u64 v[4:5], v[4:5], 0, 8
	s_mov_b32 s1, s0
.LBB165_52:                             ; =>This Inner Loop Header: Depth=1
	global_load_dwordx4 v[6:9], v[4:5], off offset:-8
	s_add_i32 s1, s1, -4
	s_cmp_lg_u32 s1, 0
	s_waitcnt vmcnt(0)
	v_pk_mul_f32 v[6:7], v[0:1], v[6:7]
	v_pk_mul_f32 v[8:9], v[0:1], v[8:9]
	global_store_dwordx4 v[4:5], v[6:9], off offset:-8
	v_lshl_add_u64 v[4:5], v[4:5], 0, 16
	s_cbranch_scc1 .LBB165_52
; %bb.53:
	s_cmp_lg_u32 s0, s12
	s_cselect_b64 s[2:3], -1, 0
	s_branch .LBB165_56
.LBB165_54:
	s_mov_b64 s[2:3], 0
                                        ; implicit-def: $sgpr0
	s_cbranch_execz .LBB165_56
; %bb.55:
	s_mov_b64 s[2:3], -1
	s_mov_b32 s0, 0
.LBB165_56:
	s_andn2_b64 vcc, exec, s[2:3]
	s_cbranch_vccnz .LBB165_59
; %bb.57:
	s_mov_b32 s1, 0
	v_lshl_add_u64 v[2:3], v[2:3], 0, s[0:1]
	s_sub_i32 s2, s12, s0
	v_lshl_add_u64 v[2:3], v[2:3], 2, s[20:21]
.LBB165_58:                             ; =>This Inner Loop Header: Depth=1
	global_load_dword v1, v[2:3], off
	s_add_i32 s2, s2, -1
	s_cmp_lg_u32 s2, 0
	s_waitcnt vmcnt(0)
	v_mul_f32_e32 v1, v0, v1
	global_store_dword v[2:3], v1, off
	v_lshl_add_u64 v[2:3], v[2:3], 0, 4
	s_cbranch_scc1 .LBB165_58
.LBB165_59:
	s_endpgm
	.section	.rodata,"a",@progbits
	.p2align	6, 0x0
	.amdhsa_kernel _ZN4vllm3moe22topkGatingSoftplusSqrtILi5ELi320ELi4ELi4ELi64ELb0ElfEEvPKT6_PKbPfiPT5_PiiiibdPKfPKS8_SE_
		.amdhsa_group_segment_fixed_size 0
		.amdhsa_private_segment_fixed_size 0
		.amdhsa_kernarg_size 96
		.amdhsa_user_sgpr_count 2
		.amdhsa_user_sgpr_dispatch_ptr 0
		.amdhsa_user_sgpr_queue_ptr 0
		.amdhsa_user_sgpr_kernarg_segment_ptr 1
		.amdhsa_user_sgpr_dispatch_id 0
		.amdhsa_user_sgpr_kernarg_preload_length 0
		.amdhsa_user_sgpr_kernarg_preload_offset 0
		.amdhsa_user_sgpr_private_segment_size 0
		.amdhsa_uses_dynamic_stack 0
		.amdhsa_enable_private_segment 0
		.amdhsa_system_sgpr_workgroup_id_x 1
		.amdhsa_system_sgpr_workgroup_id_y 0
		.amdhsa_system_sgpr_workgroup_id_z 0
		.amdhsa_system_sgpr_workgroup_info 0
		.amdhsa_system_vgpr_workitem_id 1
		.amdhsa_next_free_vgpr 32
		.amdhsa_next_free_sgpr 31
		.amdhsa_accum_offset 32
		.amdhsa_reserve_vcc 1
		.amdhsa_float_round_mode_32 0
		.amdhsa_float_round_mode_16_64 0
		.amdhsa_float_denorm_mode_32 3
		.amdhsa_float_denorm_mode_16_64 3
		.amdhsa_dx10_clamp 1
		.amdhsa_ieee_mode 1
		.amdhsa_fp16_overflow 0
		.amdhsa_tg_split 0
		.amdhsa_exception_fp_ieee_invalid_op 0
		.amdhsa_exception_fp_denorm_src 0
		.amdhsa_exception_fp_ieee_div_zero 0
		.amdhsa_exception_fp_ieee_overflow 0
		.amdhsa_exception_fp_ieee_underflow 0
		.amdhsa_exception_fp_ieee_inexact 0
		.amdhsa_exception_int_div_zero 0
	.end_amdhsa_kernel
	.section	.text._ZN4vllm3moe22topkGatingSoftplusSqrtILi5ELi320ELi4ELi4ELi64ELb0ElfEEvPKT6_PKbPfiPT5_PiiiibdPKfPKS8_SE_,"axG",@progbits,_ZN4vllm3moe22topkGatingSoftplusSqrtILi5ELi320ELi4ELi4ELi64ELb0ElfEEvPKT6_PKbPfiPT5_PiiiibdPKfPKS8_SE_,comdat
.Lfunc_end165:
	.size	_ZN4vllm3moe22topkGatingSoftplusSqrtILi5ELi320ELi4ELi4ELi64ELb0ElfEEvPKT6_PKbPfiPT5_PiiiibdPKfPKS8_SE_, .Lfunc_end165-_ZN4vllm3moe22topkGatingSoftplusSqrtILi5ELi320ELi4ELi4ELi64ELb0ElfEEvPKT6_PKbPfiPT5_PiiiibdPKfPKS8_SE_
                                        ; -- End function
	.section	.AMDGPU.csdata,"",@progbits
; Kernel info:
; codeLenInByte = 3344
; NumSgprs: 37
; NumVgprs: 32
; NumAgprs: 0
; TotalNumVgprs: 32
; ScratchSize: 0
; MemoryBound: 0
; FloatMode: 240
; IeeeMode: 1
; LDSByteSize: 0 bytes/workgroup (compile time only)
; SGPRBlocks: 4
; VGPRBlocks: 3
; NumSGPRsForWavesPerEU: 37
; NumVGPRsForWavesPerEU: 32
; AccumOffset: 32
; Occupancy: 8
; WaveLimiterHint : 1
; COMPUTE_PGM_RSRC2:SCRATCH_EN: 0
; COMPUTE_PGM_RSRC2:USER_SGPR: 2
; COMPUTE_PGM_RSRC2:TRAP_HANDLER: 0
; COMPUTE_PGM_RSRC2:TGID_X_EN: 1
; COMPUTE_PGM_RSRC2:TGID_Y_EN: 0
; COMPUTE_PGM_RSRC2:TGID_Z_EN: 0
; COMPUTE_PGM_RSRC2:TIDIG_COMP_CNT: 1
; COMPUTE_PGM_RSRC3_GFX90A:ACCUM_OFFSET: 7
; COMPUTE_PGM_RSRC3_GFX90A:TG_SPLIT: 0
	.section	.text._ZN4vllm3moe22topkGatingSoftplusSqrtILi10ELi320ELi4ELi4ELi32ELb1ElfEEvPKT6_PKbPfiPT5_PiiiibdPKfPKS8_SE_,"axG",@progbits,_ZN4vllm3moe22topkGatingSoftplusSqrtILi10ELi320ELi4ELi4ELi32ELb1ElfEEvPKT6_PKbPfiPT5_PiiiibdPKfPKS8_SE_,comdat
	.protected	_ZN4vllm3moe22topkGatingSoftplusSqrtILi10ELi320ELi4ELi4ELi32ELb1ElfEEvPKT6_PKbPfiPT5_PiiiibdPKfPKS8_SE_ ; -- Begin function _ZN4vllm3moe22topkGatingSoftplusSqrtILi10ELi320ELi4ELi4ELi32ELb1ElfEEvPKT6_PKbPfiPT5_PiiiibdPKfPKS8_SE_
	.globl	_ZN4vllm3moe22topkGatingSoftplusSqrtILi10ELi320ELi4ELi4ELi32ELb1ElfEEvPKT6_PKbPfiPT5_PiiiibdPKfPKS8_SE_
	.p2align	8
	.type	_ZN4vllm3moe22topkGatingSoftplusSqrtILi10ELi320ELi4ELi4ELi32ELb1ElfEEvPKT6_PKbPfiPT5_PiiiibdPKfPKS8_SE_,@function
_ZN4vllm3moe22topkGatingSoftplusSqrtILi10ELi320ELi4ELi4ELi32ELb1ElfEEvPKT6_PKbPfiPT5_PiiiibdPKfPKS8_SE_: ; @_ZN4vllm3moe22topkGatingSoftplusSqrtILi10ELi320ELi4ELi4ELi32ELb1ElfEEvPKT6_PKbPfiPT5_PiiiibdPKfPKS8_SE_
; %bb.0:
	s_load_dword s3, s[0:1], 0x18
	v_and_b32_e32 v1, 0x3ff, v0
	s_lshl_b32 s2, s2, 2
	v_lshrrev_b32_e32 v2, 5, v1
	v_bfe_u32 v0, v0, 10, 10
	v_add3_u32 v10, s2, v0, v2
	s_waitcnt lgkmcnt(0)
	v_cmp_gt_i32_e32 vcc, s3, v10
	s_and_saveexec_b64 s[2:3], vcc
	s_cbranch_execz .LBB166_31
; %bb.1:
	s_load_dwordx4 s[8:11], s[0:1], 0x50
	s_load_dwordx2 s[2:3], s[0:1], 0x0
	s_load_dword s16, s[0:1], 0x30
	s_movk_i32 s4, 0x140
	v_mul_lo_u32 v4, v10, s4
	v_ashrrev_i32_e32 v5, 31, v4
	v_and_b32_e32 v22, 31, v1
	s_waitcnt lgkmcnt(0)
	v_mov_b32_e32 v2, s8
	v_mov_b32_e32 v3, s9
	v_lshl_add_u64 v[4:5], v[4:5], 2, s[2:3]
	v_lshlrev_b32_e32 v14, 2, v22
	v_mov_b32_e32 v15, 0
	v_ashrrev_i32_e32 v11, 31, v10
	v_lshl_add_u64 v[0:1], v[10:11], 3, v[2:3]
	v_lshl_add_u64 v[2:3], v[4:5], 0, v[14:15]
	global_load_dwordx2 v[0:1], v[0:1], off
	s_nop 0
	global_load_dword v6, v[2:3], off
	global_load_dword v7, v[2:3], off offset:128
	global_load_dword v8, v[2:3], off offset:256
	;; [unrolled: 1-line block ×9, first 2 shown]
	s_ashr_i32 s17, s16, 31
	s_mov_b32 s21, 0x800000
	v_mov_b32_e32 v11, 0x4f800000
	s_mov_b32 s19, 0x3f317217
	s_mov_b32 s20, 0x7f800000
	v_mov_b32_e32 v14, 0x41b17218
	s_mov_b32 s13, 0x41a00000
	s_mov_b32 s18, 0xf800000
	v_mov_b32_e32 v16, 0x260
	v_cmp_lt_i64_e64 s[14:15], s[16:17], 1
	s_mov_b32 s12, 0
	v_cmp_gt_i64_e64 s[8:9], s[16:17], 0
	v_mul_lo_u32 v10, v10, s16
	s_waitcnt vmcnt(9)
	v_mul_f32_e32 v2, 0x3fb8aa3b, v6
	s_waitcnt vmcnt(8)
	v_mul_f32_e32 v3, 0x3fb8aa3b, v7
	v_exp_f32_e32 v2, v2
	v_exp_f32_e32 v3, v3
	s_waitcnt vmcnt(7)
	v_mul_f32_e32 v4, 0x3fb8aa3b, v8
	s_waitcnt vmcnt(6)
	v_mul_f32_e32 v5, 0x3fb8aa3b, v9
	v_exp_f32_e32 v4, v4
	v_exp_f32_e32 v5, v5
	v_mul_lo_u32 v1, v1, s16
	v_mul_lo_u32 v24, v0, s17
	v_mad_u64_u32 v[12:13], s[2:3], v0, s16, 0
	v_add3_u32 v13, v13, v24, v1
	v_pk_add_f32 v[0:1], v[2:3], 1.0 op_sel_hi:[1,0]
	v_pk_add_f32 v[2:3], v[4:5], 1.0 op_sel_hi:[1,0]
	v_cmp_gt_f32_e32 vcc, s21, v1
	v_cmp_gt_f32_e64 s[2:3], s21, v0
	v_cmp_gt_f32_e64 s[4:5], s21, v3
	v_cndmask_b32_e32 v4, 1.0, v11, vcc
	v_cndmask_b32_e64 v5, 1.0, v11, s[2:3]
	v_mul_f32_e32 v1, v1, v4
	v_mul_f32_e32 v0, v0, v5
	v_log_f32_e32 v1, v1
	v_log_f32_e32 v0, v0
	v_cndmask_b32_e64 v24, 1.0, v11, s[4:5]
	v_mul_f32_e32 v3, v3, v24
	v_mul_f32_e32 v24, 0x3f317217, v1
	;; [unrolled: 1-line block ×3, first 2 shown]
	v_fma_f32 v24, v1, s19, -v24
	v_fma_f32 v25, v0, s19, -v25
	v_fmac_f32_e32 v24, 0x3377d1cf, v1
	v_cndmask_b32_e32 v4, 0, v14, vcc
	v_fmac_f32_e32 v25, 0x3377d1cf, v0
	v_fmac_f32_e32 v24, 0x3f317217, v1
	v_cmp_lt_f32_e64 vcc, |v1|, s20
	v_fmac_f32_e32 v25, 0x3f317217, v0
	v_cndmask_b32_e64 v5, 0, v14, s[2:3]
	v_cndmask_b32_e32 v1, v1, v24, vcc
	v_cmp_lt_f32_e64 vcc, |v0|, s20
	v_sub_f32_e32 v1, v1, v4
	v_log_f32_e32 v3, v3
	v_cndmask_b32_e32 v0, v0, v25, vcc
	v_sub_f32_e32 v0, v0, v5
	v_cmp_lt_f32_e32 vcc, s13, v6
	v_mul_f32_e32 v26, 0x3f317217, v3
	v_lshl_add_u64 v[12:13], v[12:13], 3, s[10:11]
	v_cndmask_b32_e32 v0, v0, v6, vcc
	v_cmp_lt_f32_e32 vcc, s13, v7
	v_mul_f32_e32 v5, 0x4f800000, v0
	v_cmp_gt_f32_e64 s[2:3], s18, v0
	v_cndmask_b32_e32 v1, v1, v7, vcc
	v_mul_f32_e32 v4, 0x4f800000, v1
	v_cmp_gt_f32_e32 vcc, s18, v1
	v_cndmask_b32_e64 v0, v0, v5, s[2:3]
	v_sqrt_f32_e32 v5, v0
	v_cndmask_b32_e32 v1, v1, v4, vcc
	v_sqrt_f32_e32 v4, v1
	v_fma_f32 v6, v3, s19, -v26
	v_add_u32_e32 v25, -1, v5
	v_fma_f32 v29, -v25, v5, v0
	v_add_u32_e32 v7, -1, v4
	v_fma_f32 v27, -v7, v4, v1
	v_add_u32_e32 v24, 1, v4
	v_cmp_ge_f32_e64 s[6:7], 0, v27
	v_add_u32_e32 v26, 1, v5
	v_fma_f32 v28, -v24, v4, v1
	v_cndmask_b32_e64 v4, v4, v7, s[6:7]
	v_cmp_ge_f32_e64 s[6:7], 0, v29
	v_fma_f32 v30, -v26, v5, v0
	v_fmac_f32_e32 v6, 0x3377d1cf, v3
	v_cndmask_b32_e64 v5, v5, v25, s[6:7]
	v_cmp_lt_f32_e64 s[6:7], 0, v28
	v_fmac_f32_e32 v6, 0x3f317217, v3
	s_nop 0
	v_cndmask_b32_e64 v4, v4, v24, s[6:7]
	v_cmp_lt_f32_e64 s[6:7], 0, v30
	v_mul_f32_e32 v7, 0x37800000, v4
	v_cndmask_b32_e32 v4, v4, v7, vcc
	v_cndmask_b32_e64 v5, v5, v26, s[6:7]
	v_mul_f32_e32 v24, 0x37800000, v5
	v_cmp_class_f32_e32 vcc, v1, v16
	v_cndmask_b32_e64 v5, v5, v24, s[2:3]
	v_cmp_lt_f32_e64 s[2:3], |v3|, s20
	v_cndmask_b32_e32 v1, v4, v1, vcc
	v_cmp_class_f32_e32 vcc, v0, v16
	v_cndmask_b32_e64 v3, v3, v6, s[2:3]
	s_nop 0
	v_cndmask_b32_e32 v0, v5, v0, vcc
	v_cmp_gt_f32_e32 vcc, s21, v2
	s_nop 1
	v_cndmask_b32_e32 v4, 1.0, v11, vcc
	v_mul_f32_e32 v2, v2, v4
	v_log_f32_e32 v2, v2
	v_cndmask_b32_e64 v4, 0, v14, s[4:5]
	v_sub_f32_e32 v3, v3, v4
	v_mul_f32_e32 v4, 0x3f317217, v2
	v_fma_f32 v4, v2, s19, -v4
	v_fmac_f32_e32 v4, 0x3377d1cf, v2
	v_fmac_f32_e32 v4, 0x3f317217, v2
	v_cmp_lt_f32_e64 s[2:3], |v2|, s20
	s_nop 1
	v_cndmask_b32_e64 v2, v2, v4, s[2:3]
	v_cndmask_b32_e32 v4, 0, v14, vcc
	v_cmp_lt_f32_e32 vcc, s13, v9
	v_sub_f32_e32 v2, v2, v4
	v_cmp_lt_f32_e64 s[2:3], s13, v8
	v_cndmask_b32_e32 v3, v3, v9, vcc
	v_mul_f32_e32 v5, 0x4f800000, v3
	v_cmp_gt_f32_e32 vcc, s18, v3
	v_cndmask_b32_e64 v2, v2, v8, s[2:3]
	s_nop 0
	v_cndmask_b32_e32 v3, v3, v5, vcc
	v_sqrt_f32_e32 v5, v3
	s_nop 0
	v_add_u32_e32 v4, -1, v5
	v_fma_f32 v6, -v4, v5, v3
	v_cmp_ge_f32_e64 s[2:3], 0, v6
	v_add_u32_e32 v6, 1, v5
	s_nop 0
	v_cndmask_b32_e64 v4, v5, v4, s[2:3]
	v_fma_f32 v5, -v6, v5, v3
	v_cmp_lt_f32_e64 s[2:3], 0, v5
	s_nop 1
	v_cndmask_b32_e64 v4, v4, v6, s[2:3]
	v_mul_f32_e32 v6, 0x4f800000, v2
	v_cmp_gt_f32_e64 s[2:3], s18, v2
	v_mul_f32_e32 v5, 0x37800000, v4
	v_cndmask_b32_e32 v4, v4, v5, vcc
	v_cndmask_b32_e64 v2, v2, v6, s[2:3]
	v_sqrt_f32_e32 v6, v2
	v_cmp_class_f32_e32 vcc, v3, v16
	v_add_u32_e32 v8, 1, v6
	s_nop 0
	v_cndmask_b32_e32 v3, v4, v3, vcc
	v_add_u32_e32 v4, -1, v6
	v_fma_f32 v5, -v4, v6, v2
	v_cmp_ge_f32_e32 vcc, 0, v5
	s_waitcnt vmcnt(4)
	v_mul_f32_e32 v5, 0x3fb8aa3b, v18
	v_exp_f32_e32 v5, v5
	v_cndmask_b32_e32 v7, v6, v4, vcc
	v_mul_f32_e32 v4, 0x3fb8aa3b, v17
	v_exp_f32_e32 v4, v4
	v_fma_f32 v6, -v8, v6, v2
	v_cmp_lt_f32_e32 vcc, 0, v6
	v_pk_add_f32 v[4:5], v[4:5], 1.0 op_sel_hi:[1,0]
	s_nop 0
	v_cndmask_b32_e32 v6, v7, v8, vcc
	v_cmp_gt_f32_e32 vcc, s21, v5
	v_mul_f32_e32 v7, 0x37800000, v6
	v_cndmask_b32_e64 v6, v6, v7, s[2:3]
	v_cndmask_b32_e32 v8, 1.0, v11, vcc
	v_mul_f32_e32 v5, v5, v8
	v_log_f32_e32 v5, v5
	v_cmp_class_f32_e64 s[2:3], v2, v16
	v_cmp_lt_f32_e64 s[4:5], |v5|, s20
	s_nop 0
	v_cndmask_b32_e64 v2, v6, v2, s[2:3]
	v_cmp_gt_f32_e64 s[2:3], s21, v4
	v_mul_f32_e32 v6, 0x3f317217, v5
	v_fma_f32 v6, v5, s19, -v6
	v_cndmask_b32_e64 v7, 1.0, v11, s[2:3]
	v_mul_f32_e32 v4, v4, v7
	v_log_f32_e32 v4, v4
	v_fmac_f32_e32 v6, 0x3377d1cf, v5
	v_fmac_f32_e32 v6, 0x3f317217, v5
	v_cndmask_b32_e64 v5, v5, v6, s[4:5]
	v_cndmask_b32_e32 v6, 0, v14, vcc
	v_sub_f32_e32 v5, v5, v6
	v_mul_f32_e32 v6, 0x3f317217, v4
	v_fma_f32 v6, v4, s19, -v6
	v_fmac_f32_e32 v6, 0x3377d1cf, v4
	v_fmac_f32_e32 v6, 0x3f317217, v4
	v_cmp_lt_f32_e64 vcc, |v4|, s20
	s_nop 1
	v_cndmask_b32_e32 v4, v4, v6, vcc
	v_cmp_lt_f32_e32 vcc, s13, v18
	v_cndmask_b32_e64 v6, 0, v14, s[2:3]
	v_sub_f32_e32 v4, v4, v6
	v_cndmask_b32_e32 v5, v5, v18, vcc
	v_mul_f32_e32 v7, 0x4f800000, v5
	v_cmp_gt_f32_e32 vcc, s18, v5
	v_cmp_lt_f32_e64 s[2:3], s13, v17
	s_nop 0
	v_cndmask_b32_e32 v5, v5, v7, vcc
	v_sqrt_f32_e32 v7, v5
	v_cndmask_b32_e64 v4, v4, v17, s[2:3]
	v_add_u32_e32 v6, -1, v7
	v_fma_f32 v8, -v6, v7, v5
	v_cmp_ge_f32_e64 s[2:3], 0, v8
	v_add_u32_e32 v8, 1, v7
	s_nop 0
	v_cndmask_b32_e64 v6, v7, v6, s[2:3]
	v_fma_f32 v7, -v8, v7, v5
	v_cmp_lt_f32_e64 s[2:3], 0, v7
	s_nop 1
	v_cndmask_b32_e64 v6, v6, v8, s[2:3]
	v_mul_f32_e32 v8, 0x4f800000, v4
	v_cmp_gt_f32_e64 s[2:3], s18, v4
	v_mul_f32_e32 v7, 0x37800000, v6
	v_cndmask_b32_e32 v6, v6, v7, vcc
	v_cndmask_b32_e64 v4, v4, v8, s[2:3]
	v_sqrt_f32_e32 v8, v4
	v_cmp_class_f32_e32 vcc, v5, v16
	v_add_u32_e32 v17, 1, v8
	s_nop 0
	v_cndmask_b32_e32 v5, v6, v5, vcc
	v_add_u32_e32 v6, -1, v8
	v_fma_f32 v7, -v6, v8, v4
	v_cmp_ge_f32_e32 vcc, 0, v7
	s_waitcnt vmcnt(2)
	v_mul_f32_e32 v7, 0x3fb8aa3b, v20
	v_exp_f32_e32 v7, v7
	v_cndmask_b32_e32 v9, v8, v6, vcc
	v_mul_f32_e32 v6, 0x3fb8aa3b, v19
	v_exp_f32_e32 v6, v6
	v_fma_f32 v8, -v17, v8, v4
	v_cmp_lt_f32_e32 vcc, 0, v8
	v_pk_add_f32 v[6:7], v[6:7], 1.0 op_sel_hi:[1,0]
	s_nop 0
	v_cndmask_b32_e32 v8, v9, v17, vcc
	v_cmp_gt_f32_e32 vcc, s21, v7
	v_mul_f32_e32 v9, 0x37800000, v8
	v_cndmask_b32_e64 v8, v8, v9, s[2:3]
	v_cndmask_b32_e32 v17, 1.0, v11, vcc
	v_mul_f32_e32 v7, v7, v17
	v_log_f32_e32 v7, v7
	v_cmp_class_f32_e64 s[2:3], v4, v16
	v_cmp_lt_f32_e64 s[4:5], |v7|, s20
	s_nop 0
	v_cndmask_b32_e64 v4, v8, v4, s[2:3]
	v_cmp_gt_f32_e64 s[2:3], s21, v6
	v_mul_f32_e32 v8, 0x3f317217, v7
	v_fma_f32 v8, v7, s19, -v8
	v_cndmask_b32_e64 v9, 1.0, v11, s[2:3]
	v_mul_f32_e32 v6, v6, v9
	v_log_f32_e32 v6, v6
	v_fmac_f32_e32 v8, 0x3377d1cf, v7
	v_fmac_f32_e32 v8, 0x3f317217, v7
	v_cndmask_b32_e64 v7, v7, v8, s[4:5]
	v_cndmask_b32_e32 v8, 0, v14, vcc
	v_sub_f32_e32 v7, v7, v8
	v_mul_f32_e32 v8, 0x3f317217, v6
	v_fma_f32 v8, v6, s19, -v8
	v_fmac_f32_e32 v8, 0x3377d1cf, v6
	v_fmac_f32_e32 v8, 0x3f317217, v6
	v_cmp_lt_f32_e64 vcc, |v6|, s20
	s_nop 1
	v_cndmask_b32_e32 v6, v6, v8, vcc
	v_cmp_lt_f32_e32 vcc, s13, v20
	v_cndmask_b32_e64 v8, 0, v14, s[2:3]
	v_sub_f32_e32 v6, v6, v8
	v_cndmask_b32_e32 v7, v7, v20, vcc
	v_mul_f32_e32 v9, 0x4f800000, v7
	v_cmp_gt_f32_e32 vcc, s18, v7
	v_cmp_lt_f32_e64 s[2:3], s13, v19
	s_nop 0
	v_cndmask_b32_e32 v7, v7, v9, vcc
	v_sqrt_f32_e32 v9, v7
	v_cndmask_b32_e64 v6, v6, v19, s[2:3]
	v_add_u32_e32 v8, -1, v9
	v_fma_f32 v17, -v8, v9, v7
	v_cmp_ge_f32_e64 s[2:3], 0, v17
	v_add_u32_e32 v17, 1, v9
	s_nop 0
	v_cndmask_b32_e64 v8, v9, v8, s[2:3]
	v_fma_f32 v9, -v17, v9, v7
	v_cmp_lt_f32_e64 s[2:3], 0, v9
	s_nop 1
	v_cndmask_b32_e64 v8, v8, v17, s[2:3]
	v_mul_f32_e32 v17, 0x4f800000, v6
	v_cmp_gt_f32_e64 s[2:3], s18, v6
	v_mul_f32_e32 v9, 0x37800000, v8
	v_cndmask_b32_e32 v8, v8, v9, vcc
	v_cndmask_b32_e64 v6, v6, v17, s[2:3]
	v_sqrt_f32_e32 v17, v6
	v_cmp_class_f32_e32 vcc, v7, v16
	v_add_u32_e32 v19, 1, v17
	s_nop 0
	v_cndmask_b32_e32 v7, v8, v7, vcc
	v_add_u32_e32 v8, -1, v17
	v_fma_f32 v9, -v8, v17, v6
	v_cmp_ge_f32_e32 vcc, 0, v9
	s_waitcnt vmcnt(0)
	v_mul_f32_e32 v9, 0x3fb8aa3b, v23
	v_exp_f32_e32 v9, v9
	v_cndmask_b32_e32 v18, v17, v8, vcc
	v_mul_f32_e32 v8, 0x3fb8aa3b, v21
	v_exp_f32_e32 v8, v8
	v_fma_f32 v17, -v19, v17, v6
	v_cmp_lt_f32_e32 vcc, 0, v17
	v_pk_add_f32 v[8:9], v[8:9], 1.0 op_sel_hi:[1,0]
	s_nop 0
	v_cndmask_b32_e32 v17, v18, v19, vcc
	v_cmp_gt_f32_e32 vcc, s21, v9
	v_mul_f32_e32 v18, 0x37800000, v17
	v_cndmask_b32_e64 v17, v17, v18, s[2:3]
	v_cndmask_b32_e32 v19, 1.0, v11, vcc
	v_mul_f32_e32 v9, v9, v19
	v_log_f32_e32 v9, v9
	v_cmp_class_f32_e64 s[2:3], v6, v16
	v_cmp_lt_f32_e64 s[4:5], |v9|, s20
	s_nop 0
	v_cndmask_b32_e64 v6, v17, v6, s[2:3]
	v_cmp_gt_f32_e64 s[2:3], s21, v8
	v_mul_f32_e32 v17, 0x3f317217, v9
	v_fma_f32 v17, v9, s19, -v17
	v_cndmask_b32_e64 v11, 1.0, v11, s[2:3]
	v_mul_f32_e32 v8, v8, v11
	v_log_f32_e32 v8, v8
	v_fmac_f32_e32 v17, 0x3377d1cf, v9
	v_fmac_f32_e32 v17, 0x3f317217, v9
	v_cndmask_b32_e64 v9, v9, v17, s[4:5]
	v_cndmask_b32_e32 v11, 0, v14, vcc
	v_sub_f32_e32 v9, v9, v11
	v_mul_f32_e32 v11, 0x3f317217, v8
	v_fma_f32 v11, v8, s19, -v11
	v_fmac_f32_e32 v11, 0x3377d1cf, v8
	v_fmac_f32_e32 v11, 0x3f317217, v8
	v_cmp_lt_f32_e64 vcc, |v8|, s20
	s_nop 1
	v_cndmask_b32_e32 v8, v8, v11, vcc
	v_cmp_lt_f32_e32 vcc, s13, v23
	v_cndmask_b32_e64 v11, 0, v14, s[2:3]
	v_sub_f32_e32 v8, v8, v11
	v_cndmask_b32_e32 v9, v9, v23, vcc
	v_mul_f32_e32 v14, 0x4f800000, v9
	v_cmp_gt_f32_e32 vcc, s18, v9
	v_cmp_lt_f32_e64 s[2:3], s13, v21
	s_nop 0
	v_cndmask_b32_e32 v9, v9, v14, vcc
	v_sqrt_f32_e32 v14, v9
	v_cndmask_b32_e64 v8, v8, v21, s[2:3]
	v_add_u32_e32 v11, -1, v14
	v_fma_f32 v17, -v11, v14, v9
	v_cmp_ge_f32_e64 s[2:3], 0, v17
	v_add_u32_e32 v17, 1, v14
	s_nop 0
	v_cndmask_b32_e64 v11, v14, v11, s[2:3]
	v_fma_f32 v14, -v17, v14, v9
	v_cmp_lt_f32_e64 s[2:3], 0, v14
	s_nop 1
	v_cndmask_b32_e64 v11, v11, v17, s[2:3]
	v_mul_f32_e32 v17, 0x4f800000, v8
	v_cmp_gt_f32_e64 s[2:3], s18, v8
	v_mul_f32_e32 v14, 0x37800000, v11
	v_cndmask_b32_e32 v11, v11, v14, vcc
	v_cndmask_b32_e64 v8, v8, v17, s[2:3]
	v_sqrt_f32_e32 v17, v8
	v_cmp_class_f32_e32 vcc, v9, v16
	s_nop 1
	v_cndmask_b32_e32 v9, v11, v9, vcc
	v_add_u32_e32 v11, -1, v17
	v_fma_f32 v14, -v11, v17, v8
	v_cmp_ge_f32_e32 vcc, 0, v14
	v_add_u32_e32 v14, 1, v17
	s_nop 0
	v_cndmask_b32_e32 v11, v17, v11, vcc
	v_fma_f32 v17, -v14, v17, v8
	v_cmp_lt_f32_e32 vcc, 0, v17
	s_nop 1
	v_cndmask_b32_e32 v11, v11, v14, vcc
	v_mul_f32_e32 v14, 0x37800000, v11
	v_cndmask_b32_e64 v11, v11, v14, s[2:3]
	v_cmp_class_f32_e32 vcc, v8, v16
	s_nop 1
	v_cndmask_b32_e32 v8, v11, v8, vcc
	s_and_b64 vcc, exec, s[14:15]
	s_cbranch_vccnz .LBB166_28
; %bb.2:
	s_load_dwordx2 s[4:5], s[0:1], 0x20
	s_cmp_lt_u32 s16, 4
	v_sub_u32_e32 v14, 0, v22
	s_cbranch_scc1 .LBB166_21
; %bb.3:
	s_mov_b32 s7, 0
	s_and_b32 s12, s16, 0x7ffffffc
	v_ashrrev_i32_e32 v11, 31, v10
	v_mov_b32_e32 v15, 0
	s_mov_b32 s6, s7
	s_branch .LBB166_5
.LBB166_4:                              ;   in Loop: Header=BB166_5 Depth=1
	s_or_b64 exec, exec, s[10:11]
	s_add_i32 s6, s6, 4
	s_cmp_eq_u32 s6, s12
	s_cbranch_scc1 .LBB166_21
.LBB166_5:                              ; =>This Loop Header: Depth=1
                                        ;     Child Loop BB166_7 Depth 2
                                        ;     Child Loop BB166_11 Depth 2
	;; [unrolled: 1-line block ×4, first 2 shown]
	v_lshl_add_u64 v[16:17], s[6:7], 3, v[12:13]
	global_load_dwordx2 v[18:19], v[16:17], off
	v_add_u32_e32 v20, s6, v10
	v_ashrrev_i32_e32 v21, 31, v20
	s_mov_b64 s[10:11], 0
	s_waitcnt lgkmcnt(0)
	v_lshl_add_u64 v[20:21], v[20:21], 3, s[4:5]
	s_mov_b64 s[14:15], 0
	s_waitcnt vmcnt(0)
	v_ashrrev_i32_e32 v19, 31, v18
	v_add_u32_e32 v23, v14, v18
	s_branch .LBB166_7
.LBB166_6:                              ;   in Loop: Header=BB166_7 Depth=2
	s_or_b64 exec, exec, s[18:19]
	s_cmp_gt_u32 s14, 8
	s_cselect_b64 s[2:3], -1, 0
	s_xor_b64 s[18:19], vcc, -1
	s_or_b64 s[2:3], s[18:19], s[2:3]
	s_add_u32 s14, s14, 1
	s_addc_u32 s15, s15, 0
	s_and_b64 s[2:3], exec, s[2:3]
	s_or_b64 s[10:11], s[2:3], s[10:11]
	v_subrev_u32_e32 v23, 32, v23
	s_andn2_b64 exec, exec, s[10:11]
	s_cbranch_execz .LBB166_9
.LBB166_7:                              ;   Parent Loop BB166_5 Depth=1
                                        ; =>  This Inner Loop Header: Depth=2
	v_cmp_ne_u32_e32 vcc, 0, v23
	v_cmp_eq_u32_e64 s[2:3], 0, v23
	s_and_saveexec_b64 s[18:19], s[2:3]
	s_cbranch_execz .LBB166_6
; %bb.8:                                ;   in Loop: Header=BB166_7 Depth=2
	s_set_gpr_idx_on s14, gpr_idx(SRC0)
	v_mov_b32_e32 v24, v0
	s_set_gpr_idx_off
	v_add_f32_e32 v15, v15, v24
	global_store_dwordx2 v[20:21], v[18:19], off
	s_branch .LBB166_6
.LBB166_9:                              ;   in Loop: Header=BB166_5 Depth=1
	s_or_b64 exec, exec, s[10:11]
	global_load_dwordx2 v[20:21], v[16:17], off offset:8
	s_ashr_i32 s3, s6, 31
	s_mov_b32 s2, s6
	v_lshl_add_u64 v[18:19], s[2:3], 0, v[10:11]
	s_mov_b64 s[10:11], 0
	v_lshl_add_u64 v[18:19], v[18:19], 3, s[4:5]
	s_mov_b64 s[14:15], 0
	s_waitcnt vmcnt(0)
	v_ashrrev_i32_e32 v21, 31, v20
	v_add_u32_e32 v23, v14, v20
	s_branch .LBB166_11
.LBB166_10:                             ;   in Loop: Header=BB166_11 Depth=2
	s_or_b64 exec, exec, s[18:19]
	s_cmp_gt_u32 s14, 8
	s_cselect_b64 s[2:3], -1, 0
	s_xor_b64 s[18:19], vcc, -1
	s_or_b64 s[2:3], s[18:19], s[2:3]
	s_add_u32 s14, s14, 1
	s_addc_u32 s15, s15, 0
	s_and_b64 s[2:3], exec, s[2:3]
	s_or_b64 s[10:11], s[2:3], s[10:11]
	v_subrev_u32_e32 v23, 32, v23
	s_andn2_b64 exec, exec, s[10:11]
	s_cbranch_execz .LBB166_13
.LBB166_11:                             ;   Parent Loop BB166_5 Depth=1
                                        ; =>  This Inner Loop Header: Depth=2
	v_cmp_ne_u32_e32 vcc, 0, v23
	v_cmp_eq_u32_e64 s[2:3], 0, v23
	s_and_saveexec_b64 s[18:19], s[2:3]
	s_cbranch_execz .LBB166_10
; %bb.12:                               ;   in Loop: Header=BB166_11 Depth=2
	s_set_gpr_idx_on s14, gpr_idx(SRC0)
	v_mov_b32_e32 v24, v0
	s_set_gpr_idx_off
	v_add_f32_e32 v15, v15, v24
	global_store_dwordx2 v[18:19], v[20:21], off offset:8
	s_branch .LBB166_10
.LBB166_13:                             ;   in Loop: Header=BB166_5 Depth=1
	s_or_b64 exec, exec, s[10:11]
	global_load_dwordx2 v[20:21], v[16:17], off offset:16
	s_mov_b64 s[10:11], 0
	s_mov_b64 s[14:15], 0
	s_waitcnt vmcnt(0)
	v_ashrrev_i32_e32 v21, 31, v20
	v_add_u32_e32 v23, v14, v20
	s_branch .LBB166_15
.LBB166_14:                             ;   in Loop: Header=BB166_15 Depth=2
	s_or_b64 exec, exec, s[18:19]
	s_cmp_gt_u32 s14, 8
	s_cselect_b64 s[2:3], -1, 0
	s_xor_b64 s[18:19], vcc, -1
	s_or_b64 s[2:3], s[18:19], s[2:3]
	s_add_u32 s14, s14, 1
	s_addc_u32 s15, s15, 0
	s_and_b64 s[2:3], exec, s[2:3]
	s_or_b64 s[10:11], s[2:3], s[10:11]
	v_subrev_u32_e32 v23, 32, v23
	s_andn2_b64 exec, exec, s[10:11]
	s_cbranch_execz .LBB166_17
.LBB166_15:                             ;   Parent Loop BB166_5 Depth=1
                                        ; =>  This Inner Loop Header: Depth=2
	v_cmp_ne_u32_e32 vcc, 0, v23
	v_cmp_eq_u32_e64 s[2:3], 0, v23
	s_and_saveexec_b64 s[18:19], s[2:3]
	s_cbranch_execz .LBB166_14
; %bb.16:                               ;   in Loop: Header=BB166_15 Depth=2
	s_set_gpr_idx_on s14, gpr_idx(SRC0)
	v_mov_b32_e32 v24, v0
	s_set_gpr_idx_off
	v_add_f32_e32 v15, v15, v24
	global_store_dwordx2 v[18:19], v[20:21], off offset:16
	s_branch .LBB166_14
.LBB166_17:                             ;   in Loop: Header=BB166_5 Depth=1
	s_or_b64 exec, exec, s[10:11]
	global_load_dwordx2 v[16:17], v[16:17], off offset:24
	s_mov_b64 s[10:11], 0
	s_mov_b64 s[14:15], 0
	s_waitcnt vmcnt(0)
	v_ashrrev_i32_e32 v17, 31, v16
	v_add_u32_e32 v20, v14, v16
	s_branch .LBB166_19
.LBB166_18:                             ;   in Loop: Header=BB166_19 Depth=2
	s_or_b64 exec, exec, s[18:19]
	s_cmp_gt_u32 s14, 8
	s_cselect_b64 s[2:3], -1, 0
	s_xor_b64 s[18:19], vcc, -1
	s_or_b64 s[2:3], s[18:19], s[2:3]
	s_add_u32 s14, s14, 1
	s_addc_u32 s15, s15, 0
	s_and_b64 s[2:3], exec, s[2:3]
	s_or_b64 s[10:11], s[2:3], s[10:11]
	v_subrev_u32_e32 v20, 32, v20
	s_andn2_b64 exec, exec, s[10:11]
	s_cbranch_execz .LBB166_4
.LBB166_19:                             ;   Parent Loop BB166_5 Depth=1
                                        ; =>  This Inner Loop Header: Depth=2
	v_cmp_ne_u32_e32 vcc, 0, v20
	v_cmp_eq_u32_e64 s[2:3], 0, v20
	s_and_saveexec_b64 s[18:19], s[2:3]
	s_cbranch_execz .LBB166_18
; %bb.20:                               ;   in Loop: Header=BB166_19 Depth=2
	s_set_gpr_idx_on s14, gpr_idx(SRC0)
	v_mov_b32_e32 v21, v0
	s_set_gpr_idx_off
	v_add_f32_e32 v15, v15, v21
	global_store_dwordx2 v[18:19], v[16:17], off offset:24
	s_branch .LBB166_18
.LBB166_21:
	s_and_b32 s17, s16, 3
	s_cmp_eq_u32 s17, 0
	s_mov_b32 s13, 0
	s_cbranch_scc1 .LBB166_28
; %bb.22:
	s_mov_b32 s18, s13
	s_branch .LBB166_24
.LBB166_23:                             ;   in Loop: Header=BB166_24 Depth=1
	s_or_b64 exec, exec, s[6:7]
	s_add_i32 s12, s12, 1
	s_add_i32 s18, s18, 1
	s_cmp_lg_u32 s18, s17
	s_cbranch_scc0 .LBB166_28
.LBB166_24:                             ; =>This Loop Header: Depth=1
                                        ;     Child Loop BB166_26 Depth 2
	v_lshl_add_u64 v[16:17], s[12:13], 3, v[12:13]
	global_load_dwordx2 v[16:17], v[16:17], off
	v_add_u32_e32 v18, s12, v10
	v_ashrrev_i32_e32 v19, 31, v18
	s_mov_b64 s[6:7], 0
	s_waitcnt lgkmcnt(0)
	v_lshl_add_u64 v[18:19], v[18:19], 3, s[4:5]
	s_mov_b64 s[10:11], 0
	s_waitcnt vmcnt(0)
	v_ashrrev_i32_e32 v17, 31, v16
	v_add_u32_e32 v11, v14, v16
	s_branch .LBB166_26
.LBB166_25:                             ;   in Loop: Header=BB166_26 Depth=2
	s_or_b64 exec, exec, s[14:15]
	s_cmp_gt_u32 s10, 8
	s_cselect_b64 s[2:3], -1, 0
	s_xor_b64 s[14:15], vcc, -1
	s_or_b64 s[2:3], s[14:15], s[2:3]
	s_add_u32 s10, s10, 1
	s_addc_u32 s11, s11, 0
	s_and_b64 s[2:3], exec, s[2:3]
	s_or_b64 s[6:7], s[2:3], s[6:7]
	v_subrev_u32_e32 v11, 32, v11
	s_andn2_b64 exec, exec, s[6:7]
	s_cbranch_execz .LBB166_23
.LBB166_26:                             ;   Parent Loop BB166_24 Depth=1
                                        ; =>  This Inner Loop Header: Depth=2
	v_cmp_ne_u32_e32 vcc, 0, v11
	v_cmp_eq_u32_e64 s[2:3], 0, v11
	s_and_saveexec_b64 s[14:15], s[2:3]
	s_cbranch_execz .LBB166_25
; %bb.27:                               ;   in Loop: Header=BB166_26 Depth=2
	s_set_gpr_idx_on s10, gpr_idx(SRC0)
	v_mov_b32_e32 v20, v0
	s_set_gpr_idx_off
	v_add_f32_e32 v15, v15, v20
	global_store_dwordx2 v[18:19], v[16:17], off
	s_branch .LBB166_25
.LBB166_28:
	s_waitcnt lgkmcnt(0)
	s_load_dword s4, s[0:1], 0x3c
	s_waitcnt lgkmcnt(0)
	s_bitcmp1_b32 s4, 0
	s_cselect_b64 s[2:3], -1, 0
	s_bitcmp0_b32 s4, 0
	s_cbranch_scc0 .LBB166_32
; %bb.29:
	s_load_dwordx2 s[4:5], s[0:1], 0x40
	s_andn2_b64 vcc, exec, s[2:3]
	s_waitcnt lgkmcnt(0)
	v_cvt_f32_f64_e32 v20, s[4:5]
	s_cbranch_vccz .LBB166_33
.LBB166_30:
	s_andn2_b64 vcc, exec, s[8:9]
	s_cbranch_vccz .LBB166_34
.LBB166_31:
	s_endpgm
.LBB166_32:
	v_mbcnt_lo_u32_b32 v11, -1, 0
	v_mbcnt_hi_u32_b32 v11, -1, v11
	v_and_b32_e32 v14, 0x60, v11
	v_add_u32_e32 v14, 32, v14
	v_xor_b32_e32 v16, 16, v11
	v_cmp_lt_i32_e32 vcc, v16, v14
	v_xor_b32_e32 v17, 8, v11
	s_nop 0
	v_cndmask_b32_e32 v16, v11, v16, vcc
	v_lshlrev_b32_e32 v16, 2, v16
	ds_bpermute_b32 v16, v16, v15
	v_cmp_lt_i32_e32 vcc, v17, v14
	s_waitcnt lgkmcnt(0)
	v_add_f32_e32 v15, v15, v16
	v_cndmask_b32_e32 v16, v11, v17, vcc
	v_lshlrev_b32_e32 v16, 2, v16
	ds_bpermute_b32 v16, v16, v15
	v_xor_b32_e32 v17, 4, v11
	v_cmp_lt_i32_e32 vcc, v17, v14
	s_waitcnt lgkmcnt(0)
	v_add_f32_e32 v15, v15, v16
	v_cndmask_b32_e32 v16, v11, v17, vcc
	v_lshlrev_b32_e32 v16, 2, v16
	ds_bpermute_b32 v16, v16, v15
	v_xor_b32_e32 v17, 2, v11
	;; [unrolled: 7-line block ×3, first 2 shown]
	v_cmp_lt_i32_e32 vcc, v17, v14
	s_waitcnt lgkmcnt(0)
	v_add_f32_e32 v15, v15, v16
	v_cndmask_b32_e32 v11, v11, v17, vcc
	v_lshlrev_b32_e32 v11, 2, v11
	ds_bpermute_b32 v11, v11, v15
	s_waitcnt lgkmcnt(0)
	v_add_f32_e32 v15, v15, v11
	s_load_dwordx2 s[4:5], s[0:1], 0x40
	s_andn2_b64 vcc, exec, s[2:3]
	s_waitcnt lgkmcnt(0)
	v_cvt_f32_f64_e32 v20, s[4:5]
	s_cbranch_vccnz .LBB166_30
.LBB166_33:
	v_cmp_lt_f32_e32 vcc, 0, v15
	s_nop 1
	v_cndmask_b32_e32 v11, 1.0, v15, vcc
	v_div_scale_f32 v14, s[2:3], v11, v11, v20
	v_rcp_f32_e32 v15, v14
	s_nop 0
	v_fma_f32 v16, -v14, v15, 1.0
	v_fmac_f32_e32 v15, v16, v15
	v_div_scale_f32 v16, vcc, v20, v11, v20
	v_mul_f32_e32 v17, v16, v15
	v_fma_f32 v18, -v14, v17, v16
	v_fmac_f32_e32 v17, v18, v15
	v_fma_f32 v14, -v14, v17, v16
	v_div_fmas_f32 v14, v14, v15, v17
	v_div_fixup_f32 v20, v14, v11, v20
	s_andn2_b64 vcc, exec, s[8:9]
	s_cbranch_vccnz .LBB166_31
.LBB166_34:
	s_load_dwordx2 s[18:19], s[0:1], 0x10
	v_or_b32_e32 v30, 32, v22
	v_or_b32_e32 v29, 64, v22
	;; [unrolled: 1-line block ×9, first 2 shown]
	s_cmp_eq_u32 s16, 1
	s_mov_b32 s20, 0
	s_cbranch_scc1 .LBB166_77
; %bb.35:
	v_ashrrev_i32_e32 v11, 31, v10
	s_waitcnt lgkmcnt(0)
	v_lshl_add_u64 v[14:15], v[10:11], 2, s[18:19]
	s_and_b32 s20, s16, 0x7ffffffe
	v_lshl_add_u64 v[14:15], v[14:15], 0, 4
	v_lshl_add_u64 v[16:17], v[12:13], 0, 8
	s_mov_b32 s17, 0
	s_branch .LBB166_37
.LBB166_36:                             ;   in Loop: Header=BB166_37 Depth=1
	s_or_b64 exec, exec, s[0:1]
	s_add_i32 s17, s17, 2
	v_lshl_add_u64 v[14:15], v[14:15], 0, 8
	s_cmp_lg_u32 s20, s17
	v_lshl_add_u64 v[16:17], v[16:17], 0, 16
	s_cbranch_scc0 .LBB166_77
.LBB166_37:                             ; =>This Inner Loop Header: Depth=1
	global_load_dword v11, v[16:17], off offset:-8
	v_mov_b64_e32 v[18:19], 0
	s_waitcnt vmcnt(0)
	v_cmp_eq_u32_e32 vcc, v22, v11
	v_cmp_ne_u32_e64 s[0:1], v22, v11
	s_and_saveexec_b64 s[22:23], s[0:1]
	s_cbranch_execz .LBB166_55
; %bb.38:                               ;   in Loop: Header=BB166_37 Depth=1
	v_cmp_eq_u32_e64 s[0:1], v30, v11
	v_cmp_ne_u32_e64 s[2:3], v30, v11
	v_mov_b64_e32 v[18:19], 1
	s_and_saveexec_b64 s[24:25], s[2:3]
	s_cbranch_execz .LBB166_54
; %bb.39:                               ;   in Loop: Header=BB166_37 Depth=1
	v_cmp_eq_u32_e64 s[2:3], v29, v11
	v_cmp_ne_u32_e64 s[4:5], v29, v11
	v_mov_b64_e32 v[18:19], 2
	;; [unrolled: 6-line block ×8, first 2 shown]
	s_and_saveexec_b64 s[42:43], s[14:15]
	s_xor_b64 s[42:43], exec, s[42:43]
; %bb.46:                               ;   in Loop: Header=BB166_37 Depth=1
	v_cmp_eq_u32_e64 s[14:15], v21, v11
	s_andn2_b64 s[40:41], s[40:41], exec
	s_and_b64 s[14:15], s[14:15], exec
	v_mov_b64_e32 v[18:19], 9
	s_or_b64 s[40:41], s[40:41], s[14:15]
; %bb.47:                               ;   in Loop: Header=BB166_37 Depth=1
	s_or_b64 exec, exec, s[42:43]
	s_andn2_b64 s[12:13], s[12:13], exec
	s_and_b64 s[14:15], s[40:41], exec
	s_or_b64 s[12:13], s[12:13], s[14:15]
.LBB166_48:                             ;   in Loop: Header=BB166_37 Depth=1
	s_or_b64 exec, exec, s[38:39]
	s_andn2_b64 s[10:11], s[10:11], exec
	s_and_b64 s[12:13], s[12:13], exec
	s_or_b64 s[10:11], s[10:11], s[12:13]
.LBB166_49:                             ;   in Loop: Header=BB166_37 Depth=1
	s_or_b64 exec, exec, s[36:37]
	s_andn2_b64 s[8:9], s[8:9], exec
	s_and_b64 s[10:11], s[10:11], exec
	s_or_b64 s[8:9], s[8:9], s[10:11]
.LBB166_50:                             ;   in Loop: Header=BB166_37 Depth=1
	s_or_b64 exec, exec, s[34:35]
	s_andn2_b64 s[6:7], s[6:7], exec
	s_and_b64 s[8:9], s[8:9], exec
	s_or_b64 s[6:7], s[6:7], s[8:9]
.LBB166_51:                             ;   in Loop: Header=BB166_37 Depth=1
	s_or_b64 exec, exec, s[30:31]
	s_andn2_b64 s[4:5], s[4:5], exec
	s_and_b64 s[6:7], s[6:7], exec
	s_or_b64 s[4:5], s[4:5], s[6:7]
.LBB166_52:                             ;   in Loop: Header=BB166_37 Depth=1
	s_or_b64 exec, exec, s[28:29]
	s_andn2_b64 s[2:3], s[2:3], exec
	s_and_b64 s[4:5], s[4:5], exec
	s_or_b64 s[2:3], s[2:3], s[4:5]
.LBB166_53:                             ;   in Loop: Header=BB166_37 Depth=1
	s_or_b64 exec, exec, s[26:27]
	s_andn2_b64 s[0:1], s[0:1], exec
	s_and_b64 s[2:3], s[2:3], exec
	s_or_b64 s[0:1], s[0:1], s[2:3]
.LBB166_54:                             ;   in Loop: Header=BB166_37 Depth=1
	s_or_b64 exec, exec, s[24:25]
	s_andn2_b64 s[2:3], vcc, exec
	s_and_b64 s[0:1], s[0:1], exec
	s_or_b64 vcc, s[2:3], s[0:1]
.LBB166_55:                             ;   in Loop: Header=BB166_37 Depth=1
	s_or_b64 exec, exec, s[22:23]
	s_and_saveexec_b64 s[0:1], vcc
	s_cbranch_execz .LBB166_57
; %bb.56:                               ;   in Loop: Header=BB166_37 Depth=1
	v_cmp_eq_u32_e32 vcc, 1, v18
	v_add_u32_e32 v32, s17, v10
	v_ashrrev_i32_e32 v33, 31, v32
	v_cndmask_b32_e32 v11, v0, v1, vcc
	v_cmp_eq_u32_e32 vcc, 2, v18
	s_nop 1
	v_cndmask_b32_e32 v11, v11, v2, vcc
	v_cmp_eq_u32_e32 vcc, 3, v18
	s_nop 1
	;; [unrolled: 3-line block ×7, first 2 shown]
	v_cndmask_b32_e32 v11, v11, v8, vcc
	v_cmp_eq_u32_e32 vcc, 9, v18
	v_lshl_add_u64 v[18:19], v[32:33], 2, s[18:19]
	s_nop 0
	v_cndmask_b32_e32 v11, v11, v9, vcc
	v_mul_f32_e32 v11, v20, v11
	global_store_dword v[18:19], v11, off
.LBB166_57:                             ;   in Loop: Header=BB166_37 Depth=1
	s_or_b64 exec, exec, s[0:1]
	global_load_dword v11, v[16:17], off
	v_mov_b64_e32 v[18:19], 0
	s_waitcnt vmcnt(0)
	v_cmp_eq_u32_e64 s[12:13], v22, v11
	v_cmp_ne_u32_e32 vcc, v22, v11
	s_and_saveexec_b64 s[14:15], vcc
	s_cbranch_execz .LBB166_75
; %bb.58:                               ;   in Loop: Header=BB166_37 Depth=1
	v_cmp_eq_u32_e32 vcc, v30, v11
	v_cmp_ne_u32_e64 s[0:1], v30, v11
	v_mov_b64_e32 v[18:19], 1
	s_and_saveexec_b64 s[22:23], s[0:1]
	s_cbranch_execz .LBB166_74
; %bb.59:                               ;   in Loop: Header=BB166_37 Depth=1
	v_cmp_eq_u32_e64 s[0:1], v29, v11
	v_cmp_ne_u32_e64 s[2:3], v29, v11
	v_mov_b64_e32 v[18:19], 2
	s_and_saveexec_b64 s[24:25], s[2:3]
	s_cbranch_execz .LBB166_73
; %bb.60:                               ;   in Loop: Header=BB166_37 Depth=1
	v_cmp_eq_u32_e64 s[2:3], v28, v11
	;; [unrolled: 6-line block ×7, first 2 shown]
	v_cmp_ne_u32_e64 s[10:11], v23, v11
	v_mov_b64_e32 v[18:19], 8
	s_and_saveexec_b64 s[42:43], s[10:11]
; %bb.66:                               ;   in Loop: Header=BB166_37 Depth=1
	v_cmp_eq_u32_e64 s[10:11], v21, v11
	s_andn2_b64 s[40:41], s[40:41], exec
	s_and_b64 s[10:11], s[10:11], exec
	v_mov_b64_e32 v[18:19], 9
	s_or_b64 s[40:41], s[40:41], s[10:11]
; %bb.67:                               ;   in Loop: Header=BB166_37 Depth=1
	s_or_b64 exec, exec, s[42:43]
	s_andn2_b64 s[10:11], s[36:37], exec
	s_and_b64 s[36:37], s[40:41], exec
	s_or_b64 s[36:37], s[10:11], s[36:37]
.LBB166_68:                             ;   in Loop: Header=BB166_37 Depth=1
	s_or_b64 exec, exec, s[38:39]
	s_andn2_b64 s[8:9], s[8:9], exec
	s_and_b64 s[10:11], s[36:37], exec
	s_or_b64 s[8:9], s[8:9], s[10:11]
.LBB166_69:                             ;   in Loop: Header=BB166_37 Depth=1
	s_or_b64 exec, exec, s[34:35]
	s_andn2_b64 s[6:7], s[6:7], exec
	s_and_b64 s[8:9], s[8:9], exec
	s_or_b64 s[6:7], s[6:7], s[8:9]
.LBB166_70:                             ;   in Loop: Header=BB166_37 Depth=1
	s_or_b64 exec, exec, s[30:31]
	s_andn2_b64 s[4:5], s[4:5], exec
	s_and_b64 s[6:7], s[6:7], exec
	s_or_b64 s[4:5], s[4:5], s[6:7]
.LBB166_71:                             ;   in Loop: Header=BB166_37 Depth=1
	s_or_b64 exec, exec, s[28:29]
	s_andn2_b64 s[2:3], s[2:3], exec
	s_and_b64 s[4:5], s[4:5], exec
	s_or_b64 s[2:3], s[2:3], s[4:5]
.LBB166_72:                             ;   in Loop: Header=BB166_37 Depth=1
	s_or_b64 exec, exec, s[26:27]
	s_andn2_b64 s[0:1], s[0:1], exec
	s_and_b64 s[2:3], s[2:3], exec
	s_or_b64 s[0:1], s[0:1], s[2:3]
.LBB166_73:                             ;   in Loop: Header=BB166_37 Depth=1
	s_or_b64 exec, exec, s[24:25]
	s_andn2_b64 s[2:3], vcc, exec
	s_and_b64 s[0:1], s[0:1], exec
	s_or_b64 vcc, s[2:3], s[0:1]
.LBB166_74:                             ;   in Loop: Header=BB166_37 Depth=1
	s_or_b64 exec, exec, s[22:23]
	s_andn2_b64 s[0:1], s[12:13], exec
	s_and_b64 s[2:3], vcc, exec
	s_or_b64 s[12:13], s[0:1], s[2:3]
.LBB166_75:                             ;   in Loop: Header=BB166_37 Depth=1
	s_or_b64 exec, exec, s[14:15]
	s_and_saveexec_b64 s[0:1], s[12:13]
	s_cbranch_execz .LBB166_36
; %bb.76:                               ;   in Loop: Header=BB166_37 Depth=1
	v_cmp_eq_u32_e32 vcc, 1, v18
	s_nop 1
	v_cndmask_b32_e32 v11, v0, v1, vcc
	v_cmp_eq_u32_e32 vcc, 2, v18
	s_nop 1
	v_cndmask_b32_e32 v11, v11, v2, vcc
	;; [unrolled: 3-line block ×9, first 2 shown]
	v_mul_f32_e32 v11, v20, v11
	global_store_dword v[14:15], v11, off
	s_branch .LBB166_36
.LBB166_77:
	s_bitcmp0_b32 s16, 0
	s_mov_b32 s21, 0
	s_cbranch_scc1 .LBB166_31
; %bb.78:
	v_lshl_add_u64 v[12:13], s[20:21], 3, v[12:13]
	global_load_dword v11, v[12:13], off
	v_mov_b64_e32 v[12:13], 0
	s_waitcnt vmcnt(0)
	v_cmp_eq_u32_e64 s[12:13], v22, v11
	v_cmp_ne_u32_e32 vcc, v22, v11
	s_and_saveexec_b64 s[14:15], vcc
	s_cbranch_execz .LBB166_96
; %bb.79:
	v_cmp_eq_u32_e32 vcc, v30, v11
	v_cmp_ne_u32_e64 s[0:1], v30, v11
	v_mov_b64_e32 v[12:13], 1
	s_and_saveexec_b64 s[16:17], s[0:1]
	s_cbranch_execz .LBB166_95
; %bb.80:
	v_cmp_eq_u32_e64 s[0:1], v29, v11
	v_cmp_ne_u32_e64 s[2:3], v29, v11
	v_mov_b64_e32 v[12:13], 2
	s_and_saveexec_b64 s[22:23], s[2:3]
	s_cbranch_execz .LBB166_94
; %bb.81:
	v_cmp_eq_u32_e64 s[2:3], v28, v11
	;; [unrolled: 6-line block ×7, first 2 shown]
	v_cmp_ne_u32_e64 s[10:11], v23, v11
	v_mov_b64_e32 v[12:13], 8
	s_and_saveexec_b64 s[40:41], s[10:11]
; %bb.87:
	v_cmp_eq_u32_e64 s[10:11], v21, v11
	s_andn2_b64 s[38:39], s[38:39], exec
	s_and_b64 s[10:11], s[10:11], exec
	v_mov_b64_e32 v[12:13], 9
	s_or_b64 s[38:39], s[38:39], s[10:11]
; %bb.88:
	s_or_b64 exec, exec, s[40:41]
	s_andn2_b64 s[10:11], s[34:35], exec
	s_and_b64 s[34:35], s[38:39], exec
	s_or_b64 s[34:35], s[10:11], s[34:35]
.LBB166_89:
	s_or_b64 exec, exec, s[36:37]
	s_andn2_b64 s[8:9], s[8:9], exec
	s_and_b64 s[10:11], s[34:35], exec
	s_or_b64 s[8:9], s[8:9], s[10:11]
.LBB166_90:
	s_or_b64 exec, exec, s[30:31]
	s_andn2_b64 s[6:7], s[6:7], exec
	s_and_b64 s[8:9], s[8:9], exec
	s_or_b64 s[6:7], s[6:7], s[8:9]
.LBB166_91:
	s_or_b64 exec, exec, s[28:29]
	s_andn2_b64 s[4:5], s[4:5], exec
	s_and_b64 s[6:7], s[6:7], exec
	s_or_b64 s[4:5], s[4:5], s[6:7]
.LBB166_92:
	s_or_b64 exec, exec, s[26:27]
	s_andn2_b64 s[2:3], s[2:3], exec
	s_and_b64 s[4:5], s[4:5], exec
	s_or_b64 s[2:3], s[2:3], s[4:5]
.LBB166_93:
	s_or_b64 exec, exec, s[24:25]
	s_andn2_b64 s[0:1], s[0:1], exec
	s_and_b64 s[2:3], s[2:3], exec
	s_or_b64 s[0:1], s[0:1], s[2:3]
.LBB166_94:
	s_or_b64 exec, exec, s[22:23]
	s_andn2_b64 s[2:3], vcc, exec
	s_and_b64 s[0:1], s[0:1], exec
	s_or_b64 vcc, s[2:3], s[0:1]
.LBB166_95:
	s_or_b64 exec, exec, s[16:17]
	s_andn2_b64 s[0:1], s[12:13], exec
	s_and_b64 s[2:3], vcc, exec
	s_or_b64 s[12:13], s[0:1], s[2:3]
.LBB166_96:
	s_or_b64 exec, exec, s[14:15]
	s_and_b64 exec, exec, s[12:13]
	s_cbranch_execz .LBB166_31
; %bb.97:
	v_cmp_eq_u32_e32 vcc, 1, v12
	v_add_u32_e32 v10, s20, v10
	v_ashrrev_i32_e32 v11, 31, v10
	v_cndmask_b32_e32 v0, v0, v1, vcc
	v_cmp_eq_u32_e32 vcc, 2, v12
	s_nop 1
	v_cndmask_b32_e32 v0, v0, v2, vcc
	v_cmp_eq_u32_e32 vcc, 3, v12
	s_nop 1
	;; [unrolled: 3-line block ×8, first 2 shown]
	v_cndmask_b32_e32 v0, v0, v9, vcc
	v_mul_f32_e32 v2, v20, v0
	s_waitcnt lgkmcnt(0)
	v_lshl_add_u64 v[0:1], v[10:11], 2, s[18:19]
	global_store_dword v[0:1], v2, off
	s_endpgm
	.section	.rodata,"a",@progbits
	.p2align	6, 0x0
	.amdhsa_kernel _ZN4vllm3moe22topkGatingSoftplusSqrtILi10ELi320ELi4ELi4ELi32ELb1ElfEEvPKT6_PKbPfiPT5_PiiiibdPKfPKS8_SE_
		.amdhsa_group_segment_fixed_size 0
		.amdhsa_private_segment_fixed_size 0
		.amdhsa_kernarg_size 96
		.amdhsa_user_sgpr_count 2
		.amdhsa_user_sgpr_dispatch_ptr 0
		.amdhsa_user_sgpr_queue_ptr 0
		.amdhsa_user_sgpr_kernarg_segment_ptr 1
		.amdhsa_user_sgpr_dispatch_id 0
		.amdhsa_user_sgpr_kernarg_preload_length 0
		.amdhsa_user_sgpr_kernarg_preload_offset 0
		.amdhsa_user_sgpr_private_segment_size 0
		.amdhsa_uses_dynamic_stack 0
		.amdhsa_enable_private_segment 0
		.amdhsa_system_sgpr_workgroup_id_x 1
		.amdhsa_system_sgpr_workgroup_id_y 0
		.amdhsa_system_sgpr_workgroup_id_z 0
		.amdhsa_system_sgpr_workgroup_info 0
		.amdhsa_system_vgpr_workitem_id 1
		.amdhsa_next_free_vgpr 34
		.amdhsa_next_free_sgpr 44
		.amdhsa_accum_offset 36
		.amdhsa_reserve_vcc 1
		.amdhsa_float_round_mode_32 0
		.amdhsa_float_round_mode_16_64 0
		.amdhsa_float_denorm_mode_32 3
		.amdhsa_float_denorm_mode_16_64 3
		.amdhsa_dx10_clamp 1
		.amdhsa_ieee_mode 1
		.amdhsa_fp16_overflow 0
		.amdhsa_tg_split 0
		.amdhsa_exception_fp_ieee_invalid_op 0
		.amdhsa_exception_fp_denorm_src 0
		.amdhsa_exception_fp_ieee_div_zero 0
		.amdhsa_exception_fp_ieee_overflow 0
		.amdhsa_exception_fp_ieee_underflow 0
		.amdhsa_exception_fp_ieee_inexact 0
		.amdhsa_exception_int_div_zero 0
	.end_amdhsa_kernel
	.section	.text._ZN4vllm3moe22topkGatingSoftplusSqrtILi10ELi320ELi4ELi4ELi32ELb1ElfEEvPKT6_PKbPfiPT5_PiiiibdPKfPKS8_SE_,"axG",@progbits,_ZN4vllm3moe22topkGatingSoftplusSqrtILi10ELi320ELi4ELi4ELi32ELb1ElfEEvPKT6_PKbPfiPT5_PiiiibdPKfPKS8_SE_,comdat
.Lfunc_end166:
	.size	_ZN4vllm3moe22topkGatingSoftplusSqrtILi10ELi320ELi4ELi4ELi32ELb1ElfEEvPKT6_PKbPfiPT5_PiiiibdPKfPKS8_SE_, .Lfunc_end166-_ZN4vllm3moe22topkGatingSoftplusSqrtILi10ELi320ELi4ELi4ELi32ELb1ElfEEvPKT6_PKbPfiPT5_PiiiibdPKfPKS8_SE_
                                        ; -- End function
	.section	.AMDGPU.csdata,"",@progbits
; Kernel info:
; codeLenInByte = 5616
; NumSgprs: 50
; NumVgprs: 34
; NumAgprs: 0
; TotalNumVgprs: 34
; ScratchSize: 0
; MemoryBound: 0
; FloatMode: 240
; IeeeMode: 1
; LDSByteSize: 0 bytes/workgroup (compile time only)
; SGPRBlocks: 6
; VGPRBlocks: 4
; NumSGPRsForWavesPerEU: 50
; NumVGPRsForWavesPerEU: 34
; AccumOffset: 36
; Occupancy: 8
; WaveLimiterHint : 1
; COMPUTE_PGM_RSRC2:SCRATCH_EN: 0
; COMPUTE_PGM_RSRC2:USER_SGPR: 2
; COMPUTE_PGM_RSRC2:TRAP_HANDLER: 0
; COMPUTE_PGM_RSRC2:TGID_X_EN: 1
; COMPUTE_PGM_RSRC2:TGID_Y_EN: 0
; COMPUTE_PGM_RSRC2:TGID_Z_EN: 0
; COMPUTE_PGM_RSRC2:TIDIG_COMP_CNT: 1
; COMPUTE_PGM_RSRC3_GFX90A:ACCUM_OFFSET: 8
; COMPUTE_PGM_RSRC3_GFX90A:TG_SPLIT: 0
	.section	.text._ZN4vllm3moe22topkGatingSoftplusSqrtILi10ELi320ELi4ELi4ELi32ELb0ElfEEvPKT6_PKbPfiPT5_PiiiibdPKfPKS8_SE_,"axG",@progbits,_ZN4vllm3moe22topkGatingSoftplusSqrtILi10ELi320ELi4ELi4ELi32ELb0ElfEEvPKT6_PKbPfiPT5_PiiiibdPKfPKS8_SE_,comdat
	.protected	_ZN4vllm3moe22topkGatingSoftplusSqrtILi10ELi320ELi4ELi4ELi32ELb0ElfEEvPKT6_PKbPfiPT5_PiiiibdPKfPKS8_SE_ ; -- Begin function _ZN4vllm3moe22topkGatingSoftplusSqrtILi10ELi320ELi4ELi4ELi32ELb0ElfEEvPKT6_PKbPfiPT5_PiiiibdPKfPKS8_SE_
	.globl	_ZN4vllm3moe22topkGatingSoftplusSqrtILi10ELi320ELi4ELi4ELi32ELb0ElfEEvPKT6_PKbPfiPT5_PiiiibdPKfPKS8_SE_
	.p2align	8
	.type	_ZN4vllm3moe22topkGatingSoftplusSqrtILi10ELi320ELi4ELi4ELi32ELb0ElfEEvPKT6_PKbPfiPT5_PiiiibdPKfPKS8_SE_,@function
_ZN4vllm3moe22topkGatingSoftplusSqrtILi10ELi320ELi4ELi4ELi32ELb0ElfEEvPKT6_PKbPfiPT5_PiiiibdPKfPKS8_SE_: ; @_ZN4vllm3moe22topkGatingSoftplusSqrtILi10ELi320ELi4ELi4ELi32ELb0ElfEEvPKT6_PKbPfiPT5_PiiiibdPKfPKS8_SE_
; %bb.0:
	s_load_dword s30, s[0:1], 0x18
	v_and_b32_e32 v1, 0x3ff, v0
	s_lshl_b32 s2, s2, 2
	v_lshrrev_b32_e32 v2, 5, v1
	v_bfe_u32 v0, v0, 10, 10
	v_add3_u32 v10, s2, v0, v2
	s_waitcnt lgkmcnt(0)
	v_cmp_gt_i32_e32 vcc, s30, v10
	s_and_saveexec_b64 s[2:3], vcc
	s_cbranch_execz .LBB167_65
; %bb.1:
	s_load_dwordx4 s[4:7], s[0:1], 0x0
	s_load_dwordx2 s[20:21], s[0:1], 0x10
	s_waitcnt lgkmcnt(0)
	s_cmp_eq_u64 s[6:7], 0
	s_cbranch_scc1 .LBB167_3
; %bb.2:
	v_ashrrev_i32_e32 v11, 31, v10
	v_lshl_add_u64 v[2:3], s[6:7], 0, v[10:11]
	global_load_ubyte v0, v[2:3], off
	s_waitcnt vmcnt(0)
	v_and_b32_e32 v0, 1, v0
	v_cmp_eq_u32_e32 vcc, 1, v0
	s_xor_b64 s[2:3], vcc, -1
	s_orn2_b64 s[22:23], s[2:3], exec
	s_branch .LBB167_4
.LBB167_3:
	s_mov_b64 s[22:23], -1
.LBB167_4:
	s_movk_i32 s2, 0x140
	v_mul_lo_u32 v4, v10, s2
	v_mov_b32_e32 v2, s4
	v_mov_b32_e32 v3, s5
	v_ashrrev_i32_e32 v5, 31, v4
	v_and_b32_e32 v12, 31, v1
	v_lshl_add_u64 v[2:3], v[4:5], 2, v[2:3]
	v_mov_b32_e32 v15, 0
	v_lshlrev_b32_e32 v14, 2, v12
	v_lshl_add_u64 v[16:17], v[2:3], 0, v[14:15]
	global_load_dword v0, v[16:17], off
	global_load_dword v1, v[16:17], off offset:128
	global_load_dword v2, v[16:17], off offset:256
	;; [unrolled: 1-line block ×9, first 2 shown]
	s_mov_b32 s16, 0x800000
	v_mov_b32_e32 v15, 0x4f800000
	s_mov_b32 s13, 0x3f317217
	s_mov_b32 s14, 0x7f800000
	v_mov_b32_e32 v13, 0x41b17218
	s_mov_b32 s12, 0x41a00000
	s_mov_b32 s15, 0xf800000
	s_load_dwordx4 s[8:11], s[0:1], 0x40
	s_waitcnt lgkmcnt(0)
	s_cmp_lg_u64 s[10:11], 0
	s_cselect_b64 s[6:7], -1, 0
	s_and_b64 s[2:3], exec, s[6:7]
	s_waitcnt vmcnt(9)
	v_mul_f32_e32 v11, 0x3fb8aa3b, v0
	v_exp_f32_e32 v11, v11
	s_nop 0
	v_add_f32_e32 v11, 1.0, v11
	v_cmp_gt_f32_e32 vcc, s16, v11
	s_nop 1
	v_cndmask_b32_e32 v16, 1.0, v15, vcc
	v_mul_f32_e32 v11, v11, v16
	v_log_f32_e32 v16, v11
	v_cndmask_b32_e32 v17, 0, v13, vcc
	v_mov_b32_e32 v11, 0x260
	v_mul_f32_e32 v18, 0x3f317217, v16
	v_fma_f32 v18, v16, s13, -v18
	v_fmac_f32_e32 v18, 0x3377d1cf, v16
	v_fmac_f32_e32 v18, 0x3f317217, v16
	v_cmp_lt_f32_e64 vcc, |v16|, s14
	s_nop 1
	v_cndmask_b32_e32 v16, v16, v18, vcc
	v_sub_f32_e32 v16, v16, v17
	v_cmp_lt_f32_e32 vcc, s12, v0
	s_nop 1
	v_cndmask_b32_e32 v0, v16, v0, vcc
	v_mul_f32_e32 v16, 0x4f800000, v0
	v_cmp_gt_f32_e32 vcc, s15, v0
	s_nop 1
	v_cndmask_b32_e32 v0, v0, v16, vcc
	v_sqrt_f32_e32 v16, v0
	s_nop 0
	v_add_u32_e32 v17, -1, v16
	v_add_u32_e32 v18, 1, v16
	v_fma_f32 v19, -v17, v16, v0
	v_fma_f32 v20, -v18, v16, v0
	v_cmp_ge_f32_e64 s[4:5], 0, v19
	s_nop 1
	v_cndmask_b32_e64 v16, v16, v17, s[4:5]
	v_cmp_lt_f32_e64 s[4:5], 0, v20
	s_nop 1
	v_cndmask_b32_e64 v16, v16, v18, s[4:5]
	v_mul_f32_e32 v17, 0x37800000, v16
	v_cndmask_b32_e32 v16, v16, v17, vcc
	v_cmp_class_f32_e32 vcc, v0, v11
	s_nop 1
	v_cndmask_b32_e32 v0, v16, v0, vcc
	s_mov_b64 vcc, s[2:3]
	s_cbranch_vccz .LBB167_6
; %bb.5:
	global_load_dword v16, v14, s[10:11]
	s_waitcnt vmcnt(0)
	v_add_f32_e32 v0, v0, v16
.LBB167_6:
	s_waitcnt vmcnt(8)
	v_mul_f32_e32 v16, 0x3fb8aa3b, v1
	v_exp_f32_e32 v16, v16
	s_nop 0
	v_add_f32_e32 v16, 1.0, v16
	v_cmp_gt_f32_e32 vcc, s16, v16
	s_nop 1
	v_cndmask_b32_e32 v15, 1.0, v15, vcc
	v_mul_f32_e32 v15, v16, v15
	v_log_f32_e32 v15, v15
	v_cndmask_b32_e32 v13, 0, v13, vcc
	v_mul_f32_e32 v16, 0x3f317217, v15
	v_fma_f32 v16, v15, s13, -v16
	v_fmac_f32_e32 v16, 0x3377d1cf, v15
	v_fmac_f32_e32 v16, 0x3f317217, v15
	v_cmp_lt_f32_e64 vcc, |v15|, s14
	s_nop 1
	v_cndmask_b32_e32 v15, v15, v16, vcc
	v_sub_f32_e32 v13, v15, v13
	v_cmp_lt_f32_e32 vcc, s12, v1
	s_nop 1
	v_cndmask_b32_e32 v1, v13, v1, vcc
	v_mul_f32_e32 v13, 0x4f800000, v1
	v_cmp_gt_f32_e32 vcc, s15, v1
	s_nop 1
	v_cndmask_b32_e32 v1, v1, v13, vcc
	v_sqrt_f32_e32 v13, v1
	v_cmp_class_f32_e64 s[4:5], v1, v11
	v_add_u32_e32 v15, -1, v13
	v_add_u32_e32 v16, 1, v13
	v_fma_f32 v17, -v15, v13, v1
	v_fma_f32 v18, -v16, v13, v1
	v_cmp_ge_f32_e64 s[2:3], 0, v17
	s_nop 1
	v_cndmask_b32_e64 v13, v13, v15, s[2:3]
	v_cmp_lt_f32_e64 s[2:3], 0, v18
	s_nop 1
	v_cndmask_b32_e64 v13, v13, v16, s[2:3]
	v_mul_f32_e32 v15, 0x37800000, v13
	v_cndmask_b32_e32 v13, v13, v15, vcc
	v_cndmask_b32_e64 v15, 0, 1, s[6:7]
	v_cmp_ne_u32_e64 s[2:3], 1, v15
	s_andn2_b64 vcc, exec, s[6:7]
	v_cndmask_b32_e64 v1, v13, v1, s[4:5]
	s_cbranch_vccnz .LBB167_8
; %bb.7:
	global_load_dword v11, v14, s[10:11] offset:128
	s_waitcnt vmcnt(0)
	v_add_f32_e32 v1, v1, v11
.LBB167_8:
	s_waitcnt vmcnt(7)
	v_mul_f32_e32 v11, 0x3fb8aa3b, v2
	v_exp_f32_e32 v11, v11
	s_mov_b32 s14, 0x800000
	v_mov_b32_e32 v13, 0x4f800000
	s_mov_b32 s7, 0x3f317217
	v_add_f32_e32 v11, 1.0, v11
	v_cmp_gt_f32_e32 vcc, s14, v11
	s_mov_b32 s12, 0x7f800000
	s_mov_b32 s6, 0x41a00000
	v_cndmask_b32_e32 v15, 1.0, v13, vcc
	v_mul_f32_e32 v11, v11, v15
	v_log_f32_e32 v11, v11
	s_mov_b32 s13, 0xf800000
	v_mul_f32_e32 v15, 0x3f317217, v11
	v_fma_f32 v15, v11, s7, -v15
	v_fmac_f32_e32 v15, 0x3377d1cf, v11
	v_fmac_f32_e32 v15, 0x3f317217, v11
	v_cmp_lt_f32_e64 s[4:5], |v11|, s12
	s_nop 1
	v_cndmask_b32_e64 v11, v11, v15, s[4:5]
	v_mov_b32_e32 v15, 0x41b17218
	v_cndmask_b32_e32 v16, 0, v15, vcc
	v_sub_f32_e32 v11, v11, v16
	v_cmp_lt_f32_e32 vcc, s6, v2
	s_nop 1
	v_cndmask_b32_e32 v2, v11, v2, vcc
	v_mul_f32_e32 v11, 0x4f800000, v2
	v_cmp_gt_f32_e32 vcc, s13, v2
	s_nop 1
	v_cndmask_b32_e32 v2, v2, v11, vcc
	v_sqrt_f32_e32 v11, v2
	s_nop 0
	v_add_u32_e32 v16, -1, v11
	v_fma_f32 v17, -v16, v11, v2
	v_cmp_ge_f32_e64 s[4:5], 0, v17
	v_add_u32_e32 v17, 1, v11
	s_nop 0
	v_cndmask_b32_e64 v16, v11, v16, s[4:5]
	v_fma_f32 v11, -v17, v11, v2
	v_cmp_lt_f32_e64 s[4:5], 0, v11
	s_nop 1
	v_cndmask_b32_e64 v11, v16, v17, s[4:5]
	v_mul_f32_e32 v16, 0x37800000, v11
	v_cndmask_b32_e32 v16, v11, v16, vcc
	v_mov_b32_e32 v11, 0x260
	v_cmp_class_f32_e64 s[4:5], v2, v11
	s_and_b64 vcc, exec, s[2:3]
	s_nop 0
	v_cndmask_b32_e64 v2, v16, v2, s[4:5]
	s_cbranch_vccnz .LBB167_10
; %bb.9:
	global_load_dword v16, v14, s[10:11] offset:256
	s_waitcnt vmcnt(0)
	v_add_f32_e32 v2, v2, v16
.LBB167_10:
	s_waitcnt vmcnt(6)
	v_mul_f32_e32 v16, 0x3fb8aa3b, v3
	v_exp_f32_e32 v16, v16
	s_nop 0
	v_add_f32_e32 v16, 1.0, v16
	v_cmp_gt_f32_e32 vcc, s14, v16
	s_nop 1
	v_cndmask_b32_e32 v13, 1.0, v13, vcc
	v_mul_f32_e32 v13, v16, v13
	v_log_f32_e32 v13, v13
	v_cndmask_b32_e32 v15, 0, v15, vcc
	v_mul_f32_e32 v16, 0x3f317217, v13
	v_fma_f32 v16, v13, s7, -v16
	v_fmac_f32_e32 v16, 0x3377d1cf, v13
	v_fmac_f32_e32 v16, 0x3f317217, v13
	v_cmp_lt_f32_e64 vcc, |v13|, s12
	s_nop 1
	v_cndmask_b32_e32 v13, v13, v16, vcc
	v_sub_f32_e32 v13, v13, v15
	v_cmp_lt_f32_e32 vcc, s6, v3
	s_nop 1
	v_cndmask_b32_e32 v3, v13, v3, vcc
	v_mul_f32_e32 v13, 0x4f800000, v3
	v_cmp_gt_f32_e32 vcc, s13, v3
	s_nop 1
	v_cndmask_b32_e32 v3, v3, v13, vcc
	v_sqrt_f32_e32 v13, v3
	s_nop 0
	v_add_u32_e32 v15, -1, v13
	v_add_u32_e32 v16, 1, v13
	v_fma_f32 v17, -v15, v13, v3
	v_fma_f32 v18, -v16, v13, v3
	v_cmp_ge_f32_e64 s[4:5], 0, v17
	s_nop 1
	v_cndmask_b32_e64 v13, v13, v15, s[4:5]
	v_cmp_lt_f32_e64 s[4:5], 0, v18
	s_nop 1
	v_cndmask_b32_e64 v13, v13, v16, s[4:5]
	v_mul_f32_e32 v15, 0x37800000, v13
	v_cndmask_b32_e32 v13, v13, v15, vcc
	v_cmp_class_f32_e64 s[4:5], v3, v11
	s_and_b64 vcc, exec, s[2:3]
	s_nop 0
	v_cndmask_b32_e64 v3, v13, v3, s[4:5]
	s_cbranch_vccnz .LBB167_12
; %bb.11:
	global_load_dword v11, v14, s[10:11] offset:384
	s_waitcnt vmcnt(0)
	v_add_f32_e32 v3, v3, v11
.LBB167_12:
	s_waitcnt vmcnt(5)
	v_mul_f32_e32 v11, 0x3fb8aa3b, v4
	v_exp_f32_e32 v11, v11
	v_mov_b32_e32 v13, 0x4f800000
	v_add_f32_e32 v11, 1.0, v11
	v_cmp_gt_f32_e32 vcc, s14, v11
	s_nop 1
	v_cndmask_b32_e32 v15, 1.0, v13, vcc
	v_mul_f32_e32 v11, v11, v15
	v_log_f32_e32 v11, v11
	s_nop 0
	v_mul_f32_e32 v15, 0x3f317217, v11
	v_fma_f32 v15, v11, s7, -v15
	v_fmac_f32_e32 v15, 0x3377d1cf, v11
	v_fmac_f32_e32 v15, 0x3f317217, v11
	v_cmp_lt_f32_e64 s[4:5], |v11|, s12
	s_nop 1
	v_cndmask_b32_e64 v11, v11, v15, s[4:5]
	v_mov_b32_e32 v15, 0x41b17218
	v_cndmask_b32_e32 v16, 0, v15, vcc
	v_sub_f32_e32 v11, v11, v16
	v_cmp_lt_f32_e32 vcc, s6, v4
	s_nop 1
	v_cndmask_b32_e32 v4, v11, v4, vcc
	v_mul_f32_e32 v11, 0x4f800000, v4
	v_cmp_gt_f32_e32 vcc, s13, v4
	s_nop 1
	v_cndmask_b32_e32 v4, v4, v11, vcc
	v_sqrt_f32_e32 v11, v4
	s_nop 0
	v_add_u32_e32 v16, -1, v11
	v_fma_f32 v17, -v16, v11, v4
	v_cmp_ge_f32_e64 s[4:5], 0, v17
	v_add_u32_e32 v17, 1, v11
	s_nop 0
	v_cndmask_b32_e64 v16, v11, v16, s[4:5]
	v_fma_f32 v11, -v17, v11, v4
	v_cmp_lt_f32_e64 s[4:5], 0, v11
	s_nop 1
	v_cndmask_b32_e64 v11, v16, v17, s[4:5]
	v_mul_f32_e32 v16, 0x37800000, v11
	v_cndmask_b32_e32 v16, v11, v16, vcc
	v_mov_b32_e32 v11, 0x260
	v_cmp_class_f32_e64 s[4:5], v4, v11
	s_and_b64 vcc, exec, s[2:3]
	s_nop 0
	v_cndmask_b32_e64 v4, v16, v4, s[4:5]
	s_cbranch_vccnz .LBB167_14
; %bb.13:
	global_load_dword v16, v14, s[10:11] offset:512
	s_waitcnt vmcnt(0)
	v_add_f32_e32 v4, v4, v16
.LBB167_14:
	s_waitcnt vmcnt(4)
	v_mul_f32_e32 v16, 0x3fb8aa3b, v5
	v_exp_f32_e32 v16, v16
	s_nop 0
	v_add_f32_e32 v16, 1.0, v16
	v_cmp_gt_f32_e32 vcc, s14, v16
	s_nop 1
	v_cndmask_b32_e32 v13, 1.0, v13, vcc
	v_mul_f32_e32 v13, v16, v13
	v_log_f32_e32 v13, v13
	v_cndmask_b32_e32 v15, 0, v15, vcc
	v_mul_f32_e32 v16, 0x3f317217, v13
	v_fma_f32 v16, v13, s7, -v16
	v_fmac_f32_e32 v16, 0x3377d1cf, v13
	v_fmac_f32_e32 v16, 0x3f317217, v13
	v_cmp_lt_f32_e64 vcc, |v13|, s12
	s_nop 1
	v_cndmask_b32_e32 v13, v13, v16, vcc
	v_sub_f32_e32 v13, v13, v15
	v_cmp_lt_f32_e32 vcc, s6, v5
	s_nop 1
	v_cndmask_b32_e32 v5, v13, v5, vcc
	v_mul_f32_e32 v13, 0x4f800000, v5
	v_cmp_gt_f32_e32 vcc, s13, v5
	s_nop 1
	v_cndmask_b32_e32 v5, v5, v13, vcc
	v_sqrt_f32_e32 v13, v5
	s_nop 0
	v_add_u32_e32 v15, -1, v13
	v_add_u32_e32 v16, 1, v13
	v_fma_f32 v17, -v15, v13, v5
	v_fma_f32 v18, -v16, v13, v5
	v_cmp_ge_f32_e64 s[4:5], 0, v17
	s_nop 1
	v_cndmask_b32_e64 v13, v13, v15, s[4:5]
	v_cmp_lt_f32_e64 s[4:5], 0, v18
	s_nop 1
	v_cndmask_b32_e64 v13, v13, v16, s[4:5]
	v_mul_f32_e32 v15, 0x37800000, v13
	v_cndmask_b32_e32 v13, v13, v15, vcc
	v_cmp_class_f32_e64 s[4:5], v5, v11
	s_and_b64 vcc, exec, s[2:3]
	s_nop 0
	v_cndmask_b32_e64 v5, v13, v5, s[4:5]
	s_cbranch_vccnz .LBB167_16
; %bb.15:
	global_load_dword v11, v14, s[10:11] offset:640
	s_waitcnt vmcnt(0)
	v_add_f32_e32 v5, v5, v11
.LBB167_16:
	s_waitcnt vmcnt(3)
	v_mul_f32_e32 v11, 0x3fb8aa3b, v6
	v_exp_f32_e32 v11, v11
	v_mov_b32_e32 v13, 0x4f800000
	v_add_f32_e32 v11, 1.0, v11
	v_cmp_gt_f32_e32 vcc, s14, v11
	s_nop 1
	v_cndmask_b32_e32 v15, 1.0, v13, vcc
	v_mul_f32_e32 v11, v11, v15
	v_log_f32_e32 v11, v11
	s_nop 0
	v_mul_f32_e32 v15, 0x3f317217, v11
	v_fma_f32 v15, v11, s7, -v15
	v_fmac_f32_e32 v15, 0x3377d1cf, v11
	v_fmac_f32_e32 v15, 0x3f317217, v11
	v_cmp_lt_f32_e64 s[4:5], |v11|, s12
	s_nop 1
	v_cndmask_b32_e64 v11, v11, v15, s[4:5]
	v_mov_b32_e32 v15, 0x41b17218
	v_cndmask_b32_e32 v16, 0, v15, vcc
	v_sub_f32_e32 v11, v11, v16
	v_cmp_lt_f32_e32 vcc, s6, v6
	s_nop 1
	v_cndmask_b32_e32 v6, v11, v6, vcc
	v_mul_f32_e32 v11, 0x4f800000, v6
	v_cmp_gt_f32_e32 vcc, s13, v6
	s_nop 1
	v_cndmask_b32_e32 v6, v6, v11, vcc
	v_sqrt_f32_e32 v11, v6
	s_nop 0
	v_add_u32_e32 v16, -1, v11
	v_fma_f32 v17, -v16, v11, v6
	v_cmp_ge_f32_e64 s[4:5], 0, v17
	v_add_u32_e32 v17, 1, v11
	s_nop 0
	v_cndmask_b32_e64 v16, v11, v16, s[4:5]
	v_fma_f32 v11, -v17, v11, v6
	v_cmp_lt_f32_e64 s[4:5], 0, v11
	s_nop 1
	v_cndmask_b32_e64 v11, v16, v17, s[4:5]
	v_mul_f32_e32 v16, 0x37800000, v11
	v_cndmask_b32_e32 v16, v11, v16, vcc
	v_mov_b32_e32 v11, 0x260
	v_cmp_class_f32_e64 s[4:5], v6, v11
	s_and_b64 vcc, exec, s[2:3]
	s_nop 0
	v_cndmask_b32_e64 v6, v16, v6, s[4:5]
	s_cbranch_vccnz .LBB167_18
; %bb.17:
	global_load_dword v16, v14, s[10:11] offset:768
	s_waitcnt vmcnt(0)
	v_add_f32_e32 v6, v6, v16
.LBB167_18:
	s_waitcnt vmcnt(2)
	v_mul_f32_e32 v16, 0x3fb8aa3b, v7
	v_exp_f32_e32 v16, v16
	s_nop 0
	v_add_f32_e32 v16, 1.0, v16
	v_cmp_gt_f32_e32 vcc, s14, v16
	s_nop 1
	v_cndmask_b32_e32 v13, 1.0, v13, vcc
	v_mul_f32_e32 v13, v16, v13
	v_log_f32_e32 v13, v13
	v_cndmask_b32_e32 v15, 0, v15, vcc
	v_mul_f32_e32 v16, 0x3f317217, v13
	v_fma_f32 v16, v13, s7, -v16
	v_fmac_f32_e32 v16, 0x3377d1cf, v13
	v_fmac_f32_e32 v16, 0x3f317217, v13
	v_cmp_lt_f32_e64 vcc, |v13|, s12
	s_nop 1
	v_cndmask_b32_e32 v13, v13, v16, vcc
	v_sub_f32_e32 v13, v13, v15
	v_cmp_lt_f32_e32 vcc, s6, v7
	s_nop 1
	v_cndmask_b32_e32 v7, v13, v7, vcc
	v_mul_f32_e32 v13, 0x4f800000, v7
	v_cmp_gt_f32_e32 vcc, s13, v7
	s_nop 1
	v_cndmask_b32_e32 v7, v7, v13, vcc
	v_sqrt_f32_e32 v13, v7
	s_nop 0
	v_add_u32_e32 v15, -1, v13
	v_add_u32_e32 v16, 1, v13
	v_fma_f32 v17, -v15, v13, v7
	v_fma_f32 v18, -v16, v13, v7
	v_cmp_ge_f32_e64 s[4:5], 0, v17
	s_nop 1
	v_cndmask_b32_e64 v13, v13, v15, s[4:5]
	v_cmp_lt_f32_e64 s[4:5], 0, v18
	s_nop 1
	v_cndmask_b32_e64 v13, v13, v16, s[4:5]
	v_mul_f32_e32 v15, 0x37800000, v13
	v_cndmask_b32_e32 v13, v13, v15, vcc
	v_cmp_class_f32_e64 s[4:5], v7, v11
	s_and_b64 vcc, exec, s[2:3]
	s_nop 0
	v_cndmask_b32_e64 v7, v13, v7, s[4:5]
	s_cbranch_vccnz .LBB167_20
; %bb.19:
	global_load_dword v11, v14, s[10:11] offset:896
	s_waitcnt vmcnt(0)
	v_add_f32_e32 v7, v7, v11
.LBB167_20:
	s_waitcnt vmcnt(1)
	v_mul_f32_e32 v11, 0x3fb8aa3b, v8
	v_exp_f32_e32 v11, v11
	v_mov_b32_e32 v13, 0x4f800000
	v_add_f32_e32 v11, 1.0, v11
	v_cmp_gt_f32_e32 vcc, s14, v11
	s_nop 1
	v_cndmask_b32_e32 v15, 1.0, v13, vcc
	v_mul_f32_e32 v11, v11, v15
	v_log_f32_e32 v11, v11
	s_nop 0
	v_mul_f32_e32 v15, 0x3f317217, v11
	v_fma_f32 v15, v11, s7, -v15
	v_fmac_f32_e32 v15, 0x3377d1cf, v11
	v_fmac_f32_e32 v15, 0x3f317217, v11
	v_cmp_lt_f32_e64 s[4:5], |v11|, s12
	s_nop 1
	v_cndmask_b32_e64 v11, v11, v15, s[4:5]
	v_mov_b32_e32 v15, 0x41b17218
	v_cndmask_b32_e32 v16, 0, v15, vcc
	v_sub_f32_e32 v11, v11, v16
	v_cmp_lt_f32_e32 vcc, s6, v8
	s_nop 1
	v_cndmask_b32_e32 v8, v11, v8, vcc
	v_mul_f32_e32 v11, 0x4f800000, v8
	v_cmp_gt_f32_e32 vcc, s13, v8
	s_nop 1
	v_cndmask_b32_e32 v8, v8, v11, vcc
	v_sqrt_f32_e32 v11, v8
	s_nop 0
	v_add_u32_e32 v16, -1, v11
	v_fma_f32 v17, -v16, v11, v8
	v_cmp_ge_f32_e64 s[4:5], 0, v17
	v_add_u32_e32 v17, 1, v11
	s_nop 0
	v_cndmask_b32_e64 v16, v11, v16, s[4:5]
	v_fma_f32 v11, -v17, v11, v8
	v_cmp_lt_f32_e64 s[4:5], 0, v11
	s_nop 1
	v_cndmask_b32_e64 v11, v16, v17, s[4:5]
	v_mul_f32_e32 v16, 0x37800000, v11
	v_cndmask_b32_e32 v16, v11, v16, vcc
	v_mov_b32_e32 v11, 0x260
	v_cmp_class_f32_e64 s[4:5], v8, v11
	s_and_b64 vcc, exec, s[2:3]
	s_nop 0
	v_cndmask_b32_e64 v8, v16, v8, s[4:5]
	s_cbranch_vccnz .LBB167_22
; %bb.21:
	global_load_dword v16, v14, s[10:11] offset:1024
	s_waitcnt vmcnt(0)
	v_add_f32_e32 v8, v8, v16
.LBB167_22:
	s_waitcnt vmcnt(0)
	v_mul_f32_e32 v16, 0x3fb8aa3b, v9
	v_exp_f32_e32 v16, v16
	s_nop 0
	v_add_f32_e32 v16, 1.0, v16
	v_cmp_gt_f32_e32 vcc, s14, v16
	s_nop 1
	v_cndmask_b32_e32 v13, 1.0, v13, vcc
	v_mul_f32_e32 v13, v16, v13
	v_log_f32_e32 v13, v13
	v_cndmask_b32_e32 v15, 0, v15, vcc
	v_mul_f32_e32 v16, 0x3f317217, v13
	v_fma_f32 v16, v13, s7, -v16
	v_fmac_f32_e32 v16, 0x3377d1cf, v13
	v_fmac_f32_e32 v16, 0x3f317217, v13
	v_cmp_lt_f32_e64 vcc, |v13|, s12
	s_nop 1
	v_cndmask_b32_e32 v13, v13, v16, vcc
	v_sub_f32_e32 v13, v13, v15
	v_cmp_lt_f32_e32 vcc, s6, v9
	s_nop 1
	v_cndmask_b32_e32 v9, v13, v9, vcc
	v_mul_f32_e32 v13, 0x4f800000, v9
	v_cmp_gt_f32_e32 vcc, s13, v9
	s_nop 1
	v_cndmask_b32_e32 v9, v9, v13, vcc
	v_sqrt_f32_e32 v13, v9
	s_nop 0
	v_add_u32_e32 v15, -1, v13
	v_add_u32_e32 v16, 1, v13
	v_fma_f32 v17, -v15, v13, v9
	v_fma_f32 v18, -v16, v13, v9
	v_cmp_ge_f32_e64 s[4:5], 0, v17
	s_nop 1
	v_cndmask_b32_e64 v13, v13, v15, s[4:5]
	v_cmp_lt_f32_e64 s[4:5], 0, v18
	s_nop 1
	v_cndmask_b32_e64 v13, v13, v16, s[4:5]
	v_mul_f32_e32 v15, 0x37800000, v13
	v_cndmask_b32_e32 v13, v13, v15, vcc
	v_cmp_class_f32_e64 s[4:5], v9, v11
	s_and_b64 vcc, exec, s[2:3]
	s_nop 0
	v_cndmask_b32_e64 v9, v13, v9, s[4:5]
	s_cbranch_vccnz .LBB167_24
; %bb.23:
	global_load_dword v11, v14, s[10:11] offset:1152
	s_waitcnt vmcnt(0)
	v_add_f32_e32 v9, v9, v11
.LBB167_24:
	s_load_dwordx4 s[12:15], s[0:1], 0x30
	s_mov_b32 s31, 0
	v_cmp_eq_u32_e64 s[6:7], 0, v12
	s_waitcnt lgkmcnt(0)
	s_bitcmp1_b32 s15, 0
	s_cselect_b64 s[4:5], -1, 0
	s_cmp_gt_i32 s12, 0
	s_cselect_b64 s[24:25], -1, 0
	s_and_b64 vcc, exec, s[24:25]
	s_cbranch_vccz .LBB167_51
; %bb.25:
	v_mbcnt_lo_u32_b32 v11, -1, 0
	v_mbcnt_hi_u32_b32 v14, -1, v11
	v_and_b32_e32 v11, 0x60, v14
	v_add_u32_e32 v15, 32, v11
	v_xor_b32_e32 v16, 16, v14
	v_cmp_lt_i32_e32 vcc, v16, v15
	s_load_dwordx4 s[16:19], s[0:1], 0x20
	v_mul_lo_u32 v11, v10, s12
	v_cndmask_b32_e32 v16, v14, v16, vcc
	v_lshlrev_b32_e32 v25, 2, v16
	v_xor_b32_e32 v16, 8, v14
	v_cmp_lt_i32_e32 vcc, v16, v15
	v_or_b32_e32 v13, 32, v12
	v_or_b32_e32 v17, 64, v12
	v_cndmask_b32_e32 v16, v14, v16, vcc
	v_lshlrev_b32_e32 v26, 2, v16
	v_xor_b32_e32 v16, 4, v14
	v_cmp_lt_i32_e32 vcc, v16, v15
	v_or_b32_e32 v18, 0x60, v12
	v_or_b32_e32 v19, 0x80, v12
	;; [unrolled: 6-line block ×4, first 2 shown]
	v_cndmask_b32_e32 v14, v14, v16, vcc
	v_or_b32_e32 v24, 0x120, v12
	v_lshlrev_b32_e32 v29, 2, v14
	v_mov_b32_e32 v16, 0
	v_mov_b32_e32 v30, 0x140
	;; [unrolled: 1-line block ×4, first 2 shown]
	s_branch .LBB167_28
.LBB167_26:                             ;   in Loop: Header=BB167_28 Depth=1
	s_waitcnt lgkmcnt(0)
	v_add_u32_e32 v34, s31, v11
	v_ashrrev_i32_e32 v35, 31, v34
	v_cmp_le_i32_e32 vcc, s13, v14
	v_cmp_gt_i32_e64 s[0:1], s14, v14
	v_lshlrev_b64 v[36:37], 2, v[34:35]
	s_and_b64 s[0:1], vcc, s[0:1]
	v_lshl_add_u64 v[38:39], s[20:21], 0, v[36:37]
	v_subrev_u32_e32 v15, s13, v14
	global_store_dword v[38:39], v33, off
	v_ashrrev_i32_e32 v38, 31, v15
	s_and_b64 vcc, s[22:23], s[0:1]
	v_cndmask_b32_e32 v39, 0, v38, vcc
	v_cndmask_b32_e32 v38, v30, v15, vcc
	v_lshl_add_u64 v[34:35], v[34:35], 3, s[16:17]
	v_add_f32_e32 v15, v16, v33
	global_store_dwordx2 v[34:35], v[38:39], off
	v_lshl_add_u64 v[34:35], s[18:19], 0, v[36:37]
	v_cndmask_b32_e64 v16, v16, v15, s[4:5]
	global_store_dword v[34:35], v32, off
.LBB167_27:                             ;   in Loop: Header=BB167_28 Depth=1
	s_or_b64 exec, exec, s[26:27]
	v_ashrrev_i32_e32 v15, 31, v14
	v_lshrrev_b32_e32 v15, 27, v15
	v_add_u32_e32 v15, v14, v15
	v_and_b32_e32 v33, 0xffffffe0, v15
	v_sub_u32_e32 v14, v14, v33
	s_add_i32 s31, s31, 1
	v_cmp_eq_u32_e32 vcc, v12, v14
	s_cmp_lt_i32 s31, s12
	v_ashrrev_i32_e32 v14, 5, v15
	s_cselect_b64 s[26:27], -1, 0
	v_cmp_ne_u32_e64 s[0:1], 9, v14
	s_and_b64 vcc, s[26:27], vcc
	s_cmp_eq_u32 s12, s31
	v_cndmask_b32_e64 v15, v31, v9, s[0:1]
	v_cmp_ne_u32_e64 s[0:1], 8, v14
	v_cndmask_b32_e32 v9, v9, v15, vcc
	v_add_u32_e32 v32, s30, v32
	v_cndmask_b32_e64 v15, v31, v8, s[0:1]
	v_cmp_ne_u32_e64 s[0:1], 7, v14
	v_cndmask_b32_e32 v8, v8, v15, vcc
	s_nop 0
	v_cndmask_b32_e64 v15, v31, v7, s[0:1]
	v_cmp_ne_u32_e64 s[0:1], 6, v14
	v_cndmask_b32_e32 v7, v7, v15, vcc
	s_nop 0
	;; [unrolled: 4-line block ×8, first 2 shown]
	v_cndmask_b32_e64 v14, v31, v0, s[0:1]
	v_cndmask_b32_e32 v0, v0, v14, vcc
	s_cbranch_scc1 .LBB167_52
.LBB167_28:                             ; =>This Inner Loop Header: Depth=1
	v_cmp_gt_f32_e32 vcc, v1, v0
	s_nop 1
	v_cndmask_b32_e32 v15, v0, v1, vcc
	v_cndmask_b32_e32 v14, v12, v13, vcc
	v_cmp_gt_f32_e32 vcc, v2, v15
	s_nop 1
	v_cndmask_b32_e32 v15, v15, v2, vcc
	v_cndmask_b32_e32 v14, v14, v17, vcc
	;; [unrolled: 4-line block ×9, first 2 shown]
	ds_bpermute_b32 v15, v25, v33
	s_waitcnt lgkmcnt(0)
	ds_bpermute_b32 v34, v25, v14
	s_waitcnt lgkmcnt(0)
	v_cmp_lt_f32_e64 s[26:27], v33, v15
	v_cmp_nlt_f32_e32 vcc, v33, v15
	s_and_saveexec_b64 s[28:29], vcc
; %bb.29:                               ;   in Loop: Header=BB167_28 Depth=1
	v_cmp_eq_f32_e32 vcc, v33, v15
	v_cmp_lt_i32_e64 s[0:1], v34, v14
	s_and_b64 s[0:1], vcc, s[0:1]
	s_andn2_b64 s[26:27], s[26:27], exec
	s_and_b64 s[0:1], s[0:1], exec
	s_or_b64 s[26:27], s[26:27], s[0:1]
; %bb.30:                               ;   in Loop: Header=BB167_28 Depth=1
	s_or_b64 exec, exec, s[28:29]
	s_and_saveexec_b64 s[0:1], s[26:27]
; %bb.31:                               ;   in Loop: Header=BB167_28 Depth=1
	v_mov_b32_e32 v33, v15
	v_mov_b32_e32 v14, v34
; %bb.32:                               ;   in Loop: Header=BB167_28 Depth=1
	s_or_b64 exec, exec, s[0:1]
	ds_bpermute_b32 v15, v26, v33
	ds_bpermute_b32 v34, v26, v14
	s_waitcnt lgkmcnt(1)
	v_cmp_lt_f32_e64 s[26:27], v33, v15
	v_cmp_nlt_f32_e32 vcc, v33, v15
	s_and_saveexec_b64 s[28:29], vcc
	s_cbranch_execz .LBB167_34
; %bb.33:                               ;   in Loop: Header=BB167_28 Depth=1
	v_cmp_eq_f32_e32 vcc, v33, v15
	s_waitcnt lgkmcnt(0)
	v_cmp_lt_i32_e64 s[0:1], v34, v14
	s_and_b64 s[0:1], vcc, s[0:1]
	s_andn2_b64 s[26:27], s[26:27], exec
	s_and_b64 s[0:1], s[0:1], exec
	s_or_b64 s[26:27], s[26:27], s[0:1]
.LBB167_34:                             ;   in Loop: Header=BB167_28 Depth=1
	s_or_b64 exec, exec, s[28:29]
	s_and_saveexec_b64 s[0:1], s[26:27]
	s_cbranch_execz .LBB167_36
; %bb.35:                               ;   in Loop: Header=BB167_28 Depth=1
	v_mov_b32_e32 v33, v15
	s_waitcnt lgkmcnt(0)
	v_mov_b32_e32 v14, v34
.LBB167_36:                             ;   in Loop: Header=BB167_28 Depth=1
	s_or_b64 exec, exec, s[0:1]
	ds_bpermute_b32 v15, v27, v33
	s_waitcnt lgkmcnt(1)
	ds_bpermute_b32 v34, v27, v14
	s_waitcnt lgkmcnt(1)
	v_cmp_lt_f32_e64 s[26:27], v33, v15
	v_cmp_nlt_f32_e32 vcc, v33, v15
	s_and_saveexec_b64 s[28:29], vcc
	s_cbranch_execz .LBB167_38
; %bb.37:                               ;   in Loop: Header=BB167_28 Depth=1
	v_cmp_eq_f32_e32 vcc, v33, v15
	s_waitcnt lgkmcnt(0)
	v_cmp_lt_i32_e64 s[0:1], v34, v14
	s_and_b64 s[0:1], vcc, s[0:1]
	s_andn2_b64 s[26:27], s[26:27], exec
	s_and_b64 s[0:1], s[0:1], exec
	s_or_b64 s[26:27], s[26:27], s[0:1]
.LBB167_38:                             ;   in Loop: Header=BB167_28 Depth=1
	s_or_b64 exec, exec, s[28:29]
	s_and_saveexec_b64 s[0:1], s[26:27]
	s_cbranch_execz .LBB167_40
; %bb.39:                               ;   in Loop: Header=BB167_28 Depth=1
	v_mov_b32_e32 v33, v15
	s_waitcnt lgkmcnt(0)
	v_mov_b32_e32 v14, v34
.LBB167_40:                             ;   in Loop: Header=BB167_28 Depth=1
	s_or_b64 exec, exec, s[0:1]
	ds_bpermute_b32 v15, v28, v33
	s_waitcnt lgkmcnt(1)
	;; [unrolled: 26-line block ×3, first 2 shown]
	ds_bpermute_b32 v34, v29, v14
	s_waitcnt lgkmcnt(1)
	v_cmp_lt_f32_e64 s[26:27], v33, v15
	v_cmp_nlt_f32_e32 vcc, v33, v15
	s_and_saveexec_b64 s[28:29], vcc
	s_cbranch_execnz .LBB167_47
; %bb.45:                               ;   in Loop: Header=BB167_28 Depth=1
	s_or_b64 exec, exec, s[28:29]
	s_and_saveexec_b64 s[0:1], s[26:27]
	s_cbranch_execnz .LBB167_48
.LBB167_46:                             ;   in Loop: Header=BB167_28 Depth=1
	s_or_b64 exec, exec, s[0:1]
	s_and_saveexec_b64 s[26:27], s[6:7]
	s_cbranch_execz .LBB167_27
	s_branch .LBB167_49
.LBB167_47:                             ;   in Loop: Header=BB167_28 Depth=1
	v_cmp_eq_f32_e32 vcc, v33, v15
	s_waitcnt lgkmcnt(0)
	v_cmp_lt_i32_e64 s[0:1], v34, v14
	s_and_b64 s[0:1], vcc, s[0:1]
	s_andn2_b64 s[26:27], s[26:27], exec
	s_and_b64 s[0:1], s[0:1], exec
	s_or_b64 s[26:27], s[26:27], s[0:1]
	s_or_b64 exec, exec, s[28:29]
	s_and_saveexec_b64 s[0:1], s[26:27]
	s_cbranch_execz .LBB167_46
.LBB167_48:                             ;   in Loop: Header=BB167_28 Depth=1
	s_waitcnt lgkmcnt(0)
	v_mov_b32_e32 v14, v34
	v_mov_b32_e32 v33, v15
	s_or_b64 exec, exec, s[0:1]
	s_and_saveexec_b64 s[26:27], s[6:7]
	s_cbranch_execz .LBB167_27
.LBB167_49:                             ;   in Loop: Header=BB167_28 Depth=1
	s_and_b64 vcc, exec, s[2:3]
	s_cbranch_vccnz .LBB167_26
; %bb.50:                               ;   in Loop: Header=BB167_28 Depth=1
	v_ashrrev_i32_e32 v15, 31, v14
	s_waitcnt lgkmcnt(0)
	v_lshl_add_u64 v[34:35], v[14:15], 2, s[10:11]
	global_load_dword v15, v[34:35], off
	s_waitcnt vmcnt(0)
	v_sub_f32_e32 v33, v33, v15
	s_branch .LBB167_26
.LBB167_51:
	v_mov_b32_e32 v16, 0
.LBB167_52:
	v_cmp_eq_u32_e32 vcc, 0, v12
	s_and_b64 exec, exec, vcc
	s_cbranch_execz .LBB167_65
; %bb.53:
	s_andn2_b64 vcc, exec, s[4:5]
	v_cvt_f32_f64_e32 v0, s[8:9]
	s_cbranch_vccnz .LBB167_55
; %bb.54:
	v_cmp_lt_f32_e32 vcc, 0, v16
	s_nop 1
	v_cndmask_b32_e32 v1, 1.0, v16, vcc
	v_div_scale_f32 v2, s[0:1], v1, v1, v0
	v_rcp_f32_e32 v3, v2
	s_nop 0
	v_fma_f32 v4, -v2, v3, 1.0
	v_fmac_f32_e32 v3, v4, v3
	v_div_scale_f32 v4, vcc, v0, v1, v0
	v_mul_f32_e32 v5, v4, v3
	v_fma_f32 v6, -v2, v5, v4
	v_fmac_f32_e32 v5, v6, v3
	v_fma_f32 v2, -v2, v5, v4
	v_div_fmas_f32 v2, v2, v3, v5
	v_div_fixup_f32 v0, v2, v1, v0
.LBB167_55:
	s_andn2_b64 vcc, exec, s[24:25]
	s_cbranch_vccnz .LBB167_65
; %bb.56:
	v_mul_lo_u32 v2, v10, s12
	s_cmp_gt_u32 s12, 3
	v_ashrrev_i32_e32 v3, 31, v2
	s_cbranch_scc0 .LBB167_60
; %bb.57:
	s_and_b32 s0, s12, 0x7ffffffc
	v_lshl_add_u64 v[4:5], v[2:3], 2, s[20:21]
	v_mov_b32_e32 v1, v0
	v_lshl_add_u64 v[4:5], v[4:5], 0, 8
	s_mov_b32 s1, s0
.LBB167_58:                             ; =>This Inner Loop Header: Depth=1
	global_load_dwordx4 v[6:9], v[4:5], off offset:-8
	s_add_i32 s1, s1, -4
	s_cmp_lg_u32 s1, 0
	s_waitcnt vmcnt(0)
	v_pk_mul_f32 v[6:7], v[0:1], v[6:7]
	v_pk_mul_f32 v[8:9], v[0:1], v[8:9]
	global_store_dwordx4 v[4:5], v[6:9], off offset:-8
	v_lshl_add_u64 v[4:5], v[4:5], 0, 16
	s_cbranch_scc1 .LBB167_58
; %bb.59:
	s_cmp_lg_u32 s0, s12
	s_cselect_b64 s[2:3], -1, 0
	s_branch .LBB167_62
.LBB167_60:
	s_mov_b64 s[2:3], 0
                                        ; implicit-def: $sgpr0
	s_cbranch_execz .LBB167_62
; %bb.61:
	s_mov_b64 s[2:3], -1
	s_mov_b32 s0, 0
.LBB167_62:
	s_andn2_b64 vcc, exec, s[2:3]
	s_cbranch_vccnz .LBB167_65
; %bb.63:
	s_mov_b32 s1, 0
	v_lshl_add_u64 v[2:3], v[2:3], 0, s[0:1]
	s_sub_i32 s2, s12, s0
	v_lshl_add_u64 v[2:3], v[2:3], 2, s[20:21]
.LBB167_64:                             ; =>This Inner Loop Header: Depth=1
	global_load_dword v1, v[2:3], off
	s_add_i32 s2, s2, -1
	s_cmp_lg_u32 s2, 0
	s_waitcnt vmcnt(0)
	v_mul_f32_e32 v1, v0, v1
	global_store_dword v[2:3], v1, off
	v_lshl_add_u64 v[2:3], v[2:3], 0, 4
	s_cbranch_scc1 .LBB167_64
.LBB167_65:
	s_endpgm
	.section	.rodata,"a",@progbits
	.p2align	6, 0x0
	.amdhsa_kernel _ZN4vllm3moe22topkGatingSoftplusSqrtILi10ELi320ELi4ELi4ELi32ELb0ElfEEvPKT6_PKbPfiPT5_PiiiibdPKfPKS8_SE_
		.amdhsa_group_segment_fixed_size 0
		.amdhsa_private_segment_fixed_size 0
		.amdhsa_kernarg_size 96
		.amdhsa_user_sgpr_count 2
		.amdhsa_user_sgpr_dispatch_ptr 0
		.amdhsa_user_sgpr_queue_ptr 0
		.amdhsa_user_sgpr_kernarg_segment_ptr 1
		.amdhsa_user_sgpr_dispatch_id 0
		.amdhsa_user_sgpr_kernarg_preload_length 0
		.amdhsa_user_sgpr_kernarg_preload_offset 0
		.amdhsa_user_sgpr_private_segment_size 0
		.amdhsa_uses_dynamic_stack 0
		.amdhsa_enable_private_segment 0
		.amdhsa_system_sgpr_workgroup_id_x 1
		.amdhsa_system_sgpr_workgroup_id_y 0
		.amdhsa_system_sgpr_workgroup_id_z 0
		.amdhsa_system_sgpr_workgroup_info 0
		.amdhsa_system_vgpr_workitem_id 1
		.amdhsa_next_free_vgpr 40
		.amdhsa_next_free_sgpr 32
		.amdhsa_accum_offset 40
		.amdhsa_reserve_vcc 1
		.amdhsa_float_round_mode_32 0
		.amdhsa_float_round_mode_16_64 0
		.amdhsa_float_denorm_mode_32 3
		.amdhsa_float_denorm_mode_16_64 3
		.amdhsa_dx10_clamp 1
		.amdhsa_ieee_mode 1
		.amdhsa_fp16_overflow 0
		.amdhsa_tg_split 0
		.amdhsa_exception_fp_ieee_invalid_op 0
		.amdhsa_exception_fp_denorm_src 0
		.amdhsa_exception_fp_ieee_div_zero 0
		.amdhsa_exception_fp_ieee_overflow 0
		.amdhsa_exception_fp_ieee_underflow 0
		.amdhsa_exception_fp_ieee_inexact 0
		.amdhsa_exception_int_div_zero 0
	.end_amdhsa_kernel
	.section	.text._ZN4vllm3moe22topkGatingSoftplusSqrtILi10ELi320ELi4ELi4ELi32ELb0ElfEEvPKT6_PKbPfiPT5_PiiiibdPKfPKS8_SE_,"axG",@progbits,_ZN4vllm3moe22topkGatingSoftplusSqrtILi10ELi320ELi4ELi4ELi32ELb0ElfEEvPKT6_PKbPfiPT5_PiiiibdPKfPKS8_SE_,comdat
.Lfunc_end167:
	.size	_ZN4vllm3moe22topkGatingSoftplusSqrtILi10ELi320ELi4ELi4ELi32ELb0ElfEEvPKT6_PKbPfiPT5_PiiiibdPKfPKS8_SE_, .Lfunc_end167-_ZN4vllm3moe22topkGatingSoftplusSqrtILi10ELi320ELi4ELi4ELi32ELb0ElfEEvPKT6_PKbPfiPT5_PiiiibdPKfPKS8_SE_
                                        ; -- End function
	.section	.AMDGPU.csdata,"",@progbits
; Kernel info:
; codeLenInByte = 4836
; NumSgprs: 38
; NumVgprs: 40
; NumAgprs: 0
; TotalNumVgprs: 40
; ScratchSize: 0
; MemoryBound: 0
; FloatMode: 240
; IeeeMode: 1
; LDSByteSize: 0 bytes/workgroup (compile time only)
; SGPRBlocks: 4
; VGPRBlocks: 4
; NumSGPRsForWavesPerEU: 38
; NumVGPRsForWavesPerEU: 40
; AccumOffset: 40
; Occupancy: 8
; WaveLimiterHint : 1
; COMPUTE_PGM_RSRC2:SCRATCH_EN: 0
; COMPUTE_PGM_RSRC2:USER_SGPR: 2
; COMPUTE_PGM_RSRC2:TRAP_HANDLER: 0
; COMPUTE_PGM_RSRC2:TGID_X_EN: 1
; COMPUTE_PGM_RSRC2:TGID_Y_EN: 0
; COMPUTE_PGM_RSRC2:TGID_Z_EN: 0
; COMPUTE_PGM_RSRC2:TIDIG_COMP_CNT: 1
; COMPUTE_PGM_RSRC3_GFX90A:ACCUM_OFFSET: 9
; COMPUTE_PGM_RSRC3_GFX90A:TG_SPLIT: 0
	.section	.text._ZN4vllm3moe22topkGatingSoftplusSqrtILi6ELi384ELi4ELi8ELi64ELb1ElfEEvPKT6_PKbPfiPT5_PiiiibdPKfPKS8_SE_,"axG",@progbits,_ZN4vllm3moe22topkGatingSoftplusSqrtILi6ELi384ELi4ELi8ELi64ELb1ElfEEvPKT6_PKbPfiPT5_PiiiibdPKfPKS8_SE_,comdat
	.protected	_ZN4vllm3moe22topkGatingSoftplusSqrtILi6ELi384ELi4ELi8ELi64ELb1ElfEEvPKT6_PKbPfiPT5_PiiiibdPKfPKS8_SE_ ; -- Begin function _ZN4vllm3moe22topkGatingSoftplusSqrtILi6ELi384ELi4ELi8ELi64ELb1ElfEEvPKT6_PKbPfiPT5_PiiiibdPKfPKS8_SE_
	.globl	_ZN4vllm3moe22topkGatingSoftplusSqrtILi6ELi384ELi4ELi8ELi64ELb1ElfEEvPKT6_PKbPfiPT5_PiiiibdPKfPKS8_SE_
	.p2align	8
	.type	_ZN4vllm3moe22topkGatingSoftplusSqrtILi6ELi384ELi4ELi8ELi64ELb1ElfEEvPKT6_PKbPfiPT5_PiiiibdPKfPKS8_SE_,@function
_ZN4vllm3moe22topkGatingSoftplusSqrtILi6ELi384ELi4ELi8ELi64ELb1ElfEEvPKT6_PKbPfiPT5_PiiiibdPKfPKS8_SE_: ; @_ZN4vllm3moe22topkGatingSoftplusSqrtILi6ELi384ELi4ELi8ELi64ELb1ElfEEvPKT6_PKbPfiPT5_PiiiibdPKfPKS8_SE_
; %bb.0:
	s_load_dword s3, s[0:1], 0x18
	v_and_b32_e32 v1, 0x3ff, v0
	s_lshl_b32 s2, s2, 2
	v_lshrrev_b32_e32 v2, 6, v1
	v_bfe_u32 v0, v0, 10, 10
	v_add3_u32 v0, s2, v0, v2
	s_waitcnt lgkmcnt(0)
	v_cmp_gt_i32_e32 vcc, s3, v0
	s_and_saveexec_b64 s[2:3], vcc
	s_cbranch_execz .LBB168_31
; %bb.1:
	s_load_dwordx4 s[8:11], s[0:1], 0x50
	s_load_dwordx2 s[2:3], s[0:1], 0x0
	s_load_dword s12, s[0:1], 0x30
	s_movk_i32 s4, 0x180
	v_mul_lo_u32 v2, v0, s4
	v_lshlrev_b32_e32 v1, 1, v1
	v_ashrrev_i32_e32 v3, 31, v2
	v_and_b32_e32 v12, 0x7e, v1
	s_waitcnt lgkmcnt(0)
	v_mov_b32_e32 v4, s8
	v_mov_b32_e32 v5, s9
	v_lshl_add_u64 v[6:7], v[2:3], 2, s[2:3]
	v_lshlrev_b32_e32 v2, 2, v12
	v_mov_b32_e32 v3, 0
	v_ashrrev_i32_e32 v1, 31, v0
	v_lshl_add_u64 v[4:5], v[0:1], 3, v[4:5]
	v_lshl_add_u64 v[6:7], v[6:7], 0, v[2:3]
	global_load_dwordx2 v[4:5], v[4:5], off
	s_nop 0
	global_load_dwordx2 v[8:9], v[6:7], off
	global_load_dwordx2 v[10:11], v[6:7], off offset:512
	global_load_dwordx2 v[14:15], v[6:7], off offset:1024
	s_ashr_i32 s13, s12, 31
	s_mov_b32 s23, 0x800000
	v_mov_b32_e32 v1, 0x4f800000
	s_mov_b32 s21, 0x3f317217
	s_mov_b32 s22, 0x7f800000
	v_mov_b32_e32 v2, 0x41b17218
	s_mov_b32 s17, 0x41a00000
	s_mov_b32 s20, 0xf800000
	v_mov_b32_e32 v13, 0x260
	v_cmp_lt_i64_e64 s[18:19], s[12:13], 1
	s_mov_b32 s16, 0
	v_cmp_gt_i64_e64 s[14:15], s[12:13], 0
	v_mul_lo_u32 v0, v0, s12
	s_waitcnt vmcnt(2)
	v_mul_f32_e32 v6, 0x3fb8aa3b, v8
	v_mul_f32_e32 v7, 0x3fb8aa3b, v9
	v_exp_f32_e32 v6, v6
	v_exp_f32_e32 v7, v7
	s_waitcnt vmcnt(1)
	v_mul_f32_e32 v16, 0x3fb8aa3b, v10
	v_mul_f32_e32 v17, 0x3fb8aa3b, v11
	v_exp_f32_e32 v16, v16
	v_exp_f32_e32 v17, v17
	v_mul_lo_u32 v5, v5, s12
	v_mul_lo_u32 v20, v4, s13
	v_mad_u64_u32 v[18:19], s[2:3], v4, s12, 0
	v_add3_u32 v19, v19, v20, v5
	v_pk_add_f32 v[4:5], v[6:7], 1.0 op_sel_hi:[1,0]
	v_pk_add_f32 v[6:7], v[16:17], 1.0 op_sel_hi:[1,0]
	v_cmp_gt_f32_e32 vcc, s23, v5
	v_cmp_gt_f32_e64 s[2:3], s23, v4
	v_cmp_gt_f32_e64 s[4:5], s23, v7
	v_cndmask_b32_e32 v16, 1.0, v1, vcc
	v_cndmask_b32_e64 v17, 1.0, v1, s[2:3]
	v_mul_f32_e32 v5, v5, v16
	v_mul_f32_e32 v4, v4, v17
	v_log_f32_e32 v5, v5
	v_log_f32_e32 v4, v4
	v_cndmask_b32_e64 v20, 1.0, v1, s[4:5]
	v_cmp_gt_f32_e64 s[6:7], s23, v6
	v_mul_f32_e32 v7, v7, v20
	v_mul_f32_e32 v20, 0x3f317217, v5
	v_cndmask_b32_e64 v21, 1.0, v1, s[6:7]
	v_mul_f32_e32 v6, v6, v21
	v_mul_f32_e32 v21, 0x3f317217, v4
	v_fma_f32 v20, v5, s21, -v20
	v_fma_f32 v21, v4, s21, -v21
	v_fmac_f32_e32 v20, 0x3377d1cf, v5
	v_cndmask_b32_e32 v16, 0, v2, vcc
	v_fmac_f32_e32 v21, 0x3377d1cf, v4
	v_fmac_f32_e32 v20, 0x3f317217, v5
	v_cmp_lt_f32_e64 vcc, |v5|, s22
	v_fmac_f32_e32 v21, 0x3f317217, v4
	v_cndmask_b32_e64 v17, 0, v2, s[2:3]
	v_cndmask_b32_e32 v5, v5, v20, vcc
	v_cmp_lt_f32_e64 vcc, |v4|, s22
	v_sub_f32_e32 v5, v5, v16
	v_log_f32_e32 v7, v7
	v_cndmask_b32_e32 v4, v4, v21, vcc
	v_sub_f32_e32 v4, v4, v17
	v_cmp_lt_f32_e32 vcc, s17, v8
	v_mul_f32_e32 v22, 0x3f317217, v7
	v_log_f32_e32 v6, v6
	v_cndmask_b32_e32 v4, v4, v8, vcc
	v_cmp_lt_f32_e32 vcc, s17, v9
	v_cmp_gt_f32_e64 s[2:3], s20, v4
	v_fma_f32 v22, v7, s21, -v22
	v_cndmask_b32_e32 v5, v5, v9, vcc
	v_mul_f32_e32 v8, 0x4f800000, v5
	v_cmp_gt_f32_e32 vcc, s20, v5
	v_mul_f32_e32 v9, 0x4f800000, v4
	v_cndmask_b32_e64 v4, v4, v9, s[2:3]
	v_cndmask_b32_e32 v5, v5, v8, vcc
	v_sqrt_f32_e32 v8, v5
	v_sqrt_f32_e32 v9, v4
	v_fmac_f32_e32 v22, 0x3377d1cf, v7
	v_fmac_f32_e32 v22, 0x3f317217, v7
	v_add_u32_e32 v16, -1, v8
	v_add_u32_e32 v20, -1, v9
	v_fma_f32 v23, -v16, v8, v5
	v_add_u32_e32 v17, 1, v8
	v_fma_f32 v25, -v20, v9, v4
	v_cmp_ge_f32_e64 s[8:9], 0, v23
	v_add_u32_e32 v21, 1, v9
	v_fma_f32 v24, -v17, v8, v5
	v_cndmask_b32_e64 v8, v8, v16, s[8:9]
	v_cmp_ge_f32_e64 s[8:9], 0, v25
	v_fma_f32 v26, -v21, v9, v4
	s_nop 0
	v_cndmask_b32_e64 v9, v9, v20, s[8:9]
	v_cmp_lt_f32_e64 s[8:9], 0, v24
	s_nop 1
	v_cndmask_b32_e64 v8, v8, v17, s[8:9]
	v_cmp_lt_f32_e64 s[8:9], 0, v26
	v_mul_f32_e32 v16, 0x37800000, v8
	v_cndmask_b32_e32 v8, v8, v16, vcc
	v_cndmask_b32_e64 v9, v9, v21, s[8:9]
	v_mul_f32_e32 v17, 0x37800000, v9
	v_cmp_class_f32_e32 vcc, v5, v13
	v_cndmask_b32_e64 v9, v9, v17, s[2:3]
	v_cmp_lt_f32_e64 s[2:3], s17, v10
	v_cndmask_b32_e32 v5, v8, v5, vcc
	v_cmp_class_f32_e32 vcc, v4, v13
	v_cndmask_b32_e64 v8, 0, v2, s[4:5]
	s_nop 0
	v_cndmask_b32_e32 v4, v9, v4, vcc
	v_cmp_lt_f32_e64 vcc, |v7|, s22
	s_nop 1
	v_cndmask_b32_e32 v7, v7, v22, vcc
	v_sub_f32_e32 v7, v7, v8
	v_mul_f32_e32 v8, 0x3f317217, v6
	v_fma_f32 v8, v6, s21, -v8
	v_fmac_f32_e32 v8, 0x3377d1cf, v6
	v_fmac_f32_e32 v8, 0x3f317217, v6
	v_cmp_lt_f32_e64 vcc, |v6|, s22
	s_nop 1
	v_cndmask_b32_e32 v6, v6, v8, vcc
	v_cmp_lt_f32_e32 vcc, s17, v11
	v_cndmask_b32_e64 v8, 0, v2, s[6:7]
	v_sub_f32_e32 v6, v6, v8
	v_cndmask_b32_e32 v7, v7, v11, vcc
	v_mul_f32_e32 v9, 0x4f800000, v7
	v_cmp_gt_f32_e32 vcc, s20, v7
	v_cndmask_b32_e64 v6, v6, v10, s[2:3]
	s_nop 0
	v_cndmask_b32_e32 v7, v7, v9, vcc
	v_sqrt_f32_e32 v9, v7
	s_nop 0
	v_add_u32_e32 v8, -1, v9
	v_fma_f32 v10, -v8, v9, v7
	v_cmp_ge_f32_e64 s[2:3], 0, v10
	v_add_u32_e32 v10, 1, v9
	s_nop 0
	v_cndmask_b32_e64 v8, v9, v8, s[2:3]
	v_fma_f32 v9, -v10, v9, v7
	v_cmp_lt_f32_e64 s[2:3], 0, v9
	s_nop 1
	v_cndmask_b32_e64 v8, v8, v10, s[2:3]
	v_mul_f32_e32 v10, 0x4f800000, v6
	v_cmp_gt_f32_e64 s[2:3], s20, v6
	v_mul_f32_e32 v9, 0x37800000, v8
	v_cndmask_b32_e32 v8, v8, v9, vcc
	v_cndmask_b32_e64 v6, v6, v10, s[2:3]
	v_sqrt_f32_e32 v10, v6
	v_cmp_class_f32_e32 vcc, v7, v13
	v_add_u32_e32 v16, 1, v10
	s_nop 0
	v_cndmask_b32_e32 v7, v8, v7, vcc
	v_add_u32_e32 v8, -1, v10
	v_fma_f32 v9, -v8, v10, v6
	v_cmp_ge_f32_e32 vcc, 0, v9
	s_waitcnt vmcnt(0)
	v_mul_f32_e32 v9, 0x3fb8aa3b, v15
	v_exp_f32_e32 v9, v9
	v_cndmask_b32_e32 v11, v10, v8, vcc
	v_mul_f32_e32 v8, 0x3fb8aa3b, v14
	v_exp_f32_e32 v8, v8
	v_fma_f32 v10, -v16, v10, v6
	v_cmp_lt_f32_e32 vcc, 0, v10
	v_pk_add_f32 v[8:9], v[8:9], 1.0 op_sel_hi:[1,0]
	s_nop 0
	v_cndmask_b32_e32 v10, v11, v16, vcc
	v_mul_f32_e32 v11, 0x37800000, v10
	v_cmp_gt_f32_e32 vcc, s23, v9
	v_cndmask_b32_e64 v10, v10, v11, s[2:3]
	v_cmp_class_f32_e64 s[2:3], v6, v13
	v_cndmask_b32_e32 v11, 1.0, v1, vcc
	v_mul_f32_e32 v9, v9, v11
	v_log_f32_e32 v9, v9
	v_cndmask_b32_e64 v6, v10, v6, s[2:3]
	v_cmp_gt_f32_e64 s[2:3], s23, v8
	scratch_store_dwordx4 off, v[4:7], off
	v_cmp_lt_f32_e64 s[4:5], |v9|, s22
	v_cndmask_b32_e64 v1, 1.0, v1, s[2:3]
	v_mul_f32_e32 v4, 0x3f317217, v9
	v_mul_f32_e32 v1, v8, v1
	v_fma_f32 v4, v9, s21, -v4
	v_log_f32_e32 v1, v1
	v_fmac_f32_e32 v4, 0x3377d1cf, v9
	v_fmac_f32_e32 v4, 0x3f317217, v9
	v_cndmask_b32_e64 v4, v9, v4, s[4:5]
	v_cndmask_b32_e32 v5, 0, v2, vcc
	v_sub_f32_e32 v4, v4, v5
	v_mul_f32_e32 v5, 0x3f317217, v1
	v_fma_f32 v5, v1, s21, -v5
	v_fmac_f32_e32 v5, 0x3377d1cf, v1
	v_fmac_f32_e32 v5, 0x3f317217, v1
	v_cmp_lt_f32_e64 vcc, |v1|, s22
	v_cndmask_b32_e64 v2, 0, v2, s[2:3]
	v_cmp_lt_f32_e64 s[2:3], s17, v14
	v_cndmask_b32_e32 v1, v1, v5, vcc
	v_cmp_lt_f32_e32 vcc, s17, v15
	v_sub_f32_e32 v1, v1, v2
	v_cndmask_b32_e64 v1, v1, v14, s[2:3]
	v_cndmask_b32_e32 v4, v4, v15, vcc
	v_mul_f32_e32 v5, 0x4f800000, v4
	v_cmp_gt_f32_e32 vcc, s20, v4
	s_nop 1
	v_cndmask_b32_e32 v4, v4, v5, vcc
	v_sqrt_f32_e32 v5, v4
	s_nop 0
	v_add_u32_e32 v2, -1, v5
	v_fma_f32 v6, -v2, v5, v4
	v_cmp_ge_f32_e64 s[2:3], 0, v6
	v_add_u32_e32 v6, 1, v5
	s_nop 0
	v_cndmask_b32_e64 v2, v5, v2, s[2:3]
	v_fma_f32 v5, -v6, v5, v4
	v_cmp_lt_f32_e64 s[2:3], 0, v5
	s_nop 1
	v_cndmask_b32_e64 v2, v2, v6, s[2:3]
	v_mul_f32_e32 v6, 0x4f800000, v1
	v_cmp_gt_f32_e64 s[2:3], s20, v1
	v_mul_f32_e32 v5, 0x37800000, v2
	v_cndmask_b32_e32 v2, v2, v5, vcc
	v_cndmask_b32_e64 v1, v1, v6, s[2:3]
	v_sqrt_f32_e32 v6, v1
	v_cmp_class_f32_e32 vcc, v4, v13
	s_nop 1
	v_cndmask_b32_e32 v5, v2, v4, vcc
	v_add_u32_e32 v2, -1, v6
	v_fma_f32 v4, -v2, v6, v1
	v_cmp_ge_f32_e32 vcc, 0, v4
	v_add_u32_e32 v4, 1, v6
	s_nop 0
	v_cndmask_b32_e32 v2, v6, v2, vcc
	v_fma_f32 v6, -v4, v6, v1
	v_cmp_lt_f32_e32 vcc, 0, v6
	s_nop 1
	v_cndmask_b32_e32 v2, v2, v4, vcc
	v_mul_f32_e32 v4, 0x37800000, v2
	v_cndmask_b32_e64 v2, v2, v4, s[2:3]
	v_cmp_class_f32_e32 vcc, v1, v13
	s_nop 1
	v_cndmask_b32_e32 v4, v2, v1, vcc
	scratch_store_dwordx2 off, v[4:5], off offset:16
	v_lshl_add_u64 v[4:5], v[18:19], 3, s[10:11]
	s_and_b64 vcc, exec, s[18:19]
	s_cbranch_vccnz .LBB168_28
; %bb.2:
	s_load_dwordx2 s[4:5], s[0:1], 0x20
	s_cmp_lt_u32 s12, 4
	s_cbranch_scc1 .LBB168_21
; %bb.3:
	s_mov_b32 s7, 0
	s_and_b32 s16, s12, 0x7ffffffc
	v_ashrrev_i32_e32 v1, 31, v0
	v_mov_b32_e32 v3, 0
	s_mov_b32 s6, s7
	s_branch .LBB168_5
.LBB168_4:                              ;   in Loop: Header=BB168_5 Depth=1
	s_or_b64 exec, exec, s[8:9]
	s_add_i32 s6, s6, 4
	s_cmp_eq_u32 s6, s16
	s_cbranch_scc1 .LBB168_21
.LBB168_5:                              ; =>This Loop Header: Depth=1
                                        ;     Child Loop BB168_7 Depth 2
                                        ;     Child Loop BB168_11 Depth 2
	;; [unrolled: 1-line block ×4, first 2 shown]
	v_lshl_add_u64 v[6:7], s[6:7], 3, v[4:5]
	global_load_dwordx2 v[8:9], v[6:7], off
	v_add_u32_e32 v10, s6, v0
	v_ashrrev_i32_e32 v11, 31, v10
	v_mov_b32_e32 v2, 0
	s_mov_b64 s[8:9], 0
	s_mov_b32 s13, 0
	s_waitcnt lgkmcnt(0)
	v_lshl_add_u64 v[10:11], v[10:11], 3, s[4:5]
	s_mov_b32 s17, 0
	s_waitcnt vmcnt(0)
	v_ashrrev_i32_e32 v9, 31, v8
	s_branch .LBB168_7
.LBB168_6:                              ;   in Loop: Header=BB168_7 Depth=2
	s_or_b64 exec, exec, s[10:11]
	s_add_i32 s18, s17, 1
	s_cmp_gt_u32 s17, 4
	s_cselect_b64 s[2:3], -1, 0
	s_xor_b64 s[10:11], vcc, -1
	s_or_b64 s[2:3], s[10:11], s[2:3]
	s_add_i32 s13, s13, 64
	s_and_b64 s[2:3], exec, s[2:3]
	v_add_u32_e32 v2, 4, v2
	s_or_b64 s[8:9], s[2:3], s[8:9]
	s_mov_b32 s17, s18
	s_andn2_b64 exec, exec, s[8:9]
	s_cbranch_execz .LBB168_9
.LBB168_7:                              ;   Parent Loop BB168_5 Depth=1
                                        ; =>  This Inner Loop Header: Depth=2
	s_and_b32 s2, s17, 1
	s_and_b32 s3, s13, 0x180
	s_or_b32 s2, s2, s3
	v_or_b32_e32 v13, s2, v12
	v_cmp_ne_u32_e32 vcc, v13, v8
	v_cmp_eq_u32_e64 s[2:3], v13, v8
	s_and_saveexec_b64 s[10:11], s[2:3]
	s_cbranch_execz .LBB168_6
; %bb.8:                                ;   in Loop: Header=BB168_7 Depth=2
	scratch_load_dword v13, v2, off
	s_waitcnt vmcnt(0)
	v_add_f32_e32 v3, v3, v13
	global_store_dwordx2 v[10:11], v[8:9], off
	s_branch .LBB168_6
.LBB168_9:                              ;   in Loop: Header=BB168_5 Depth=1
	s_or_b64 exec, exec, s[8:9]
	global_load_dwordx2 v[10:11], v[6:7], off offset:8
	s_ashr_i32 s3, s6, 31
	s_mov_b32 s2, s6
	v_lshl_add_u64 v[8:9], s[2:3], 0, v[0:1]
	v_mov_b32_e32 v2, 0
	s_mov_b32 s13, 0
	s_mov_b64 s[8:9], 0
	v_lshl_add_u64 v[8:9], v[8:9], 3, s[4:5]
	s_mov_b32 s17, 0
	s_waitcnt vmcnt(0)
	v_ashrrev_i32_e32 v11, 31, v10
	s_branch .LBB168_11
.LBB168_10:                             ;   in Loop: Header=BB168_11 Depth=2
	s_or_b64 exec, exec, s[10:11]
	s_add_i32 s18, s17, 1
	s_cmp_gt_u32 s17, 4
	s_cselect_b64 s[2:3], -1, 0
	s_xor_b64 s[10:11], vcc, -1
	s_or_b64 s[2:3], s[10:11], s[2:3]
	s_add_i32 s13, s13, 64
	s_and_b64 s[2:3], exec, s[2:3]
	v_add_u32_e32 v2, 4, v2
	s_or_b64 s[8:9], s[2:3], s[8:9]
	s_mov_b32 s17, s18
	s_andn2_b64 exec, exec, s[8:9]
	s_cbranch_execz .LBB168_13
.LBB168_11:                             ;   Parent Loop BB168_5 Depth=1
                                        ; =>  This Inner Loop Header: Depth=2
	s_and_b32 s2, s17, 1
	s_and_b32 s3, s13, 0x180
	s_or_b32 s2, s2, s3
	v_or_b32_e32 v13, s2, v12
	v_cmp_ne_u32_e32 vcc, v13, v10
	v_cmp_eq_u32_e64 s[2:3], v13, v10
	s_and_saveexec_b64 s[10:11], s[2:3]
	s_cbranch_execz .LBB168_10
; %bb.12:                               ;   in Loop: Header=BB168_11 Depth=2
	scratch_load_dword v13, v2, off
	s_waitcnt vmcnt(0)
	v_add_f32_e32 v3, v3, v13
	global_store_dwordx2 v[8:9], v[10:11], off offset:8
	s_branch .LBB168_10
.LBB168_13:                             ;   in Loop: Header=BB168_5 Depth=1
	s_or_b64 exec, exec, s[8:9]
	global_load_dwordx2 v[10:11], v[6:7], off offset:16
	v_mov_b32_e32 v2, 0
	s_mov_b32 s13, 0
	s_mov_b64 s[8:9], 0
	s_mov_b32 s17, 0
	s_waitcnt vmcnt(0)
	v_ashrrev_i32_e32 v11, 31, v10
	s_branch .LBB168_15
.LBB168_14:                             ;   in Loop: Header=BB168_15 Depth=2
	s_or_b64 exec, exec, s[10:11]
	s_add_i32 s18, s17, 1
	s_cmp_gt_u32 s17, 4
	s_cselect_b64 s[2:3], -1, 0
	s_xor_b64 s[10:11], vcc, -1
	s_or_b64 s[2:3], s[10:11], s[2:3]
	s_add_i32 s13, s13, 64
	s_and_b64 s[2:3], exec, s[2:3]
	v_add_u32_e32 v2, 4, v2
	s_or_b64 s[8:9], s[2:3], s[8:9]
	s_mov_b32 s17, s18
	s_andn2_b64 exec, exec, s[8:9]
	s_cbranch_execz .LBB168_17
.LBB168_15:                             ;   Parent Loop BB168_5 Depth=1
                                        ; =>  This Inner Loop Header: Depth=2
	s_and_b32 s2, s17, 1
	s_and_b32 s3, s13, 0x180
	s_or_b32 s2, s2, s3
	v_or_b32_e32 v13, s2, v12
	v_cmp_ne_u32_e32 vcc, v13, v10
	v_cmp_eq_u32_e64 s[2:3], v13, v10
	s_and_saveexec_b64 s[10:11], s[2:3]
	s_cbranch_execz .LBB168_14
; %bb.16:                               ;   in Loop: Header=BB168_15 Depth=2
	scratch_load_dword v13, v2, off
	s_waitcnt vmcnt(0)
	v_add_f32_e32 v3, v3, v13
	global_store_dwordx2 v[8:9], v[10:11], off offset:16
	s_branch .LBB168_14
.LBB168_17:                             ;   in Loop: Header=BB168_5 Depth=1
	s_or_b64 exec, exec, s[8:9]
	global_load_dwordx2 v[6:7], v[6:7], off offset:24
	v_mov_b32_e32 v2, 0
	s_mov_b32 s13, 0
	s_mov_b64 s[8:9], 0
	s_mov_b32 s17, 0
	s_waitcnt vmcnt(0)
	v_ashrrev_i32_e32 v7, 31, v6
	s_branch .LBB168_19
.LBB168_18:                             ;   in Loop: Header=BB168_19 Depth=2
	s_or_b64 exec, exec, s[10:11]
	s_add_i32 s18, s17, 1
	s_cmp_gt_u32 s17, 4
	s_cselect_b64 s[2:3], -1, 0
	s_xor_b64 s[10:11], vcc, -1
	s_or_b64 s[2:3], s[10:11], s[2:3]
	s_add_i32 s13, s13, 64
	s_and_b64 s[2:3], exec, s[2:3]
	v_add_u32_e32 v2, 4, v2
	s_or_b64 s[8:9], s[2:3], s[8:9]
	s_mov_b32 s17, s18
	s_andn2_b64 exec, exec, s[8:9]
	s_cbranch_execz .LBB168_4
.LBB168_19:                             ;   Parent Loop BB168_5 Depth=1
                                        ; =>  This Inner Loop Header: Depth=2
	s_and_b32 s2, s17, 1
	s_and_b32 s3, s13, 0x180
	s_or_b32 s2, s2, s3
	v_or_b32_e32 v10, s2, v12
	v_cmp_ne_u32_e32 vcc, v10, v6
	v_cmp_eq_u32_e64 s[2:3], v10, v6
	s_and_saveexec_b64 s[10:11], s[2:3]
	s_cbranch_execz .LBB168_18
; %bb.20:                               ;   in Loop: Header=BB168_19 Depth=2
	scratch_load_dword v10, v2, off
	s_waitcnt vmcnt(0)
	v_add_f32_e32 v3, v3, v10
	global_store_dwordx2 v[8:9], v[6:7], off offset:24
	s_branch .LBB168_18
.LBB168_21:
	s_and_b32 s10, s12, 3
	s_cmp_eq_u32 s10, 0
	s_mov_b32 s17, 0
	s_cbranch_scc1 .LBB168_28
; %bb.22:
	s_mov_b32 s11, s17
	s_branch .LBB168_24
.LBB168_23:                             ;   in Loop: Header=BB168_24 Depth=1
	s_or_b64 exec, exec, s[6:7]
	s_add_i32 s16, s16, 1
	s_add_i32 s11, s11, 1
	s_cmp_lg_u32 s11, s10
	s_cbranch_scc0 .LBB168_28
.LBB168_24:                             ; =>This Loop Header: Depth=1
                                        ;     Child Loop BB168_26 Depth 2
	v_lshl_add_u64 v[6:7], s[16:17], 3, v[4:5]
	global_load_dwordx2 v[6:7], v[6:7], off
	v_add_u32_e32 v8, s16, v0
	v_ashrrev_i32_e32 v9, 31, v8
	v_mov_b32_e32 v1, 0
	s_mov_b32 s13, 0
	s_mov_b64 s[6:7], 0
	s_waitcnt lgkmcnt(0)
	v_lshl_add_u64 v[8:9], v[8:9], 3, s[4:5]
	s_mov_b32 s18, 0
	s_waitcnt vmcnt(0)
	v_ashrrev_i32_e32 v7, 31, v6
	s_branch .LBB168_26
.LBB168_25:                             ;   in Loop: Header=BB168_26 Depth=2
	s_or_b64 exec, exec, s[8:9]
	s_add_i32 s19, s18, 1
	s_cmp_gt_u32 s18, 4
	s_cselect_b64 s[2:3], -1, 0
	s_xor_b64 s[8:9], vcc, -1
	s_or_b64 s[2:3], s[8:9], s[2:3]
	s_add_i32 s13, s13, 64
	s_and_b64 s[2:3], exec, s[2:3]
	v_add_u32_e32 v1, 4, v1
	s_or_b64 s[6:7], s[2:3], s[6:7]
	s_mov_b32 s18, s19
	s_andn2_b64 exec, exec, s[6:7]
	s_cbranch_execz .LBB168_23
.LBB168_26:                             ;   Parent Loop BB168_24 Depth=1
                                        ; =>  This Inner Loop Header: Depth=2
	s_and_b32 s2, s18, 1
	s_and_b32 s3, s13, 0x180
	s_or_b32 s2, s2, s3
	v_or_b32_e32 v2, s2, v12
	v_cmp_ne_u32_e32 vcc, v2, v6
	v_cmp_eq_u32_e64 s[2:3], v2, v6
	s_and_saveexec_b64 s[8:9], s[2:3]
	s_cbranch_execz .LBB168_25
; %bb.27:                               ;   in Loop: Header=BB168_26 Depth=2
	scratch_load_dword v2, v1, off
	s_waitcnt vmcnt(0)
	v_add_f32_e32 v3, v3, v2
	global_store_dwordx2 v[8:9], v[6:7], off
	s_branch .LBB168_25
.LBB168_28:
	s_waitcnt lgkmcnt(0)
	s_load_dword s4, s[0:1], 0x3c
	s_waitcnt lgkmcnt(0)
	s_bitcmp1_b32 s4, 0
	s_cselect_b64 s[2:3], -1, 0
	s_bitcmp0_b32 s4, 0
	s_cbranch_scc0 .LBB168_32
; %bb.29:
	s_load_dwordx2 s[4:5], s[0:1], 0x40
	s_andn2_b64 vcc, exec, s[2:3]
	s_waitcnt lgkmcnt(0)
	v_cvt_f32_f64_e32 v8, s[4:5]
	s_cbranch_vccz .LBB168_33
.LBB168_30:
	s_andn2_b64 vcc, exec, s[14:15]
	s_cbranch_vccz .LBB168_34
.LBB168_31:
	s_endpgm
.LBB168_32:
	v_mbcnt_lo_u32_b32 v1, -1, 0
	v_mbcnt_hi_u32_b32 v1, -1, v1
	v_and_b32_e32 v2, 64, v1
	v_add_u32_e32 v2, 64, v2
	v_xor_b32_e32 v6, 32, v1
	v_cmp_lt_i32_e32 vcc, v6, v2
	v_xor_b32_e32 v7, 16, v1
	s_nop 0
	v_cndmask_b32_e32 v6, v1, v6, vcc
	v_lshlrev_b32_e32 v6, 2, v6
	ds_bpermute_b32 v6, v6, v3
	v_cmp_lt_i32_e32 vcc, v7, v2
	s_waitcnt lgkmcnt(0)
	v_add_f32_e32 v3, v3, v6
	v_cndmask_b32_e32 v6, v1, v7, vcc
	v_lshlrev_b32_e32 v6, 2, v6
	ds_bpermute_b32 v6, v6, v3
	v_xor_b32_e32 v7, 8, v1
	v_cmp_lt_i32_e32 vcc, v7, v2
	s_waitcnt lgkmcnt(0)
	v_add_f32_e32 v3, v3, v6
	v_cndmask_b32_e32 v6, v1, v7, vcc
	v_lshlrev_b32_e32 v6, 2, v6
	ds_bpermute_b32 v6, v6, v3
	v_xor_b32_e32 v7, 4, v1
	;; [unrolled: 7-line block ×4, first 2 shown]
	v_cmp_lt_i32_e32 vcc, v7, v2
	s_waitcnt lgkmcnt(0)
	v_add_f32_e32 v3, v3, v6
	v_cndmask_b32_e32 v1, v1, v7, vcc
	v_lshlrev_b32_e32 v1, 2, v1
	ds_bpermute_b32 v1, v1, v3
	s_waitcnt lgkmcnt(0)
	v_add_f32_e32 v3, v3, v1
	s_load_dwordx2 s[4:5], s[0:1], 0x40
	s_andn2_b64 vcc, exec, s[2:3]
	s_waitcnt lgkmcnt(0)
	v_cvt_f32_f64_e32 v8, s[4:5]
	s_cbranch_vccnz .LBB168_30
.LBB168_33:
	v_cmp_lt_f32_e32 vcc, 0, v3
	s_nop 1
	v_cndmask_b32_e32 v1, 1.0, v3, vcc
	v_div_scale_f32 v2, s[2:3], v1, v1, v8
	v_rcp_f32_e32 v3, v2
	s_nop 0
	v_fma_f32 v6, -v2, v3, 1.0
	v_fmac_f32_e32 v3, v6, v3
	v_div_scale_f32 v6, vcc, v8, v1, v8
	v_mul_f32_e32 v7, v6, v3
	v_fma_f32 v9, -v2, v7, v6
	v_fmac_f32_e32 v7, v9, v3
	v_fma_f32 v2, -v2, v7, v6
	v_div_fmas_f32 v2, v2, v3, v7
	v_div_fixup_f32 v8, v2, v1, v8
	s_andn2_b64 vcc, exec, s[14:15]
	s_cbranch_vccnz .LBB168_31
.LBB168_34:
	s_load_dwordx2 s[8:9], s[0:1], 0x10
	v_mov_b32_e32 v1, 0
	v_or_b32_e32 v16, 4, v1
	v_or_b32_e32 v14, 8, v1
	;; [unrolled: 1-line block ×3, first 2 shown]
	v_add_u32_e32 v9, 16, v1
	v_add_u32_e32 v10, 20, v1
	v_or_b32_e32 v19, 1, v12
	v_or_b32_e32 v18, 0x80, v12
	;; [unrolled: 1-line block ×5, first 2 shown]
	s_cmp_eq_u32 s12, 1
	s_mov_b32 s10, 0
	s_cbranch_scc1 .LBB168_61
; %bb.35:
	v_ashrrev_i32_e32 v1, 31, v0
	s_waitcnt lgkmcnt(0)
	v_lshl_add_u64 v[2:3], v[0:1], 2, s[8:9]
	s_and_b32 s10, s12, 0x7ffffffe
	v_lshl_add_u64 v[2:3], v[2:3], 0, 4
	v_lshl_add_u64 v[6:7], v[4:5], 0, 8
	s_mov_b32 s11, 0
	s_branch .LBB168_37
.LBB168_36:                             ;   in Loop: Header=BB168_37 Depth=1
	s_or_b64 exec, exec, s[0:1]
	s_add_i32 s11, s11, 2
	v_lshl_add_u64 v[2:3], v[2:3], 0, 8
	s_cmp_eq_u32 s10, s11
	v_lshl_add_u64 v[6:7], v[6:7], 0, 16
	s_cbranch_scc1 .LBB168_61
.LBB168_37:                             ; =>This Inner Loop Header: Depth=1
	global_load_dword v20, v[6:7], off offset:-8
	v_mov_b32_e32 v1, 0
	s_waitcnt vmcnt(0)
	v_cmp_eq_u32_e32 vcc, v12, v20
	v_cmp_ne_u32_e64 s[0:1], v12, v20
	s_and_saveexec_b64 s[14:15], s[0:1]
	s_cbranch_execz .LBB168_47
; %bb.38:                               ;   in Loop: Header=BB168_37 Depth=1
	v_cmp_eq_u32_e64 s[0:1], v19, v20
	v_cmp_ne_u32_e64 s[2:3], v19, v20
	v_mov_b32_e32 v1, v16
	s_and_saveexec_b64 s[16:17], s[2:3]
	s_cbranch_execz .LBB168_46
; %bb.39:                               ;   in Loop: Header=BB168_37 Depth=1
	v_cmp_eq_u32_e64 s[2:3], v18, v20
	v_cmp_ne_u32_e64 s[4:5], v18, v20
	v_mov_b32_e32 v1, v14
	;; [unrolled: 6-line block ×4, first 2 shown]
	s_and_saveexec_b64 s[24:25], s[6:7]
	s_xor_b64 s[24:25], exec, s[24:25]
; %bb.42:                               ;   in Loop: Header=BB168_37 Depth=1
	v_cmp_eq_u32_e64 s[6:7], v13, v20
	s_andn2_b64 s[22:23], s[22:23], exec
	s_and_b64 s[6:7], s[6:7], exec
	s_or_b64 s[22:23], s[22:23], s[6:7]
	v_mov_b32_e32 v1, v10
; %bb.43:                               ;   in Loop: Header=BB168_37 Depth=1
	s_or_b64 exec, exec, s[24:25]
	s_andn2_b64 s[4:5], s[4:5], exec
	s_and_b64 s[6:7], s[22:23], exec
	s_or_b64 s[4:5], s[4:5], s[6:7]
.LBB168_44:                             ;   in Loop: Header=BB168_37 Depth=1
	s_or_b64 exec, exec, s[20:21]
	s_andn2_b64 s[2:3], s[2:3], exec
	s_and_b64 s[4:5], s[4:5], exec
	s_or_b64 s[2:3], s[2:3], s[4:5]
.LBB168_45:                             ;   in Loop: Header=BB168_37 Depth=1
	s_or_b64 exec, exec, s[18:19]
	s_andn2_b64 s[0:1], s[0:1], exec
	s_and_b64 s[2:3], s[2:3], exec
	s_or_b64 s[0:1], s[0:1], s[2:3]
.LBB168_46:                             ;   in Loop: Header=BB168_37 Depth=1
	s_or_b64 exec, exec, s[16:17]
	s_andn2_b64 s[2:3], vcc, exec
	s_and_b64 s[0:1], s[0:1], exec
	s_or_b64 vcc, s[2:3], s[0:1]
.LBB168_47:                             ;   in Loop: Header=BB168_37 Depth=1
	s_or_b64 exec, exec, s[14:15]
	s_and_saveexec_b64 s[0:1], vcc
	s_cbranch_execz .LBB168_49
; %bb.48:                               ;   in Loop: Header=BB168_37 Depth=1
	scratch_load_dword v1, v1, off
	v_add_u32_e32 v20, s11, v0
	v_ashrrev_i32_e32 v21, 31, v20
	v_lshl_add_u64 v[20:21], v[20:21], 2, s[8:9]
	s_waitcnt vmcnt(0)
	v_mul_f32_e32 v1, v8, v1
	global_store_dword v[20:21], v1, off
.LBB168_49:                             ;   in Loop: Header=BB168_37 Depth=1
	s_or_b64 exec, exec, s[0:1]
	global_load_dword v20, v[6:7], off
	v_mov_b32_e32 v1, 0
	s_waitcnt vmcnt(0)
	v_cmp_eq_u32_e64 s[4:5], v12, v20
	v_cmp_ne_u32_e32 vcc, v12, v20
	s_and_saveexec_b64 s[6:7], vcc
	s_cbranch_execz .LBB168_59
; %bb.50:                               ;   in Loop: Header=BB168_37 Depth=1
	v_cmp_eq_u32_e32 vcc, v19, v20
	v_cmp_ne_u32_e64 s[0:1], v19, v20
	v_mov_b32_e32 v1, v16
	s_and_saveexec_b64 s[14:15], s[0:1]
	s_cbranch_execz .LBB168_58
; %bb.51:                               ;   in Loop: Header=BB168_37 Depth=1
	v_cmp_eq_u32_e64 s[0:1], v18, v20
	v_cmp_ne_u32_e64 s[2:3], v18, v20
	v_mov_b32_e32 v1, v14
	s_and_saveexec_b64 s[16:17], s[2:3]
	s_cbranch_execz .LBB168_57
; %bb.52:                               ;   in Loop: Header=BB168_37 Depth=1
	v_cmp_eq_u32_e64 s[18:19], v17, v20
	;; [unrolled: 6-line block ×3, first 2 shown]
	v_cmp_ne_u32_e64 s[2:3], v15, v20
	v_mov_b32_e32 v1, v9
	s_and_saveexec_b64 s[24:25], s[2:3]
; %bb.54:                               ;   in Loop: Header=BB168_37 Depth=1
	v_cmp_eq_u32_e64 s[2:3], v13, v20
	s_andn2_b64 s[22:23], s[22:23], exec
	s_and_b64 s[2:3], s[2:3], exec
	s_or_b64 s[22:23], s[22:23], s[2:3]
	v_mov_b32_e32 v1, v10
; %bb.55:                               ;   in Loop: Header=BB168_37 Depth=1
	s_or_b64 exec, exec, s[24:25]
	s_andn2_b64 s[2:3], s[18:19], exec
	s_and_b64 s[18:19], s[22:23], exec
	s_or_b64 s[18:19], s[2:3], s[18:19]
.LBB168_56:                             ;   in Loop: Header=BB168_37 Depth=1
	s_or_b64 exec, exec, s[20:21]
	s_andn2_b64 s[0:1], s[0:1], exec
	s_and_b64 s[2:3], s[18:19], exec
	s_or_b64 s[0:1], s[0:1], s[2:3]
.LBB168_57:                             ;   in Loop: Header=BB168_37 Depth=1
	s_or_b64 exec, exec, s[16:17]
	s_andn2_b64 s[2:3], vcc, exec
	s_and_b64 s[0:1], s[0:1], exec
	s_or_b64 vcc, s[2:3], s[0:1]
.LBB168_58:                             ;   in Loop: Header=BB168_37 Depth=1
	s_or_b64 exec, exec, s[14:15]
	s_andn2_b64 s[0:1], s[4:5], exec
	s_and_b64 s[2:3], vcc, exec
	s_or_b64 s[4:5], s[0:1], s[2:3]
.LBB168_59:                             ;   in Loop: Header=BB168_37 Depth=1
	s_or_b64 exec, exec, s[6:7]
	s_and_saveexec_b64 s[0:1], s[4:5]
	s_cbranch_execz .LBB168_36
; %bb.60:                               ;   in Loop: Header=BB168_37 Depth=1
	scratch_load_dword v1, v1, off
	s_waitcnt vmcnt(0)
	v_mul_f32_e32 v1, v8, v1
	global_store_dword v[2:3], v1, off
	s_branch .LBB168_36
.LBB168_61:
	s_bitcmp0_b32 s12, 0
	s_mov_b32 s11, 0
	s_cbranch_scc1 .LBB168_31
; %bb.62:
	v_lshl_add_u64 v[2:3], s[10:11], 3, v[4:5]
	global_load_dword v1, v[2:3], off
	v_mov_b32_e32 v2, 0
	s_waitcnt vmcnt(0)
	v_cmp_eq_u32_e64 s[4:5], v12, v1
	v_cmp_ne_u32_e32 vcc, v12, v1
	s_and_saveexec_b64 s[6:7], vcc
	s_cbranch_execz .LBB168_72
; %bb.63:
	v_cmp_eq_u32_e32 vcc, v19, v1
	v_cmp_ne_u32_e64 s[0:1], v19, v1
	s_and_saveexec_b64 s[12:13], s[0:1]
	s_cbranch_execz .LBB168_71
; %bb.64:
	v_cmp_eq_u32_e64 s[0:1], v18, v1
	v_cmp_ne_u32_e64 s[2:3], v18, v1
	s_and_saveexec_b64 s[14:15], s[2:3]
	s_cbranch_execz .LBB168_70
; %bb.65:
	v_cmp_eq_u32_e64 s[16:17], v17, v1
	;; [unrolled: 5-line block ×3, first 2 shown]
	v_cmp_ne_u32_e64 s[2:3], v15, v1
	s_and_saveexec_b64 s[22:23], s[2:3]
; %bb.67:
	v_cmp_eq_u32_e64 s[2:3], v13, v1
	s_andn2_b64 s[20:21], s[20:21], exec
	s_and_b64 s[2:3], s[2:3], exec
	s_or_b64 s[20:21], s[20:21], s[2:3]
	v_mov_b32_e32 v9, v10
; %bb.68:
	s_or_b64 exec, exec, s[22:23]
	s_andn2_b64 s[2:3], s[16:17], exec
	s_and_b64 s[16:17], s[20:21], exec
	s_or_b64 s[16:17], s[2:3], s[16:17]
	v_mov_b32_e32 v11, v9
.LBB168_69:
	s_or_b64 exec, exec, s[18:19]
	s_andn2_b64 s[0:1], s[0:1], exec
	s_and_b64 s[2:3], s[16:17], exec
	s_or_b64 s[0:1], s[0:1], s[2:3]
	v_mov_b32_e32 v14, v11
.LBB168_70:
	s_or_b64 exec, exec, s[14:15]
	s_andn2_b64 s[2:3], vcc, exec
	s_and_b64 s[0:1], s[0:1], exec
	s_or_b64 vcc, s[2:3], s[0:1]
	v_mov_b32_e32 v16, v14
.LBB168_71:
	s_or_b64 exec, exec, s[12:13]
	s_andn2_b64 s[0:1], s[4:5], exec
	s_and_b64 s[2:3], vcc, exec
	s_or_b64 s[4:5], s[0:1], s[2:3]
	v_mov_b32_e32 v2, v16
.LBB168_72:
	s_or_b64 exec, exec, s[6:7]
	s_and_b64 exec, exec, s[4:5]
	s_cbranch_execz .LBB168_31
; %bb.73:
	scratch_load_dword v2, v2, off
	v_add_u32_e32 v0, s10, v0
	v_ashrrev_i32_e32 v1, 31, v0
	s_waitcnt lgkmcnt(0)
	v_lshl_add_u64 v[0:1], v[0:1], 2, s[8:9]
	s_waitcnt vmcnt(0)
	v_mul_f32_e32 v2, v8, v2
	global_store_dword v[0:1], v2, off
	s_endpgm
	.section	.rodata,"a",@progbits
	.p2align	6, 0x0
	.amdhsa_kernel _ZN4vllm3moe22topkGatingSoftplusSqrtILi6ELi384ELi4ELi8ELi64ELb1ElfEEvPKT6_PKbPfiPT5_PiiiibdPKfPKS8_SE_
		.amdhsa_group_segment_fixed_size 0
		.amdhsa_private_segment_fixed_size 32
		.amdhsa_kernarg_size 96
		.amdhsa_user_sgpr_count 2
		.amdhsa_user_sgpr_dispatch_ptr 0
		.amdhsa_user_sgpr_queue_ptr 0
		.amdhsa_user_sgpr_kernarg_segment_ptr 1
		.amdhsa_user_sgpr_dispatch_id 0
		.amdhsa_user_sgpr_kernarg_preload_length 0
		.amdhsa_user_sgpr_kernarg_preload_offset 0
		.amdhsa_user_sgpr_private_segment_size 0
		.amdhsa_uses_dynamic_stack 0
		.amdhsa_enable_private_segment 1
		.amdhsa_system_sgpr_workgroup_id_x 1
		.amdhsa_system_sgpr_workgroup_id_y 0
		.amdhsa_system_sgpr_workgroup_id_z 0
		.amdhsa_system_sgpr_workgroup_info 0
		.amdhsa_system_vgpr_workitem_id 1
		.amdhsa_next_free_vgpr 27
		.amdhsa_next_free_sgpr 26
		.amdhsa_accum_offset 28
		.amdhsa_reserve_vcc 1
		.amdhsa_float_round_mode_32 0
		.amdhsa_float_round_mode_16_64 0
		.amdhsa_float_denorm_mode_32 3
		.amdhsa_float_denorm_mode_16_64 3
		.amdhsa_dx10_clamp 1
		.amdhsa_ieee_mode 1
		.amdhsa_fp16_overflow 0
		.amdhsa_tg_split 0
		.amdhsa_exception_fp_ieee_invalid_op 0
		.amdhsa_exception_fp_denorm_src 0
		.amdhsa_exception_fp_ieee_div_zero 0
		.amdhsa_exception_fp_ieee_overflow 0
		.amdhsa_exception_fp_ieee_underflow 0
		.amdhsa_exception_fp_ieee_inexact 0
		.amdhsa_exception_int_div_zero 0
	.end_amdhsa_kernel
	.section	.text._ZN4vllm3moe22topkGatingSoftplusSqrtILi6ELi384ELi4ELi8ELi64ELb1ElfEEvPKT6_PKbPfiPT5_PiiiibdPKfPKS8_SE_,"axG",@progbits,_ZN4vllm3moe22topkGatingSoftplusSqrtILi6ELi384ELi4ELi8ELi64ELb1ElfEEvPKT6_PKbPfiPT5_PiiiibdPKfPKS8_SE_,comdat
.Lfunc_end168:
	.size	_ZN4vllm3moe22topkGatingSoftplusSqrtILi6ELi384ELi4ELi8ELi64ELb1ElfEEvPKT6_PKbPfiPT5_PiiiibdPKfPKS8_SE_, .Lfunc_end168-_ZN4vllm3moe22topkGatingSoftplusSqrtILi6ELi384ELi4ELi8ELi64ELb1ElfEEvPKT6_PKbPfiPT5_PiiiibdPKfPKS8_SE_
                                        ; -- End function
	.section	.AMDGPU.csdata,"",@progbits
; Kernel info:
; codeLenInByte = 4060
; NumSgprs: 32
; NumVgprs: 27
; NumAgprs: 0
; TotalNumVgprs: 27
; ScratchSize: 32
; MemoryBound: 0
; FloatMode: 240
; IeeeMode: 1
; LDSByteSize: 0 bytes/workgroup (compile time only)
; SGPRBlocks: 3
; VGPRBlocks: 3
; NumSGPRsForWavesPerEU: 32
; NumVGPRsForWavesPerEU: 27
; AccumOffset: 28
; Occupancy: 8
; WaveLimiterHint : 1
; COMPUTE_PGM_RSRC2:SCRATCH_EN: 1
; COMPUTE_PGM_RSRC2:USER_SGPR: 2
; COMPUTE_PGM_RSRC2:TRAP_HANDLER: 0
; COMPUTE_PGM_RSRC2:TGID_X_EN: 1
; COMPUTE_PGM_RSRC2:TGID_Y_EN: 0
; COMPUTE_PGM_RSRC2:TGID_Z_EN: 0
; COMPUTE_PGM_RSRC2:TIDIG_COMP_CNT: 1
; COMPUTE_PGM_RSRC3_GFX90A:ACCUM_OFFSET: 6
; COMPUTE_PGM_RSRC3_GFX90A:TG_SPLIT: 0
	.section	.text._ZN4vllm3moe22topkGatingSoftplusSqrtILi6ELi384ELi4ELi8ELi64ELb0ElfEEvPKT6_PKbPfiPT5_PiiiibdPKfPKS8_SE_,"axG",@progbits,_ZN4vllm3moe22topkGatingSoftplusSqrtILi6ELi384ELi4ELi8ELi64ELb0ElfEEvPKT6_PKbPfiPT5_PiiiibdPKfPKS8_SE_,comdat
	.protected	_ZN4vllm3moe22topkGatingSoftplusSqrtILi6ELi384ELi4ELi8ELi64ELb0ElfEEvPKT6_PKbPfiPT5_PiiiibdPKfPKS8_SE_ ; -- Begin function _ZN4vllm3moe22topkGatingSoftplusSqrtILi6ELi384ELi4ELi8ELi64ELb0ElfEEvPKT6_PKbPfiPT5_PiiiibdPKfPKS8_SE_
	.globl	_ZN4vllm3moe22topkGatingSoftplusSqrtILi6ELi384ELi4ELi8ELi64ELb0ElfEEvPKT6_PKbPfiPT5_PiiiibdPKfPKS8_SE_
	.p2align	8
	.type	_ZN4vllm3moe22topkGatingSoftplusSqrtILi6ELi384ELi4ELi8ELi64ELb0ElfEEvPKT6_PKbPfiPT5_PiiiibdPKfPKS8_SE_,@function
_ZN4vllm3moe22topkGatingSoftplusSqrtILi6ELi384ELi4ELi8ELi64ELb0ElfEEvPKT6_PKbPfiPT5_PiiiibdPKfPKS8_SE_: ; @_ZN4vllm3moe22topkGatingSoftplusSqrtILi6ELi384ELi4ELi8ELi64ELb0ElfEEvPKT6_PKbPfiPT5_PiiiibdPKfPKS8_SE_
; %bb.0:
	s_load_dword s30, s[0:1], 0x18
	v_and_b32_e32 v1, 0x3ff, v0
	s_lshl_b32 s2, s2, 2
	v_lshrrev_b32_e32 v2, 6, v1
	v_bfe_u32 v0, v0, 10, 10
	v_add3_u32 v6, s2, v0, v2
	s_waitcnt lgkmcnt(0)
	v_cmp_gt_i32_e32 vcc, s30, v6
	s_and_saveexec_b64 s[2:3], vcc
	s_cbranch_execz .LBB169_65
; %bb.1:
	s_load_dwordx4 s[4:7], s[0:1], 0x0
	s_load_dwordx2 s[20:21], s[0:1], 0x10
	s_waitcnt lgkmcnt(0)
	s_cmp_eq_u64 s[6:7], 0
	s_cbranch_scc1 .LBB169_3
; %bb.2:
	v_ashrrev_i32_e32 v7, 31, v6
	v_lshl_add_u64 v[2:3], s[6:7], 0, v[6:7]
	global_load_ubyte v0, v[2:3], off
	s_waitcnt vmcnt(0)
	v_and_b32_e32 v0, 1, v0
	v_cmp_eq_u32_e32 vcc, 1, v0
	s_xor_b64 s[2:3], vcc, -1
	s_orn2_b64 s[22:23], s[2:3], exec
	s_branch .LBB169_4
.LBB169_3:
	s_mov_b64 s[22:23], -1
.LBB169_4:
	s_movk_i32 s2, 0x180
	v_mul_lo_u32 v4, v6, s2
	v_mov_b32_e32 v2, s4
	v_mov_b32_e32 v3, s5
	v_ashrrev_i32_e32 v5, 31, v4
	v_and_b32_e32 v7, 63, v1
	v_lshl_add_u64 v[2:3], v[4:5], 2, v[2:3]
	v_mov_b32_e32 v1, 0
	v_lshlrev_b32_e32 v0, 3, v7
	v_lshl_add_u64 v[8:9], v[2:3], 0, v[0:1]
	global_load_dwordx2 v[0:1], v[8:9], off
	global_load_dwordx2 v[2:3], v[8:9], off offset:512
	global_load_dwordx2 v[4:5], v[8:9], off offset:1024
	s_mov_b32 s16, 0x800000
	v_mov_b32_e32 v12, 0x4f800000
	s_mov_b32 s13, 0x3f317217
	s_mov_b32 s14, 0x7f800000
	v_mov_b32_e32 v11, 0x41b17218
	s_mov_b32 s12, 0x41a00000
	s_mov_b32 s15, 0xf800000
	s_load_dwordx4 s[8:11], s[0:1], 0x40
	v_mov_b32_e32 v9, 0x260
	s_waitcnt lgkmcnt(0)
	s_cmp_lg_u64 s[10:11], 0
	s_cselect_b64 s[6:7], -1, 0
	s_and_b64 s[2:3], exec, s[6:7]
	s_waitcnt vmcnt(2)
	v_mul_f32_e32 v8, 0x3fb8aa3b, v0
	v_exp_f32_e32 v8, v8
	s_nop 0
	v_add_f32_e32 v8, 1.0, v8
	v_cmp_gt_f32_e32 vcc, s16, v8
	s_nop 1
	v_cndmask_b32_e32 v10, 1.0, v12, vcc
	v_mul_f32_e32 v8, v8, v10
	v_log_f32_e32 v13, v8
	v_cndmask_b32_e32 v14, 0, v11, vcc
	v_lshlrev_b32_e32 v10, 1, v7
	v_lshlrev_b32_e32 v8, 2, v10
	v_mul_f32_e32 v15, 0x3f317217, v13
	v_fma_f32 v15, v13, s13, -v15
	v_fmac_f32_e32 v15, 0x3377d1cf, v13
	v_fmac_f32_e32 v15, 0x3f317217, v13
	v_cmp_lt_f32_e64 vcc, |v13|, s14
	s_nop 1
	v_cndmask_b32_e32 v13, v13, v15, vcc
	v_sub_f32_e32 v13, v13, v14
	v_cmp_lt_f32_e32 vcc, s12, v0
	s_nop 1
	v_cndmask_b32_e32 v0, v13, v0, vcc
	v_mul_f32_e32 v13, 0x4f800000, v0
	v_cmp_gt_f32_e32 vcc, s15, v0
	s_nop 1
	v_cndmask_b32_e32 v0, v0, v13, vcc
	v_sqrt_f32_e32 v13, v0
	s_nop 0
	v_add_u32_e32 v14, -1, v13
	v_add_u32_e32 v15, 1, v13
	v_fma_f32 v16, -v14, v13, v0
	v_fma_f32 v17, -v15, v13, v0
	v_cmp_ge_f32_e64 s[4:5], 0, v16
	s_nop 1
	v_cndmask_b32_e64 v13, v13, v14, s[4:5]
	v_cmp_lt_f32_e64 s[4:5], 0, v17
	s_nop 1
	v_cndmask_b32_e64 v13, v13, v15, s[4:5]
	v_mul_f32_e32 v14, 0x37800000, v13
	v_cndmask_b32_e32 v13, v13, v14, vcc
	v_cmp_class_f32_e32 vcc, v0, v9
	s_nop 1
	v_cndmask_b32_e32 v0, v13, v0, vcc
	s_mov_b64 vcc, s[2:3]
	s_cbranch_vccz .LBB169_6
; %bb.5:
	global_load_dword v13, v8, s[10:11]
	s_waitcnt vmcnt(0)
	v_add_f32_e32 v0, v0, v13
.LBB169_6:
	v_mul_f32_e32 v13, 0x3fb8aa3b, v1
	v_exp_f32_e32 v13, v13
	s_nop 0
	v_add_f32_e32 v13, 1.0, v13
	v_cmp_gt_f32_e32 vcc, s16, v13
	s_nop 1
	v_cndmask_b32_e32 v12, 1.0, v12, vcc
	v_mul_f32_e32 v12, v13, v12
	v_log_f32_e32 v12, v12
	v_cndmask_b32_e32 v11, 0, v11, vcc
	v_mul_f32_e32 v13, 0x3f317217, v12
	v_fma_f32 v13, v12, s13, -v13
	v_fmac_f32_e32 v13, 0x3377d1cf, v12
	v_fmac_f32_e32 v13, 0x3f317217, v12
	v_cmp_lt_f32_e64 vcc, |v12|, s14
	s_nop 1
	v_cndmask_b32_e32 v12, v12, v13, vcc
	v_sub_f32_e32 v11, v12, v11
	v_cmp_lt_f32_e32 vcc, s12, v1
	s_nop 1
	v_cndmask_b32_e32 v1, v11, v1, vcc
	v_mul_f32_e32 v11, 0x4f800000, v1
	v_cmp_gt_f32_e32 vcc, s15, v1
	s_nop 1
	v_cndmask_b32_e32 v1, v1, v11, vcc
	v_sqrt_f32_e32 v11, v1
	s_nop 0
	v_add_u32_e32 v12, -1, v11
	v_add_u32_e32 v13, 1, v11
	v_fma_f32 v14, -v12, v11, v1
	v_fma_f32 v15, -v13, v11, v1
	v_cmp_ge_f32_e64 s[2:3], 0, v14
	s_nop 1
	v_cndmask_b32_e64 v11, v11, v12, s[2:3]
	v_cmp_lt_f32_e64 s[2:3], 0, v15
	s_nop 1
	v_cndmask_b32_e64 v11, v11, v13, s[2:3]
	v_mul_f32_e32 v12, 0x37800000, v11
	v_cndmask_b32_e32 v11, v11, v12, vcc
	v_cndmask_b32_e64 v12, 0, 1, s[6:7]
	v_cmp_class_f32_e64 s[2:3], v1, v9
	v_cmp_ne_u32_e64 s[4:5], 1, v12
	s_andn2_b64 vcc, exec, s[6:7]
	v_cndmask_b32_e64 v1, v11, v1, s[2:3]
	s_cbranch_vccnz .LBB169_8
; %bb.7:
	global_load_dword v9, v8, s[10:11] offset:4
	s_waitcnt vmcnt(0)
	v_add_f32_e32 v1, v1, v9
.LBB169_8:
	s_waitcnt vmcnt(1)
	v_mul_f32_e32 v9, 0x3fb8aa3b, v2
	v_exp_f32_e32 v9, v9
	s_mov_b32 s14, 0x800000
	v_mov_b32_e32 v11, 0x4f800000
	s_mov_b32 s7, 0x3f317217
	v_add_f32_e32 v9, 1.0, v9
	v_cmp_gt_f32_e32 vcc, s14, v9
	s_mov_b32 s12, 0x7f800000
	s_mov_b32 s6, 0x41a00000
	v_cndmask_b32_e32 v12, 1.0, v11, vcc
	v_mul_f32_e32 v9, v9, v12
	v_log_f32_e32 v9, v9
	s_mov_b32 s13, 0xf800000
	v_mul_f32_e32 v12, 0x3f317217, v9
	v_fma_f32 v12, v9, s7, -v12
	v_fmac_f32_e32 v12, 0x3377d1cf, v9
	v_fmac_f32_e32 v12, 0x3f317217, v9
	v_cmp_lt_f32_e64 s[2:3], |v9|, s12
	s_nop 1
	v_cndmask_b32_e64 v9, v9, v12, s[2:3]
	v_mov_b32_e32 v12, 0x41b17218
	v_cndmask_b32_e32 v13, 0, v12, vcc
	v_sub_f32_e32 v9, v9, v13
	v_cmp_lt_f32_e32 vcc, s6, v2
	s_nop 1
	v_cndmask_b32_e32 v2, v9, v2, vcc
	v_mul_f32_e32 v9, 0x4f800000, v2
	v_cmp_gt_f32_e32 vcc, s13, v2
	s_nop 1
	v_cndmask_b32_e32 v2, v2, v9, vcc
	v_sqrt_f32_e32 v9, v2
	s_nop 0
	v_add_u32_e32 v13, -1, v9
	v_fma_f32 v14, -v13, v9, v2
	v_cmp_ge_f32_e64 s[2:3], 0, v14
	v_add_u32_e32 v14, 1, v9
	s_nop 0
	v_cndmask_b32_e64 v13, v9, v13, s[2:3]
	v_fma_f32 v9, -v14, v9, v2
	v_cmp_lt_f32_e64 s[2:3], 0, v9
	s_nop 1
	v_cndmask_b32_e64 v9, v13, v14, s[2:3]
	v_mul_f32_e32 v13, 0x37800000, v9
	v_cndmask_b32_e32 v13, v9, v13, vcc
	v_mov_b32_e32 v9, 0x260
	v_cmp_class_f32_e64 s[2:3], v2, v9
	s_and_b64 vcc, exec, s[4:5]
	s_nop 0
	v_cndmask_b32_e64 v2, v13, v2, s[2:3]
	s_cbranch_vccnz .LBB169_10
; %bb.9:
	global_load_dword v13, v8, s[10:11] offset:512
	s_waitcnt vmcnt(0)
	v_add_f32_e32 v2, v2, v13
.LBB169_10:
	v_mul_f32_e32 v13, 0x3fb8aa3b, v3
	v_exp_f32_e32 v13, v13
	s_nop 0
	v_add_f32_e32 v13, 1.0, v13
	v_cmp_gt_f32_e32 vcc, s14, v13
	s_nop 1
	v_cndmask_b32_e32 v11, 1.0, v11, vcc
	v_mul_f32_e32 v11, v13, v11
	v_log_f32_e32 v11, v11
	v_cndmask_b32_e32 v12, 0, v12, vcc
	v_mul_f32_e32 v13, 0x3f317217, v11
	v_fma_f32 v13, v11, s7, -v13
	v_fmac_f32_e32 v13, 0x3377d1cf, v11
	v_fmac_f32_e32 v13, 0x3f317217, v11
	v_cmp_lt_f32_e64 vcc, |v11|, s12
	s_nop 1
	v_cndmask_b32_e32 v11, v11, v13, vcc
	v_sub_f32_e32 v11, v11, v12
	v_cmp_lt_f32_e32 vcc, s6, v3
	s_nop 1
	v_cndmask_b32_e32 v3, v11, v3, vcc
	v_mul_f32_e32 v11, 0x4f800000, v3
	v_cmp_gt_f32_e32 vcc, s13, v3
	s_nop 1
	v_cndmask_b32_e32 v3, v3, v11, vcc
	v_sqrt_f32_e32 v11, v3
	s_nop 0
	v_add_u32_e32 v12, -1, v11
	v_add_u32_e32 v13, 1, v11
	v_fma_f32 v14, -v12, v11, v3
	v_fma_f32 v15, -v13, v11, v3
	v_cmp_ge_f32_e64 s[2:3], 0, v14
	s_nop 1
	v_cndmask_b32_e64 v11, v11, v12, s[2:3]
	v_cmp_lt_f32_e64 s[2:3], 0, v15
	s_nop 1
	v_cndmask_b32_e64 v11, v11, v13, s[2:3]
	v_mul_f32_e32 v12, 0x37800000, v11
	v_cndmask_b32_e32 v11, v11, v12, vcc
	v_cmp_class_f32_e64 s[2:3], v3, v9
	s_and_b64 vcc, exec, s[4:5]
	s_nop 0
	v_cndmask_b32_e64 v3, v11, v3, s[2:3]
	s_cbranch_vccnz .LBB169_12
; %bb.11:
	global_load_dword v9, v8, s[10:11] offset:516
	s_waitcnt vmcnt(0)
	v_add_f32_e32 v3, v3, v9
.LBB169_12:
	s_waitcnt vmcnt(0)
	v_mul_f32_e32 v9, 0x3fb8aa3b, v4
	v_exp_f32_e32 v9, v9
	v_mov_b32_e32 v11, 0x4f800000
	v_add_f32_e32 v9, 1.0, v9
	v_cmp_gt_f32_e32 vcc, s14, v9
	s_nop 1
	v_cndmask_b32_e32 v12, 1.0, v11, vcc
	v_mul_f32_e32 v9, v9, v12
	v_log_f32_e32 v9, v9
	s_nop 0
	v_mul_f32_e32 v12, 0x3f317217, v9
	v_fma_f32 v12, v9, s7, -v12
	v_fmac_f32_e32 v12, 0x3377d1cf, v9
	v_fmac_f32_e32 v12, 0x3f317217, v9
	v_cmp_lt_f32_e64 s[2:3], |v9|, s12
	s_nop 1
	v_cndmask_b32_e64 v9, v9, v12, s[2:3]
	v_mov_b32_e32 v12, 0x41b17218
	v_cndmask_b32_e32 v13, 0, v12, vcc
	v_sub_f32_e32 v9, v9, v13
	v_cmp_lt_f32_e32 vcc, s6, v4
	s_nop 1
	v_cndmask_b32_e32 v4, v9, v4, vcc
	v_mul_f32_e32 v9, 0x4f800000, v4
	v_cmp_gt_f32_e32 vcc, s13, v4
	s_nop 1
	v_cndmask_b32_e32 v4, v4, v9, vcc
	v_sqrt_f32_e32 v9, v4
	s_nop 0
	v_add_u32_e32 v13, -1, v9
	v_fma_f32 v14, -v13, v9, v4
	v_cmp_ge_f32_e64 s[2:3], 0, v14
	v_add_u32_e32 v14, 1, v9
	s_nop 0
	v_cndmask_b32_e64 v13, v9, v13, s[2:3]
	v_fma_f32 v9, -v14, v9, v4
	v_cmp_lt_f32_e64 s[2:3], 0, v9
	s_nop 1
	v_cndmask_b32_e64 v9, v13, v14, s[2:3]
	v_mul_f32_e32 v13, 0x37800000, v9
	v_cndmask_b32_e32 v13, v9, v13, vcc
	v_mov_b32_e32 v9, 0x260
	v_cmp_class_f32_e64 s[2:3], v4, v9
	s_and_b64 vcc, exec, s[4:5]
	s_nop 0
	v_cndmask_b32_e64 v4, v13, v4, s[2:3]
	s_cbranch_vccnz .LBB169_14
; %bb.13:
	global_load_dword v13, v8, s[10:11] offset:1024
	s_waitcnt vmcnt(0)
	v_add_f32_e32 v4, v4, v13
.LBB169_14:
	v_mul_f32_e32 v13, 0x3fb8aa3b, v5
	v_exp_f32_e32 v13, v13
	s_nop 0
	v_add_f32_e32 v13, 1.0, v13
	v_cmp_gt_f32_e32 vcc, s14, v13
	s_nop 1
	v_cndmask_b32_e32 v11, 1.0, v11, vcc
	v_mul_f32_e32 v11, v13, v11
	v_log_f32_e32 v11, v11
	v_cndmask_b32_e32 v12, 0, v12, vcc
	v_mul_f32_e32 v13, 0x3f317217, v11
	v_fma_f32 v13, v11, s7, -v13
	v_fmac_f32_e32 v13, 0x3377d1cf, v11
	v_fmac_f32_e32 v13, 0x3f317217, v11
	v_cmp_lt_f32_e64 vcc, |v11|, s12
	s_nop 1
	v_cndmask_b32_e32 v11, v11, v13, vcc
	v_sub_f32_e32 v11, v11, v12
	v_cmp_lt_f32_e32 vcc, s6, v5
	s_nop 1
	v_cndmask_b32_e32 v5, v11, v5, vcc
	v_mul_f32_e32 v11, 0x4f800000, v5
	v_cmp_gt_f32_e32 vcc, s13, v5
	s_nop 1
	v_cndmask_b32_e32 v5, v5, v11, vcc
	v_sqrt_f32_e32 v11, v5
	s_nop 0
	v_add_u32_e32 v12, -1, v11
	v_add_u32_e32 v13, 1, v11
	v_fma_f32 v14, -v12, v11, v5
	v_fma_f32 v15, -v13, v11, v5
	v_cmp_ge_f32_e64 s[2:3], 0, v14
	s_nop 1
	v_cndmask_b32_e64 v11, v11, v12, s[2:3]
	v_cmp_lt_f32_e64 s[2:3], 0, v15
	s_nop 1
	v_cndmask_b32_e64 v11, v11, v13, s[2:3]
	v_mul_f32_e32 v12, 0x37800000, v11
	v_cndmask_b32_e32 v11, v11, v12, vcc
	v_cmp_class_f32_e64 s[2:3], v5, v9
	s_and_b64 vcc, exec, s[4:5]
	s_nop 0
	v_cndmask_b32_e64 v5, v11, v5, s[2:3]
	s_cbranch_vccnz .LBB169_16
; %bb.15:
	global_load_dword v8, v8, s[10:11] offset:1028
	s_waitcnt vmcnt(0)
	v_add_f32_e32 v5, v5, v8
.LBB169_16:
	s_load_dwordx4 s[12:15], s[0:1], 0x30
	s_mov_b32 s31, 0
	v_cmp_eq_u32_e64 s[6:7], 0, v7
	s_waitcnt lgkmcnt(0)
	s_bitcmp1_b32 s15, 0
	s_cselect_b64 s[2:3], -1, 0
	s_cmp_gt_i32 s12, 0
	s_cselect_b64 s[24:25], -1, 0
	s_and_b64 vcc, exec, s[24:25]
	s_cbranch_vccz .LBB169_51
; %bb.17:
	v_mbcnt_lo_u32_b32 v8, -1, 0
	v_mbcnt_hi_u32_b32 v8, -1, v8
	v_and_b32_e32 v9, 64, v8
	v_add_u32_e32 v9, 64, v9
	v_xor_b32_e32 v11, 32, v8
	v_cmp_lt_i32_e32 vcc, v11, v9
	s_load_dwordx4 s[16:19], s[0:1], 0x20
	v_mul_lo_u32 v12, v6, s12
	v_cndmask_b32_e32 v11, v8, v11, vcc
	v_lshlrev_b32_e32 v13, 2, v11
	v_xor_b32_e32 v11, 16, v8
	v_cmp_lt_i32_e32 vcc, v11, v9
	v_mov_b32_e32 v19, 0x80
	v_mov_b32_e32 v20, 0x81
	v_cndmask_b32_e32 v11, v8, v11, vcc
	v_lshlrev_b32_e32 v14, 2, v11
	v_xor_b32_e32 v11, 8, v8
	v_cmp_lt_i32_e32 vcc, v11, v9
	v_mov_b32_e32 v21, 0x100
	v_mov_b32_e32 v22, 0x101
	v_cndmask_b32_e32 v11, v8, v11, vcc
	v_lshlrev_b32_e32 v15, 2, v11
	v_xor_b32_e32 v11, 4, v8
	v_cmp_lt_i32_e32 vcc, v11, v9
	v_mov_b32_e32 v23, 0x180
	v_mov_b32_e32 v24, 0xc61c4000
	v_cndmask_b32_e32 v11, v8, v11, vcc
	v_lshlrev_b32_e32 v16, 2, v11
	v_xor_b32_e32 v11, 2, v8
	v_cmp_lt_i32_e32 vcc, v11, v9
	v_mov_b32_e32 v25, v6
	s_nop 0
	v_cndmask_b32_e32 v11, v8, v11, vcc
	v_lshlrev_b32_e32 v17, 2, v11
	v_xor_b32_e32 v11, 1, v8
	v_cmp_lt_i32_e32 vcc, v11, v9
	s_nop 1
	v_cndmask_b32_e32 v8, v8, v11, vcc
	v_lshlrev_b32_e32 v18, 2, v8
	v_mov_b32_e32 v11, 0
	s_branch .LBB169_20
.LBB169_18:                             ;   in Loop: Header=BB169_20 Depth=1
	s_or_b64 exec, exec, s[0:1]
.LBB169_19:                             ;   in Loop: Header=BB169_20 Depth=1
	s_cmp_eq_u32 s12, s31
	v_add_u32_e32 v25, s30, v25
	s_cbranch_scc1 .LBB169_52
.LBB169_20:                             ; =>This Inner Loop Header: Depth=1
	v_cmp_gt_f32_e32 vcc, v1, v0
	s_nop 1
	v_cndmask_b32_e32 v9, v0, v1, vcc
	v_cndmask_b32_e64 v8, 0, 1, vcc
	v_cmp_gt_f32_e32 vcc, v2, v9
	s_nop 1
	v_cndmask_b32_e32 v9, v9, v2, vcc
	v_cndmask_b32_e32 v8, v8, v19, vcc
	v_cmp_gt_f32_e32 vcc, v3, v9
	s_nop 1
	v_cndmask_b32_e32 v9, v9, v3, vcc
	v_cndmask_b32_e32 v8, v8, v20, vcc
	;; [unrolled: 4-line block ×4, first 2 shown]
	ds_bpermute_b32 v9, v13, v26
	v_or_b32_e32 v8, v10, v8
	s_waitcnt lgkmcnt(0)
	ds_bpermute_b32 v27, v13, v8
	s_waitcnt lgkmcnt(0)
	v_cmp_lt_f32_e64 s[26:27], v26, v9
	v_cmp_nlt_f32_e32 vcc, v26, v9
	s_and_saveexec_b64 s[28:29], vcc
; %bb.21:                               ;   in Loop: Header=BB169_20 Depth=1
	v_cmp_eq_f32_e32 vcc, v26, v9
	v_cmp_lt_i32_e64 s[0:1], v27, v8
	s_and_b64 s[0:1], vcc, s[0:1]
	s_andn2_b64 s[26:27], s[26:27], exec
	s_and_b64 s[0:1], s[0:1], exec
	s_or_b64 s[26:27], s[26:27], s[0:1]
; %bb.22:                               ;   in Loop: Header=BB169_20 Depth=1
	s_or_b64 exec, exec, s[28:29]
	s_and_saveexec_b64 s[0:1], s[26:27]
; %bb.23:                               ;   in Loop: Header=BB169_20 Depth=1
	v_mov_b32_e32 v26, v9
	v_mov_b32_e32 v8, v27
; %bb.24:                               ;   in Loop: Header=BB169_20 Depth=1
	s_or_b64 exec, exec, s[0:1]
	ds_bpermute_b32 v9, v14, v26
	ds_bpermute_b32 v27, v14, v8
	s_waitcnt lgkmcnt(1)
	v_cmp_lt_f32_e64 s[26:27], v26, v9
	v_cmp_nlt_f32_e32 vcc, v26, v9
	s_and_saveexec_b64 s[28:29], vcc
	s_cbranch_execz .LBB169_26
; %bb.25:                               ;   in Loop: Header=BB169_20 Depth=1
	v_cmp_eq_f32_e32 vcc, v26, v9
	s_waitcnt lgkmcnt(0)
	v_cmp_lt_i32_e64 s[0:1], v27, v8
	s_and_b64 s[0:1], vcc, s[0:1]
	s_andn2_b64 s[26:27], s[26:27], exec
	s_and_b64 s[0:1], s[0:1], exec
	s_or_b64 s[26:27], s[26:27], s[0:1]
.LBB169_26:                             ;   in Loop: Header=BB169_20 Depth=1
	s_or_b64 exec, exec, s[28:29]
	s_and_saveexec_b64 s[0:1], s[26:27]
	s_cbranch_execz .LBB169_28
; %bb.27:                               ;   in Loop: Header=BB169_20 Depth=1
	v_mov_b32_e32 v26, v9
	s_waitcnt lgkmcnt(0)
	v_mov_b32_e32 v8, v27
.LBB169_28:                             ;   in Loop: Header=BB169_20 Depth=1
	s_or_b64 exec, exec, s[0:1]
	ds_bpermute_b32 v9, v15, v26
	s_waitcnt lgkmcnt(1)
	ds_bpermute_b32 v27, v15, v8
	s_waitcnt lgkmcnt(1)
	v_cmp_lt_f32_e64 s[26:27], v26, v9
	v_cmp_nlt_f32_e32 vcc, v26, v9
	s_and_saveexec_b64 s[28:29], vcc
	s_cbranch_execz .LBB169_30
; %bb.29:                               ;   in Loop: Header=BB169_20 Depth=1
	v_cmp_eq_f32_e32 vcc, v26, v9
	s_waitcnt lgkmcnt(0)
	v_cmp_lt_i32_e64 s[0:1], v27, v8
	s_and_b64 s[0:1], vcc, s[0:1]
	s_andn2_b64 s[26:27], s[26:27], exec
	s_and_b64 s[0:1], s[0:1], exec
	s_or_b64 s[26:27], s[26:27], s[0:1]
.LBB169_30:                             ;   in Loop: Header=BB169_20 Depth=1
	s_or_b64 exec, exec, s[28:29]
	s_and_saveexec_b64 s[0:1], s[26:27]
	s_cbranch_execz .LBB169_32
; %bb.31:                               ;   in Loop: Header=BB169_20 Depth=1
	v_mov_b32_e32 v26, v9
	s_waitcnt lgkmcnt(0)
	v_mov_b32_e32 v8, v27
.LBB169_32:                             ;   in Loop: Header=BB169_20 Depth=1
	s_or_b64 exec, exec, s[0:1]
	ds_bpermute_b32 v9, v16, v26
	s_waitcnt lgkmcnt(1)
	ds_bpermute_b32 v27, v16, v8
	s_waitcnt lgkmcnt(1)
	v_cmp_lt_f32_e64 s[26:27], v26, v9
	v_cmp_nlt_f32_e32 vcc, v26, v9
	s_and_saveexec_b64 s[28:29], vcc
	s_cbranch_execz .LBB169_34
; %bb.33:                               ;   in Loop: Header=BB169_20 Depth=1
	v_cmp_eq_f32_e32 vcc, v26, v9
	s_waitcnt lgkmcnt(0)
	v_cmp_lt_i32_e64 s[0:1], v27, v8
	s_and_b64 s[0:1], vcc, s[0:1]
	s_andn2_b64 s[26:27], s[26:27], exec
	s_and_b64 s[0:1], s[0:1], exec
	s_or_b64 s[26:27], s[26:27], s[0:1]
.LBB169_34:                             ;   in Loop: Header=BB169_20 Depth=1
	s_or_b64 exec, exec, s[28:29]
	s_and_saveexec_b64 s[0:1], s[26:27]
	s_cbranch_execz .LBB169_36
; %bb.35:                               ;   in Loop: Header=BB169_20 Depth=1
	v_mov_b32_e32 v26, v9
	s_waitcnt lgkmcnt(0)
	v_mov_b32_e32 v8, v27
.LBB169_36:                             ;   in Loop: Header=BB169_20 Depth=1
	s_or_b64 exec, exec, s[0:1]
	ds_bpermute_b32 v9, v17, v26
	s_waitcnt lgkmcnt(1)
	ds_bpermute_b32 v27, v17, v8
	s_waitcnt lgkmcnt(1)
	v_cmp_lt_f32_e64 s[26:27], v26, v9
	v_cmp_nlt_f32_e32 vcc, v26, v9
	s_and_saveexec_b64 s[28:29], vcc
	s_cbranch_execz .LBB169_38
; %bb.37:                               ;   in Loop: Header=BB169_20 Depth=1
	v_cmp_eq_f32_e32 vcc, v26, v9
	s_waitcnt lgkmcnt(0)
	v_cmp_lt_i32_e64 s[0:1], v27, v8
	s_and_b64 s[0:1], vcc, s[0:1]
	s_andn2_b64 s[26:27], s[26:27], exec
	s_and_b64 s[0:1], s[0:1], exec
	s_or_b64 s[26:27], s[26:27], s[0:1]
.LBB169_38:                             ;   in Loop: Header=BB169_20 Depth=1
	s_or_b64 exec, exec, s[28:29]
	s_and_saveexec_b64 s[0:1], s[26:27]
	s_cbranch_execz .LBB169_40
; %bb.39:                               ;   in Loop: Header=BB169_20 Depth=1
	v_mov_b32_e32 v26, v9
	s_waitcnt lgkmcnt(0)
	v_mov_b32_e32 v8, v27
.LBB169_40:                             ;   in Loop: Header=BB169_20 Depth=1
	s_or_b64 exec, exec, s[0:1]
	ds_bpermute_b32 v9, v18, v26
	s_waitcnt lgkmcnt(1)
	ds_bpermute_b32 v27, v18, v8
	s_waitcnt lgkmcnt(1)
	v_cmp_lt_f32_e64 s[26:27], v26, v9
	v_cmp_nlt_f32_e32 vcc, v26, v9
	s_and_saveexec_b64 s[28:29], vcc
	s_cbranch_execnz .LBB169_44
; %bb.41:                               ;   in Loop: Header=BB169_20 Depth=1
	s_or_b64 exec, exec, s[28:29]
	s_and_saveexec_b64 s[0:1], s[26:27]
	s_cbranch_execnz .LBB169_45
.LBB169_42:                             ;   in Loop: Header=BB169_20 Depth=1
	s_or_b64 exec, exec, s[0:1]
	s_and_saveexec_b64 s[26:27], s[6:7]
	s_cbranch_execnz .LBB169_46
.LBB169_43:                             ;   in Loop: Header=BB169_20 Depth=1
	s_or_b64 exec, exec, s[26:27]
	s_add_i32 s31, s31, 1
	s_cmp_ge_i32 s31, s12
	s_cbranch_scc1 .LBB169_19
	s_branch .LBB169_49
.LBB169_44:                             ;   in Loop: Header=BB169_20 Depth=1
	v_cmp_eq_f32_e32 vcc, v26, v9
	s_waitcnt lgkmcnt(0)
	v_cmp_lt_i32_e64 s[0:1], v27, v8
	s_and_b64 s[0:1], vcc, s[0:1]
	s_andn2_b64 s[26:27], s[26:27], exec
	s_and_b64 s[0:1], s[0:1], exec
	s_or_b64 s[26:27], s[26:27], s[0:1]
	s_or_b64 exec, exec, s[28:29]
	s_and_saveexec_b64 s[0:1], s[26:27]
	s_cbranch_execz .LBB169_42
.LBB169_45:                             ;   in Loop: Header=BB169_20 Depth=1
	s_waitcnt lgkmcnt(0)
	v_mov_b32_e32 v8, v27
	v_mov_b32_e32 v26, v9
	s_or_b64 exec, exec, s[0:1]
	s_and_saveexec_b64 s[26:27], s[6:7]
	s_cbranch_execz .LBB169_43
.LBB169_46:                             ;   in Loop: Header=BB169_20 Depth=1
	s_and_b64 vcc, exec, s[4:5]
	s_cbranch_vccnz .LBB169_48
; %bb.47:                               ;   in Loop: Header=BB169_20 Depth=1
	v_ashrrev_i32_e32 v9, 31, v8
	v_lshl_add_u64 v[28:29], v[8:9], 2, s[10:11]
	global_load_dword v9, v[28:29], off
	s_waitcnt vmcnt(0)
	v_sub_f32_e32 v26, v26, v9
.LBB169_48:                             ;   in Loop: Header=BB169_20 Depth=1
	v_add_u32_e32 v28, s31, v12
	v_cmp_le_i32_e32 vcc, s13, v8
	v_cmp_gt_i32_e64 s[0:1], s14, v8
	v_ashrrev_i32_e32 v29, 31, v28
	s_and_b64 s[0:1], vcc, s[0:1]
	v_lshlrev_b64 v[30:31], 2, v[28:29]
	v_subrev_u32_e32 v9, s13, v8
	v_lshl_add_u64 v[32:33], s[20:21], 0, v[30:31]
	s_waitcnt lgkmcnt(0)
	v_ashrrev_i32_e32 v27, 31, v9
	s_and_b64 vcc, s[22:23], s[0:1]
	global_store_dword v[32:33], v26, off
	v_cndmask_b32_e32 v33, 0, v27, vcc
	v_cndmask_b32_e32 v32, v23, v9, vcc
	v_lshl_add_u64 v[28:29], v[28:29], 3, s[16:17]
	v_add_f32_e32 v9, v11, v26
	global_store_dwordx2 v[28:29], v[32:33], off
	v_lshl_add_u64 v[28:29], s[18:19], 0, v[30:31]
	v_cndmask_b32_e64 v11, v11, v9, s[2:3]
	global_store_dword v[28:29], v25, off
	s_or_b64 exec, exec, s[26:27]
	s_add_i32 s31, s31, 1
	s_cmp_ge_i32 s31, s12
	s_cbranch_scc1 .LBB169_19
.LBB169_49:                             ;   in Loop: Header=BB169_20 Depth=1
	v_lshrrev_b32_e32 v9, 31, v8
	v_add_u32_e32 v26, v8, v9
	v_ashrrev_i32_e32 v9, 1, v26
	v_ashrrev_i32_e32 v26, 31, v26
	v_lshrrev_b32_e32 v26, 26, v26
	v_add_u32_e32 v26, v9, v26
	v_and_b32_e32 v26, 0xffffffc0, v26
	v_sub_u32_e32 v26, v9, v26
	v_cmp_eq_u32_e32 vcc, v7, v26
	s_and_saveexec_b64 s[0:1], vcc
	s_cbranch_execz .LBB169_18
; %bb.50:                               ;   in Loop: Header=BB169_20 Depth=1
	v_ashrrev_i32_e32 v26, 31, v8
	v_lshrrev_b32_e32 v26, 25, v26
	v_add_u32_e32 v26, v8, v26
	v_lshlrev_b32_e32 v9, 1, v9
	v_ashrrev_i32_e32 v26, 7, v26
	v_sub_u32_e32 v8, v8, v9
	v_lshl_add_u32 v8, v26, 1, v8
	v_cmp_ne_u32_e32 vcc, 5, v8
	s_nop 1
	v_cndmask_b32_e32 v5, v24, v5, vcc
	v_cmp_ne_u32_e32 vcc, 4, v8
	s_nop 1
	v_cndmask_b32_e32 v4, v24, v4, vcc
	;; [unrolled: 3-line block ×6, first 2 shown]
	s_branch .LBB169_18
.LBB169_51:
	v_mov_b32_e32 v11, 0
.LBB169_52:
	v_cmp_eq_u32_e32 vcc, 0, v7
	s_and_b64 exec, exec, vcc
	s_cbranch_execz .LBB169_65
; %bb.53:
	s_andn2_b64 vcc, exec, s[2:3]
	v_cvt_f32_f64_e32 v0, s[8:9]
	s_cbranch_vccnz .LBB169_55
; %bb.54:
	v_cmp_lt_f32_e32 vcc, 0, v11
	s_nop 1
	v_cndmask_b32_e32 v1, 1.0, v11, vcc
	v_div_scale_f32 v2, s[0:1], v1, v1, v0
	v_rcp_f32_e32 v3, v2
	s_nop 0
	v_fma_f32 v4, -v2, v3, 1.0
	v_fmac_f32_e32 v3, v4, v3
	v_div_scale_f32 v4, vcc, v0, v1, v0
	v_mul_f32_e32 v5, v4, v3
	v_fma_f32 v7, -v2, v5, v4
	v_fmac_f32_e32 v5, v7, v3
	v_fma_f32 v2, -v2, v5, v4
	v_div_fmas_f32 v2, v2, v3, v5
	v_div_fixup_f32 v0, v2, v1, v0
.LBB169_55:
	s_andn2_b64 vcc, exec, s[24:25]
	s_cbranch_vccnz .LBB169_65
; %bb.56:
	v_mul_lo_u32 v2, v6, s12
	s_cmp_gt_u32 s12, 3
	v_ashrrev_i32_e32 v3, 31, v2
	s_cbranch_scc0 .LBB169_60
; %bb.57:
	s_and_b32 s0, s12, 0x7ffffffc
	v_lshl_add_u64 v[4:5], v[2:3], 2, s[20:21]
	v_mov_b32_e32 v1, v0
	v_lshl_add_u64 v[4:5], v[4:5], 0, 8
	s_mov_b32 s1, s0
.LBB169_58:                             ; =>This Inner Loop Header: Depth=1
	global_load_dwordx4 v[6:9], v[4:5], off offset:-8
	s_add_i32 s1, s1, -4
	s_cmp_lg_u32 s1, 0
	s_waitcnt vmcnt(0)
	v_pk_mul_f32 v[6:7], v[0:1], v[6:7]
	v_pk_mul_f32 v[8:9], v[0:1], v[8:9]
	global_store_dwordx4 v[4:5], v[6:9], off offset:-8
	v_lshl_add_u64 v[4:5], v[4:5], 0, 16
	s_cbranch_scc1 .LBB169_58
; %bb.59:
	s_cmp_lg_u32 s0, s12
	s_cselect_b64 s[2:3], -1, 0
	s_branch .LBB169_62
.LBB169_60:
	s_mov_b64 s[2:3], 0
                                        ; implicit-def: $sgpr0
	s_cbranch_execz .LBB169_62
; %bb.61:
	s_mov_b64 s[2:3], -1
	s_mov_b32 s0, 0
.LBB169_62:
	s_andn2_b64 vcc, exec, s[2:3]
	s_cbranch_vccnz .LBB169_65
; %bb.63:
	s_mov_b32 s1, 0
	v_lshl_add_u64 v[2:3], v[2:3], 0, s[0:1]
	s_sub_i32 s2, s12, s0
	v_lshl_add_u64 v[2:3], v[2:3], 2, s[20:21]
.LBB169_64:                             ; =>This Inner Loop Header: Depth=1
	global_load_dword v1, v[2:3], off
	s_add_i32 s2, s2, -1
	s_cmp_lg_u32 s2, 0
	s_waitcnt vmcnt(0)
	v_mul_f32_e32 v1, v0, v1
	global_store_dword v[2:3], v1, off
	v_lshl_add_u64 v[2:3], v[2:3], 0, 4
	s_cbranch_scc1 .LBB169_64
.LBB169_65:
	s_endpgm
	.section	.rodata,"a",@progbits
	.p2align	6, 0x0
	.amdhsa_kernel _ZN4vllm3moe22topkGatingSoftplusSqrtILi6ELi384ELi4ELi8ELi64ELb0ElfEEvPKT6_PKbPfiPT5_PiiiibdPKfPKS8_SE_
		.amdhsa_group_segment_fixed_size 0
		.amdhsa_private_segment_fixed_size 0
		.amdhsa_kernarg_size 96
		.amdhsa_user_sgpr_count 2
		.amdhsa_user_sgpr_dispatch_ptr 0
		.amdhsa_user_sgpr_queue_ptr 0
		.amdhsa_user_sgpr_kernarg_segment_ptr 1
		.amdhsa_user_sgpr_dispatch_id 0
		.amdhsa_user_sgpr_kernarg_preload_length 0
		.amdhsa_user_sgpr_kernarg_preload_offset 0
		.amdhsa_user_sgpr_private_segment_size 0
		.amdhsa_uses_dynamic_stack 0
		.amdhsa_enable_private_segment 0
		.amdhsa_system_sgpr_workgroup_id_x 1
		.amdhsa_system_sgpr_workgroup_id_y 0
		.amdhsa_system_sgpr_workgroup_id_z 0
		.amdhsa_system_sgpr_workgroup_info 0
		.amdhsa_system_vgpr_workitem_id 1
		.amdhsa_next_free_vgpr 34
		.amdhsa_next_free_sgpr 32
		.amdhsa_accum_offset 36
		.amdhsa_reserve_vcc 1
		.amdhsa_float_round_mode_32 0
		.amdhsa_float_round_mode_16_64 0
		.amdhsa_float_denorm_mode_32 3
		.amdhsa_float_denorm_mode_16_64 3
		.amdhsa_dx10_clamp 1
		.amdhsa_ieee_mode 1
		.amdhsa_fp16_overflow 0
		.amdhsa_tg_split 0
		.amdhsa_exception_fp_ieee_invalid_op 0
		.amdhsa_exception_fp_denorm_src 0
		.amdhsa_exception_fp_ieee_div_zero 0
		.amdhsa_exception_fp_ieee_overflow 0
		.amdhsa_exception_fp_ieee_underflow 0
		.amdhsa_exception_fp_ieee_inexact 0
		.amdhsa_exception_int_div_zero 0
	.end_amdhsa_kernel
	.section	.text._ZN4vllm3moe22topkGatingSoftplusSqrtILi6ELi384ELi4ELi8ELi64ELb0ElfEEvPKT6_PKbPfiPT5_PiiiibdPKfPKS8_SE_,"axG",@progbits,_ZN4vllm3moe22topkGatingSoftplusSqrtILi6ELi384ELi4ELi8ELi64ELb0ElfEEvPKT6_PKbPfiPT5_PiiiibdPKfPKS8_SE_,comdat
.Lfunc_end169:
	.size	_ZN4vllm3moe22topkGatingSoftplusSqrtILi6ELi384ELi4ELi8ELi64ELb0ElfEEvPKT6_PKbPfiPT5_PiiiibdPKfPKS8_SE_, .Lfunc_end169-_ZN4vllm3moe22topkGatingSoftplusSqrtILi6ELi384ELi4ELi8ELi64ELb0ElfEEvPKT6_PKbPfiPT5_PiiiibdPKfPKS8_SE_
                                        ; -- End function
	.section	.AMDGPU.csdata,"",@progbits
; Kernel info:
; codeLenInByte = 3620
; NumSgprs: 38
; NumVgprs: 34
; NumAgprs: 0
; TotalNumVgprs: 34
; ScratchSize: 0
; MemoryBound: 0
; FloatMode: 240
; IeeeMode: 1
; LDSByteSize: 0 bytes/workgroup (compile time only)
; SGPRBlocks: 4
; VGPRBlocks: 4
; NumSGPRsForWavesPerEU: 38
; NumVGPRsForWavesPerEU: 34
; AccumOffset: 36
; Occupancy: 8
; WaveLimiterHint : 1
; COMPUTE_PGM_RSRC2:SCRATCH_EN: 0
; COMPUTE_PGM_RSRC2:USER_SGPR: 2
; COMPUTE_PGM_RSRC2:TRAP_HANDLER: 0
; COMPUTE_PGM_RSRC2:TGID_X_EN: 1
; COMPUTE_PGM_RSRC2:TGID_Y_EN: 0
; COMPUTE_PGM_RSRC2:TGID_Z_EN: 0
; COMPUTE_PGM_RSRC2:TIDIG_COMP_CNT: 1
; COMPUTE_PGM_RSRC3_GFX90A:ACCUM_OFFSET: 8
; COMPUTE_PGM_RSRC3_GFX90A:TG_SPLIT: 0
	.section	.text._ZN4vllm3moe22topkGatingSoftplusSqrtILi12ELi384ELi4ELi8ELi32ELb1ElfEEvPKT6_PKbPfiPT5_PiiiibdPKfPKS8_SE_,"axG",@progbits,_ZN4vllm3moe22topkGatingSoftplusSqrtILi12ELi384ELi4ELi8ELi32ELb1ElfEEvPKT6_PKbPfiPT5_PiiiibdPKfPKS8_SE_,comdat
	.protected	_ZN4vllm3moe22topkGatingSoftplusSqrtILi12ELi384ELi4ELi8ELi32ELb1ElfEEvPKT6_PKbPfiPT5_PiiiibdPKfPKS8_SE_ ; -- Begin function _ZN4vllm3moe22topkGatingSoftplusSqrtILi12ELi384ELi4ELi8ELi32ELb1ElfEEvPKT6_PKbPfiPT5_PiiiibdPKfPKS8_SE_
	.globl	_ZN4vllm3moe22topkGatingSoftplusSqrtILi12ELi384ELi4ELi8ELi32ELb1ElfEEvPKT6_PKbPfiPT5_PiiiibdPKfPKS8_SE_
	.p2align	8
	.type	_ZN4vllm3moe22topkGatingSoftplusSqrtILi12ELi384ELi4ELi8ELi32ELb1ElfEEvPKT6_PKbPfiPT5_PiiiibdPKfPKS8_SE_,@function
_ZN4vllm3moe22topkGatingSoftplusSqrtILi12ELi384ELi4ELi8ELi32ELb1ElfEEvPKT6_PKbPfiPT5_PiiiibdPKfPKS8_SE_: ; @_ZN4vllm3moe22topkGatingSoftplusSqrtILi12ELi384ELi4ELi8ELi32ELb1ElfEEvPKT6_PKbPfiPT5_PiiiibdPKfPKS8_SE_
; %bb.0:
	s_load_dword s3, s[0:1], 0x18
	v_and_b32_e32 v1, 0x3ff, v0
	s_lshl_b32 s2, s2, 2
	v_lshrrev_b32_e32 v2, 5, v1
	v_bfe_u32 v0, v0, 10, 10
	v_add3_u32 v6, s2, v0, v2
	s_waitcnt lgkmcnt(0)
	v_cmp_gt_i32_e32 vcc, s3, v6
	s_and_saveexec_b64 s[2:3], vcc
	s_cbranch_execz .LBB170_59
; %bb.1:
	s_load_dwordx4 s[4:7], s[0:1], 0x50
	s_load_dwordx2 s[2:3], s[0:1], 0x0
	s_load_dword s20, s[0:1], 0x30
	s_movk_i32 s8, 0x180
	v_mul_lo_u32 v2, v6, s8
	v_lshlrev_b32_e32 v0, 1, v1
	v_ashrrev_i32_e32 v3, 31, v2
	v_and_b32_e32 v14, 62, v0
	s_waitcnt lgkmcnt(0)
	v_lshl_add_u64 v[2:3], v[2:3], 2, s[2:3]
	v_lshlrev_b32_e32 v4, 2, v14
	v_mov_b32_e32 v5, 0
	v_mov_b32_e32 v8, s4
	;; [unrolled: 1-line block ×3, first 2 shown]
	v_lshl_add_u64 v[16:17], v[2:3], 0, v[4:5]
	v_ashrrev_i32_e32 v7, 31, v6
	global_load_dwordx2 v[0:1], v[16:17], off offset:1024
	global_load_dwordx2 v[2:3], v[16:17], off offset:1280
	v_lshl_add_u64 v[8:9], v[6:7], 3, v[8:9]
	global_load_dwordx2 v[18:19], v[8:9], off
	global_load_dwordx2 v[20:21], v[16:17], off
	global_load_dwordx2 v[22:23], v[16:17], off offset:256
	global_load_dwordx2 v[24:25], v[16:17], off offset:512
	;; [unrolled: 1-line block ×3, first 2 shown]
	s_mov_b32 s17, 0x800000
	s_ashr_i32 s21, s20, 31
	v_mov_b32_e32 v7, 0x4f800000
	s_mov_b32 s15, 0x3f317217
	s_mov_b32 s16, 0x7f800000
	v_mov_b32_e32 v12, 0x41b17218
	s_mov_b32 s11, 0x41a00000
	s_mov_b32 s14, 0xf800000
	v_mov_b32_e32 v8, s6
	v_mov_b32_e32 v9, s7
	;; [unrolled: 1-line block ×3, first 2 shown]
	v_cmp_lt_i64_e64 s[12:13], s[20:21], 1
	s_mov_b32 s10, 0
	v_cmp_gt_i64_e64 s[8:9], s[20:21], 0
	s_waitcnt vmcnt(4)
	v_mul_lo_u32 v13, v19, s20
	scratch_store_dwordx4 off, v[0:3], off offset:32
	s_waitcnt vmcnt(3)
	v_mul_f32_e32 v19, 0x3fb8aa3b, v22
	v_mul_f32_e32 v27, 0x3fb8aa3b, v23
	;; [unrolled: 1-line block ×4, first 2 shown]
	v_exp_f32_e32 v16, v2
	v_exp_f32_e32 v17, v3
	v_mul_lo_u32 v15, v18, s21
	v_exp_f32_e32 v26, v19
	v_exp_f32_e32 v27, v27
	v_pk_add_f32 v[16:17], v[16:17], 1.0 op_sel_hi:[1,0]
	v_mad_u64_u32 v[2:3], s[2:3], v18, s20, 0
	v_cmp_gt_f32_e32 vcc, s17, v17
	v_add3_u32 v3, v3, v15, v13
	v_cmp_gt_f32_e64 s[2:3], s17, v16
	v_cndmask_b32_e32 v13, 1.0, v7, vcc
	v_mul_f32_e32 v13, v17, v13
	v_cndmask_b32_e64 v15, 1.0, v7, s[2:3]
	v_mul_f32_e32 v15, v16, v15
	v_log_f32_e32 v13, v13
	v_pk_add_f32 v[18:19], v[26:27], 1.0 op_sel_hi:[1,0]
	v_log_f32_e32 v15, v15
	v_cmp_gt_f32_e64 s[4:5], s17, v19
	v_cndmask_b32_e32 v17, 0, v12, vcc
	v_cmp_lt_f32_e64 vcc, |v13|, s16
	v_cndmask_b32_e64 v26, 1.0, v7, s[4:5]
	v_mul_f32_e32 v16, v19, v26
	v_mul_f32_e32 v26, 0x3f317217, v13
	;; [unrolled: 1-line block ×3, first 2 shown]
	v_fma_f32 v26, v13, s15, -v26
	v_fma_f32 v27, v15, s15, -v27
	v_fmac_f32_e32 v26, 0x3377d1cf, v13
	v_fmac_f32_e32 v27, 0x3377d1cf, v15
	;; [unrolled: 1-line block ×4, first 2 shown]
	v_cndmask_b32_e32 v13, v13, v26, vcc
	v_cmp_lt_f32_e64 vcc, |v15|, s16
	v_log_f32_e32 v19, v16
	v_cndmask_b32_e64 v16, 0, v12, s[2:3]
	v_cndmask_b32_e32 v15, v15, v27, vcc
	v_sub_f32_e32 v15, v15, v16
	v_cmp_lt_f32_e32 vcc, s11, v20
	v_sub_f32_e32 v13, v13, v17
	v_mul_f32_e32 v28, 0x3f317217, v19
	v_cndmask_b32_e32 v15, v15, v20, vcc
	v_cmp_lt_f32_e32 vcc, s11, v21
	v_mul_f32_e32 v17, 0x4f800000, v15
	v_cmp_gt_f32_e64 s[2:3], s14, v15
	v_cndmask_b32_e32 v13, v13, v21, vcc
	v_mul_f32_e32 v16, 0x4f800000, v13
	v_cmp_gt_f32_e32 vcc, s14, v13
	v_cndmask_b32_e64 v15, v15, v17, s[2:3]
	v_sqrt_f32_e32 v17, v15
	v_cndmask_b32_e32 v13, v13, v16, vcc
	v_sqrt_f32_e32 v16, v13
	v_fma_f32 v20, v19, s15, -v28
	v_add_u32_e32 v27, -1, v17
	v_fma_f32 v31, -v27, v17, v15
	v_add_u32_e32 v21, -1, v16
	v_fma_f32 v29, -v21, v16, v13
	v_add_u32_e32 v26, 1, v16
	v_cmp_ge_f32_e64 s[6:7], 0, v29
	v_add_u32_e32 v28, 1, v17
	v_fma_f32 v30, -v26, v16, v13
	v_cndmask_b32_e64 v16, v16, v21, s[6:7]
	v_cmp_ge_f32_e64 s[6:7], 0, v31
	v_fma_f32 v32, -v28, v17, v15
	v_fmac_f32_e32 v20, 0x3377d1cf, v19
	v_cndmask_b32_e64 v17, v17, v27, s[6:7]
	v_cmp_lt_f32_e64 s[6:7], 0, v30
	v_fmac_f32_e32 v20, 0x3f317217, v19
	s_nop 0
	v_cndmask_b32_e64 v16, v16, v26, s[6:7]
	v_cmp_lt_f32_e64 s[6:7], 0, v32
	v_mul_f32_e32 v21, 0x37800000, v16
	v_cndmask_b32_e32 v16, v16, v21, vcc
	v_cndmask_b32_e64 v17, v17, v28, s[6:7]
	v_mul_f32_e32 v26, 0x37800000, v17
	v_cmp_class_f32_e32 vcc, v13, v4
	v_cndmask_b32_e64 v21, v17, v26, s[2:3]
	v_cmp_lt_f32_e64 s[2:3], |v19|, s16
	v_cndmask_b32_e32 v17, v16, v13, vcc
	v_cmp_class_f32_e32 vcc, v15, v4
	s_nop 1
	v_cndmask_b32_e32 v16, v21, v15, vcc
	v_cmp_gt_f32_e32 vcc, s17, v18
	v_cndmask_b32_e64 v15, v19, v20, s[2:3]
	s_waitcnt vmcnt(2)
	v_mul_f32_e32 v21, 0x3fb8aa3b, v25
	v_cndmask_b32_e32 v13, 1.0, v7, vcc
	v_mul_f32_e32 v13, v18, v13
	v_log_f32_e32 v13, v13
	v_cndmask_b32_e64 v18, 0, v12, s[4:5]
	v_sub_f32_e32 v15, v15, v18
	v_exp_f32_e32 v21, v21
	v_mul_f32_e32 v18, 0x3f317217, v13
	v_fma_f32 v18, v13, s15, -v18
	v_fmac_f32_e32 v18, 0x3377d1cf, v13
	v_fmac_f32_e32 v18, 0x3f317217, v13
	v_cmp_lt_f32_e64 s[2:3], |v13|, s16
	s_nop 1
	v_cndmask_b32_e64 v13, v13, v18, s[2:3]
	v_cndmask_b32_e32 v18, 0, v12, vcc
	v_cmp_lt_f32_e32 vcc, s11, v23
	v_sub_f32_e32 v13, v13, v18
	v_cmp_lt_f32_e64 s[2:3], s11, v22
	v_cndmask_b32_e32 v15, v15, v23, vcc
	v_mul_f32_e32 v19, 0x4f800000, v15
	v_cmp_gt_f32_e32 vcc, s14, v15
	v_cndmask_b32_e64 v13, v13, v22, s[2:3]
	s_nop 0
	v_cndmask_b32_e32 v15, v15, v19, vcc
	v_sqrt_f32_e32 v19, v15
	s_nop 0
	v_add_u32_e32 v18, -1, v19
	v_fma_f32 v20, -v18, v19, v15
	v_cmp_ge_f32_e64 s[2:3], 0, v20
	v_add_u32_e32 v20, 1, v19
	s_nop 0
	v_cndmask_b32_e64 v18, v19, v18, s[2:3]
	v_fma_f32 v19, -v20, v19, v15
	v_cmp_lt_f32_e64 s[2:3], 0, v19
	s_nop 1
	v_cndmask_b32_e64 v18, v18, v20, s[2:3]
	v_mul_f32_e32 v20, 0x4f800000, v13
	v_cmp_gt_f32_e64 s[2:3], s14, v13
	v_mul_f32_e32 v19, 0x37800000, v18
	v_cndmask_b32_e32 v18, v18, v19, vcc
	v_cndmask_b32_e64 v13, v13, v20, s[2:3]
	v_sqrt_f32_e32 v20, v13
	v_cmp_class_f32_e32 vcc, v15, v4
	s_nop 1
	v_cndmask_b32_e32 v19, v18, v15, vcc
	v_add_u32_e32 v15, -1, v20
	v_fma_f32 v18, -v15, v20, v13
	v_cmp_ge_f32_e32 vcc, 0, v18
	v_add_u32_e32 v18, 1, v20
	v_fma_f32 v22, -v18, v20, v13
	v_cndmask_b32_e32 v15, v20, v15, vcc
	v_mul_f32_e32 v20, 0x3fb8aa3b, v24
	v_exp_f32_e32 v20, v20
	v_cmp_lt_f32_e32 vcc, 0, v22
	v_pk_add_f32 v[20:21], v[20:21], 1.0 op_sel_hi:[1,0]
	s_nop 0
	v_cndmask_b32_e32 v15, v15, v18, vcc
	v_mul_f32_e32 v18, 0x37800000, v15
	v_cmp_gt_f32_e32 vcc, s17, v21
	v_cndmask_b32_e64 v15, v15, v18, s[2:3]
	v_cmp_class_f32_e64 s[2:3], v13, v4
	v_cndmask_b32_e32 v18, 1.0, v7, vcc
	v_mul_f32_e32 v18, v21, v18
	v_log_f32_e32 v21, v18
	v_cndmask_b32_e64 v18, v15, v13, s[2:3]
	v_cmp_gt_f32_e64 s[2:3], s17, v20
	scratch_store_dwordx4 off, v[16:19], off
	v_mul_f32_e32 v13, 0x3f317217, v21
	v_cndmask_b32_e64 v15, 1.0, v7, s[2:3]
	v_mul_f32_e32 v15, v20, v15
	v_fma_f32 v13, v21, s15, -v13
	v_log_f32_e32 v15, v15
	v_fmac_f32_e32 v13, 0x3377d1cf, v21
	v_fmac_f32_e32 v13, 0x3f317217, v21
	v_cmp_lt_f32_e64 s[4:5], |v21|, s16
	v_cndmask_b32_e32 v16, 0, v12, vcc
	v_cmp_lt_f32_e64 vcc, |v15|, s16
	v_cndmask_b32_e64 v13, v21, v13, s[4:5]
	v_sub_f32_e32 v13, v13, v16
	v_mul_f32_e32 v16, 0x3f317217, v15
	v_fma_f32 v16, v15, s15, -v16
	v_fmac_f32_e32 v16, 0x3377d1cf, v15
	v_fmac_f32_e32 v16, 0x3f317217, v15
	v_cndmask_b32_e32 v15, v15, v16, vcc
	v_cmp_lt_f32_e32 vcc, s11, v25
	v_cndmask_b32_e64 v16, 0, v12, s[2:3]
	v_sub_f32_e32 v15, v15, v16
	v_cndmask_b32_e32 v13, v13, v25, vcc
	v_mul_f32_e32 v17, 0x4f800000, v13
	v_cmp_gt_f32_e32 vcc, s14, v13
	v_cmp_lt_f32_e64 s[2:3], s11, v24
	s_waitcnt vmcnt(2)
	v_mul_f32_e32 v19, 0x3fb8aa3b, v11
	v_cndmask_b32_e32 v13, v13, v17, vcc
	v_sqrt_f32_e32 v17, v13
	v_cndmask_b32_e64 v15, v15, v24, s[2:3]
	v_exp_f32_e32 v19, v19
	v_add_u32_e32 v16, -1, v17
	v_fma_f32 v18, -v16, v17, v13
	v_cmp_ge_f32_e64 s[2:3], 0, v18
	v_add_u32_e32 v18, 1, v17
	s_nop 0
	v_cndmask_b32_e64 v16, v17, v16, s[2:3]
	v_fma_f32 v17, -v18, v17, v13
	v_cmp_lt_f32_e64 s[2:3], 0, v17
	s_nop 1
	v_cndmask_b32_e64 v16, v16, v18, s[2:3]
	v_mul_f32_e32 v18, 0x4f800000, v15
	v_cmp_gt_f32_e64 s[2:3], s14, v15
	v_mul_f32_e32 v17, 0x37800000, v16
	v_cndmask_b32_e32 v16, v16, v17, vcc
	v_cndmask_b32_e64 v15, v15, v18, s[2:3]
	v_sqrt_f32_e32 v18, v15
	v_cmp_class_f32_e32 vcc, v13, v4
	s_nop 1
	v_cndmask_b32_e32 v17, v16, v13, vcc
	v_add_u32_e32 v13, -1, v18
	v_fma_f32 v16, -v13, v18, v15
	v_cmp_ge_f32_e32 vcc, 0, v16
	v_add_u32_e32 v16, 1, v18
	v_fma_f32 v20, -v16, v18, v15
	v_cndmask_b32_e32 v13, v18, v13, vcc
	v_mul_f32_e32 v18, 0x3fb8aa3b, v10
	v_exp_f32_e32 v18, v18
	v_cmp_lt_f32_e32 vcc, 0, v20
	v_pk_add_f32 v[18:19], v[18:19], 1.0 op_sel_hi:[1,0]
	s_nop 0
	v_cndmask_b32_e32 v13, v13, v16, vcc
	v_cmp_gt_f32_e32 vcc, s17, v19
	v_mul_f32_e32 v16, 0x37800000, v13
	v_cndmask_b32_e64 v13, v13, v16, s[2:3]
	v_cndmask_b32_e32 v20, 1.0, v7, vcc
	v_mul_f32_e32 v19, v19, v20
	scratch_load_dwordx2 v[20:21], off, off offset:40
	v_log_f32_e32 v19, v19
	v_cmp_class_f32_e64 s[2:3], v15, v4
	v_cmp_lt_f32_e64 s[4:5], |v19|, s16
	s_nop 0
	v_cndmask_b32_e64 v16, v13, v15, s[2:3]
	v_cmp_gt_f32_e64 s[2:3], s17, v18
	v_mul_f32_e32 v13, 0x3f317217, v19
	v_fma_f32 v13, v19, s15, -v13
	v_cndmask_b32_e64 v15, 1.0, v7, s[2:3]
	v_mul_f32_e32 v15, v18, v15
	v_log_f32_e32 v15, v15
	v_fmac_f32_e32 v13, 0x3377d1cf, v19
	v_fmac_f32_e32 v13, 0x3f317217, v19
	v_cndmask_b32_e64 v13, v19, v13, s[4:5]
	v_cndmask_b32_e32 v18, 0, v12, vcc
	v_sub_f32_e32 v13, v13, v18
	v_mul_f32_e32 v18, 0x3f317217, v15
	v_fma_f32 v18, v15, s15, -v18
	v_fmac_f32_e32 v18, 0x3377d1cf, v15
	v_fmac_f32_e32 v18, 0x3f317217, v15
	v_cmp_lt_f32_e64 vcc, |v15|, s16
	s_nop 1
	v_cndmask_b32_e32 v15, v15, v18, vcc
	v_cmp_lt_f32_e32 vcc, s11, v11
	v_cndmask_b32_e64 v18, 0, v12, s[2:3]
	v_sub_f32_e32 v15, v15, v18
	v_cndmask_b32_e32 v11, v13, v11, vcc
	v_mul_f32_e32 v13, 0x4f800000, v11
	v_cmp_gt_f32_e32 vcc, s14, v11
	v_cmp_lt_f32_e64 s[2:3], s11, v10
	s_nop 0
	v_cndmask_b32_e32 v11, v11, v13, vcc
	v_sqrt_f32_e32 v13, v11
	v_cndmask_b32_e64 v10, v15, v10, s[2:3]
	v_add_u32_e32 v15, -1, v13
	v_fma_f32 v18, -v15, v13, v11
	v_cmp_ge_f32_e64 s[2:3], 0, v18
	v_add_u32_e32 v18, 1, v13
	s_nop 0
	v_cndmask_b32_e64 v15, v13, v15, s[2:3]
	v_fma_f32 v13, -v18, v13, v11
	v_cmp_lt_f32_e64 s[2:3], 0, v13
	s_nop 1
	v_cndmask_b32_e64 v13, v15, v18, s[2:3]
	v_mul_f32_e32 v18, 0x4f800000, v10
	v_cmp_gt_f32_e64 s[2:3], s14, v10
	v_mul_f32_e32 v15, 0x37800000, v13
	v_cndmask_b32_e32 v13, v13, v15, vcc
	v_cndmask_b32_e64 v18, v10, v18, s[2:3]
	v_sqrt_f32_e32 v10, v18
	v_cmp_class_f32_e32 vcc, v11, v4
	v_add_u32_e32 v15, 1, v10
	s_nop 0
	v_cndmask_b32_e32 v19, v13, v11, vcc
	v_add_u32_e32 v11, -1, v10
	v_fma_f32 v13, -v11, v10, v18
	v_cmp_ge_f32_e32 vcc, 0, v13
	v_fma_f32 v22, -v15, v10, v18
	s_nop 0
	v_cndmask_b32_e32 v13, v10, v11, vcc
	v_mul_f32_e32 v10, 0x3fb8aa3b, v0
	v_mul_f32_e32 v11, 0x3fb8aa3b, v1
	v_exp_f32_e32 v10, v10
	v_exp_f32_e32 v11, v11
	v_cmp_lt_f32_e32 vcc, 0, v22
	v_pk_add_f32 v[10:11], v[10:11], 1.0 op_sel_hi:[1,0]
	s_nop 0
	v_cndmask_b32_e32 v13, v13, v15, vcc
	v_mul_f32_e32 v15, 0x37800000, v13
	v_cmp_gt_f32_e32 vcc, s17, v11
	v_cndmask_b32_e64 v13, v13, v15, s[2:3]
	v_cmp_class_f32_e64 s[2:3], v18, v4
	v_cndmask_b32_e32 v15, 1.0, v7, vcc
	v_mul_f32_e32 v11, v11, v15
	v_log_f32_e32 v11, v11
	v_cndmask_b32_e64 v18, v13, v18, s[2:3]
	v_cmp_gt_f32_e64 s[2:3], s17, v10
	scratch_store_dwordx4 off, v[16:19], off offset:16
	v_mul_f32_e32 v13, 0x3f317217, v11
	v_cndmask_b32_e64 v15, 1.0, v7, s[2:3]
	v_mul_f32_e32 v10, v10, v15
	v_fma_f32 v13, v11, s15, -v13
	v_log_f32_e32 v10, v10
	v_fmac_f32_e32 v13, 0x3377d1cf, v11
	v_fmac_f32_e32 v13, 0x3f317217, v11
	v_cmp_lt_f32_e64 s[4:5], |v11|, s16
	s_nop 1
	v_cndmask_b32_e64 v11, v11, v13, s[4:5]
	v_cndmask_b32_e32 v13, 0, v12, vcc
	v_sub_f32_e32 v11, v11, v13
	v_mul_f32_e32 v13, 0x3f317217, v10
	v_fma_f32 v13, v10, s15, -v13
	v_fmac_f32_e32 v13, 0x3377d1cf, v10
	v_fmac_f32_e32 v13, 0x3f317217, v10
	v_cmp_lt_f32_e64 vcc, |v10|, s16
	s_nop 1
	v_cndmask_b32_e32 v10, v10, v13, vcc
	v_cmp_lt_f32_e32 vcc, s11, v1
	v_cndmask_b32_e64 v13, 0, v12, s[2:3]
	v_sub_f32_e32 v10, v10, v13
	v_cndmask_b32_e32 v1, v11, v1, vcc
	v_mul_f32_e32 v11, 0x4f800000, v1
	v_cmp_gt_f32_e32 vcc, s14, v1
	v_cmp_lt_f32_e64 s[2:3], s11, v0
	s_nop 0
	v_cndmask_b32_e32 v1, v1, v11, vcc
	v_sqrt_f32_e32 v11, v1
	v_cndmask_b32_e64 v0, v10, v0, s[2:3]
	v_add_u32_e32 v10, -1, v11
	v_fma_f32 v13, -v10, v11, v1
	v_cmp_ge_f32_e64 s[2:3], 0, v13
	v_add_u32_e32 v13, 1, v11
	s_nop 0
	v_cndmask_b32_e64 v10, v11, v10, s[2:3]
	v_fma_f32 v11, -v13, v11, v1
	v_cmp_lt_f32_e64 s[2:3], 0, v11
	s_nop 1
	v_cndmask_b32_e64 v10, v10, v13, s[2:3]
	v_mul_f32_e32 v13, 0x4f800000, v0
	v_cmp_gt_f32_e64 s[2:3], s14, v0
	v_mul_f32_e32 v11, 0x37800000, v10
	v_cndmask_b32_e32 v10, v10, v11, vcc
	v_cndmask_b32_e64 v13, v0, v13, s[2:3]
	v_sqrt_f32_e32 v0, v13
	v_cmp_class_f32_e32 vcc, v1, v4
	v_add_u32_e32 v15, 1, v0
	s_nop 0
	v_cndmask_b32_e32 v11, v10, v1, vcc
	v_add_u32_e32 v1, -1, v0
	v_fma_f32 v10, -v1, v0, v13
	v_cmp_ge_f32_e32 vcc, 0, v10
	v_fma_f32 v16, -v15, v0, v13
	s_nop 0
	v_cndmask_b32_e32 v10, v0, v1, vcc
	s_waitcnt vmcnt(1)
	v_mul_f32_e32 v0, 0x3fb8aa3b, v20
	v_mul_f32_e32 v1, 0x3fb8aa3b, v21
	v_exp_f32_e32 v0, v0
	v_exp_f32_e32 v1, v1
	v_cmp_lt_f32_e32 vcc, 0, v16
	v_pk_add_f32 v[0:1], v[0:1], 1.0 op_sel_hi:[1,0]
	s_nop 0
	v_cndmask_b32_e32 v10, v10, v15, vcc
	v_cmp_gt_f32_e32 vcc, s17, v1
	v_mul_f32_e32 v15, 0x37800000, v10
	v_cndmask_b32_e64 v10, v10, v15, s[2:3]
	v_cndmask_b32_e32 v16, 1.0, v7, vcc
	v_mul_f32_e32 v1, v1, v16
	v_log_f32_e32 v1, v1
	v_cmp_class_f32_e64 s[2:3], v13, v4
	v_cmp_lt_f32_e64 s[4:5], |v1|, s16
	s_nop 0
	v_cndmask_b32_e64 v10, v10, v13, s[2:3]
	v_cmp_gt_f32_e64 s[2:3], s17, v0
	v_mul_f32_e32 v13, 0x3f317217, v1
	v_fma_f32 v13, v1, s15, -v13
	v_cndmask_b32_e64 v7, 1.0, v7, s[2:3]
	v_mul_f32_e32 v0, v0, v7
	v_log_f32_e32 v0, v0
	v_fmac_f32_e32 v13, 0x3377d1cf, v1
	v_fmac_f32_e32 v13, 0x3f317217, v1
	v_cndmask_b32_e64 v1, v1, v13, s[4:5]
	v_cndmask_b32_e32 v7, 0, v12, vcc
	v_sub_f32_e32 v1, v1, v7
	v_mul_f32_e32 v7, 0x3f317217, v0
	v_fma_f32 v7, v0, s15, -v7
	v_fmac_f32_e32 v7, 0x3377d1cf, v0
	v_fmac_f32_e32 v7, 0x3f317217, v0
	v_cmp_lt_f32_e64 vcc, |v0|, s16
	s_nop 1
	v_cndmask_b32_e32 v0, v0, v7, vcc
	v_cmp_lt_f32_e32 vcc, s11, v21
	v_cndmask_b32_e64 v7, 0, v12, s[2:3]
	v_sub_f32_e32 v0, v0, v7
	v_cndmask_b32_e32 v1, v1, v21, vcc
	v_mul_f32_e32 v12, 0x4f800000, v1
	v_cmp_gt_f32_e32 vcc, s14, v1
	v_cmp_lt_f32_e64 s[2:3], s11, v20
	s_nop 0
	v_cndmask_b32_e32 v1, v1, v12, vcc
	v_sqrt_f32_e32 v12, v1
	v_cndmask_b32_e64 v0, v0, v20, s[2:3]
	v_add_u32_e32 v7, -1, v12
	v_fma_f32 v13, -v7, v12, v1
	v_cmp_ge_f32_e64 s[2:3], 0, v13
	v_add_u32_e32 v13, 1, v12
	s_nop 0
	v_cndmask_b32_e64 v7, v12, v7, s[2:3]
	v_fma_f32 v12, -v13, v12, v1
	v_cmp_lt_f32_e64 s[2:3], 0, v12
	s_nop 1
	v_cndmask_b32_e64 v7, v7, v13, s[2:3]
	v_mul_f32_e32 v13, 0x4f800000, v0
	v_cmp_gt_f32_e64 s[2:3], s14, v0
	v_mul_f32_e32 v12, 0x37800000, v7
	v_cndmask_b32_e32 v7, v7, v12, vcc
	v_cndmask_b32_e64 v0, v0, v13, s[2:3]
	v_sqrt_f32_e32 v15, v0
	v_cmp_class_f32_e32 vcc, v1, v4
	s_nop 1
	v_cndmask_b32_e32 v13, v7, v1, vcc
	v_add_u32_e32 v1, -1, v15
	v_fma_f32 v7, -v1, v15, v0
	v_cmp_ge_f32_e32 vcc, 0, v7
	v_add_u32_e32 v7, 1, v15
	v_fma_f32 v12, -v7, v15, v0
	v_cndmask_b32_e32 v1, v15, v1, vcc
	v_cmp_lt_f32_e32 vcc, 0, v12
	s_nop 1
	v_cndmask_b32_e32 v1, v1, v7, vcc
	v_mul_f32_e32 v7, 0x37800000, v1
	v_cndmask_b32_e64 v1, v1, v7, s[2:3]
	v_cmp_class_f32_e32 vcc, v0, v4
	s_nop 1
	v_cndmask_b32_e32 v12, v1, v0, vcc
	v_lshl_add_u64 v[0:1], v[2:3], 3, v[8:9]
	s_and_b64 vcc, exec, s[12:13]
	v_mul_lo_u32 v2, v6, s20
	scratch_store_dwordx4 off, v[10:13], off offset:32
	s_cbranch_vccnz .LBB170_28
; %bb.2:
	s_load_dwordx2 s[4:5], s[0:1], 0x20
	s_cmp_lt_u32 s20, 4
	v_mul_lo_u32 v6, v6, s20
	s_cbranch_scc1 .LBB170_21
; %bb.3:
	s_mov_b32 s7, 0
	s_and_b32 s10, s20, 0x7ffffffc
	v_ashrrev_i32_e32 v7, 31, v6
	v_mov_b32_e32 v5, 0
	s_mov_b32 s6, s7
	s_branch .LBB170_5
.LBB170_4:                              ;   in Loop: Header=BB170_5 Depth=1
	s_or_b64 exec, exec, s[12:13]
	s_add_i32 s6, s6, 4
	s_cmp_eq_u32 s6, s10
	s_cbranch_scc1 .LBB170_21
.LBB170_5:                              ; =>This Loop Header: Depth=1
                                        ;     Child Loop BB170_7 Depth 2
                                        ;     Child Loop BB170_11 Depth 2
	;; [unrolled: 1-line block ×4, first 2 shown]
	v_lshl_add_u64 v[8:9], s[6:7], 3, v[0:1]
	global_load_dwordx2 v[10:11], v[8:9], off
	v_add_u32_e32 v12, s6, v6
	v_ashrrev_i32_e32 v13, 31, v12
	v_mov_b32_e32 v3, 0
	s_mov_b64 s[12:13], 0
	s_mov_b32 s11, 0
	s_waitcnt lgkmcnt(0)
	v_lshl_add_u64 v[12:13], v[12:13], 3, s[4:5]
	s_mov_b32 s16, 0
	s_waitcnt vmcnt(0)
	v_ashrrev_i32_e32 v11, 31, v10
	s_branch .LBB170_7
.LBB170_6:                              ;   in Loop: Header=BB170_7 Depth=2
	s_or_b64 exec, exec, s[14:15]
	s_add_i32 s17, s16, 1
	s_cmp_gt_u32 s16, 10
	s_cselect_b64 s[2:3], -1, 0
	s_xor_b64 s[14:15], vcc, -1
	s_or_b64 s[2:3], s[14:15], s[2:3]
	s_add_i32 s11, s11, 32
	s_and_b64 s[2:3], exec, s[2:3]
	v_add_u32_e32 v3, 4, v3
	s_or_b64 s[12:13], s[2:3], s[12:13]
	s_mov_b32 s16, s17
	s_andn2_b64 exec, exec, s[12:13]
	s_cbranch_execz .LBB170_9
.LBB170_7:                              ;   Parent Loop BB170_5 Depth=1
                                        ; =>  This Inner Loop Header: Depth=2
	s_and_b32 s2, s16, 1
	s_and_b32 s3, s11, 0x1c0
	s_or_b32 s2, s2, s3
	v_or_b32_e32 v4, s2, v14
	v_cmp_ne_u32_e32 vcc, v4, v10
	v_cmp_eq_u32_e64 s[2:3], v4, v10
	s_and_saveexec_b64 s[14:15], s[2:3]
	s_cbranch_execz .LBB170_6
; %bb.8:                                ;   in Loop: Header=BB170_7 Depth=2
	scratch_load_dword v4, v3, off
	s_waitcnt vmcnt(0)
	v_add_f32_e32 v5, v5, v4
	global_store_dwordx2 v[12:13], v[10:11], off
	s_branch .LBB170_6
.LBB170_9:                              ;   in Loop: Header=BB170_5 Depth=1
	s_or_b64 exec, exec, s[12:13]
	global_load_dwordx2 v[12:13], v[8:9], off offset:8
	s_ashr_i32 s3, s6, 31
	s_mov_b32 s2, s6
	v_lshl_add_u64 v[10:11], s[2:3], 0, v[6:7]
	v_mov_b32_e32 v3, 0
	s_mov_b32 s11, 0
	s_mov_b64 s[12:13], 0
	v_lshl_add_u64 v[10:11], v[10:11], 3, s[4:5]
	s_mov_b32 s16, 0
	s_waitcnt vmcnt(0)
	v_ashrrev_i32_e32 v13, 31, v12
	s_branch .LBB170_11
.LBB170_10:                             ;   in Loop: Header=BB170_11 Depth=2
	s_or_b64 exec, exec, s[14:15]
	s_add_i32 s17, s16, 1
	s_cmp_gt_u32 s16, 10
	s_cselect_b64 s[2:3], -1, 0
	s_xor_b64 s[14:15], vcc, -1
	s_or_b64 s[2:3], s[14:15], s[2:3]
	s_add_i32 s11, s11, 32
	s_and_b64 s[2:3], exec, s[2:3]
	v_add_u32_e32 v3, 4, v3
	s_or_b64 s[12:13], s[2:3], s[12:13]
	s_mov_b32 s16, s17
	s_andn2_b64 exec, exec, s[12:13]
	s_cbranch_execz .LBB170_13
.LBB170_11:                             ;   Parent Loop BB170_5 Depth=1
                                        ; =>  This Inner Loop Header: Depth=2
	s_and_b32 s2, s16, 1
	s_and_b32 s3, s11, 0x1c0
	s_or_b32 s2, s2, s3
	v_or_b32_e32 v4, s2, v14
	v_cmp_ne_u32_e32 vcc, v4, v12
	v_cmp_eq_u32_e64 s[2:3], v4, v12
	s_and_saveexec_b64 s[14:15], s[2:3]
	s_cbranch_execz .LBB170_10
; %bb.12:                               ;   in Loop: Header=BB170_11 Depth=2
	scratch_load_dword v4, v3, off
	s_waitcnt vmcnt(0)
	v_add_f32_e32 v5, v5, v4
	global_store_dwordx2 v[10:11], v[12:13], off offset:8
	s_branch .LBB170_10
.LBB170_13:                             ;   in Loop: Header=BB170_5 Depth=1
	s_or_b64 exec, exec, s[12:13]
	global_load_dwordx2 v[12:13], v[8:9], off offset:16
	v_mov_b32_e32 v3, 0
	s_mov_b32 s11, 0
	s_mov_b64 s[12:13], 0
	s_mov_b32 s16, 0
	s_waitcnt vmcnt(0)
	v_ashrrev_i32_e32 v13, 31, v12
	s_branch .LBB170_15
.LBB170_14:                             ;   in Loop: Header=BB170_15 Depth=2
	s_or_b64 exec, exec, s[14:15]
	s_add_i32 s17, s16, 1
	s_cmp_gt_u32 s16, 10
	s_cselect_b64 s[2:3], -1, 0
	s_xor_b64 s[14:15], vcc, -1
	s_or_b64 s[2:3], s[14:15], s[2:3]
	s_add_i32 s11, s11, 32
	s_and_b64 s[2:3], exec, s[2:3]
	v_add_u32_e32 v3, 4, v3
	s_or_b64 s[12:13], s[2:3], s[12:13]
	s_mov_b32 s16, s17
	s_andn2_b64 exec, exec, s[12:13]
	s_cbranch_execz .LBB170_17
.LBB170_15:                             ;   Parent Loop BB170_5 Depth=1
                                        ; =>  This Inner Loop Header: Depth=2
	s_and_b32 s2, s16, 1
	s_and_b32 s3, s11, 0x1c0
	s_or_b32 s2, s2, s3
	v_or_b32_e32 v4, s2, v14
	v_cmp_ne_u32_e32 vcc, v4, v12
	v_cmp_eq_u32_e64 s[2:3], v4, v12
	s_and_saveexec_b64 s[14:15], s[2:3]
	s_cbranch_execz .LBB170_14
; %bb.16:                               ;   in Loop: Header=BB170_15 Depth=2
	scratch_load_dword v4, v3, off
	s_waitcnt vmcnt(0)
	v_add_f32_e32 v5, v5, v4
	global_store_dwordx2 v[10:11], v[12:13], off offset:16
	s_branch .LBB170_14
.LBB170_17:                             ;   in Loop: Header=BB170_5 Depth=1
	s_or_b64 exec, exec, s[12:13]
	global_load_dwordx2 v[8:9], v[8:9], off offset:24
	v_mov_b32_e32 v3, 0
	s_mov_b32 s11, 0
	s_mov_b64 s[12:13], 0
	s_mov_b32 s16, 0
	s_waitcnt vmcnt(0)
	v_ashrrev_i32_e32 v9, 31, v8
	s_branch .LBB170_19
.LBB170_18:                             ;   in Loop: Header=BB170_19 Depth=2
	s_or_b64 exec, exec, s[14:15]
	s_add_i32 s17, s16, 1
	s_cmp_gt_u32 s16, 10
	s_cselect_b64 s[2:3], -1, 0
	s_xor_b64 s[14:15], vcc, -1
	s_or_b64 s[2:3], s[14:15], s[2:3]
	s_add_i32 s11, s11, 32
	s_and_b64 s[2:3], exec, s[2:3]
	v_add_u32_e32 v3, 4, v3
	s_or_b64 s[12:13], s[2:3], s[12:13]
	s_mov_b32 s16, s17
	s_andn2_b64 exec, exec, s[12:13]
	s_cbranch_execz .LBB170_4
.LBB170_19:                             ;   Parent Loop BB170_5 Depth=1
                                        ; =>  This Inner Loop Header: Depth=2
	s_and_b32 s2, s16, 1
	s_and_b32 s3, s11, 0x1c0
	s_or_b32 s2, s2, s3
	v_or_b32_e32 v4, s2, v14
	v_cmp_ne_u32_e32 vcc, v4, v8
	v_cmp_eq_u32_e64 s[2:3], v4, v8
	s_and_saveexec_b64 s[14:15], s[2:3]
	s_cbranch_execz .LBB170_18
; %bb.20:                               ;   in Loop: Header=BB170_19 Depth=2
	scratch_load_dword v4, v3, off
	s_waitcnt vmcnt(0)
	v_add_f32_e32 v5, v5, v4
	global_store_dwordx2 v[10:11], v[8:9], off offset:24
	s_branch .LBB170_18
.LBB170_21:
	s_and_b32 s14, s20, 3
	s_cmp_eq_u32 s14, 0
	s_mov_b32 s11, 0
	s_cbranch_scc1 .LBB170_28
; %bb.22:
	s_mov_b32 s15, s11
	s_branch .LBB170_24
.LBB170_23:                             ;   in Loop: Header=BB170_24 Depth=1
	s_or_b64 exec, exec, s[6:7]
	s_add_i32 s10, s10, 1
	s_add_i32 s15, s15, 1
	s_cmp_lg_u32 s15, s14
	s_cbranch_scc0 .LBB170_28
.LBB170_24:                             ; =>This Loop Header: Depth=1
                                        ;     Child Loop BB170_26 Depth 2
	v_lshl_add_u64 v[8:9], s[10:11], 3, v[0:1]
	global_load_dwordx2 v[8:9], v[8:9], off
	v_add_u32_e32 v10, s10, v6
	v_ashrrev_i32_e32 v11, 31, v10
	v_mov_b32_e32 v3, 0
	s_mov_b32 s16, 0
	s_mov_b64 s[6:7], 0
	s_waitcnt lgkmcnt(0)
	v_lshl_add_u64 v[10:11], v[10:11], 3, s[4:5]
	s_mov_b32 s17, 0
	s_waitcnt vmcnt(0)
	v_ashrrev_i32_e32 v9, 31, v8
	s_branch .LBB170_26
.LBB170_25:                             ;   in Loop: Header=BB170_26 Depth=2
	s_or_b64 exec, exec, s[12:13]
	s_add_i32 s18, s17, 1
	s_cmp_gt_u32 s17, 10
	s_cselect_b64 s[2:3], -1, 0
	s_xor_b64 s[12:13], vcc, -1
	s_or_b64 s[2:3], s[12:13], s[2:3]
	s_add_i32 s16, s16, 32
	s_and_b64 s[2:3], exec, s[2:3]
	v_add_u32_e32 v3, 4, v3
	s_or_b64 s[6:7], s[2:3], s[6:7]
	s_mov_b32 s17, s18
	s_andn2_b64 exec, exec, s[6:7]
	s_cbranch_execz .LBB170_23
.LBB170_26:                             ;   Parent Loop BB170_24 Depth=1
                                        ; =>  This Inner Loop Header: Depth=2
	s_and_b32 s2, s17, 1
	s_and_b32 s3, s16, 0x1c0
	s_or_b32 s2, s2, s3
	v_or_b32_e32 v4, s2, v14
	v_cmp_ne_u32_e32 vcc, v4, v8
	v_cmp_eq_u32_e64 s[2:3], v4, v8
	s_and_saveexec_b64 s[12:13], s[2:3]
	s_cbranch_execz .LBB170_25
; %bb.27:                               ;   in Loop: Header=BB170_26 Depth=2
	scratch_load_dword v4, v3, off
	s_waitcnt vmcnt(0)
	v_add_f32_e32 v5, v5, v4
	global_store_dwordx2 v[10:11], v[8:9], off
	s_branch .LBB170_25
.LBB170_28:
	s_waitcnt lgkmcnt(0)
	s_load_dword s4, s[0:1], 0x3c
	s_waitcnt lgkmcnt(0)
	s_bitcmp1_b32 s4, 0
	s_cselect_b64 s[2:3], -1, 0
	s_bitcmp0_b32 s4, 0
	s_cbranch_scc0 .LBB170_31
; %bb.29:
	s_load_dwordx2 s[4:5], s[0:1], 0x40
	s_andn2_b64 vcc, exec, s[2:3]
	s_waitcnt lgkmcnt(0)
	v_cvt_f32_f64_e32 v4, s[4:5]
	s_cbranch_vccz .LBB170_32
.LBB170_30:
	s_andn2_b64 vcc, exec, s[8:9]
	s_cbranch_vccz .LBB170_33
	s_branch .LBB170_59
.LBB170_31:
	v_mbcnt_lo_u32_b32 v3, -1, 0
	v_mbcnt_hi_u32_b32 v3, -1, v3
	v_and_b32_e32 v4, 0x60, v3
	v_add_u32_e32 v4, 32, v4
	v_xor_b32_e32 v6, 16, v3
	v_cmp_lt_i32_e32 vcc, v6, v4
	v_xor_b32_e32 v7, 8, v3
	s_nop 0
	v_cndmask_b32_e32 v6, v3, v6, vcc
	v_lshlrev_b32_e32 v6, 2, v6
	ds_bpermute_b32 v6, v6, v5
	v_cmp_lt_i32_e32 vcc, v7, v4
	s_waitcnt lgkmcnt(0)
	v_add_f32_e32 v5, v5, v6
	v_cndmask_b32_e32 v6, v3, v7, vcc
	v_lshlrev_b32_e32 v6, 2, v6
	ds_bpermute_b32 v6, v6, v5
	v_xor_b32_e32 v7, 4, v3
	v_cmp_lt_i32_e32 vcc, v7, v4
	s_waitcnt lgkmcnt(0)
	v_add_f32_e32 v5, v5, v6
	v_cndmask_b32_e32 v6, v3, v7, vcc
	v_lshlrev_b32_e32 v6, 2, v6
	ds_bpermute_b32 v6, v6, v5
	v_xor_b32_e32 v7, 2, v3
	;; [unrolled: 7-line block ×3, first 2 shown]
	v_cmp_lt_i32_e32 vcc, v7, v4
	s_waitcnt lgkmcnt(0)
	v_add_f32_e32 v5, v5, v6
	v_cndmask_b32_e32 v3, v3, v7, vcc
	v_lshlrev_b32_e32 v3, 2, v3
	ds_bpermute_b32 v3, v3, v5
	s_waitcnt lgkmcnt(0)
	v_add_f32_e32 v5, v5, v3
	s_load_dwordx2 s[4:5], s[0:1], 0x40
	s_andn2_b64 vcc, exec, s[2:3]
	s_waitcnt lgkmcnt(0)
	v_cvt_f32_f64_e32 v4, s[4:5]
	s_cbranch_vccnz .LBB170_30
.LBB170_32:
	v_cmp_lt_f32_e32 vcc, 0, v5
	s_nop 1
	v_cndmask_b32_e32 v3, 1.0, v5, vcc
	v_div_scale_f32 v5, s[2:3], v3, v3, v4
	v_rcp_f32_e32 v6, v5
	s_nop 0
	v_fma_f32 v7, -v5, v6, 1.0
	v_fmac_f32_e32 v6, v7, v6
	v_div_scale_f32 v7, vcc, v4, v3, v4
	v_mul_f32_e32 v8, v7, v6
	v_fma_f32 v9, -v5, v8, v7
	v_fmac_f32_e32 v8, v9, v6
	v_fma_f32 v5, -v5, v8, v7
	v_div_fmas_f32 v5, v5, v6, v8
	v_div_fixup_f32 v4, v5, v3, v4
	s_andn2_b64 vcc, exec, s[8:9]
	s_cbranch_vccnz .LBB170_59
.LBB170_33:
	s_load_dwordx2 s[22:23], s[0:1], 0x10
	v_mov_b32_e32 v3, 0
	v_or_b32_e32 v5, 4, v3
	v_or_b32_e32 v6, 8, v3
	;; [unrolled: 1-line block ×3, first 2 shown]
	v_add_u32_e32 v8, 16, v3
	v_add_u32_e32 v9, 20, v3
	;; [unrolled: 1-line block ×8, first 2 shown]
	v_or_b32_e32 v17, 1, v14
	v_or_b32_e32 v18, 64, v14
	;; [unrolled: 1-line block ×11, first 2 shown]
	s_branch .LBB170_35
.LBB170_34:                             ;   in Loop: Header=BB170_35 Depth=1
	s_or_b64 exec, exec, s[0:1]
	s_add_i32 s20, s20, -1
	v_add_u32_e32 v2, 1, v2
	s_cmp_eq_u32 s20, 0
	v_lshl_add_u64 v[0:1], v[0:1], 0, 8
	s_cbranch_scc1 .LBB170_59
.LBB170_35:                             ; =>This Inner Loop Header: Depth=1
	global_load_dword v28, v[0:1], off
	v_mov_b32_e32 v3, 0
	s_waitcnt vmcnt(0)
	v_cmp_eq_u32_e32 vcc, v14, v28
	v_cmp_ne_u32_e64 s[0:1], v14, v28
	s_and_saveexec_b64 s[24:25], s[0:1]
	s_cbranch_execz .LBB170_57
; %bb.36:                               ;   in Loop: Header=BB170_35 Depth=1
	v_cmp_eq_u32_e64 s[0:1], v17, v28
	v_cmp_ne_u32_e64 s[2:3], v17, v28
	v_mov_b32_e32 v3, v5
	s_and_saveexec_b64 s[26:27], s[2:3]
	s_cbranch_execz .LBB170_56
; %bb.37:                               ;   in Loop: Header=BB170_35 Depth=1
	v_cmp_eq_u32_e64 s[2:3], v18, v28
	v_cmp_ne_u32_e64 s[4:5], v18, v28
	v_mov_b32_e32 v3, v6
	s_and_saveexec_b64 s[28:29], s[4:5]
	s_cbranch_execz .LBB170_55
; %bb.38:                               ;   in Loop: Header=BB170_35 Depth=1
	v_cmp_eq_u32_e64 s[4:5], v19, v28
	v_cmp_ne_u32_e64 s[6:7], v19, v28
	v_mov_b32_e32 v3, v7
	s_and_saveexec_b64 s[30:31], s[6:7]
	s_cbranch_execz .LBB170_54
; %bb.39:                               ;   in Loop: Header=BB170_35 Depth=1
	v_cmp_eq_u32_e64 s[6:7], v20, v28
	v_cmp_ne_u32_e64 s[8:9], v20, v28
	v_mov_b32_e32 v3, v8
	s_and_saveexec_b64 s[34:35], s[8:9]
	s_cbranch_execz .LBB170_53
; %bb.40:                               ;   in Loop: Header=BB170_35 Depth=1
	v_cmp_eq_u32_e64 s[8:9], v21, v28
	v_cmp_ne_u32_e64 s[10:11], v21, v28
	v_mov_b32_e32 v3, v9
	s_and_saveexec_b64 s[36:37], s[10:11]
	s_cbranch_execz .LBB170_52
; %bb.41:                               ;   in Loop: Header=BB170_35 Depth=1
	v_cmp_eq_u32_e64 s[10:11], v22, v28
	v_cmp_ne_u32_e64 s[12:13], v22, v28
	v_mov_b32_e32 v3, v10
	s_and_saveexec_b64 s[38:39], s[12:13]
	s_cbranch_execz .LBB170_51
; %bb.42:                               ;   in Loop: Header=BB170_35 Depth=1
	v_cmp_eq_u32_e64 s[12:13], v23, v28
	v_cmp_ne_u32_e64 s[14:15], v23, v28
	v_mov_b32_e32 v3, v11
	s_and_saveexec_b64 s[40:41], s[14:15]
	s_cbranch_execz .LBB170_50
; %bb.43:                               ;   in Loop: Header=BB170_35 Depth=1
	v_cmp_eq_u32_e64 s[14:15], v24, v28
	v_cmp_ne_u32_e64 s[16:17], v24, v28
	v_mov_b32_e32 v3, v12
	s_and_saveexec_b64 s[42:43], s[16:17]
	s_cbranch_execz .LBB170_49
; %bb.44:                               ;   in Loop: Header=BB170_35 Depth=1
	v_cmp_eq_u32_e64 s[16:17], v25, v28
	v_cmp_ne_u32_e64 s[18:19], v25, v28
	v_mov_b32_e32 v3, v13
	s_and_saveexec_b64 s[44:45], s[18:19]
	s_cbranch_execz .LBB170_48
; %bb.45:                               ;   in Loop: Header=BB170_35 Depth=1
	v_cmp_eq_u32_e64 s[46:47], v26, v28
	v_cmp_ne_u32_e64 s[18:19], v26, v28
	v_mov_b32_e32 v3, v15
	s_and_saveexec_b64 s[48:49], s[18:19]
	s_xor_b64 s[48:49], exec, s[48:49]
; %bb.46:                               ;   in Loop: Header=BB170_35 Depth=1
	v_cmp_eq_u32_e64 s[18:19], v27, v28
	s_andn2_b64 s[46:47], s[46:47], exec
	s_and_b64 s[18:19], s[18:19], exec
	s_or_b64 s[46:47], s[46:47], s[18:19]
	v_mov_b32_e32 v3, v16
; %bb.47:                               ;   in Loop: Header=BB170_35 Depth=1
	s_or_b64 exec, exec, s[48:49]
	s_andn2_b64 s[16:17], s[16:17], exec
	s_and_b64 s[18:19], s[46:47], exec
	s_or_b64 s[16:17], s[16:17], s[18:19]
.LBB170_48:                             ;   in Loop: Header=BB170_35 Depth=1
	s_or_b64 exec, exec, s[44:45]
	s_andn2_b64 s[14:15], s[14:15], exec
	s_and_b64 s[16:17], s[16:17], exec
	s_or_b64 s[14:15], s[14:15], s[16:17]
.LBB170_49:                             ;   in Loop: Header=BB170_35 Depth=1
	s_or_b64 exec, exec, s[42:43]
	s_andn2_b64 s[12:13], s[12:13], exec
	s_and_b64 s[14:15], s[14:15], exec
	s_or_b64 s[12:13], s[12:13], s[14:15]
.LBB170_50:                             ;   in Loop: Header=BB170_35 Depth=1
	s_or_b64 exec, exec, s[40:41]
	s_andn2_b64 s[10:11], s[10:11], exec
	s_and_b64 s[12:13], s[12:13], exec
	s_or_b64 s[10:11], s[10:11], s[12:13]
.LBB170_51:                             ;   in Loop: Header=BB170_35 Depth=1
	s_or_b64 exec, exec, s[38:39]
	s_andn2_b64 s[8:9], s[8:9], exec
	s_and_b64 s[10:11], s[10:11], exec
	s_or_b64 s[8:9], s[8:9], s[10:11]
.LBB170_52:                             ;   in Loop: Header=BB170_35 Depth=1
	s_or_b64 exec, exec, s[36:37]
	s_andn2_b64 s[6:7], s[6:7], exec
	s_and_b64 s[8:9], s[8:9], exec
	s_or_b64 s[6:7], s[6:7], s[8:9]
.LBB170_53:                             ;   in Loop: Header=BB170_35 Depth=1
	s_or_b64 exec, exec, s[34:35]
	s_andn2_b64 s[4:5], s[4:5], exec
	s_and_b64 s[6:7], s[6:7], exec
	s_or_b64 s[4:5], s[4:5], s[6:7]
.LBB170_54:                             ;   in Loop: Header=BB170_35 Depth=1
	s_or_b64 exec, exec, s[30:31]
	s_andn2_b64 s[2:3], s[2:3], exec
	s_and_b64 s[4:5], s[4:5], exec
	s_or_b64 s[2:3], s[2:3], s[4:5]
.LBB170_55:                             ;   in Loop: Header=BB170_35 Depth=1
	s_or_b64 exec, exec, s[28:29]
	s_andn2_b64 s[0:1], s[0:1], exec
	s_and_b64 s[2:3], s[2:3], exec
	s_or_b64 s[0:1], s[0:1], s[2:3]
.LBB170_56:                             ;   in Loop: Header=BB170_35 Depth=1
	s_or_b64 exec, exec, s[26:27]
	s_andn2_b64 s[2:3], vcc, exec
	s_and_b64 s[0:1], s[0:1], exec
	s_or_b64 vcc, s[2:3], s[0:1]
.LBB170_57:                             ;   in Loop: Header=BB170_35 Depth=1
	s_or_b64 exec, exec, s[24:25]
	s_and_saveexec_b64 s[0:1], vcc
	s_cbranch_execz .LBB170_34
; %bb.58:                               ;   in Loop: Header=BB170_35 Depth=1
	scratch_load_dword v28, v3, off
	v_ashrrev_i32_e32 v3, 31, v2
	s_waitcnt vmcnt(0)
	v_mul_f32_e32 v30, v4, v28
	s_waitcnt lgkmcnt(0)
	v_lshl_add_u64 v[28:29], v[2:3], 2, s[22:23]
	global_store_dword v[28:29], v30, off
	s_branch .LBB170_34
.LBB170_59:
	s_endpgm
	.section	.rodata,"a",@progbits
	.p2align	6, 0x0
	.amdhsa_kernel _ZN4vllm3moe22topkGatingSoftplusSqrtILi12ELi384ELi4ELi8ELi32ELb1ElfEEvPKT6_PKbPfiPT5_PiiiibdPKfPKS8_SE_
		.amdhsa_group_segment_fixed_size 0
		.amdhsa_private_segment_fixed_size 64
		.amdhsa_kernarg_size 96
		.amdhsa_user_sgpr_count 2
		.amdhsa_user_sgpr_dispatch_ptr 0
		.amdhsa_user_sgpr_queue_ptr 0
		.amdhsa_user_sgpr_kernarg_segment_ptr 1
		.amdhsa_user_sgpr_dispatch_id 0
		.amdhsa_user_sgpr_kernarg_preload_length 0
		.amdhsa_user_sgpr_kernarg_preload_offset 0
		.amdhsa_user_sgpr_private_segment_size 0
		.amdhsa_uses_dynamic_stack 0
		.amdhsa_enable_private_segment 1
		.amdhsa_system_sgpr_workgroup_id_x 1
		.amdhsa_system_sgpr_workgroup_id_y 0
		.amdhsa_system_sgpr_workgroup_id_z 0
		.amdhsa_system_sgpr_workgroup_info 0
		.amdhsa_system_vgpr_workitem_id 1
		.amdhsa_next_free_vgpr 33
		.amdhsa_next_free_sgpr 50
		.amdhsa_accum_offset 36
		.amdhsa_reserve_vcc 1
		.amdhsa_float_round_mode_32 0
		.amdhsa_float_round_mode_16_64 0
		.amdhsa_float_denorm_mode_32 3
		.amdhsa_float_denorm_mode_16_64 3
		.amdhsa_dx10_clamp 1
		.amdhsa_ieee_mode 1
		.amdhsa_fp16_overflow 0
		.amdhsa_tg_split 0
		.amdhsa_exception_fp_ieee_invalid_op 0
		.amdhsa_exception_fp_denorm_src 0
		.amdhsa_exception_fp_ieee_div_zero 0
		.amdhsa_exception_fp_ieee_overflow 0
		.amdhsa_exception_fp_ieee_underflow 0
		.amdhsa_exception_fp_ieee_inexact 0
		.amdhsa_exception_int_div_zero 0
	.end_amdhsa_kernel
	.section	.text._ZN4vllm3moe22topkGatingSoftplusSqrtILi12ELi384ELi4ELi8ELi32ELb1ElfEEvPKT6_PKbPfiPT5_PiiiibdPKfPKS8_SE_,"axG",@progbits,_ZN4vllm3moe22topkGatingSoftplusSqrtILi12ELi384ELi4ELi8ELi32ELb1ElfEEvPKT6_PKbPfiPT5_PiiiibdPKfPKS8_SE_,comdat
.Lfunc_end170:
	.size	_ZN4vllm3moe22topkGatingSoftplusSqrtILi12ELi384ELi4ELi8ELi32ELb1ElfEEvPKT6_PKbPfiPT5_PiiiibdPKfPKS8_SE_, .Lfunc_end170-_ZN4vllm3moe22topkGatingSoftplusSqrtILi12ELi384ELi4ELi8ELi32ELb1ElfEEvPKT6_PKbPfiPT5_PiiiibdPKfPKS8_SE_
                                        ; -- End function
	.section	.AMDGPU.csdata,"",@progbits
; Kernel info:
; codeLenInByte = 5076
; NumSgprs: 56
; NumVgprs: 33
; NumAgprs: 0
; TotalNumVgprs: 33
; ScratchSize: 64
; MemoryBound: 0
; FloatMode: 240
; IeeeMode: 1
; LDSByteSize: 0 bytes/workgroup (compile time only)
; SGPRBlocks: 6
; VGPRBlocks: 4
; NumSGPRsForWavesPerEU: 56
; NumVGPRsForWavesPerEU: 33
; AccumOffset: 36
; Occupancy: 8
; WaveLimiterHint : 1
; COMPUTE_PGM_RSRC2:SCRATCH_EN: 1
; COMPUTE_PGM_RSRC2:USER_SGPR: 2
; COMPUTE_PGM_RSRC2:TRAP_HANDLER: 0
; COMPUTE_PGM_RSRC2:TGID_X_EN: 1
; COMPUTE_PGM_RSRC2:TGID_Y_EN: 0
; COMPUTE_PGM_RSRC2:TGID_Z_EN: 0
; COMPUTE_PGM_RSRC2:TIDIG_COMP_CNT: 1
; COMPUTE_PGM_RSRC3_GFX90A:ACCUM_OFFSET: 8
; COMPUTE_PGM_RSRC3_GFX90A:TG_SPLIT: 0
	.section	.text._ZN4vllm3moe22topkGatingSoftplusSqrtILi12ELi384ELi4ELi8ELi32ELb0ElfEEvPKT6_PKbPfiPT5_PiiiibdPKfPKS8_SE_,"axG",@progbits,_ZN4vllm3moe22topkGatingSoftplusSqrtILi12ELi384ELi4ELi8ELi32ELb0ElfEEvPKT6_PKbPfiPT5_PiiiibdPKfPKS8_SE_,comdat
	.protected	_ZN4vllm3moe22topkGatingSoftplusSqrtILi12ELi384ELi4ELi8ELi32ELb0ElfEEvPKT6_PKbPfiPT5_PiiiibdPKfPKS8_SE_ ; -- Begin function _ZN4vllm3moe22topkGatingSoftplusSqrtILi12ELi384ELi4ELi8ELi32ELb0ElfEEvPKT6_PKbPfiPT5_PiiiibdPKfPKS8_SE_
	.globl	_ZN4vllm3moe22topkGatingSoftplusSqrtILi12ELi384ELi4ELi8ELi32ELb0ElfEEvPKT6_PKbPfiPT5_PiiiibdPKfPKS8_SE_
	.p2align	8
	.type	_ZN4vllm3moe22topkGatingSoftplusSqrtILi12ELi384ELi4ELi8ELi32ELb0ElfEEvPKT6_PKbPfiPT5_PiiiibdPKfPKS8_SE_,@function
_ZN4vllm3moe22topkGatingSoftplusSqrtILi12ELi384ELi4ELi8ELi32ELb0ElfEEvPKT6_PKbPfiPT5_PiiiibdPKfPKS8_SE_: ; @_ZN4vllm3moe22topkGatingSoftplusSqrtILi12ELi384ELi4ELi8ELi32ELb0ElfEEvPKT6_PKbPfiPT5_PiiiibdPKfPKS8_SE_
; %bb.0:
	s_load_dword s33, s[0:1], 0x18
	v_and_b32_e32 v1, 0x3ff, v0
	s_lshl_b32 s2, s2, 2
	v_lshrrev_b32_e32 v2, 5, v1
	v_bfe_u32 v0, v0, 10, 10
	v_add3_u32 v12, s2, v0, v2
	s_waitcnt lgkmcnt(0)
	v_cmp_gt_i32_e32 vcc, s33, v12
	s_and_saveexec_b64 s[2:3], vcc
	s_cbranch_execz .LBB171_73
; %bb.1:
	s_load_dwordx4 s[4:7], s[0:1], 0x0
	s_load_dwordx2 s[34:35], s[0:1], 0x10
	s_waitcnt lgkmcnt(0)
	s_cmp_eq_u64 s[6:7], 0
	s_cbranch_scc1 .LBB171_3
; %bb.2:
	v_ashrrev_i32_e32 v13, 31, v12
	v_lshl_add_u64 v[2:3], s[6:7], 0, v[12:13]
	global_load_ubyte v0, v[2:3], off
	s_waitcnt vmcnt(0)
	v_and_b32_e32 v0, 1, v0
	v_cmp_eq_u32_e32 vcc, 1, v0
	s_xor_b64 s[2:3], vcc, -1
	s_orn2_b64 s[44:45], s[2:3], exec
	s_branch .LBB171_4
.LBB171_3:
	s_mov_b64 s[44:45], -1
.LBB171_4:
	s_movk_i32 s2, 0x180
	v_mul_lo_u32 v4, v12, s2
	v_mov_b32_e32 v2, s4
	v_mov_b32_e32 v3, s5
	v_ashrrev_i32_e32 v5, 31, v4
	v_and_b32_e32 v13, 31, v1
	v_lshl_add_u64 v[2:3], v[4:5], 2, v[2:3]
	v_mov_b32_e32 v1, 0
	v_lshlrev_b32_e32 v0, 3, v13
	v_lshl_add_u64 v[14:15], v[2:3], 0, v[0:1]
	global_load_dwordx2 v[0:1], v[14:15], off
	global_load_dwordx2 v[2:3], v[14:15], off offset:256
	global_load_dwordx2 v[4:5], v[14:15], off offset:512
	;; [unrolled: 1-line block ×5, first 2 shown]
	s_mov_b32 s12, 0x800000
	v_mov_b32_e32 v18, 0x4f800000
	s_mov_b32 s9, 0x3f317217
	s_mov_b32 s10, 0x7f800000
	v_mov_b32_e32 v17, 0x41b17218
	s_mov_b32 s8, 0x41a00000
	s_mov_b32 s11, 0xf800000
	s_load_dwordx4 s[28:31], s[0:1], 0x40
	v_mov_b32_e32 v15, 0x260
	s_waitcnt lgkmcnt(0)
	s_cmp_lg_u64 s[30:31], 0
	s_cselect_b64 s[6:7], -1, 0
	s_and_b64 s[2:3], exec, s[6:7]
	s_waitcnt vmcnt(5)
	v_mul_f32_e32 v14, 0x3fb8aa3b, v0
	v_exp_f32_e32 v14, v14
	s_nop 0
	v_add_f32_e32 v14, 1.0, v14
	v_cmp_gt_f32_e32 vcc, s12, v14
	s_nop 1
	v_cndmask_b32_e32 v16, 1.0, v18, vcc
	v_mul_f32_e32 v14, v14, v16
	v_log_f32_e32 v19, v14
	v_cndmask_b32_e32 v20, 0, v17, vcc
	v_lshlrev_b32_e32 v16, 1, v13
	v_lshlrev_b32_e32 v14, 2, v16
	v_mul_f32_e32 v21, 0x3f317217, v19
	v_fma_f32 v21, v19, s9, -v21
	v_fmac_f32_e32 v21, 0x3377d1cf, v19
	v_fmac_f32_e32 v21, 0x3f317217, v19
	v_cmp_lt_f32_e64 vcc, |v19|, s10
	s_nop 1
	v_cndmask_b32_e32 v19, v19, v21, vcc
	v_sub_f32_e32 v19, v19, v20
	v_cmp_lt_f32_e32 vcc, s8, v0
	s_nop 1
	v_cndmask_b32_e32 v0, v19, v0, vcc
	v_mul_f32_e32 v19, 0x4f800000, v0
	v_cmp_gt_f32_e32 vcc, s11, v0
	s_nop 1
	v_cndmask_b32_e32 v0, v0, v19, vcc
	v_sqrt_f32_e32 v19, v0
	s_nop 0
	v_add_u32_e32 v20, -1, v19
	v_add_u32_e32 v21, 1, v19
	v_fma_f32 v22, -v20, v19, v0
	v_fma_f32 v23, -v21, v19, v0
	v_cmp_ge_f32_e64 s[4:5], 0, v22
	s_nop 1
	v_cndmask_b32_e64 v19, v19, v20, s[4:5]
	v_cmp_lt_f32_e64 s[4:5], 0, v23
	s_nop 1
	v_cndmask_b32_e64 v19, v19, v21, s[4:5]
	v_mul_f32_e32 v20, 0x37800000, v19
	v_cndmask_b32_e32 v19, v19, v20, vcc
	v_cmp_class_f32_e32 vcc, v0, v15
	s_nop 1
	v_cndmask_b32_e32 v0, v19, v0, vcc
	s_mov_b64 vcc, s[2:3]
	s_cbranch_vccz .LBB171_6
; %bb.5:
	global_load_dword v19, v14, s[30:31]
	s_waitcnt vmcnt(0)
	v_add_f32_e32 v0, v0, v19
.LBB171_6:
	v_mul_f32_e32 v19, 0x3fb8aa3b, v1
	v_exp_f32_e32 v19, v19
	s_nop 0
	v_add_f32_e32 v19, 1.0, v19
	v_cmp_gt_f32_e32 vcc, s12, v19
	s_nop 1
	v_cndmask_b32_e32 v18, 1.0, v18, vcc
	v_mul_f32_e32 v18, v19, v18
	v_log_f32_e32 v18, v18
	v_cndmask_b32_e32 v17, 0, v17, vcc
	v_mul_f32_e32 v19, 0x3f317217, v18
	v_fma_f32 v19, v18, s9, -v19
	v_fmac_f32_e32 v19, 0x3377d1cf, v18
	v_fmac_f32_e32 v19, 0x3f317217, v18
	v_cmp_lt_f32_e64 vcc, |v18|, s10
	s_nop 1
	v_cndmask_b32_e32 v18, v18, v19, vcc
	v_sub_f32_e32 v17, v18, v17
	v_cmp_lt_f32_e32 vcc, s8, v1
	s_nop 1
	v_cndmask_b32_e32 v1, v17, v1, vcc
	v_mul_f32_e32 v17, 0x4f800000, v1
	v_cmp_gt_f32_e32 vcc, s11, v1
	s_nop 1
	v_cndmask_b32_e32 v1, v1, v17, vcc
	v_sqrt_f32_e32 v17, v1
	v_cmp_class_f32_e64 s[4:5], v1, v15
	v_add_u32_e32 v18, -1, v17
	v_add_u32_e32 v19, 1, v17
	v_fma_f32 v20, -v18, v17, v1
	v_fma_f32 v21, -v19, v17, v1
	v_cmp_ge_f32_e64 s[2:3], 0, v20
	s_nop 1
	v_cndmask_b32_e64 v17, v17, v18, s[2:3]
	v_cmp_lt_f32_e64 s[2:3], 0, v21
	s_nop 1
	v_cndmask_b32_e64 v17, v17, v19, s[2:3]
	v_mul_f32_e32 v18, 0x37800000, v17
	v_cndmask_b32_e32 v17, v17, v18, vcc
	v_cndmask_b32_e64 v18, 0, 1, s[6:7]
	v_cmp_ne_u32_e64 s[2:3], 1, v18
	s_andn2_b64 vcc, exec, s[6:7]
	v_cndmask_b32_e64 v1, v17, v1, s[4:5]
	s_cbranch_vccnz .LBB171_8
; %bb.7:
	global_load_dword v15, v14, s[30:31] offset:4
	s_waitcnt vmcnt(0)
	v_add_f32_e32 v1, v1, v15
.LBB171_8:
	s_waitcnt vmcnt(4)
	v_mul_f32_e32 v15, 0x3fb8aa3b, v2
	v_exp_f32_e32 v15, v15
	s_mov_b32 s10, 0x800000
	v_mov_b32_e32 v17, 0x4f800000
	s_mov_b32 s7, 0x3f317217
	v_add_f32_e32 v15, 1.0, v15
	v_cmp_gt_f32_e32 vcc, s10, v15
	s_mov_b32 s8, 0x7f800000
	s_mov_b32 s6, 0x41a00000
	v_cndmask_b32_e32 v18, 1.0, v17, vcc
	v_mul_f32_e32 v15, v15, v18
	v_log_f32_e32 v15, v15
	s_mov_b32 s9, 0xf800000
	v_mul_f32_e32 v18, 0x3f317217, v15
	v_fma_f32 v18, v15, s7, -v18
	v_fmac_f32_e32 v18, 0x3377d1cf, v15
	v_fmac_f32_e32 v18, 0x3f317217, v15
	v_cmp_lt_f32_e64 s[4:5], |v15|, s8
	s_nop 1
	v_cndmask_b32_e64 v15, v15, v18, s[4:5]
	v_mov_b32_e32 v18, 0x41b17218
	v_cndmask_b32_e32 v19, 0, v18, vcc
	v_sub_f32_e32 v15, v15, v19
	v_cmp_lt_f32_e32 vcc, s6, v2
	s_nop 1
	v_cndmask_b32_e32 v2, v15, v2, vcc
	v_mul_f32_e32 v15, 0x4f800000, v2
	v_cmp_gt_f32_e32 vcc, s9, v2
	s_nop 1
	v_cndmask_b32_e32 v2, v2, v15, vcc
	v_sqrt_f32_e32 v15, v2
	s_nop 0
	v_add_u32_e32 v19, -1, v15
	v_fma_f32 v20, -v19, v15, v2
	v_cmp_ge_f32_e64 s[4:5], 0, v20
	v_add_u32_e32 v20, 1, v15
	s_nop 0
	v_cndmask_b32_e64 v19, v15, v19, s[4:5]
	v_fma_f32 v15, -v20, v15, v2
	v_cmp_lt_f32_e64 s[4:5], 0, v15
	s_nop 1
	v_cndmask_b32_e64 v15, v19, v20, s[4:5]
	v_mul_f32_e32 v19, 0x37800000, v15
	v_cndmask_b32_e32 v19, v15, v19, vcc
	v_mov_b32_e32 v15, 0x260
	v_cmp_class_f32_e64 s[4:5], v2, v15
	s_and_b64 vcc, exec, s[2:3]
	s_nop 0
	v_cndmask_b32_e64 v2, v19, v2, s[4:5]
	s_cbranch_vccnz .LBB171_10
; %bb.9:
	global_load_dword v19, v14, s[30:31] offset:256
	s_waitcnt vmcnt(0)
	v_add_f32_e32 v2, v2, v19
.LBB171_10:
	v_mul_f32_e32 v19, 0x3fb8aa3b, v3
	v_exp_f32_e32 v19, v19
	s_nop 0
	v_add_f32_e32 v19, 1.0, v19
	v_cmp_gt_f32_e32 vcc, s10, v19
	s_nop 1
	v_cndmask_b32_e32 v17, 1.0, v17, vcc
	v_mul_f32_e32 v17, v19, v17
	v_log_f32_e32 v17, v17
	v_cndmask_b32_e32 v18, 0, v18, vcc
	v_mul_f32_e32 v19, 0x3f317217, v17
	v_fma_f32 v19, v17, s7, -v19
	v_fmac_f32_e32 v19, 0x3377d1cf, v17
	v_fmac_f32_e32 v19, 0x3f317217, v17
	v_cmp_lt_f32_e64 vcc, |v17|, s8
	s_nop 1
	v_cndmask_b32_e32 v17, v17, v19, vcc
	v_sub_f32_e32 v17, v17, v18
	v_cmp_lt_f32_e32 vcc, s6, v3
	s_nop 1
	v_cndmask_b32_e32 v3, v17, v3, vcc
	v_mul_f32_e32 v17, 0x4f800000, v3
	v_cmp_gt_f32_e32 vcc, s9, v3
	s_nop 1
	v_cndmask_b32_e32 v3, v3, v17, vcc
	v_sqrt_f32_e32 v17, v3
	s_nop 0
	v_add_u32_e32 v18, -1, v17
	v_add_u32_e32 v19, 1, v17
	v_fma_f32 v20, -v18, v17, v3
	v_fma_f32 v21, -v19, v17, v3
	v_cmp_ge_f32_e64 s[4:5], 0, v20
	s_nop 1
	v_cndmask_b32_e64 v17, v17, v18, s[4:5]
	v_cmp_lt_f32_e64 s[4:5], 0, v21
	s_nop 1
	v_cndmask_b32_e64 v17, v17, v19, s[4:5]
	v_mul_f32_e32 v18, 0x37800000, v17
	v_cndmask_b32_e32 v17, v17, v18, vcc
	v_cmp_class_f32_e64 s[4:5], v3, v15
	s_and_b64 vcc, exec, s[2:3]
	s_nop 0
	v_cndmask_b32_e64 v3, v17, v3, s[4:5]
	s_cbranch_vccnz .LBB171_12
; %bb.11:
	global_load_dword v15, v14, s[30:31] offset:260
	s_waitcnt vmcnt(0)
	v_add_f32_e32 v3, v3, v15
.LBB171_12:
	s_waitcnt vmcnt(3)
	v_mul_f32_e32 v15, 0x3fb8aa3b, v4
	v_exp_f32_e32 v15, v15
	v_mov_b32_e32 v17, 0x4f800000
	v_add_f32_e32 v15, 1.0, v15
	v_cmp_gt_f32_e32 vcc, s10, v15
	s_nop 1
	v_cndmask_b32_e32 v18, 1.0, v17, vcc
	v_mul_f32_e32 v15, v15, v18
	v_log_f32_e32 v15, v15
	s_nop 0
	v_mul_f32_e32 v18, 0x3f317217, v15
	v_fma_f32 v18, v15, s7, -v18
	v_fmac_f32_e32 v18, 0x3377d1cf, v15
	v_fmac_f32_e32 v18, 0x3f317217, v15
	v_cmp_lt_f32_e64 s[4:5], |v15|, s8
	s_nop 1
	v_cndmask_b32_e64 v15, v15, v18, s[4:5]
	v_mov_b32_e32 v18, 0x41b17218
	v_cndmask_b32_e32 v19, 0, v18, vcc
	v_sub_f32_e32 v15, v15, v19
	v_cmp_lt_f32_e32 vcc, s6, v4
	s_nop 1
	v_cndmask_b32_e32 v4, v15, v4, vcc
	v_mul_f32_e32 v15, 0x4f800000, v4
	v_cmp_gt_f32_e32 vcc, s9, v4
	s_nop 1
	v_cndmask_b32_e32 v4, v4, v15, vcc
	v_sqrt_f32_e32 v15, v4
	s_nop 0
	v_add_u32_e32 v19, -1, v15
	v_fma_f32 v20, -v19, v15, v4
	v_cmp_ge_f32_e64 s[4:5], 0, v20
	v_add_u32_e32 v20, 1, v15
	s_nop 0
	v_cndmask_b32_e64 v19, v15, v19, s[4:5]
	v_fma_f32 v15, -v20, v15, v4
	v_cmp_lt_f32_e64 s[4:5], 0, v15
	s_nop 1
	v_cndmask_b32_e64 v15, v19, v20, s[4:5]
	v_mul_f32_e32 v19, 0x37800000, v15
	v_cndmask_b32_e32 v19, v15, v19, vcc
	v_mov_b32_e32 v15, 0x260
	v_cmp_class_f32_e64 s[4:5], v4, v15
	s_and_b64 vcc, exec, s[2:3]
	s_nop 0
	v_cndmask_b32_e64 v4, v19, v4, s[4:5]
	s_cbranch_vccnz .LBB171_14
; %bb.13:
	global_load_dword v19, v14, s[30:31] offset:512
	s_waitcnt vmcnt(0)
	v_add_f32_e32 v4, v4, v19
.LBB171_14:
	v_mul_f32_e32 v19, 0x3fb8aa3b, v5
	v_exp_f32_e32 v19, v19
	s_nop 0
	v_add_f32_e32 v19, 1.0, v19
	v_cmp_gt_f32_e32 vcc, s10, v19
	s_nop 1
	v_cndmask_b32_e32 v17, 1.0, v17, vcc
	v_mul_f32_e32 v17, v19, v17
	v_log_f32_e32 v17, v17
	v_cndmask_b32_e32 v18, 0, v18, vcc
	v_mul_f32_e32 v19, 0x3f317217, v17
	v_fma_f32 v19, v17, s7, -v19
	v_fmac_f32_e32 v19, 0x3377d1cf, v17
	v_fmac_f32_e32 v19, 0x3f317217, v17
	v_cmp_lt_f32_e64 vcc, |v17|, s8
	s_nop 1
	v_cndmask_b32_e32 v17, v17, v19, vcc
	v_sub_f32_e32 v17, v17, v18
	v_cmp_lt_f32_e32 vcc, s6, v5
	s_nop 1
	v_cndmask_b32_e32 v5, v17, v5, vcc
	v_mul_f32_e32 v17, 0x4f800000, v5
	v_cmp_gt_f32_e32 vcc, s9, v5
	s_nop 1
	v_cndmask_b32_e32 v5, v5, v17, vcc
	v_sqrt_f32_e32 v17, v5
	s_nop 0
	v_add_u32_e32 v18, -1, v17
	v_add_u32_e32 v19, 1, v17
	v_fma_f32 v20, -v18, v17, v5
	v_fma_f32 v21, -v19, v17, v5
	v_cmp_ge_f32_e64 s[4:5], 0, v20
	s_nop 1
	v_cndmask_b32_e64 v17, v17, v18, s[4:5]
	v_cmp_lt_f32_e64 s[4:5], 0, v21
	s_nop 1
	v_cndmask_b32_e64 v17, v17, v19, s[4:5]
	v_mul_f32_e32 v18, 0x37800000, v17
	v_cndmask_b32_e32 v17, v17, v18, vcc
	v_cmp_class_f32_e64 s[4:5], v5, v15
	s_and_b64 vcc, exec, s[2:3]
	s_nop 0
	v_cndmask_b32_e64 v5, v17, v5, s[4:5]
	s_cbranch_vccnz .LBB171_16
; %bb.15:
	global_load_dword v15, v14, s[30:31] offset:516
	s_waitcnt vmcnt(0)
	v_add_f32_e32 v5, v5, v15
.LBB171_16:
	s_waitcnt vmcnt(2)
	v_mul_f32_e32 v15, 0x3fb8aa3b, v6
	v_exp_f32_e32 v15, v15
	v_mov_b32_e32 v17, 0x4f800000
	v_add_f32_e32 v15, 1.0, v15
	v_cmp_gt_f32_e32 vcc, s10, v15
	s_nop 1
	v_cndmask_b32_e32 v18, 1.0, v17, vcc
	v_mul_f32_e32 v15, v15, v18
	v_log_f32_e32 v15, v15
	s_nop 0
	v_mul_f32_e32 v18, 0x3f317217, v15
	v_fma_f32 v18, v15, s7, -v18
	v_fmac_f32_e32 v18, 0x3377d1cf, v15
	v_fmac_f32_e32 v18, 0x3f317217, v15
	v_cmp_lt_f32_e64 s[4:5], |v15|, s8
	s_nop 1
	v_cndmask_b32_e64 v15, v15, v18, s[4:5]
	v_mov_b32_e32 v18, 0x41b17218
	v_cndmask_b32_e32 v19, 0, v18, vcc
	v_sub_f32_e32 v15, v15, v19
	v_cmp_lt_f32_e32 vcc, s6, v6
	s_nop 1
	v_cndmask_b32_e32 v6, v15, v6, vcc
	v_mul_f32_e32 v15, 0x4f800000, v6
	v_cmp_gt_f32_e32 vcc, s9, v6
	s_nop 1
	v_cndmask_b32_e32 v6, v6, v15, vcc
	v_sqrt_f32_e32 v15, v6
	s_nop 0
	v_add_u32_e32 v19, -1, v15
	v_fma_f32 v20, -v19, v15, v6
	v_cmp_ge_f32_e64 s[4:5], 0, v20
	v_add_u32_e32 v20, 1, v15
	s_nop 0
	v_cndmask_b32_e64 v19, v15, v19, s[4:5]
	v_fma_f32 v15, -v20, v15, v6
	v_cmp_lt_f32_e64 s[4:5], 0, v15
	s_nop 1
	v_cndmask_b32_e64 v15, v19, v20, s[4:5]
	v_mul_f32_e32 v19, 0x37800000, v15
	v_cndmask_b32_e32 v19, v15, v19, vcc
	v_mov_b32_e32 v15, 0x260
	v_cmp_class_f32_e64 s[4:5], v6, v15
	s_and_b64 vcc, exec, s[2:3]
	s_nop 0
	v_cndmask_b32_e64 v6, v19, v6, s[4:5]
	s_cbranch_vccnz .LBB171_18
; %bb.17:
	global_load_dword v19, v14, s[30:31] offset:768
	s_waitcnt vmcnt(0)
	v_add_f32_e32 v6, v6, v19
.LBB171_18:
	v_mul_f32_e32 v19, 0x3fb8aa3b, v7
	v_exp_f32_e32 v19, v19
	s_nop 0
	v_add_f32_e32 v19, 1.0, v19
	v_cmp_gt_f32_e32 vcc, s10, v19
	s_nop 1
	v_cndmask_b32_e32 v17, 1.0, v17, vcc
	v_mul_f32_e32 v17, v19, v17
	v_log_f32_e32 v17, v17
	v_cndmask_b32_e32 v18, 0, v18, vcc
	v_mul_f32_e32 v19, 0x3f317217, v17
	v_fma_f32 v19, v17, s7, -v19
	v_fmac_f32_e32 v19, 0x3377d1cf, v17
	v_fmac_f32_e32 v19, 0x3f317217, v17
	v_cmp_lt_f32_e64 vcc, |v17|, s8
	s_nop 1
	v_cndmask_b32_e32 v17, v17, v19, vcc
	v_sub_f32_e32 v17, v17, v18
	v_cmp_lt_f32_e32 vcc, s6, v7
	s_nop 1
	v_cndmask_b32_e32 v7, v17, v7, vcc
	v_mul_f32_e32 v17, 0x4f800000, v7
	v_cmp_gt_f32_e32 vcc, s9, v7
	s_nop 1
	v_cndmask_b32_e32 v7, v7, v17, vcc
	v_sqrt_f32_e32 v17, v7
	s_nop 0
	v_add_u32_e32 v18, -1, v17
	v_add_u32_e32 v19, 1, v17
	v_fma_f32 v20, -v18, v17, v7
	v_fma_f32 v21, -v19, v17, v7
	v_cmp_ge_f32_e64 s[4:5], 0, v20
	s_nop 1
	v_cndmask_b32_e64 v17, v17, v18, s[4:5]
	v_cmp_lt_f32_e64 s[4:5], 0, v21
	s_nop 1
	v_cndmask_b32_e64 v17, v17, v19, s[4:5]
	v_mul_f32_e32 v18, 0x37800000, v17
	v_cndmask_b32_e32 v17, v17, v18, vcc
	v_cmp_class_f32_e64 s[4:5], v7, v15
	s_and_b64 vcc, exec, s[2:3]
	s_nop 0
	v_cndmask_b32_e64 v7, v17, v7, s[4:5]
	s_cbranch_vccnz .LBB171_20
; %bb.19:
	global_load_dword v15, v14, s[30:31] offset:772
	s_waitcnt vmcnt(0)
	v_add_f32_e32 v7, v7, v15
.LBB171_20:
	s_waitcnt vmcnt(1)
	v_mul_f32_e32 v15, 0x3fb8aa3b, v8
	v_exp_f32_e32 v15, v15
	v_mov_b32_e32 v17, 0x4f800000
	v_add_f32_e32 v15, 1.0, v15
	v_cmp_gt_f32_e32 vcc, s10, v15
	s_nop 1
	v_cndmask_b32_e32 v18, 1.0, v17, vcc
	v_mul_f32_e32 v15, v15, v18
	v_log_f32_e32 v15, v15
	s_nop 0
	v_mul_f32_e32 v18, 0x3f317217, v15
	v_fma_f32 v18, v15, s7, -v18
	v_fmac_f32_e32 v18, 0x3377d1cf, v15
	v_fmac_f32_e32 v18, 0x3f317217, v15
	v_cmp_lt_f32_e64 s[4:5], |v15|, s8
	s_nop 1
	v_cndmask_b32_e64 v15, v15, v18, s[4:5]
	v_mov_b32_e32 v18, 0x41b17218
	v_cndmask_b32_e32 v19, 0, v18, vcc
	v_sub_f32_e32 v15, v15, v19
	v_cmp_lt_f32_e32 vcc, s6, v8
	s_nop 1
	v_cndmask_b32_e32 v8, v15, v8, vcc
	v_mul_f32_e32 v15, 0x4f800000, v8
	v_cmp_gt_f32_e32 vcc, s9, v8
	s_nop 1
	v_cndmask_b32_e32 v8, v8, v15, vcc
	v_sqrt_f32_e32 v15, v8
	s_nop 0
	v_add_u32_e32 v19, -1, v15
	v_fma_f32 v20, -v19, v15, v8
	v_cmp_ge_f32_e64 s[4:5], 0, v20
	v_add_u32_e32 v20, 1, v15
	s_nop 0
	v_cndmask_b32_e64 v19, v15, v19, s[4:5]
	v_fma_f32 v15, -v20, v15, v8
	v_cmp_lt_f32_e64 s[4:5], 0, v15
	s_nop 1
	v_cndmask_b32_e64 v15, v19, v20, s[4:5]
	v_mul_f32_e32 v19, 0x37800000, v15
	v_cndmask_b32_e32 v19, v15, v19, vcc
	v_mov_b32_e32 v15, 0x260
	v_cmp_class_f32_e64 s[4:5], v8, v15
	s_and_b64 vcc, exec, s[2:3]
	s_nop 0
	v_cndmask_b32_e64 v8, v19, v8, s[4:5]
	s_cbranch_vccnz .LBB171_22
; %bb.21:
	global_load_dword v19, v14, s[30:31] offset:1024
	s_waitcnt vmcnt(0)
	v_add_f32_e32 v8, v8, v19
.LBB171_22:
	v_mul_f32_e32 v19, 0x3fb8aa3b, v9
	v_exp_f32_e32 v19, v19
	s_nop 0
	v_add_f32_e32 v19, 1.0, v19
	v_cmp_gt_f32_e32 vcc, s10, v19
	s_nop 1
	v_cndmask_b32_e32 v17, 1.0, v17, vcc
	v_mul_f32_e32 v17, v19, v17
	v_log_f32_e32 v17, v17
	v_cndmask_b32_e32 v18, 0, v18, vcc
	v_mul_f32_e32 v19, 0x3f317217, v17
	v_fma_f32 v19, v17, s7, -v19
	v_fmac_f32_e32 v19, 0x3377d1cf, v17
	v_fmac_f32_e32 v19, 0x3f317217, v17
	v_cmp_lt_f32_e64 vcc, |v17|, s8
	s_nop 1
	v_cndmask_b32_e32 v17, v17, v19, vcc
	v_sub_f32_e32 v17, v17, v18
	v_cmp_lt_f32_e32 vcc, s6, v9
	s_nop 1
	v_cndmask_b32_e32 v9, v17, v9, vcc
	v_mul_f32_e32 v17, 0x4f800000, v9
	v_cmp_gt_f32_e32 vcc, s9, v9
	s_nop 1
	v_cndmask_b32_e32 v9, v9, v17, vcc
	v_sqrt_f32_e32 v17, v9
	s_nop 0
	v_add_u32_e32 v18, -1, v17
	v_add_u32_e32 v19, 1, v17
	v_fma_f32 v20, -v18, v17, v9
	v_fma_f32 v21, -v19, v17, v9
	v_cmp_ge_f32_e64 s[4:5], 0, v20
	s_nop 1
	v_cndmask_b32_e64 v17, v17, v18, s[4:5]
	v_cmp_lt_f32_e64 s[4:5], 0, v21
	s_nop 1
	v_cndmask_b32_e64 v17, v17, v19, s[4:5]
	v_mul_f32_e32 v18, 0x37800000, v17
	v_cndmask_b32_e32 v17, v17, v18, vcc
	v_cmp_class_f32_e64 s[4:5], v9, v15
	s_and_b64 vcc, exec, s[2:3]
	s_nop 0
	v_cndmask_b32_e64 v9, v17, v9, s[4:5]
	s_cbranch_vccnz .LBB171_24
; %bb.23:
	global_load_dword v15, v14, s[30:31] offset:1028
	s_waitcnt vmcnt(0)
	v_add_f32_e32 v9, v9, v15
.LBB171_24:
	s_waitcnt vmcnt(0)
	v_mul_f32_e32 v15, 0x3fb8aa3b, v10
	v_exp_f32_e32 v15, v15
	v_mov_b32_e32 v17, 0x4f800000
	v_add_f32_e32 v15, 1.0, v15
	v_cmp_gt_f32_e32 vcc, s10, v15
	s_nop 1
	v_cndmask_b32_e32 v18, 1.0, v17, vcc
	v_mul_f32_e32 v15, v15, v18
	v_log_f32_e32 v15, v15
	s_nop 0
	v_mul_f32_e32 v18, 0x3f317217, v15
	v_fma_f32 v18, v15, s7, -v18
	v_fmac_f32_e32 v18, 0x3377d1cf, v15
	v_fmac_f32_e32 v18, 0x3f317217, v15
	v_cmp_lt_f32_e64 s[4:5], |v15|, s8
	s_nop 1
	v_cndmask_b32_e64 v15, v15, v18, s[4:5]
	v_mov_b32_e32 v18, 0x41b17218
	v_cndmask_b32_e32 v19, 0, v18, vcc
	v_sub_f32_e32 v15, v15, v19
	v_cmp_lt_f32_e32 vcc, s6, v10
	s_nop 1
	v_cndmask_b32_e32 v10, v15, v10, vcc
	v_mul_f32_e32 v15, 0x4f800000, v10
	v_cmp_gt_f32_e32 vcc, s9, v10
	s_nop 1
	v_cndmask_b32_e32 v10, v10, v15, vcc
	v_sqrt_f32_e32 v15, v10
	s_nop 0
	v_add_u32_e32 v19, -1, v15
	v_fma_f32 v20, -v19, v15, v10
	v_cmp_ge_f32_e64 s[4:5], 0, v20
	v_add_u32_e32 v20, 1, v15
	s_nop 0
	v_cndmask_b32_e64 v19, v15, v19, s[4:5]
	v_fma_f32 v15, -v20, v15, v10
	v_cmp_lt_f32_e64 s[4:5], 0, v15
	s_nop 1
	v_cndmask_b32_e64 v15, v19, v20, s[4:5]
	v_mul_f32_e32 v19, 0x37800000, v15
	v_cndmask_b32_e32 v19, v15, v19, vcc
	v_mov_b32_e32 v15, 0x260
	v_cmp_class_f32_e64 s[4:5], v10, v15
	s_and_b64 vcc, exec, s[2:3]
	s_nop 0
	v_cndmask_b32_e64 v10, v19, v10, s[4:5]
	s_cbranch_vccnz .LBB171_26
; %bb.25:
	global_load_dword v19, v14, s[30:31] offset:1280
	s_waitcnt vmcnt(0)
	v_add_f32_e32 v10, v10, v19
.LBB171_26:
	v_mul_f32_e32 v19, 0x3fb8aa3b, v11
	v_exp_f32_e32 v19, v19
	s_nop 0
	v_add_f32_e32 v19, 1.0, v19
	v_cmp_gt_f32_e32 vcc, s10, v19
	s_nop 1
	v_cndmask_b32_e32 v17, 1.0, v17, vcc
	v_mul_f32_e32 v17, v19, v17
	v_log_f32_e32 v17, v17
	v_cndmask_b32_e32 v18, 0, v18, vcc
	v_mul_f32_e32 v19, 0x3f317217, v17
	v_fma_f32 v19, v17, s7, -v19
	v_fmac_f32_e32 v19, 0x3377d1cf, v17
	v_fmac_f32_e32 v19, 0x3f317217, v17
	v_cmp_lt_f32_e64 vcc, |v17|, s8
	s_nop 1
	v_cndmask_b32_e32 v17, v17, v19, vcc
	v_sub_f32_e32 v17, v17, v18
	v_cmp_lt_f32_e32 vcc, s6, v11
	s_nop 1
	v_cndmask_b32_e32 v11, v17, v11, vcc
	v_mul_f32_e32 v17, 0x4f800000, v11
	v_cmp_gt_f32_e32 vcc, s9, v11
	s_nop 1
	v_cndmask_b32_e32 v11, v11, v17, vcc
	v_sqrt_f32_e32 v17, v11
	s_nop 0
	v_add_u32_e32 v18, -1, v17
	v_add_u32_e32 v19, 1, v17
	v_fma_f32 v20, -v18, v17, v11
	v_fma_f32 v21, -v19, v17, v11
	v_cmp_ge_f32_e64 s[4:5], 0, v20
	s_nop 1
	v_cndmask_b32_e64 v17, v17, v18, s[4:5]
	v_cmp_lt_f32_e64 s[4:5], 0, v21
	s_nop 1
	v_cndmask_b32_e64 v17, v17, v19, s[4:5]
	v_mul_f32_e32 v18, 0x37800000, v17
	v_cndmask_b32_e32 v17, v17, v18, vcc
	v_cmp_class_f32_e64 s[4:5], v11, v15
	s_and_b64 vcc, exec, s[2:3]
	s_nop 0
	v_cndmask_b32_e64 v11, v17, v11, s[4:5]
	s_cbranch_vccnz .LBB171_28
; %bb.27:
	global_load_dword v14, v14, s[30:31] offset:1284
	s_waitcnt vmcnt(0)
	v_add_f32_e32 v11, v11, v14
.LBB171_28:
	s_load_dwordx4 s[36:39], s[0:1], 0x30
	s_mov_b32 s50, 0
	v_cmp_eq_u32_e64 s[6:7], 0, v13
	s_waitcnt lgkmcnt(0)
	s_bitcmp1_b32 s39, 0
	s_cselect_b64 s[4:5], -1, 0
	s_cmp_gt_i32 s36, 0
	s_cselect_b64 s[46:47], -1, 0
	s_and_b64 vcc, exec, s[46:47]
	s_cbranch_vccz .LBB171_59
; %bb.29:
	v_mbcnt_lo_u32_b32 v14, -1, 0
	v_mbcnt_hi_u32_b32 v14, -1, v14
	v_and_b32_e32 v15, 0x60, v14
	v_add_u32_e32 v15, 32, v15
	v_xor_b32_e32 v17, 16, v14
	v_cmp_lt_i32_e32 vcc, v17, v15
	s_load_dwordx4 s[40:43], s[0:1], 0x20
	v_mul_lo_u32 v18, v12, s36
	v_cndmask_b32_e32 v17, v14, v17, vcc
	v_lshlrev_b32_e32 v19, 2, v17
	v_xor_b32_e32 v17, 8, v14
	v_cmp_lt_i32_e32 vcc, v17, v15
	v_mov_b32_e32 v24, 0x41
	v_mov_b32_e32 v25, 0x80
	v_cndmask_b32_e32 v17, v14, v17, vcc
	v_lshlrev_b32_e32 v20, 2, v17
	v_xor_b32_e32 v17, 4, v14
	v_cmp_lt_i32_e32 vcc, v17, v15
	v_mov_b32_e32 v26, 0x81
	v_mov_b32_e32 v27, 0xc0
	;; [unrolled: 6-line block ×4, first 2 shown]
	v_cndmask_b32_e32 v14, v14, v17, vcc
	v_lshlrev_b32_e32 v23, 2, v14
	v_mov_b32_e32 v17, 0
	v_mov_b32_e32 v32, 0x141
	v_mov_b32_e32 v33, 0x180
	v_mov_b32_e32 v34, 0xc61c4000
	v_mov_b32_e32 v35, v12
	s_branch .LBB171_32
.LBB171_30:                             ;   in Loop: Header=BB171_32 Depth=1
	s_or_b64 exec, exec, s[48:49]
.LBB171_31:                             ;   in Loop: Header=BB171_32 Depth=1
	s_cmp_eq_u32 s36, s50
	v_add_u32_e32 v35, s33, v35
	s_cbranch_scc1 .LBB171_60
.LBB171_32:                             ; =>This Inner Loop Header: Depth=1
	v_cmp_gt_f32_e32 vcc, v1, v0
	s_nop 1
	v_cndmask_b32_e32 v15, v0, v1, vcc
	v_cndmask_b32_e64 v14, 0, 1, vcc
	v_cmp_gt_f32_e32 vcc, v2, v15
	s_nop 1
	v_cndmask_b32_e32 v15, v15, v2, vcc
	v_cndmask_b32_e64 v14, v14, 64, vcc
	v_cmp_gt_f32_e32 vcc, v3, v15
	s_nop 1
	v_cndmask_b32_e32 v15, v15, v3, vcc
	v_cndmask_b32_e32 v14, v14, v24, vcc
	v_cmp_gt_f32_e32 vcc, v4, v15
	s_nop 1
	v_cndmask_b32_e32 v15, v15, v4, vcc
	v_cndmask_b32_e32 v14, v14, v25, vcc
	;; [unrolled: 4-line block ×9, first 2 shown]
	ds_bpermute_b32 v15, v19, v36
	v_or_b32_e32 v14, v16, v14
	s_waitcnt lgkmcnt(0)
	ds_bpermute_b32 v37, v19, v14
	s_waitcnt lgkmcnt(0)
	v_cmp_lt_f32_e64 s[8:9], v36, v15
	v_cmp_nlt_f32_e32 vcc, v36, v15
	s_and_saveexec_b64 s[10:11], vcc
; %bb.33:                               ;   in Loop: Header=BB171_32 Depth=1
	v_cmp_eq_f32_e32 vcc, v36, v15
	v_cmp_lt_i32_e64 s[0:1], v37, v14
	s_and_b64 s[0:1], vcc, s[0:1]
	s_andn2_b64 s[8:9], s[8:9], exec
	s_and_b64 s[0:1], s[0:1], exec
	s_or_b64 s[8:9], s[8:9], s[0:1]
; %bb.34:                               ;   in Loop: Header=BB171_32 Depth=1
	s_or_b64 exec, exec, s[10:11]
	s_and_saveexec_b64 s[0:1], s[8:9]
; %bb.35:                               ;   in Loop: Header=BB171_32 Depth=1
	v_mov_b32_e32 v36, v15
	v_mov_b32_e32 v14, v37
; %bb.36:                               ;   in Loop: Header=BB171_32 Depth=1
	s_or_b64 exec, exec, s[0:1]
	ds_bpermute_b32 v15, v20, v36
	ds_bpermute_b32 v37, v20, v14
	s_waitcnt lgkmcnt(1)
	v_cmp_lt_f32_e64 s[8:9], v36, v15
	v_cmp_nlt_f32_e32 vcc, v36, v15
	s_and_saveexec_b64 s[10:11], vcc
	s_cbranch_execz .LBB171_38
; %bb.37:                               ;   in Loop: Header=BB171_32 Depth=1
	v_cmp_eq_f32_e32 vcc, v36, v15
	s_waitcnt lgkmcnt(0)
	v_cmp_lt_i32_e64 s[0:1], v37, v14
	s_and_b64 s[0:1], vcc, s[0:1]
	s_andn2_b64 s[8:9], s[8:9], exec
	s_and_b64 s[0:1], s[0:1], exec
	s_or_b64 s[8:9], s[8:9], s[0:1]
.LBB171_38:                             ;   in Loop: Header=BB171_32 Depth=1
	s_or_b64 exec, exec, s[10:11]
	s_and_saveexec_b64 s[0:1], s[8:9]
	s_cbranch_execz .LBB171_40
; %bb.39:                               ;   in Loop: Header=BB171_32 Depth=1
	v_mov_b32_e32 v36, v15
	s_waitcnt lgkmcnt(0)
	v_mov_b32_e32 v14, v37
.LBB171_40:                             ;   in Loop: Header=BB171_32 Depth=1
	s_or_b64 exec, exec, s[0:1]
	ds_bpermute_b32 v15, v21, v36
	s_waitcnt lgkmcnt(1)
	ds_bpermute_b32 v37, v21, v14
	s_waitcnt lgkmcnt(1)
	v_cmp_lt_f32_e64 s[8:9], v36, v15
	v_cmp_nlt_f32_e32 vcc, v36, v15
	s_and_saveexec_b64 s[10:11], vcc
	s_cbranch_execz .LBB171_42
; %bb.41:                               ;   in Loop: Header=BB171_32 Depth=1
	v_cmp_eq_f32_e32 vcc, v36, v15
	s_waitcnt lgkmcnt(0)
	v_cmp_lt_i32_e64 s[0:1], v37, v14
	s_and_b64 s[0:1], vcc, s[0:1]
	s_andn2_b64 s[8:9], s[8:9], exec
	s_and_b64 s[0:1], s[0:1], exec
	s_or_b64 s[8:9], s[8:9], s[0:1]
.LBB171_42:                             ;   in Loop: Header=BB171_32 Depth=1
	s_or_b64 exec, exec, s[10:11]
	s_and_saveexec_b64 s[0:1], s[8:9]
	s_cbranch_execz .LBB171_44
; %bb.43:                               ;   in Loop: Header=BB171_32 Depth=1
	v_mov_b32_e32 v36, v15
	s_waitcnt lgkmcnt(0)
	v_mov_b32_e32 v14, v37
.LBB171_44:                             ;   in Loop: Header=BB171_32 Depth=1
	s_or_b64 exec, exec, s[0:1]
	ds_bpermute_b32 v15, v22, v36
	s_waitcnt lgkmcnt(1)
	;; [unrolled: 26-line block ×3, first 2 shown]
	ds_bpermute_b32 v37, v23, v14
	s_waitcnt lgkmcnt(1)
	v_cmp_lt_f32_e64 s[8:9], v36, v15
	v_cmp_nlt_f32_e32 vcc, v36, v15
	s_and_saveexec_b64 s[10:11], vcc
	s_cbranch_execnz .LBB171_52
; %bb.49:                               ;   in Loop: Header=BB171_32 Depth=1
	s_or_b64 exec, exec, s[10:11]
	s_and_saveexec_b64 s[0:1], s[8:9]
	s_cbranch_execnz .LBB171_53
.LBB171_50:                             ;   in Loop: Header=BB171_32 Depth=1
	s_or_b64 exec, exec, s[0:1]
	s_and_saveexec_b64 s[8:9], s[6:7]
	s_cbranch_execnz .LBB171_54
.LBB171_51:                             ;   in Loop: Header=BB171_32 Depth=1
	s_or_b64 exec, exec, s[8:9]
	s_add_i32 s50, s50, 1
	s_cmp_ge_i32 s50, s36
	s_cbranch_scc1 .LBB171_31
	s_branch .LBB171_57
.LBB171_52:                             ;   in Loop: Header=BB171_32 Depth=1
	v_cmp_eq_f32_e32 vcc, v36, v15
	s_waitcnt lgkmcnt(0)
	v_cmp_lt_i32_e64 s[0:1], v37, v14
	s_and_b64 s[0:1], vcc, s[0:1]
	s_andn2_b64 s[8:9], s[8:9], exec
	s_and_b64 s[0:1], s[0:1], exec
	s_or_b64 s[8:9], s[8:9], s[0:1]
	s_or_b64 exec, exec, s[10:11]
	s_and_saveexec_b64 s[0:1], s[8:9]
	s_cbranch_execz .LBB171_50
.LBB171_53:                             ;   in Loop: Header=BB171_32 Depth=1
	s_waitcnt lgkmcnt(0)
	v_mov_b32_e32 v14, v37
	v_mov_b32_e32 v36, v15
	s_or_b64 exec, exec, s[0:1]
	s_and_saveexec_b64 s[8:9], s[6:7]
	s_cbranch_execz .LBB171_51
.LBB171_54:                             ;   in Loop: Header=BB171_32 Depth=1
	s_and_b64 vcc, exec, s[2:3]
	s_cbranch_vccnz .LBB171_56
; %bb.55:                               ;   in Loop: Header=BB171_32 Depth=1
	v_ashrrev_i32_e32 v15, 31, v14
	v_lshl_add_u64 v[38:39], v[14:15], 2, s[30:31]
	global_load_dword v15, v[38:39], off
	s_waitcnt vmcnt(0)
	v_sub_f32_e32 v36, v36, v15
.LBB171_56:                             ;   in Loop: Header=BB171_32 Depth=1
	v_add_u32_e32 v38, s50, v18
	v_cmp_le_i32_e32 vcc, s37, v14
	v_cmp_gt_i32_e64 s[0:1], s38, v14
	v_ashrrev_i32_e32 v39, 31, v38
	s_and_b64 s[0:1], vcc, s[0:1]
	v_lshlrev_b64 v[40:41], 2, v[38:39]
	v_subrev_u32_e32 v15, s37, v14
	v_lshl_add_u64 v[42:43], s[34:35], 0, v[40:41]
	s_waitcnt lgkmcnt(0)
	v_ashrrev_i32_e32 v37, 31, v15
	s_and_b64 vcc, s[44:45], s[0:1]
	global_store_dword v[42:43], v36, off
	v_cndmask_b32_e32 v43, 0, v37, vcc
	v_cndmask_b32_e32 v42, v33, v15, vcc
	v_lshl_add_u64 v[38:39], v[38:39], 3, s[40:41]
	v_add_f32_e32 v15, v17, v36
	global_store_dwordx2 v[38:39], v[42:43], off
	v_lshl_add_u64 v[38:39], s[42:43], 0, v[40:41]
	v_cndmask_b32_e64 v17, v17, v15, s[4:5]
	global_store_dword v[38:39], v35, off
	s_or_b64 exec, exec, s[8:9]
	s_add_i32 s50, s50, 1
	s_cmp_ge_i32 s50, s36
	s_cbranch_scc1 .LBB171_31
.LBB171_57:                             ;   in Loop: Header=BB171_32 Depth=1
	v_lshrrev_b32_e32 v15, 31, v14
	v_add_u32_e32 v36, v14, v15
	v_ashrrev_i32_e32 v15, 1, v36
	v_ashrrev_i32_e32 v36, 31, v36
	v_lshrrev_b32_e32 v36, 27, v36
	v_add_u32_e32 v36, v15, v36
	v_and_b32_e32 v36, 0xffffffe0, v36
	v_sub_u32_e32 v36, v15, v36
	v_cmp_eq_u32_e32 vcc, v13, v36
	s_and_saveexec_b64 s[48:49], vcc
	s_cbranch_execz .LBB171_30
; %bb.58:                               ;   in Loop: Header=BB171_32 Depth=1
	v_ashrrev_i32_e32 v36, 31, v14
	v_lshrrev_b32_e32 v36, 26, v36
	v_add_u32_e32 v36, v14, v36
	v_lshlrev_b32_e32 v15, 1, v15
	v_sub_u32_e32 v14, v14, v15
	v_ashrrev_i32_e32 v15, 6, v36
	v_lshl_add_u32 v14, v15, 1, v14
	v_cmp_ne_u32_e32 vcc, 10, v14
	v_cmp_ne_u32_e64 s[0:1], 9, v14
	v_cmp_ne_u32_e64 s[8:9], 8, v14
	;; [unrolled: 1-line block ×11, first 2 shown]
	v_cndmask_b32_e32 v10, v34, v10, vcc
	v_cndmask_b32_e64 v9, v34, v9, s[0:1]
	v_cndmask_b32_e64 v11, v34, v11, s[26:27]
	;; [unrolled: 1-line block ×11, first 2 shown]
	s_branch .LBB171_30
.LBB171_59:
	v_mov_b32_e32 v17, 0
.LBB171_60:
	v_cmp_eq_u32_e32 vcc, 0, v13
	s_and_b64 exec, exec, vcc
	s_cbranch_execz .LBB171_73
; %bb.61:
	s_andn2_b64 vcc, exec, s[4:5]
	v_cvt_f32_f64_e32 v0, s[28:29]
	s_cbranch_vccnz .LBB171_63
; %bb.62:
	v_cmp_lt_f32_e32 vcc, 0, v17
	s_nop 1
	v_cndmask_b32_e32 v1, 1.0, v17, vcc
	v_div_scale_f32 v2, s[0:1], v1, v1, v0
	v_rcp_f32_e32 v3, v2
	s_nop 0
	v_fma_f32 v4, -v2, v3, 1.0
	v_fmac_f32_e32 v3, v4, v3
	v_div_scale_f32 v4, vcc, v0, v1, v0
	v_mul_f32_e32 v5, v4, v3
	v_fma_f32 v6, -v2, v5, v4
	v_fmac_f32_e32 v5, v6, v3
	v_fma_f32 v2, -v2, v5, v4
	v_div_fmas_f32 v2, v2, v3, v5
	v_div_fixup_f32 v0, v2, v1, v0
.LBB171_63:
	s_andn2_b64 vcc, exec, s[46:47]
	s_cbranch_vccnz .LBB171_73
; %bb.64:
	v_mul_lo_u32 v2, v12, s36
	s_cmp_gt_u32 s36, 3
	v_ashrrev_i32_e32 v3, 31, v2
	s_cbranch_scc0 .LBB171_68
; %bb.65:
	s_and_b32 s0, s36, 0x7ffffffc
	v_lshl_add_u64 v[4:5], v[2:3], 2, s[34:35]
	v_mov_b32_e32 v1, v0
	v_lshl_add_u64 v[4:5], v[4:5], 0, 8
	s_mov_b32 s1, s0
.LBB171_66:                             ; =>This Inner Loop Header: Depth=1
	global_load_dwordx4 v[6:9], v[4:5], off offset:-8
	s_add_i32 s1, s1, -4
	s_cmp_lg_u32 s1, 0
	s_waitcnt vmcnt(0)
	v_pk_mul_f32 v[6:7], v[0:1], v[6:7]
	v_pk_mul_f32 v[8:9], v[0:1], v[8:9]
	global_store_dwordx4 v[4:5], v[6:9], off offset:-8
	v_lshl_add_u64 v[4:5], v[4:5], 0, 16
	s_cbranch_scc1 .LBB171_66
; %bb.67:
	s_cmp_lg_u32 s0, s36
	s_cselect_b64 s[2:3], -1, 0
	s_branch .LBB171_70
.LBB171_68:
	s_mov_b64 s[2:3], 0
                                        ; implicit-def: $sgpr0
	s_cbranch_execz .LBB171_70
; %bb.69:
	s_mov_b64 s[2:3], -1
	s_mov_b32 s0, 0
.LBB171_70:
	s_andn2_b64 vcc, exec, s[2:3]
	s_cbranch_vccnz .LBB171_73
; %bb.71:
	s_mov_b32 s1, 0
	v_lshl_add_u64 v[2:3], v[2:3], 0, s[0:1]
	s_sub_i32 s2, s36, s0
	v_lshl_add_u64 v[2:3], v[2:3], 2, s[34:35]
.LBB171_72:                             ; =>This Inner Loop Header: Depth=1
	global_load_dword v1, v[2:3], off
	s_add_i32 s2, s2, -1
	s_cmp_lg_u32 s2, 0
	s_waitcnt vmcnt(0)
	v_mul_f32_e32 v1, v0, v1
	global_store_dword v[2:3], v1, off
	v_lshl_add_u64 v[2:3], v[2:3], 0, 4
	s_cbranch_scc1 .LBB171_72
.LBB171_73:
	s_endpgm
	.section	.rodata,"a",@progbits
	.p2align	6, 0x0
	.amdhsa_kernel _ZN4vllm3moe22topkGatingSoftplusSqrtILi12ELi384ELi4ELi8ELi32ELb0ElfEEvPKT6_PKbPfiPT5_PiiiibdPKfPKS8_SE_
		.amdhsa_group_segment_fixed_size 0
		.amdhsa_private_segment_fixed_size 0
		.amdhsa_kernarg_size 96
		.amdhsa_user_sgpr_count 2
		.amdhsa_user_sgpr_dispatch_ptr 0
		.amdhsa_user_sgpr_queue_ptr 0
		.amdhsa_user_sgpr_kernarg_segment_ptr 1
		.amdhsa_user_sgpr_dispatch_id 0
		.amdhsa_user_sgpr_kernarg_preload_length 0
		.amdhsa_user_sgpr_kernarg_preload_offset 0
		.amdhsa_user_sgpr_private_segment_size 0
		.amdhsa_uses_dynamic_stack 0
		.amdhsa_enable_private_segment 0
		.amdhsa_system_sgpr_workgroup_id_x 1
		.amdhsa_system_sgpr_workgroup_id_y 0
		.amdhsa_system_sgpr_workgroup_id_z 0
		.amdhsa_system_sgpr_workgroup_info 0
		.amdhsa_system_vgpr_workitem_id 1
		.amdhsa_next_free_vgpr 44
		.amdhsa_next_free_sgpr 51
		.amdhsa_accum_offset 44
		.amdhsa_reserve_vcc 1
		.amdhsa_float_round_mode_32 0
		.amdhsa_float_round_mode_16_64 0
		.amdhsa_float_denorm_mode_32 3
		.amdhsa_float_denorm_mode_16_64 3
		.amdhsa_dx10_clamp 1
		.amdhsa_ieee_mode 1
		.amdhsa_fp16_overflow 0
		.amdhsa_tg_split 0
		.amdhsa_exception_fp_ieee_invalid_op 0
		.amdhsa_exception_fp_denorm_src 0
		.amdhsa_exception_fp_ieee_div_zero 0
		.amdhsa_exception_fp_ieee_overflow 0
		.amdhsa_exception_fp_ieee_underflow 0
		.amdhsa_exception_fp_ieee_inexact 0
		.amdhsa_exception_int_div_zero 0
	.end_amdhsa_kernel
	.section	.text._ZN4vllm3moe22topkGatingSoftplusSqrtILi12ELi384ELi4ELi8ELi32ELb0ElfEEvPKT6_PKbPfiPT5_PiiiibdPKfPKS8_SE_,"axG",@progbits,_ZN4vllm3moe22topkGatingSoftplusSqrtILi12ELi384ELi4ELi8ELi32ELb0ElfEEvPKT6_PKbPfiPT5_PiiiibdPKfPKS8_SE_,comdat
.Lfunc_end171:
	.size	_ZN4vllm3moe22topkGatingSoftplusSqrtILi12ELi384ELi4ELi8ELi32ELb0ElfEEvPKT6_PKbPfiPT5_PiiiibdPKfPKS8_SE_, .Lfunc_end171-_ZN4vllm3moe22topkGatingSoftplusSqrtILi12ELi384ELi4ELi8ELi32ELb0ElfEEvPKT6_PKbPfiPT5_PiiiibdPKfPKS8_SE_
                                        ; -- End function
	.section	.AMDGPU.csdata,"",@progbits
; Kernel info:
; codeLenInByte = 5400
; NumSgprs: 57
; NumVgprs: 44
; NumAgprs: 0
; TotalNumVgprs: 44
; ScratchSize: 0
; MemoryBound: 0
; FloatMode: 240
; IeeeMode: 1
; LDSByteSize: 0 bytes/workgroup (compile time only)
; SGPRBlocks: 7
; VGPRBlocks: 5
; NumSGPRsForWavesPerEU: 57
; NumVGPRsForWavesPerEU: 44
; AccumOffset: 44
; Occupancy: 8
; WaveLimiterHint : 1
; COMPUTE_PGM_RSRC2:SCRATCH_EN: 0
; COMPUTE_PGM_RSRC2:USER_SGPR: 2
; COMPUTE_PGM_RSRC2:TRAP_HANDLER: 0
; COMPUTE_PGM_RSRC2:TGID_X_EN: 1
; COMPUTE_PGM_RSRC2:TGID_Y_EN: 0
; COMPUTE_PGM_RSRC2:TGID_Z_EN: 0
; COMPUTE_PGM_RSRC2:TIDIG_COMP_CNT: 1
; COMPUTE_PGM_RSRC3_GFX90A:ACCUM_OFFSET: 10
; COMPUTE_PGM_RSRC3_GFX90A:TG_SPLIT: 0
	.section	.text._ZN4vllm3moe22topkGatingSoftplusSqrtILi7ELi448ELi4ELi4ELi64ELb1ElfEEvPKT6_PKbPfiPT5_PiiiibdPKfPKS8_SE_,"axG",@progbits,_ZN4vllm3moe22topkGatingSoftplusSqrtILi7ELi448ELi4ELi4ELi64ELb1ElfEEvPKT6_PKbPfiPT5_PiiiibdPKfPKS8_SE_,comdat
	.protected	_ZN4vllm3moe22topkGatingSoftplusSqrtILi7ELi448ELi4ELi4ELi64ELb1ElfEEvPKT6_PKbPfiPT5_PiiiibdPKfPKS8_SE_ ; -- Begin function _ZN4vllm3moe22topkGatingSoftplusSqrtILi7ELi448ELi4ELi4ELi64ELb1ElfEEvPKT6_PKbPfiPT5_PiiiibdPKfPKS8_SE_
	.globl	_ZN4vllm3moe22topkGatingSoftplusSqrtILi7ELi448ELi4ELi4ELi64ELb1ElfEEvPKT6_PKbPfiPT5_PiiiibdPKfPKS8_SE_
	.p2align	8
	.type	_ZN4vllm3moe22topkGatingSoftplusSqrtILi7ELi448ELi4ELi4ELi64ELb1ElfEEvPKT6_PKbPfiPT5_PiiiibdPKfPKS8_SE_,@function
_ZN4vllm3moe22topkGatingSoftplusSqrtILi7ELi448ELi4ELi4ELi64ELb1ElfEEvPKT6_PKbPfiPT5_PiiiibdPKfPKS8_SE_: ; @_ZN4vllm3moe22topkGatingSoftplusSqrtILi7ELi448ELi4ELi4ELi64ELb1ElfEEvPKT6_PKbPfiPT5_PiiiibdPKfPKS8_SE_
; %bb.0:
	s_load_dword s3, s[0:1], 0x18
	v_and_b32_e32 v1, 0x3ff, v0
	s_lshl_b32 s2, s2, 2
	v_lshrrev_b32_e32 v2, 6, v1
	v_bfe_u32 v0, v0, 10, 10
	v_add3_u32 v0, s2, v0, v2
	s_waitcnt lgkmcnt(0)
	v_cmp_gt_i32_e32 vcc, s3, v0
	s_and_saveexec_b64 s[2:3], vcc
	s_cbranch_execz .LBB172_31
; %bb.1:
	s_load_dwordx4 s[8:11], s[0:1], 0x50
	s_load_dwordx2 s[2:3], s[0:1], 0x0
	s_load_dword s12, s[0:1], 0x30
	s_movk_i32 s4, 0x1c0
	v_mul_lo_u32 v4, v0, s4
	s_waitcnt lgkmcnt(0)
	v_mov_b32_e32 v2, s8
	v_mov_b32_e32 v3, s9
	v_and_b32_e32 v12, 63, v1
	v_ashrrev_i32_e32 v1, 31, v0
	v_ashrrev_i32_e32 v5, 31, v4
	v_lshl_add_u64 v[2:3], v[0:1], 3, v[2:3]
	v_lshl_add_u64 v[6:7], v[4:5], 2, s[2:3]
	v_lshlrev_b32_e32 v4, 2, v12
	v_mov_b32_e32 v5, 0
	global_load_dwordx2 v[2:3], v[2:3], off
	v_lshl_add_u64 v[6:7], v[6:7], 0, v[4:5]
	global_load_dword v1, v[6:7], off
	global_load_dword v4, v[6:7], off offset:256
	global_load_dword v10, v[6:7], off offset:512
	;; [unrolled: 1-line block ×6, first 2 shown]
	s_mov_b32 s19, 0x800000
	s_ashr_i32 s13, s12, 31
	v_mov_b32_e32 v18, 0x4f800000
	s_mov_b32 s18, 0x3f317217
	s_mov_b32 s20, 0x7f800000
	v_mov_b32_e32 v19, 0x41b17218
	s_mov_b32 s15, 0x41a00000
	s_mov_b32 s21, 0xf800000
	v_mov_b32_e32 v20, 0x260
	v_cmp_lt_i64_e64 s[16:17], s[12:13], 1
	s_mov_b32 s14, 0
	v_cmp_gt_i64_e64 s[8:9], s[12:13], 0
	v_mul_lo_u32 v0, v0, s12
	s_waitcnt vmcnt(5)
	v_mul_f32_e32 v7, 0x3fb8aa3b, v4
	v_mul_lo_u32 v13, v3, s12
	v_mul_f32_e32 v3, 0x3fb8aa3b, v1
	v_exp_f32_e32 v6, v3
	v_exp_f32_e32 v7, v7
	s_waitcnt vmcnt(4)
	v_mul_f32_e32 v8, 0x3fb8aa3b, v10
	s_waitcnt vmcnt(3)
	v_mul_f32_e32 v9, 0x3fb8aa3b, v11
	v_mul_lo_u32 v14, v2, s13
	v_pk_add_f32 v[6:7], v[6:7], 1.0 op_sel_hi:[1,0]
	v_exp_f32_e32 v8, v8
	v_exp_f32_e32 v9, v9
	v_mad_u64_u32 v[2:3], s[2:3], v2, s12, 0
	v_cmp_gt_f32_e32 vcc, s19, v7
	v_add3_u32 v3, v3, v14, v13
	v_cmp_gt_f32_e64 s[2:3], s19, v6
	v_cndmask_b32_e32 v13, 1.0, v18, vcc
	v_mul_f32_e32 v7, v7, v13
	v_cndmask_b32_e64 v14, 1.0, v18, s[2:3]
	v_mul_f32_e32 v6, v6, v14
	v_log_f32_e32 v7, v7
	v_pk_add_f32 v[8:9], v[8:9], 1.0 op_sel_hi:[1,0]
	v_log_f32_e32 v6, v6
	v_cmp_gt_f32_e64 s[4:5], s19, v9
	v_cndmask_b32_e32 v13, 0, v19, vcc
	v_cmp_lt_f32_e64 vcc, |v7|, s20
	v_cndmask_b32_e64 v15, 1.0, v18, s[4:5]
	v_mul_f32_e32 v9, v9, v15
	v_mul_f32_e32 v15, 0x3f317217, v7
	v_mul_f32_e32 v16, 0x3f317217, v6
	v_fma_f32 v15, v7, s18, -v15
	v_fma_f32 v16, v6, s18, -v16
	v_fmac_f32_e32 v15, 0x3377d1cf, v7
	v_fmac_f32_e32 v16, 0x3377d1cf, v6
	;; [unrolled: 1-line block ×4, first 2 shown]
	v_cndmask_b32_e32 v7, v7, v15, vcc
	v_cmp_lt_f32_e64 vcc, |v6|, s20
	v_cndmask_b32_e64 v14, 0, v19, s[2:3]
	v_sub_f32_e32 v7, v7, v13
	v_cndmask_b32_e32 v6, v6, v16, vcc
	v_sub_f32_e32 v6, v6, v14
	v_cmp_lt_f32_e32 vcc, s15, v1
	v_log_f32_e32 v9, v9
	v_lshl_add_u64 v[2:3], v[2:3], 3, s[10:11]
	v_cndmask_b32_e32 v1, v6, v1, vcc
	v_cmp_lt_f32_e32 vcc, s15, v4
	v_cmp_gt_f32_e64 s[2:3], s21, v1
	v_mul_f32_e32 v23, 0x3f317217, v9
	v_cndmask_b32_e32 v4, v7, v4, vcc
	v_mul_f32_e32 v6, 0x4f800000, v4
	v_cmp_gt_f32_e32 vcc, s21, v4
	v_mul_f32_e32 v7, 0x4f800000, v1
	v_cndmask_b32_e64 v1, v1, v7, s[2:3]
	v_cndmask_b32_e32 v4, v4, v6, vcc
	v_sqrt_f32_e32 v6, v4
	v_sqrt_f32_e32 v7, v1
	v_fma_f32 v23, v9, s18, -v23
	v_fmac_f32_e32 v23, 0x3377d1cf, v9
	v_add_u32_e32 v13, -1, v6
	v_add_u32_e32 v15, -1, v7
	v_fma_f32 v24, -v13, v6, v4
	v_add_u32_e32 v14, 1, v6
	v_fma_f32 v26, -v15, v7, v1
	v_cmp_ge_f32_e64 s[6:7], 0, v24
	v_add_u32_e32 v16, 1, v7
	v_fma_f32 v25, -v14, v6, v4
	v_cndmask_b32_e64 v6, v6, v13, s[6:7]
	v_cmp_ge_f32_e64 s[6:7], 0, v26
	v_fma_f32 v27, -v16, v7, v1
	v_fmac_f32_e32 v23, 0x3f317217, v9
	v_cndmask_b32_e64 v7, v7, v15, s[6:7]
	v_cmp_lt_f32_e64 s[6:7], 0, v25
	s_nop 1
	v_cndmask_b32_e64 v6, v6, v14, s[6:7]
	v_cmp_lt_f32_e64 s[6:7], 0, v27
	v_mul_f32_e32 v13, 0x37800000, v6
	v_cndmask_b32_e32 v6, v6, v13, vcc
	v_cndmask_b32_e64 v7, v7, v16, s[6:7]
	v_mul_f32_e32 v14, 0x37800000, v7
	v_cmp_class_f32_e32 vcc, v4, v20
	v_cndmask_b32_e64 v7, v7, v14, s[2:3]
	v_cmp_lt_f32_e64 s[2:3], |v9|, s20
	v_cndmask_b32_e32 v13, v6, v4, vcc
	v_cmp_class_f32_e32 vcc, v1, v20
	v_cndmask_b32_e64 v4, v9, v23, s[2:3]
	v_cndmask_b32_e64 v6, 0, v19, s[4:5]
	v_cndmask_b32_e32 v14, v7, v1, vcc
	v_cmp_gt_f32_e32 vcc, s19, v8
	v_sub_f32_e32 v4, v4, v6
	s_nop 0
	v_cndmask_b32_e32 v1, 1.0, v18, vcc
	v_mul_f32_e32 v1, v8, v1
	v_log_f32_e32 v1, v1
	s_nop 0
	v_mul_f32_e32 v6, 0x3f317217, v1
	v_fma_f32 v6, v1, s18, -v6
	v_fmac_f32_e32 v6, 0x3377d1cf, v1
	v_fmac_f32_e32 v6, 0x3f317217, v1
	v_cmp_lt_f32_e64 s[2:3], |v1|, s20
	s_nop 1
	v_cndmask_b32_e64 v1, v1, v6, s[2:3]
	v_cndmask_b32_e32 v6, 0, v19, vcc
	v_cmp_lt_f32_e32 vcc, s15, v11
	v_sub_f32_e32 v1, v1, v6
	v_cmp_lt_f32_e64 s[2:3], s15, v10
	v_cndmask_b32_e32 v4, v4, v11, vcc
	v_mul_f32_e32 v7, 0x4f800000, v4
	v_cmp_gt_f32_e32 vcc, s21, v4
	v_cndmask_b32_e64 v1, v1, v10, s[2:3]
	s_nop 0
	v_cndmask_b32_e32 v4, v4, v7, vcc
	v_sqrt_f32_e32 v7, v4
	s_nop 0
	v_add_u32_e32 v6, -1, v7
	v_fma_f32 v8, -v6, v7, v4
	v_cmp_ge_f32_e64 s[2:3], 0, v8
	v_add_u32_e32 v8, 1, v7
	s_nop 0
	v_cndmask_b32_e64 v6, v7, v6, s[2:3]
	v_fma_f32 v7, -v8, v7, v4
	v_cmp_lt_f32_e64 s[2:3], 0, v7
	s_nop 1
	v_cndmask_b32_e64 v6, v6, v8, s[2:3]
	v_mul_f32_e32 v8, 0x4f800000, v1
	v_cmp_gt_f32_e64 s[2:3], s21, v1
	v_mul_f32_e32 v7, 0x37800000, v6
	v_cndmask_b32_e32 v6, v6, v7, vcc
	v_cndmask_b32_e64 v1, v1, v8, s[2:3]
	v_sqrt_f32_e32 v8, v1
	v_cmp_class_f32_e32 vcc, v4, v20
	s_waitcnt vmcnt(1)
	v_mul_f32_e32 v7, 0x3fb8aa3b, v21
	v_exp_f32_e32 v7, v7
	v_cndmask_b32_e32 v15, v6, v4, vcc
	v_add_u32_e32 v4, -1, v8
	v_fma_f32 v6, -v4, v8, v1
	v_cmp_ge_f32_e32 vcc, 0, v6
	v_mul_f32_e32 v6, 0x3fb8aa3b, v17
	v_exp_f32_e32 v6, v6
	v_add_u32_e32 v9, 1, v8
	v_cndmask_b32_e32 v4, v8, v4, vcc
	v_fma_f32 v8, -v9, v8, v1
	v_cmp_lt_f32_e32 vcc, 0, v8
	v_pk_add_f32 v[6:7], v[6:7], 1.0 op_sel_hi:[1,0]
	s_nop 0
	v_cndmask_b32_e32 v4, v4, v9, vcc
	v_cmp_gt_f32_e32 vcc, s19, v7
	v_mul_f32_e32 v8, 0x37800000, v4
	v_cndmask_b32_e64 v4, v4, v8, s[2:3]
	v_cndmask_b32_e32 v9, 1.0, v18, vcc
	v_mul_f32_e32 v7, v7, v9
	v_log_f32_e32 v7, v7
	v_cmp_class_f32_e64 s[2:3], v1, v20
	v_cmp_lt_f32_e64 s[4:5], |v7|, s20
	s_nop 0
	v_cndmask_b32_e64 v16, v4, v1, s[2:3]
	v_cmp_gt_f32_e64 s[2:3], s19, v6
	v_mul_f32_e32 v1, 0x3f317217, v7
	v_fma_f32 v1, v7, s18, -v1
	v_cndmask_b32_e64 v4, 1.0, v18, s[2:3]
	v_mul_f32_e32 v4, v6, v4
	v_log_f32_e32 v4, v4
	v_fmac_f32_e32 v1, 0x3377d1cf, v7
	v_fmac_f32_e32 v1, 0x3f317217, v7
	v_cndmask_b32_e64 v1, v7, v1, s[4:5]
	v_cndmask_b32_e32 v6, 0, v19, vcc
	v_sub_f32_e32 v1, v1, v6
	v_mul_f32_e32 v6, 0x3f317217, v4
	v_fma_f32 v6, v4, s18, -v6
	v_fmac_f32_e32 v6, 0x3377d1cf, v4
	v_fmac_f32_e32 v6, 0x3f317217, v4
	v_cmp_lt_f32_e64 vcc, |v4|, s20
	s_nop 1
	v_cndmask_b32_e32 v4, v4, v6, vcc
	v_cmp_lt_f32_e32 vcc, s15, v21
	v_cndmask_b32_e64 v6, 0, v19, s[2:3]
	v_sub_f32_e32 v4, v4, v6
	v_cndmask_b32_e32 v1, v1, v21, vcc
	v_mul_f32_e32 v7, 0x4f800000, v1
	v_cmp_gt_f32_e32 vcc, s21, v1
	v_cmp_lt_f32_e64 s[2:3], s15, v17
	s_nop 0
	v_cndmask_b32_e32 v1, v1, v7, vcc
	v_sqrt_f32_e32 v7, v1
	v_cndmask_b32_e64 v4, v4, v17, s[2:3]
	v_add_u32_e32 v6, -1, v7
	v_fma_f32 v8, -v6, v7, v1
	v_cmp_ge_f32_e64 s[2:3], 0, v8
	v_add_u32_e32 v8, 1, v7
	s_nop 0
	v_cndmask_b32_e64 v6, v7, v6, s[2:3]
	v_fma_f32 v7, -v8, v7, v1
	v_cmp_lt_f32_e64 s[2:3], 0, v7
	s_nop 1
	v_cndmask_b32_e64 v6, v6, v8, s[2:3]
	v_mul_f32_e32 v8, 0x4f800000, v4
	v_cmp_gt_f32_e64 s[2:3], s21, v4
	v_mul_f32_e32 v7, 0x37800000, v6
	v_cndmask_b32_e32 v6, v6, v7, vcc
	v_cndmask_b32_e64 v4, v4, v8, s[2:3]
	v_sqrt_f32_e32 v8, v4
	s_waitcnt vmcnt(0)
	v_mul_f32_e32 v7, 0x3fb8aa3b, v22
	v_exp_f32_e32 v7, v7
	v_cmp_class_f32_e32 vcc, v1, v20
	v_add_f32_e32 v7, 1.0, v7
	s_nop 0
	v_cndmask_b32_e32 v17, v6, v1, vcc
	v_add_u32_e32 v1, -1, v8
	v_fma_f32 v6, -v1, v8, v4
	v_cmp_ge_f32_e32 vcc, 0, v6
	v_add_u32_e32 v6, 1, v8
	s_nop 0
	v_cndmask_b32_e32 v1, v8, v1, vcc
	v_cmp_gt_f32_e32 vcc, s19, v7
	v_fma_f32 v8, -v6, v8, v4
	v_cmp_lt_f32_e64 s[4:5], 0, v8
	v_cndmask_b32_e32 v9, 1.0, v18, vcc
	v_mul_f32_e32 v7, v7, v9
	v_log_f32_e32 v7, v7
	v_cndmask_b32_e64 v1, v1, v6, s[4:5]
	v_mul_f32_e32 v6, 0x37800000, v1
	v_cndmask_b32_e64 v1, v1, v6, s[2:3]
	v_mul_f32_e32 v8, 0x3f317217, v7
	v_fma_f32 v8, v7, s18, -v8
	v_fmac_f32_e32 v8, 0x3377d1cf, v7
	v_fmac_f32_e32 v8, 0x3f317217, v7
	v_cmp_lt_f32_e64 s[4:5], |v7|, s20
	v_cmp_class_f32_e64 s[2:3], v4, v20
	s_nop 0
	v_cndmask_b32_e64 v7, v7, v8, s[4:5]
	v_cndmask_b32_e32 v8, 0, v19, vcc
	v_sub_f32_e32 v7, v7, v8
	v_cmp_lt_f32_e32 vcc, s15, v22
	v_cndmask_b32_e64 v18, v1, v4, s[2:3]
	s_nop 0
	v_cndmask_b32_e32 v7, v7, v22, vcc
	v_mul_f32_e32 v8, 0x4f800000, v7
	v_cmp_gt_f32_e32 vcc, s21, v7
	s_nop 1
	v_cndmask_b32_e32 v7, v7, v8, vcc
	v_sqrt_f32_e32 v8, v7
	s_nop 0
	v_add_u32_e32 v1, -1, v8
	v_fma_f32 v4, -v1, v8, v7
	v_cmp_ge_f32_e64 s[2:3], 0, v4
	v_add_u32_e32 v4, 1, v8
	v_fma_f32 v6, -v4, v8, v7
	v_cndmask_b32_e64 v1, v8, v1, s[2:3]
	v_cmp_lt_f32_e64 s[2:3], 0, v6
	s_nop 1
	v_cndmask_b32_e64 v1, v1, v4, s[2:3]
	v_mul_f32_e32 v4, 0x37800000, v1
	v_cndmask_b32_e32 v1, v1, v4, vcc
	v_cmp_class_f32_e32 vcc, v7, v20
	s_nop 1
	v_cndmask_b32_e32 v19, v1, v7, vcc
	s_and_b64 vcc, exec, s[16:17]
	s_cbranch_vccnz .LBB172_28
; %bb.2:
	s_load_dwordx2 s[4:5], s[0:1], 0x20
	s_cmp_lt_u32 s12, 4
	v_sub_u32_e32 v4, 0, v12
	s_cbranch_scc1 .LBB172_21
; %bb.3:
	s_mov_b32 s7, 0
	s_and_b32 s14, s12, 0x7ffffffc
	v_ashrrev_i32_e32 v1, 31, v0
	v_mov_b32_e32 v5, 0
	s_mov_b32 s6, s7
	s_branch .LBB172_5
.LBB172_4:                              ;   in Loop: Header=BB172_5 Depth=1
	s_or_b64 exec, exec, s[10:11]
	s_add_i32 s6, s6, 4
	s_cmp_eq_u32 s6, s14
	s_cbranch_scc1 .LBB172_21
.LBB172_5:                              ; =>This Loop Header: Depth=1
                                        ;     Child Loop BB172_7 Depth 2
                                        ;     Child Loop BB172_11 Depth 2
	;; [unrolled: 1-line block ×4, first 2 shown]
	v_lshl_add_u64 v[6:7], s[6:7], 3, v[2:3]
	global_load_dwordx2 v[8:9], v[6:7], off
	v_add_u32_e32 v10, s6, v0
	v_ashrrev_i32_e32 v11, 31, v10
	s_mov_b64 s[10:11], 0
	s_waitcnt lgkmcnt(0)
	v_lshl_add_u64 v[10:11], v[10:11], 3, s[4:5]
	s_mov_b64 s[16:17], 0
	s_waitcnt vmcnt(0)
	v_ashrrev_i32_e32 v9, 31, v8
	v_add_u32_e32 v20, v4, v8
	s_branch .LBB172_7
.LBB172_6:                              ;   in Loop: Header=BB172_7 Depth=2
	s_or_b64 exec, exec, s[18:19]
	s_cmp_gt_u32 s16, 5
	s_cselect_b64 s[2:3], -1, 0
	s_xor_b64 s[18:19], vcc, -1
	s_or_b64 s[2:3], s[18:19], s[2:3]
	s_add_u32 s16, s16, 1
	s_addc_u32 s17, s17, 0
	s_and_b64 s[2:3], exec, s[2:3]
	s_or_b64 s[10:11], s[2:3], s[10:11]
	v_subrev_u32_e32 v20, 64, v20
	s_andn2_b64 exec, exec, s[10:11]
	s_cbranch_execz .LBB172_9
.LBB172_7:                              ;   Parent Loop BB172_5 Depth=1
                                        ; =>  This Inner Loop Header: Depth=2
	v_cmp_ne_u32_e32 vcc, 0, v20
	v_cmp_eq_u32_e64 s[2:3], 0, v20
	s_and_saveexec_b64 s[18:19], s[2:3]
	s_cbranch_execz .LBB172_6
; %bb.8:                                ;   in Loop: Header=BB172_7 Depth=2
	s_cmp_eq_u32 s16, 1
	s_cselect_b64 s[2:3], -1, 0
	s_cmp_eq_u32 s16, 2
	v_cndmask_b32_e64 v21, v14, v13, s[2:3]
	s_cselect_b64 s[2:3], -1, 0
	s_cmp_eq_u32 s16, 3
	v_cndmask_b32_e64 v21, v21, v16, s[2:3]
	;; [unrolled: 3-line block ×5, first 2 shown]
	s_cselect_b64 s[2:3], -1, 0
	v_cndmask_b32_e64 v21, v21, v19, s[2:3]
	v_add_f32_e32 v5, v5, v21
	global_store_dwordx2 v[10:11], v[8:9], off
	s_branch .LBB172_6
.LBB172_9:                              ;   in Loop: Header=BB172_5 Depth=1
	s_or_b64 exec, exec, s[10:11]
	global_load_dwordx2 v[10:11], v[6:7], off offset:8
	s_ashr_i32 s3, s6, 31
	s_mov_b32 s2, s6
	v_lshl_add_u64 v[8:9], s[2:3], 0, v[0:1]
	s_mov_b64 s[10:11], 0
	v_lshl_add_u64 v[8:9], v[8:9], 3, s[4:5]
	s_mov_b64 s[16:17], 0
	s_waitcnt vmcnt(0)
	v_ashrrev_i32_e32 v11, 31, v10
	v_add_u32_e32 v20, v4, v10
	s_branch .LBB172_11
.LBB172_10:                             ;   in Loop: Header=BB172_11 Depth=2
	s_or_b64 exec, exec, s[18:19]
	s_cmp_gt_u32 s16, 5
	s_cselect_b64 s[2:3], -1, 0
	s_xor_b64 s[18:19], vcc, -1
	s_or_b64 s[2:3], s[18:19], s[2:3]
	s_add_u32 s16, s16, 1
	s_addc_u32 s17, s17, 0
	s_and_b64 s[2:3], exec, s[2:3]
	s_or_b64 s[10:11], s[2:3], s[10:11]
	v_subrev_u32_e32 v20, 64, v20
	s_andn2_b64 exec, exec, s[10:11]
	s_cbranch_execz .LBB172_13
.LBB172_11:                             ;   Parent Loop BB172_5 Depth=1
                                        ; =>  This Inner Loop Header: Depth=2
	v_cmp_ne_u32_e32 vcc, 0, v20
	v_cmp_eq_u32_e64 s[2:3], 0, v20
	s_and_saveexec_b64 s[18:19], s[2:3]
	s_cbranch_execz .LBB172_10
; %bb.12:                               ;   in Loop: Header=BB172_11 Depth=2
	s_cmp_eq_u32 s16, 1
	s_cselect_b64 s[2:3], -1, 0
	s_cmp_eq_u32 s16, 2
	v_cndmask_b32_e64 v21, v14, v13, s[2:3]
	s_cselect_b64 s[2:3], -1, 0
	s_cmp_eq_u32 s16, 3
	v_cndmask_b32_e64 v21, v21, v16, s[2:3]
	;; [unrolled: 3-line block ×5, first 2 shown]
	s_cselect_b64 s[2:3], -1, 0
	v_cndmask_b32_e64 v21, v21, v19, s[2:3]
	v_add_f32_e32 v5, v5, v21
	global_store_dwordx2 v[8:9], v[10:11], off offset:8
	s_branch .LBB172_10
.LBB172_13:                             ;   in Loop: Header=BB172_5 Depth=1
	s_or_b64 exec, exec, s[10:11]
	global_load_dwordx2 v[10:11], v[6:7], off offset:16
	s_mov_b64 s[10:11], 0
	s_mov_b64 s[16:17], 0
	s_waitcnt vmcnt(0)
	v_ashrrev_i32_e32 v11, 31, v10
	v_add_u32_e32 v20, v4, v10
	s_branch .LBB172_15
.LBB172_14:                             ;   in Loop: Header=BB172_15 Depth=2
	s_or_b64 exec, exec, s[18:19]
	s_cmp_gt_u32 s16, 5
	s_cselect_b64 s[2:3], -1, 0
	s_xor_b64 s[18:19], vcc, -1
	s_or_b64 s[2:3], s[18:19], s[2:3]
	s_add_u32 s16, s16, 1
	s_addc_u32 s17, s17, 0
	s_and_b64 s[2:3], exec, s[2:3]
	s_or_b64 s[10:11], s[2:3], s[10:11]
	v_subrev_u32_e32 v20, 64, v20
	s_andn2_b64 exec, exec, s[10:11]
	s_cbranch_execz .LBB172_17
.LBB172_15:                             ;   Parent Loop BB172_5 Depth=1
                                        ; =>  This Inner Loop Header: Depth=2
	v_cmp_ne_u32_e32 vcc, 0, v20
	v_cmp_eq_u32_e64 s[2:3], 0, v20
	s_and_saveexec_b64 s[18:19], s[2:3]
	s_cbranch_execz .LBB172_14
; %bb.16:                               ;   in Loop: Header=BB172_15 Depth=2
	s_cmp_eq_u32 s16, 1
	s_cselect_b64 s[2:3], -1, 0
	s_cmp_eq_u32 s16, 2
	v_cndmask_b32_e64 v21, v14, v13, s[2:3]
	s_cselect_b64 s[2:3], -1, 0
	s_cmp_eq_u32 s16, 3
	v_cndmask_b32_e64 v21, v21, v16, s[2:3]
	;; [unrolled: 3-line block ×5, first 2 shown]
	s_cselect_b64 s[2:3], -1, 0
	v_cndmask_b32_e64 v21, v21, v19, s[2:3]
	v_add_f32_e32 v5, v5, v21
	global_store_dwordx2 v[8:9], v[10:11], off offset:16
	s_branch .LBB172_14
.LBB172_17:                             ;   in Loop: Header=BB172_5 Depth=1
	s_or_b64 exec, exec, s[10:11]
	global_load_dwordx2 v[6:7], v[6:7], off offset:24
	s_mov_b64 s[10:11], 0
	s_mov_b64 s[16:17], 0
	s_waitcnt vmcnt(0)
	v_ashrrev_i32_e32 v7, 31, v6
	v_add_u32_e32 v10, v4, v6
	s_branch .LBB172_19
.LBB172_18:                             ;   in Loop: Header=BB172_19 Depth=2
	s_or_b64 exec, exec, s[18:19]
	s_cmp_gt_u32 s16, 5
	s_cselect_b64 s[2:3], -1, 0
	s_xor_b64 s[18:19], vcc, -1
	s_or_b64 s[2:3], s[18:19], s[2:3]
	s_add_u32 s16, s16, 1
	s_addc_u32 s17, s17, 0
	s_and_b64 s[2:3], exec, s[2:3]
	s_or_b64 s[10:11], s[2:3], s[10:11]
	v_subrev_u32_e32 v10, 64, v10
	s_andn2_b64 exec, exec, s[10:11]
	s_cbranch_execz .LBB172_4
.LBB172_19:                             ;   Parent Loop BB172_5 Depth=1
                                        ; =>  This Inner Loop Header: Depth=2
	v_cmp_ne_u32_e32 vcc, 0, v10
	v_cmp_eq_u32_e64 s[2:3], 0, v10
	s_and_saveexec_b64 s[18:19], s[2:3]
	s_cbranch_execz .LBB172_18
; %bb.20:                               ;   in Loop: Header=BB172_19 Depth=2
	s_cmp_eq_u32 s16, 1
	s_cselect_b64 s[2:3], -1, 0
	s_cmp_eq_u32 s16, 2
	v_cndmask_b32_e64 v11, v14, v13, s[2:3]
	s_cselect_b64 s[2:3], -1, 0
	s_cmp_eq_u32 s16, 3
	v_cndmask_b32_e64 v11, v11, v16, s[2:3]
	;; [unrolled: 3-line block ×5, first 2 shown]
	s_cselect_b64 s[2:3], -1, 0
	v_cndmask_b32_e64 v11, v11, v19, s[2:3]
	v_add_f32_e32 v5, v5, v11
	global_store_dwordx2 v[8:9], v[6:7], off offset:24
	s_branch .LBB172_18
.LBB172_21:
	s_and_b32 s13, s12, 3
	s_cmp_eq_u32 s13, 0
	s_mov_b32 s15, 0
	s_cbranch_scc1 .LBB172_28
; %bb.22:
	s_mov_b32 s18, s15
	s_branch .LBB172_24
.LBB172_23:                             ;   in Loop: Header=BB172_24 Depth=1
	s_or_b64 exec, exec, s[6:7]
	s_add_i32 s14, s14, 1
	s_add_i32 s18, s18, 1
	s_cmp_lg_u32 s18, s13
	s_cbranch_scc0 .LBB172_28
.LBB172_24:                             ; =>This Loop Header: Depth=1
                                        ;     Child Loop BB172_26 Depth 2
	v_lshl_add_u64 v[6:7], s[14:15], 3, v[2:3]
	global_load_dwordx2 v[6:7], v[6:7], off
	v_add_u32_e32 v8, s14, v0
	v_ashrrev_i32_e32 v9, 31, v8
	s_mov_b64 s[6:7], 0
	s_waitcnt lgkmcnt(0)
	v_lshl_add_u64 v[8:9], v[8:9], 3, s[4:5]
	s_mov_b64 s[10:11], 0
	s_waitcnt vmcnt(0)
	v_ashrrev_i32_e32 v7, 31, v6
	v_add_u32_e32 v1, v4, v6
	s_branch .LBB172_26
.LBB172_25:                             ;   in Loop: Header=BB172_26 Depth=2
	s_or_b64 exec, exec, s[16:17]
	s_cmp_gt_u32 s10, 5
	s_cselect_b64 s[2:3], -1, 0
	s_xor_b64 s[16:17], vcc, -1
	s_or_b64 s[2:3], s[16:17], s[2:3]
	s_add_u32 s10, s10, 1
	s_addc_u32 s11, s11, 0
	s_and_b64 s[2:3], exec, s[2:3]
	s_or_b64 s[6:7], s[2:3], s[6:7]
	v_subrev_u32_e32 v1, 64, v1
	s_andn2_b64 exec, exec, s[6:7]
	s_cbranch_execz .LBB172_23
.LBB172_26:                             ;   Parent Loop BB172_24 Depth=1
                                        ; =>  This Inner Loop Header: Depth=2
	v_cmp_ne_u32_e32 vcc, 0, v1
	v_cmp_eq_u32_e64 s[2:3], 0, v1
	s_and_saveexec_b64 s[16:17], s[2:3]
	s_cbranch_execz .LBB172_25
; %bb.27:                               ;   in Loop: Header=BB172_26 Depth=2
	s_cmp_eq_u32 s10, 1
	s_cselect_b64 s[2:3], -1, 0
	s_cmp_eq_u32 s10, 2
	v_cndmask_b32_e64 v10, v14, v13, s[2:3]
	s_cselect_b64 s[2:3], -1, 0
	s_cmp_eq_u32 s10, 3
	v_cndmask_b32_e64 v10, v10, v16, s[2:3]
	;; [unrolled: 3-line block ×5, first 2 shown]
	s_cselect_b64 s[2:3], -1, 0
	v_cndmask_b32_e64 v10, v10, v19, s[2:3]
	v_add_f32_e32 v5, v5, v10
	global_store_dwordx2 v[8:9], v[6:7], off
	s_branch .LBB172_25
.LBB172_28:
	s_waitcnt lgkmcnt(0)
	s_load_dword s4, s[0:1], 0x3c
	s_waitcnt lgkmcnt(0)
	s_bitcmp1_b32 s4, 0
	s_cselect_b64 s[2:3], -1, 0
	s_bitcmp0_b32 s4, 0
	s_cbranch_scc0 .LBB172_32
; %bb.29:
	s_load_dwordx2 s[4:5], s[0:1], 0x40
	s_andn2_b64 vcc, exec, s[2:3]
	s_waitcnt lgkmcnt(0)
	v_cvt_f32_f64_e32 v10, s[4:5]
	s_cbranch_vccz .LBB172_33
.LBB172_30:
	s_andn2_b64 vcc, exec, s[8:9]
	s_cbranch_vccz .LBB172_34
.LBB172_31:
	s_endpgm
.LBB172_32:
	v_mbcnt_lo_u32_b32 v1, -1, 0
	v_mbcnt_hi_u32_b32 v1, -1, v1
	v_and_b32_e32 v4, 64, v1
	v_add_u32_e32 v4, 64, v4
	v_xor_b32_e32 v6, 32, v1
	v_cmp_lt_i32_e32 vcc, v6, v4
	v_xor_b32_e32 v7, 16, v1
	s_nop 0
	v_cndmask_b32_e32 v6, v1, v6, vcc
	v_lshlrev_b32_e32 v6, 2, v6
	ds_bpermute_b32 v6, v6, v5
	v_cmp_lt_i32_e32 vcc, v7, v4
	s_waitcnt lgkmcnt(0)
	v_add_f32_e32 v5, v5, v6
	v_cndmask_b32_e32 v6, v1, v7, vcc
	v_lshlrev_b32_e32 v6, 2, v6
	ds_bpermute_b32 v6, v6, v5
	v_xor_b32_e32 v7, 8, v1
	v_cmp_lt_i32_e32 vcc, v7, v4
	s_waitcnt lgkmcnt(0)
	v_add_f32_e32 v5, v5, v6
	v_cndmask_b32_e32 v6, v1, v7, vcc
	v_lshlrev_b32_e32 v6, 2, v6
	ds_bpermute_b32 v6, v6, v5
	v_xor_b32_e32 v7, 4, v1
	;; [unrolled: 7-line block ×4, first 2 shown]
	v_cmp_lt_i32_e32 vcc, v7, v4
	s_waitcnt lgkmcnt(0)
	v_add_f32_e32 v5, v5, v6
	v_cndmask_b32_e32 v1, v1, v7, vcc
	v_lshlrev_b32_e32 v1, 2, v1
	ds_bpermute_b32 v1, v1, v5
	s_waitcnt lgkmcnt(0)
	v_add_f32_e32 v5, v5, v1
	s_load_dwordx2 s[4:5], s[0:1], 0x40
	s_andn2_b64 vcc, exec, s[2:3]
	s_waitcnt lgkmcnt(0)
	v_cvt_f32_f64_e32 v10, s[4:5]
	s_cbranch_vccnz .LBB172_30
.LBB172_33:
	v_cmp_lt_f32_e32 vcc, 0, v5
	s_nop 1
	v_cndmask_b32_e32 v1, 1.0, v5, vcc
	v_div_scale_f32 v4, s[2:3], v1, v1, v10
	v_rcp_f32_e32 v5, v4
	s_nop 0
	v_fma_f32 v6, -v4, v5, 1.0
	v_fmac_f32_e32 v5, v6, v5
	v_div_scale_f32 v6, vcc, v10, v1, v10
	v_mul_f32_e32 v7, v6, v5
	v_fma_f32 v8, -v4, v7, v6
	v_fmac_f32_e32 v7, v8, v5
	v_fma_f32 v4, -v4, v7, v6
	v_div_fmas_f32 v4, v4, v5, v7
	v_div_fixup_f32 v10, v4, v1, v10
	s_andn2_b64 vcc, exec, s[8:9]
	s_cbranch_vccnz .LBB172_31
.LBB172_34:
	s_load_dwordx2 s[10:11], s[0:1], 0x10
	v_or_b32_e32 v24, 64, v12
	v_or_b32_e32 v23, 0x80, v12
	;; [unrolled: 1-line block ×6, first 2 shown]
	s_cmp_eq_u32 s12, 1
	s_mov_b32 s14, 0
	s_cbranch_scc1 .LBB172_65
; %bb.35:
	v_ashrrev_i32_e32 v1, 31, v0
	s_waitcnt lgkmcnt(0)
	v_lshl_add_u64 v[4:5], v[0:1], 2, s[10:11]
	s_and_b32 s14, s12, 0x7ffffffe
	v_lshl_add_u64 v[4:5], v[4:5], 0, 4
	v_lshl_add_u64 v[6:7], v[2:3], 0, 8
	s_mov_b32 s13, 0
	s_branch .LBB172_37
.LBB172_36:                             ;   in Loop: Header=BB172_37 Depth=1
	s_or_b64 exec, exec, s[0:1]
	s_add_i32 s13, s13, 2
	v_lshl_add_u64 v[4:5], v[4:5], 0, 8
	s_cmp_lg_u32 s14, s13
	v_lshl_add_u64 v[6:7], v[6:7], 0, 16
	s_cbranch_scc0 .LBB172_65
.LBB172_37:                             ; =>This Inner Loop Header: Depth=1
	global_load_dword v1, v[6:7], off offset:-8
	v_mov_b64_e32 v[8:9], 0
	s_waitcnt vmcnt(0)
	v_cmp_eq_u32_e32 vcc, v12, v1
	v_cmp_ne_u32_e64 s[0:1], v12, v1
	s_and_saveexec_b64 s[16:17], s[0:1]
	s_cbranch_execz .LBB172_49
; %bb.38:                               ;   in Loop: Header=BB172_37 Depth=1
	v_cmp_eq_u32_e64 s[0:1], v24, v1
	v_cmp_ne_u32_e64 s[2:3], v24, v1
	v_mov_b64_e32 v[8:9], 1
	s_and_saveexec_b64 s[18:19], s[2:3]
	s_cbranch_execz .LBB172_48
; %bb.39:                               ;   in Loop: Header=BB172_37 Depth=1
	v_cmp_eq_u32_e64 s[2:3], v23, v1
	v_cmp_ne_u32_e64 s[4:5], v23, v1
	v_mov_b64_e32 v[8:9], 2
	;; [unrolled: 6-line block ×5, first 2 shown]
	s_and_saveexec_b64 s[28:29], s[8:9]
	s_xor_b64 s[28:29], exec, s[28:29]
; %bb.43:                               ;   in Loop: Header=BB172_37 Depth=1
	v_cmp_eq_u32_e64 s[8:9], v11, v1
	s_andn2_b64 s[26:27], s[26:27], exec
	s_and_b64 s[8:9], s[8:9], exec
	v_mov_b64_e32 v[8:9], 6
	s_or_b64 s[26:27], s[26:27], s[8:9]
; %bb.44:                               ;   in Loop: Header=BB172_37 Depth=1
	s_or_b64 exec, exec, s[28:29]
	s_andn2_b64 s[6:7], s[6:7], exec
	s_and_b64 s[8:9], s[26:27], exec
	s_or_b64 s[6:7], s[6:7], s[8:9]
.LBB172_45:                             ;   in Loop: Header=BB172_37 Depth=1
	s_or_b64 exec, exec, s[24:25]
	s_andn2_b64 s[4:5], s[4:5], exec
	s_and_b64 s[6:7], s[6:7], exec
	s_or_b64 s[4:5], s[4:5], s[6:7]
.LBB172_46:                             ;   in Loop: Header=BB172_37 Depth=1
	s_or_b64 exec, exec, s[22:23]
	s_andn2_b64 s[2:3], s[2:3], exec
	s_and_b64 s[4:5], s[4:5], exec
	s_or_b64 s[2:3], s[2:3], s[4:5]
.LBB172_47:                             ;   in Loop: Header=BB172_37 Depth=1
	s_or_b64 exec, exec, s[20:21]
	s_andn2_b64 s[0:1], s[0:1], exec
	s_and_b64 s[2:3], s[2:3], exec
	s_or_b64 s[0:1], s[0:1], s[2:3]
.LBB172_48:                             ;   in Loop: Header=BB172_37 Depth=1
	s_or_b64 exec, exec, s[18:19]
	s_andn2_b64 s[2:3], vcc, exec
	s_and_b64 s[0:1], s[0:1], exec
	s_or_b64 vcc, s[2:3], s[0:1]
.LBB172_49:                             ;   in Loop: Header=BB172_37 Depth=1
	s_or_b64 exec, exec, s[16:17]
	s_and_saveexec_b64 s[0:1], vcc
	s_cbranch_execz .LBB172_51
; %bb.50:                               ;   in Loop: Header=BB172_37 Depth=1
	v_cmp_eq_u32_e32 vcc, 1, v8
	v_add_u32_e32 v26, s13, v0
	v_ashrrev_i32_e32 v27, 31, v26
	v_cndmask_b32_e32 v1, v14, v13, vcc
	v_cmp_eq_u32_e32 vcc, 2, v8
	s_nop 1
	v_cndmask_b32_e32 v1, v1, v16, vcc
	v_cmp_eq_u32_e32 vcc, 3, v8
	s_nop 1
	;; [unrolled: 3-line block ×4, first 2 shown]
	v_cndmask_b32_e32 v1, v1, v17, vcc
	v_cmp_eq_u32_e32 vcc, 6, v8
	v_lshl_add_u64 v[8:9], v[26:27], 2, s[10:11]
	s_nop 0
	v_cndmask_b32_e32 v1, v1, v19, vcc
	v_mul_f32_e32 v1, v10, v1
	global_store_dword v[8:9], v1, off
.LBB172_51:                             ;   in Loop: Header=BB172_37 Depth=1
	s_or_b64 exec, exec, s[0:1]
	global_load_dword v1, v[6:7], off
	v_mov_b64_e32 v[8:9], 0
	s_waitcnt vmcnt(0)
	v_cmp_eq_u32_e64 s[6:7], v12, v1
	v_cmp_ne_u32_e32 vcc, v12, v1
	s_and_saveexec_b64 s[8:9], vcc
	s_cbranch_execz .LBB172_63
; %bb.52:                               ;   in Loop: Header=BB172_37 Depth=1
	v_cmp_eq_u32_e32 vcc, v24, v1
	v_cmp_ne_u32_e64 s[0:1], v24, v1
	v_mov_b64_e32 v[8:9], 1
	s_and_saveexec_b64 s[16:17], s[0:1]
	s_cbranch_execz .LBB172_62
; %bb.53:                               ;   in Loop: Header=BB172_37 Depth=1
	v_cmp_eq_u32_e64 s[0:1], v23, v1
	v_cmp_ne_u32_e64 s[2:3], v23, v1
	v_mov_b64_e32 v[8:9], 2
	s_and_saveexec_b64 s[18:19], s[2:3]
	s_cbranch_execz .LBB172_61
; %bb.54:                               ;   in Loop: Header=BB172_37 Depth=1
	v_cmp_eq_u32_e64 s[2:3], v22, v1
	;; [unrolled: 6-line block ×4, first 2 shown]
	v_cmp_ne_u32_e64 s[4:5], v20, v1
	v_mov_b64_e32 v[8:9], 5
	s_and_saveexec_b64 s[28:29], s[4:5]
; %bb.57:                               ;   in Loop: Header=BB172_37 Depth=1
	v_cmp_eq_u32_e64 s[4:5], v11, v1
	s_andn2_b64 s[26:27], s[26:27], exec
	s_and_b64 s[4:5], s[4:5], exec
	v_mov_b64_e32 v[8:9], 6
	s_or_b64 s[26:27], s[26:27], s[4:5]
; %bb.58:                               ;   in Loop: Header=BB172_37 Depth=1
	s_or_b64 exec, exec, s[28:29]
	s_andn2_b64 s[4:5], s[22:23], exec
	s_and_b64 s[22:23], s[26:27], exec
	s_or_b64 s[22:23], s[4:5], s[22:23]
.LBB172_59:                             ;   in Loop: Header=BB172_37 Depth=1
	s_or_b64 exec, exec, s[24:25]
	s_andn2_b64 s[2:3], s[2:3], exec
	s_and_b64 s[4:5], s[22:23], exec
	s_or_b64 s[2:3], s[2:3], s[4:5]
.LBB172_60:                             ;   in Loop: Header=BB172_37 Depth=1
	s_or_b64 exec, exec, s[20:21]
	s_andn2_b64 s[0:1], s[0:1], exec
	s_and_b64 s[2:3], s[2:3], exec
	s_or_b64 s[0:1], s[0:1], s[2:3]
.LBB172_61:                             ;   in Loop: Header=BB172_37 Depth=1
	s_or_b64 exec, exec, s[18:19]
	s_andn2_b64 s[2:3], vcc, exec
	s_and_b64 s[0:1], s[0:1], exec
	s_or_b64 vcc, s[2:3], s[0:1]
.LBB172_62:                             ;   in Loop: Header=BB172_37 Depth=1
	s_or_b64 exec, exec, s[16:17]
	s_andn2_b64 s[0:1], s[6:7], exec
	s_and_b64 s[2:3], vcc, exec
	s_or_b64 s[6:7], s[0:1], s[2:3]
.LBB172_63:                             ;   in Loop: Header=BB172_37 Depth=1
	s_or_b64 exec, exec, s[8:9]
	s_and_saveexec_b64 s[0:1], s[6:7]
	s_cbranch_execz .LBB172_36
; %bb.64:                               ;   in Loop: Header=BB172_37 Depth=1
	v_cmp_eq_u32_e32 vcc, 1, v8
	s_nop 1
	v_cndmask_b32_e32 v1, v14, v13, vcc
	v_cmp_eq_u32_e32 vcc, 2, v8
	s_nop 1
	v_cndmask_b32_e32 v1, v1, v16, vcc
	v_cmp_eq_u32_e32 vcc, 3, v8
	s_nop 1
	v_cndmask_b32_e32 v1, v1, v15, vcc
	v_cmp_eq_u32_e32 vcc, 4, v8
	s_nop 1
	v_cndmask_b32_e32 v1, v1, v18, vcc
	v_cmp_eq_u32_e32 vcc, 5, v8
	s_nop 1
	v_cndmask_b32_e32 v1, v1, v17, vcc
	v_cmp_eq_u32_e32 vcc, 6, v8
	s_nop 1
	v_cndmask_b32_e32 v1, v1, v19, vcc
	v_mul_f32_e32 v1, v10, v1
	global_store_dword v[4:5], v1, off
	s_branch .LBB172_36
.LBB172_65:
	s_bitcmp0_b32 s12, 0
	s_mov_b32 s15, 0
	s_cbranch_scc1 .LBB172_31
; %bb.66:
	v_lshl_add_u64 v[2:3], s[14:15], 3, v[2:3]
	global_load_dword v1, v[2:3], off
	v_mov_b64_e32 v[2:3], 0
	s_waitcnt vmcnt(0)
	v_cmp_eq_u32_e64 s[6:7], v12, v1
	v_cmp_ne_u32_e32 vcc, v12, v1
	s_and_saveexec_b64 s[8:9], vcc
	s_cbranch_execz .LBB172_78
; %bb.67:
	v_cmp_eq_u32_e32 vcc, v24, v1
	v_cmp_ne_u32_e64 s[0:1], v24, v1
	v_mov_b64_e32 v[2:3], 1
	s_and_saveexec_b64 s[12:13], s[0:1]
	s_cbranch_execz .LBB172_77
; %bb.68:
	v_cmp_eq_u32_e64 s[0:1], v23, v1
	v_cmp_ne_u32_e64 s[2:3], v23, v1
	v_mov_b64_e32 v[2:3], 2
	s_and_saveexec_b64 s[16:17], s[2:3]
	s_cbranch_execz .LBB172_76
; %bb.69:
	v_cmp_eq_u32_e64 s[2:3], v22, v1
	;; [unrolled: 6-line block ×4, first 2 shown]
	v_cmp_ne_u32_e64 s[4:5], v20, v1
	v_mov_b64_e32 v[2:3], 5
	s_and_saveexec_b64 s[26:27], s[4:5]
; %bb.72:
	v_cmp_eq_u32_e64 s[4:5], v11, v1
	s_andn2_b64 s[24:25], s[24:25], exec
	s_and_b64 s[4:5], s[4:5], exec
	v_mov_b64_e32 v[2:3], 6
	s_or_b64 s[24:25], s[24:25], s[4:5]
; %bb.73:
	s_or_b64 exec, exec, s[26:27]
	s_andn2_b64 s[4:5], s[20:21], exec
	s_and_b64 s[20:21], s[24:25], exec
	s_or_b64 s[20:21], s[4:5], s[20:21]
.LBB172_74:
	s_or_b64 exec, exec, s[22:23]
	s_andn2_b64 s[2:3], s[2:3], exec
	s_and_b64 s[4:5], s[20:21], exec
	s_or_b64 s[2:3], s[2:3], s[4:5]
.LBB172_75:
	s_or_b64 exec, exec, s[18:19]
	s_andn2_b64 s[0:1], s[0:1], exec
	s_and_b64 s[2:3], s[2:3], exec
	s_or_b64 s[0:1], s[0:1], s[2:3]
.LBB172_76:
	s_or_b64 exec, exec, s[16:17]
	s_andn2_b64 s[2:3], vcc, exec
	s_and_b64 s[0:1], s[0:1], exec
	s_or_b64 vcc, s[2:3], s[0:1]
.LBB172_77:
	s_or_b64 exec, exec, s[12:13]
	s_andn2_b64 s[0:1], s[6:7], exec
	s_and_b64 s[2:3], vcc, exec
	s_or_b64 s[6:7], s[0:1], s[2:3]
.LBB172_78:
	s_or_b64 exec, exec, s[8:9]
	s_and_b64 exec, exec, s[6:7]
	s_cbranch_execz .LBB172_31
; %bb.79:
	v_cmp_eq_u32_e32 vcc, 1, v2
	v_add_u32_e32 v0, s14, v0
	s_nop 0
	v_cndmask_b32_e32 v1, v14, v13, vcc
	v_cmp_eq_u32_e32 vcc, 2, v2
	s_nop 1
	v_cndmask_b32_e32 v1, v1, v16, vcc
	v_cmp_eq_u32_e32 vcc, 3, v2
	;; [unrolled: 3-line block ×5, first 2 shown]
	s_nop 1
	v_cndmask_b32_e32 v1, v1, v19, vcc
	v_mul_f32_e32 v2, v10, v1
	v_ashrrev_i32_e32 v1, 31, v0
	s_waitcnt lgkmcnt(0)
	v_lshl_add_u64 v[0:1], v[0:1], 2, s[10:11]
	global_store_dword v[0:1], v2, off
	s_endpgm
	.section	.rodata,"a",@progbits
	.p2align	6, 0x0
	.amdhsa_kernel _ZN4vllm3moe22topkGatingSoftplusSqrtILi7ELi448ELi4ELi4ELi64ELb1ElfEEvPKT6_PKbPfiPT5_PiiiibdPKfPKS8_SE_
		.amdhsa_group_segment_fixed_size 0
		.amdhsa_private_segment_fixed_size 0
		.amdhsa_kernarg_size 96
		.amdhsa_user_sgpr_count 2
		.amdhsa_user_sgpr_dispatch_ptr 0
		.amdhsa_user_sgpr_queue_ptr 0
		.amdhsa_user_sgpr_kernarg_segment_ptr 1
		.amdhsa_user_sgpr_dispatch_id 0
		.amdhsa_user_sgpr_kernarg_preload_length 0
		.amdhsa_user_sgpr_kernarg_preload_offset 0
		.amdhsa_user_sgpr_private_segment_size 0
		.amdhsa_uses_dynamic_stack 0
		.amdhsa_enable_private_segment 0
		.amdhsa_system_sgpr_workgroup_id_x 1
		.amdhsa_system_sgpr_workgroup_id_y 0
		.amdhsa_system_sgpr_workgroup_id_z 0
		.amdhsa_system_sgpr_workgroup_info 0
		.amdhsa_system_vgpr_workitem_id 1
		.amdhsa_next_free_vgpr 28
		.amdhsa_next_free_sgpr 30
		.amdhsa_accum_offset 28
		.amdhsa_reserve_vcc 1
		.amdhsa_float_round_mode_32 0
		.amdhsa_float_round_mode_16_64 0
		.amdhsa_float_denorm_mode_32 3
		.amdhsa_float_denorm_mode_16_64 3
		.amdhsa_dx10_clamp 1
		.amdhsa_ieee_mode 1
		.amdhsa_fp16_overflow 0
		.amdhsa_tg_split 0
		.amdhsa_exception_fp_ieee_invalid_op 0
		.amdhsa_exception_fp_denorm_src 0
		.amdhsa_exception_fp_ieee_div_zero 0
		.amdhsa_exception_fp_ieee_overflow 0
		.amdhsa_exception_fp_ieee_underflow 0
		.amdhsa_exception_fp_ieee_inexact 0
		.amdhsa_exception_int_div_zero 0
	.end_amdhsa_kernel
	.section	.text._ZN4vllm3moe22topkGatingSoftplusSqrtILi7ELi448ELi4ELi4ELi64ELb1ElfEEvPKT6_PKbPfiPT5_PiiiibdPKfPKS8_SE_,"axG",@progbits,_ZN4vllm3moe22topkGatingSoftplusSqrtILi7ELi448ELi4ELi4ELi64ELb1ElfEEvPKT6_PKbPfiPT5_PiiiibdPKfPKS8_SE_,comdat
.Lfunc_end172:
	.size	_ZN4vllm3moe22topkGatingSoftplusSqrtILi7ELi448ELi4ELi4ELi64ELb1ElfEEvPKT6_PKbPfiPT5_PiiiibdPKfPKS8_SE_, .Lfunc_end172-_ZN4vllm3moe22topkGatingSoftplusSqrtILi7ELi448ELi4ELi4ELi64ELb1ElfEEvPKT6_PKbPfiPT5_PiiiibdPKfPKS8_SE_
                                        ; -- End function
	.section	.AMDGPU.csdata,"",@progbits
; Kernel info:
; codeLenInByte = 4864
; NumSgprs: 36
; NumVgprs: 28
; NumAgprs: 0
; TotalNumVgprs: 28
; ScratchSize: 0
; MemoryBound: 0
; FloatMode: 240
; IeeeMode: 1
; LDSByteSize: 0 bytes/workgroup (compile time only)
; SGPRBlocks: 4
; VGPRBlocks: 3
; NumSGPRsForWavesPerEU: 36
; NumVGPRsForWavesPerEU: 28
; AccumOffset: 28
; Occupancy: 8
; WaveLimiterHint : 1
; COMPUTE_PGM_RSRC2:SCRATCH_EN: 0
; COMPUTE_PGM_RSRC2:USER_SGPR: 2
; COMPUTE_PGM_RSRC2:TRAP_HANDLER: 0
; COMPUTE_PGM_RSRC2:TGID_X_EN: 1
; COMPUTE_PGM_RSRC2:TGID_Y_EN: 0
; COMPUTE_PGM_RSRC2:TGID_Z_EN: 0
; COMPUTE_PGM_RSRC2:TIDIG_COMP_CNT: 1
; COMPUTE_PGM_RSRC3_GFX90A:ACCUM_OFFSET: 6
; COMPUTE_PGM_RSRC3_GFX90A:TG_SPLIT: 0
	.section	.text._ZN4vllm3moe22topkGatingSoftplusSqrtILi7ELi448ELi4ELi4ELi64ELb0ElfEEvPKT6_PKbPfiPT5_PiiiibdPKfPKS8_SE_,"axG",@progbits,_ZN4vllm3moe22topkGatingSoftplusSqrtILi7ELi448ELi4ELi4ELi64ELb0ElfEEvPKT6_PKbPfiPT5_PiiiibdPKfPKS8_SE_,comdat
	.protected	_ZN4vllm3moe22topkGatingSoftplusSqrtILi7ELi448ELi4ELi4ELi64ELb0ElfEEvPKT6_PKbPfiPT5_PiiiibdPKfPKS8_SE_ ; -- Begin function _ZN4vllm3moe22topkGatingSoftplusSqrtILi7ELi448ELi4ELi4ELi64ELb0ElfEEvPKT6_PKbPfiPT5_PiiiibdPKfPKS8_SE_
	.globl	_ZN4vllm3moe22topkGatingSoftplusSqrtILi7ELi448ELi4ELi4ELi64ELb0ElfEEvPKT6_PKbPfiPT5_PiiiibdPKfPKS8_SE_
	.p2align	8
	.type	_ZN4vllm3moe22topkGatingSoftplusSqrtILi7ELi448ELi4ELi4ELi64ELb0ElfEEvPKT6_PKbPfiPT5_PiiiibdPKfPKS8_SE_,@function
_ZN4vllm3moe22topkGatingSoftplusSqrtILi7ELi448ELi4ELi4ELi64ELb0ElfEEvPKT6_PKbPfiPT5_PiiiibdPKfPKS8_SE_: ; @_ZN4vllm3moe22topkGatingSoftplusSqrtILi7ELi448ELi4ELi4ELi64ELb0ElfEEvPKT6_PKbPfiPT5_PiiiibdPKfPKS8_SE_
; %bb.0:
	s_load_dword s30, s[0:1], 0x18
	v_and_b32_e32 v1, 0x3ff, v0
	s_lshl_b32 s2, s2, 2
	v_lshrrev_b32_e32 v2, 6, v1
	v_bfe_u32 v0, v0, 10, 10
	v_add3_u32 v8, s2, v0, v2
	s_waitcnt lgkmcnt(0)
	v_cmp_gt_i32_e32 vcc, s30, v8
	s_and_saveexec_b64 s[2:3], vcc
	s_cbranch_execz .LBB173_63
; %bb.1:
	s_load_dwordx4 s[4:7], s[0:1], 0x0
	s_load_dwordx2 s[20:21], s[0:1], 0x10
	s_waitcnt lgkmcnt(0)
	s_cmp_eq_u64 s[6:7], 0
	s_cbranch_scc1 .LBB173_3
; %bb.2:
	v_ashrrev_i32_e32 v9, 31, v8
	v_lshl_add_u64 v[2:3], s[6:7], 0, v[8:9]
	global_load_ubyte v0, v[2:3], off
	s_waitcnt vmcnt(0)
	v_and_b32_e32 v0, 1, v0
	v_cmp_eq_u32_e32 vcc, 1, v0
	s_xor_b64 s[2:3], vcc, -1
	s_orn2_b64 s[22:23], s[2:3], exec
	s_branch .LBB173_4
.LBB173_3:
	s_mov_b64 s[22:23], -1
.LBB173_4:
	s_movk_i32 s2, 0x1c0
	v_mul_lo_u32 v4, v8, s2
	v_mov_b32_e32 v2, s4
	v_mov_b32_e32 v3, s5
	v_ashrrev_i32_e32 v5, 31, v4
	v_and_b32_e32 v10, 63, v1
	v_lshl_add_u64 v[2:3], v[4:5], 2, v[2:3]
	v_mov_b32_e32 v13, 0
	v_lshlrev_b32_e32 v12, 2, v10
	v_lshl_add_u64 v[14:15], v[2:3], 0, v[12:13]
	global_load_dword v0, v[14:15], off
	global_load_dword v1, v[14:15], off offset:256
	global_load_dword v2, v[14:15], off offset:512
	;; [unrolled: 1-line block ×6, first 2 shown]
	s_mov_b32 s16, 0x800000
	v_mov_b32_e32 v11, 0x4f800000
	s_mov_b32 s13, 0x3f317217
	s_mov_b32 s14, 0x7f800000
	v_mov_b32_e32 v9, 0x41b17218
	s_mov_b32 s12, 0x41a00000
	s_mov_b32 s15, 0xf800000
	s_load_dwordx4 s[8:11], s[0:1], 0x40
	s_waitcnt lgkmcnt(0)
	s_cmp_lg_u64 s[10:11], 0
	s_cselect_b64 s[6:7], -1, 0
	s_and_b64 s[2:3], exec, s[6:7]
	s_waitcnt vmcnt(6)
	v_mul_f32_e32 v7, 0x3fb8aa3b, v0
	v_exp_f32_e32 v7, v7
	s_nop 0
	v_add_f32_e32 v7, 1.0, v7
	v_cmp_gt_f32_e32 vcc, s16, v7
	s_nop 1
	v_cndmask_b32_e32 v13, 1.0, v11, vcc
	v_mul_f32_e32 v7, v7, v13
	v_log_f32_e32 v13, v7
	v_cndmask_b32_e32 v14, 0, v9, vcc
	v_mov_b32_e32 v7, 0x260
	v_mul_f32_e32 v15, 0x3f317217, v13
	v_fma_f32 v15, v13, s13, -v15
	v_fmac_f32_e32 v15, 0x3377d1cf, v13
	v_fmac_f32_e32 v15, 0x3f317217, v13
	v_cmp_lt_f32_e64 vcc, |v13|, s14
	s_nop 1
	v_cndmask_b32_e32 v13, v13, v15, vcc
	v_sub_f32_e32 v13, v13, v14
	v_cmp_lt_f32_e32 vcc, s12, v0
	s_nop 1
	v_cndmask_b32_e32 v0, v13, v0, vcc
	v_mul_f32_e32 v13, 0x4f800000, v0
	v_cmp_gt_f32_e32 vcc, s15, v0
	s_nop 1
	v_cndmask_b32_e32 v0, v0, v13, vcc
	v_sqrt_f32_e32 v13, v0
	s_nop 0
	v_add_u32_e32 v14, -1, v13
	v_add_u32_e32 v15, 1, v13
	v_fma_f32 v16, -v14, v13, v0
	v_fma_f32 v17, -v15, v13, v0
	v_cmp_ge_f32_e64 s[4:5], 0, v16
	s_nop 1
	v_cndmask_b32_e64 v13, v13, v14, s[4:5]
	v_cmp_lt_f32_e64 s[4:5], 0, v17
	s_nop 1
	v_cndmask_b32_e64 v13, v13, v15, s[4:5]
	v_mul_f32_e32 v14, 0x37800000, v13
	v_cndmask_b32_e32 v13, v13, v14, vcc
	v_cmp_class_f32_e32 vcc, v0, v7
	s_nop 1
	v_cndmask_b32_e32 v0, v13, v0, vcc
	s_mov_b64 vcc, s[2:3]
	s_cbranch_vccz .LBB173_6
; %bb.5:
	global_load_dword v13, v12, s[10:11]
	s_waitcnt vmcnt(0)
	v_add_f32_e32 v0, v0, v13
.LBB173_6:
	s_waitcnt vmcnt(5)
	v_mul_f32_e32 v13, 0x3fb8aa3b, v1
	v_exp_f32_e32 v13, v13
	s_nop 0
	v_add_f32_e32 v13, 1.0, v13
	v_cmp_gt_f32_e32 vcc, s16, v13
	s_nop 1
	v_cndmask_b32_e32 v11, 1.0, v11, vcc
	v_mul_f32_e32 v11, v13, v11
	v_log_f32_e32 v11, v11
	v_cndmask_b32_e32 v9, 0, v9, vcc
	v_mul_f32_e32 v13, 0x3f317217, v11
	v_fma_f32 v13, v11, s13, -v13
	v_fmac_f32_e32 v13, 0x3377d1cf, v11
	v_fmac_f32_e32 v13, 0x3f317217, v11
	v_cmp_lt_f32_e64 vcc, |v11|, s14
	s_nop 1
	v_cndmask_b32_e32 v11, v11, v13, vcc
	v_sub_f32_e32 v9, v11, v9
	v_cmp_lt_f32_e32 vcc, s12, v1
	s_nop 1
	v_cndmask_b32_e32 v1, v9, v1, vcc
	v_mul_f32_e32 v9, 0x4f800000, v1
	v_cmp_gt_f32_e32 vcc, s15, v1
	s_nop 1
	v_cndmask_b32_e32 v1, v1, v9, vcc
	v_sqrt_f32_e32 v9, v1
	v_cmp_class_f32_e64 s[4:5], v1, v7
	v_add_u32_e32 v11, -1, v9
	v_add_u32_e32 v13, 1, v9
	v_fma_f32 v14, -v11, v9, v1
	v_fma_f32 v15, -v13, v9, v1
	v_cmp_ge_f32_e64 s[2:3], 0, v14
	s_nop 1
	v_cndmask_b32_e64 v9, v9, v11, s[2:3]
	v_cmp_lt_f32_e64 s[2:3], 0, v15
	s_nop 1
	v_cndmask_b32_e64 v9, v9, v13, s[2:3]
	v_mul_f32_e32 v11, 0x37800000, v9
	v_cndmask_b32_e32 v9, v9, v11, vcc
	v_cndmask_b32_e64 v11, 0, 1, s[6:7]
	v_cmp_ne_u32_e64 s[2:3], 1, v11
	s_andn2_b64 vcc, exec, s[6:7]
	v_cndmask_b32_e64 v1, v9, v1, s[4:5]
	s_cbranch_vccnz .LBB173_8
; %bb.7:
	global_load_dword v7, v12, s[10:11] offset:256
	s_waitcnt vmcnt(0)
	v_add_f32_e32 v1, v1, v7
.LBB173_8:
	s_waitcnt vmcnt(4)
	v_mul_f32_e32 v7, 0x3fb8aa3b, v2
	v_exp_f32_e32 v7, v7
	s_mov_b32 s14, 0x800000
	v_mov_b32_e32 v9, 0x4f800000
	s_mov_b32 s7, 0x3f317217
	v_add_f32_e32 v7, 1.0, v7
	v_cmp_gt_f32_e32 vcc, s14, v7
	s_mov_b32 s12, 0x7f800000
	s_mov_b32 s6, 0x41a00000
	v_cndmask_b32_e32 v11, 1.0, v9, vcc
	v_mul_f32_e32 v7, v7, v11
	v_log_f32_e32 v7, v7
	s_mov_b32 s13, 0xf800000
	v_mul_f32_e32 v11, 0x3f317217, v7
	v_fma_f32 v11, v7, s7, -v11
	v_fmac_f32_e32 v11, 0x3377d1cf, v7
	v_fmac_f32_e32 v11, 0x3f317217, v7
	v_cmp_lt_f32_e64 s[4:5], |v7|, s12
	s_nop 1
	v_cndmask_b32_e64 v7, v7, v11, s[4:5]
	v_mov_b32_e32 v11, 0x41b17218
	v_cndmask_b32_e32 v13, 0, v11, vcc
	v_sub_f32_e32 v7, v7, v13
	v_cmp_lt_f32_e32 vcc, s6, v2
	s_nop 1
	v_cndmask_b32_e32 v2, v7, v2, vcc
	v_mul_f32_e32 v7, 0x4f800000, v2
	v_cmp_gt_f32_e32 vcc, s13, v2
	s_nop 1
	v_cndmask_b32_e32 v2, v2, v7, vcc
	v_sqrt_f32_e32 v7, v2
	s_nop 0
	v_add_u32_e32 v13, -1, v7
	v_fma_f32 v14, -v13, v7, v2
	v_cmp_ge_f32_e64 s[4:5], 0, v14
	v_add_u32_e32 v14, 1, v7
	s_nop 0
	v_cndmask_b32_e64 v13, v7, v13, s[4:5]
	v_fma_f32 v7, -v14, v7, v2
	v_cmp_lt_f32_e64 s[4:5], 0, v7
	s_nop 1
	v_cndmask_b32_e64 v7, v13, v14, s[4:5]
	v_mul_f32_e32 v13, 0x37800000, v7
	v_cndmask_b32_e32 v13, v7, v13, vcc
	v_mov_b32_e32 v7, 0x260
	v_cmp_class_f32_e64 s[4:5], v2, v7
	s_and_b64 vcc, exec, s[2:3]
	s_nop 0
	v_cndmask_b32_e64 v2, v13, v2, s[4:5]
	s_cbranch_vccnz .LBB173_10
; %bb.9:
	global_load_dword v13, v12, s[10:11] offset:512
	s_waitcnt vmcnt(0)
	v_add_f32_e32 v2, v2, v13
.LBB173_10:
	s_waitcnt vmcnt(3)
	v_mul_f32_e32 v13, 0x3fb8aa3b, v3
	v_exp_f32_e32 v13, v13
	s_nop 0
	v_add_f32_e32 v13, 1.0, v13
	v_cmp_gt_f32_e32 vcc, s14, v13
	s_nop 1
	v_cndmask_b32_e32 v9, 1.0, v9, vcc
	v_mul_f32_e32 v9, v13, v9
	v_log_f32_e32 v9, v9
	v_cndmask_b32_e32 v11, 0, v11, vcc
	v_mul_f32_e32 v13, 0x3f317217, v9
	v_fma_f32 v13, v9, s7, -v13
	v_fmac_f32_e32 v13, 0x3377d1cf, v9
	v_fmac_f32_e32 v13, 0x3f317217, v9
	v_cmp_lt_f32_e64 vcc, |v9|, s12
	s_nop 1
	v_cndmask_b32_e32 v9, v9, v13, vcc
	v_sub_f32_e32 v9, v9, v11
	v_cmp_lt_f32_e32 vcc, s6, v3
	s_nop 1
	v_cndmask_b32_e32 v3, v9, v3, vcc
	v_mul_f32_e32 v9, 0x4f800000, v3
	v_cmp_gt_f32_e32 vcc, s13, v3
	s_nop 1
	v_cndmask_b32_e32 v3, v3, v9, vcc
	v_sqrt_f32_e32 v9, v3
	s_nop 0
	v_add_u32_e32 v11, -1, v9
	v_add_u32_e32 v13, 1, v9
	v_fma_f32 v14, -v11, v9, v3
	v_fma_f32 v15, -v13, v9, v3
	v_cmp_ge_f32_e64 s[4:5], 0, v14
	s_nop 1
	v_cndmask_b32_e64 v9, v9, v11, s[4:5]
	v_cmp_lt_f32_e64 s[4:5], 0, v15
	s_nop 1
	v_cndmask_b32_e64 v9, v9, v13, s[4:5]
	v_mul_f32_e32 v11, 0x37800000, v9
	v_cndmask_b32_e32 v9, v9, v11, vcc
	v_cmp_class_f32_e64 s[4:5], v3, v7
	s_and_b64 vcc, exec, s[2:3]
	s_nop 0
	v_cndmask_b32_e64 v3, v9, v3, s[4:5]
	s_cbranch_vccnz .LBB173_12
; %bb.11:
	global_load_dword v7, v12, s[10:11] offset:768
	s_waitcnt vmcnt(0)
	v_add_f32_e32 v3, v3, v7
.LBB173_12:
	s_waitcnt vmcnt(2)
	v_mul_f32_e32 v7, 0x3fb8aa3b, v4
	v_exp_f32_e32 v7, v7
	v_mov_b32_e32 v9, 0x4f800000
	v_add_f32_e32 v7, 1.0, v7
	v_cmp_gt_f32_e32 vcc, s14, v7
	s_nop 1
	v_cndmask_b32_e32 v11, 1.0, v9, vcc
	v_mul_f32_e32 v7, v7, v11
	v_log_f32_e32 v7, v7
	s_nop 0
	v_mul_f32_e32 v11, 0x3f317217, v7
	v_fma_f32 v11, v7, s7, -v11
	v_fmac_f32_e32 v11, 0x3377d1cf, v7
	v_fmac_f32_e32 v11, 0x3f317217, v7
	v_cmp_lt_f32_e64 s[4:5], |v7|, s12
	s_nop 1
	v_cndmask_b32_e64 v7, v7, v11, s[4:5]
	v_mov_b32_e32 v11, 0x41b17218
	v_cndmask_b32_e32 v13, 0, v11, vcc
	v_sub_f32_e32 v7, v7, v13
	v_cmp_lt_f32_e32 vcc, s6, v4
	s_nop 1
	v_cndmask_b32_e32 v4, v7, v4, vcc
	v_mul_f32_e32 v7, 0x4f800000, v4
	v_cmp_gt_f32_e32 vcc, s13, v4
	s_nop 1
	v_cndmask_b32_e32 v4, v4, v7, vcc
	v_sqrt_f32_e32 v7, v4
	s_nop 0
	v_add_u32_e32 v13, -1, v7
	v_fma_f32 v14, -v13, v7, v4
	v_cmp_ge_f32_e64 s[4:5], 0, v14
	v_add_u32_e32 v14, 1, v7
	s_nop 0
	v_cndmask_b32_e64 v13, v7, v13, s[4:5]
	v_fma_f32 v7, -v14, v7, v4
	v_cmp_lt_f32_e64 s[4:5], 0, v7
	s_nop 1
	v_cndmask_b32_e64 v7, v13, v14, s[4:5]
	v_mul_f32_e32 v13, 0x37800000, v7
	v_cndmask_b32_e32 v13, v7, v13, vcc
	v_mov_b32_e32 v7, 0x260
	v_cmp_class_f32_e64 s[4:5], v4, v7
	s_and_b64 vcc, exec, s[2:3]
	s_nop 0
	v_cndmask_b32_e64 v4, v13, v4, s[4:5]
	s_cbranch_vccnz .LBB173_14
; %bb.13:
	global_load_dword v13, v12, s[10:11] offset:1024
	s_waitcnt vmcnt(0)
	v_add_f32_e32 v4, v4, v13
.LBB173_14:
	s_waitcnt vmcnt(1)
	v_mul_f32_e32 v13, 0x3fb8aa3b, v5
	v_exp_f32_e32 v13, v13
	s_nop 0
	v_add_f32_e32 v13, 1.0, v13
	v_cmp_gt_f32_e32 vcc, s14, v13
	s_nop 1
	v_cndmask_b32_e32 v9, 1.0, v9, vcc
	v_mul_f32_e32 v9, v13, v9
	v_log_f32_e32 v9, v9
	v_cndmask_b32_e32 v11, 0, v11, vcc
	v_mul_f32_e32 v13, 0x3f317217, v9
	v_fma_f32 v13, v9, s7, -v13
	v_fmac_f32_e32 v13, 0x3377d1cf, v9
	v_fmac_f32_e32 v13, 0x3f317217, v9
	v_cmp_lt_f32_e64 vcc, |v9|, s12
	s_nop 1
	v_cndmask_b32_e32 v9, v9, v13, vcc
	v_sub_f32_e32 v9, v9, v11
	v_cmp_lt_f32_e32 vcc, s6, v5
	s_nop 1
	v_cndmask_b32_e32 v5, v9, v5, vcc
	v_mul_f32_e32 v9, 0x4f800000, v5
	v_cmp_gt_f32_e32 vcc, s13, v5
	s_nop 1
	v_cndmask_b32_e32 v5, v5, v9, vcc
	v_sqrt_f32_e32 v9, v5
	s_nop 0
	v_add_u32_e32 v11, -1, v9
	v_add_u32_e32 v13, 1, v9
	v_fma_f32 v14, -v11, v9, v5
	v_fma_f32 v15, -v13, v9, v5
	v_cmp_ge_f32_e64 s[4:5], 0, v14
	s_nop 1
	v_cndmask_b32_e64 v9, v9, v11, s[4:5]
	v_cmp_lt_f32_e64 s[4:5], 0, v15
	s_nop 1
	v_cndmask_b32_e64 v9, v9, v13, s[4:5]
	v_mul_f32_e32 v11, 0x37800000, v9
	v_cndmask_b32_e32 v9, v9, v11, vcc
	v_cmp_class_f32_e64 s[4:5], v5, v7
	s_and_b64 vcc, exec, s[2:3]
	s_nop 0
	v_cndmask_b32_e64 v5, v9, v5, s[4:5]
	s_cbranch_vccnz .LBB173_16
; %bb.15:
	global_load_dword v7, v12, s[10:11] offset:1280
	s_waitcnt vmcnt(0)
	v_add_f32_e32 v5, v5, v7
.LBB173_16:
	s_waitcnt vmcnt(0)
	v_mul_f32_e32 v7, 0x3fb8aa3b, v6
	v_exp_f32_e32 v7, v7
	s_mov_b32 s4, 0x800000
	v_mov_b32_e32 v9, 0x4f800000
	s_mov_b32 s5, 0x7f800000
	v_add_f32_e32 v7, 1.0, v7
	v_cmp_gt_f32_e32 vcc, s4, v7
	s_mov_b32 s4, 0x3f317217
	s_nop 0
	v_cndmask_b32_e32 v9, 1.0, v9, vcc
	v_mul_f32_e32 v7, v7, v9
	v_log_f32_e32 v7, v7
	s_nop 0
	v_mul_f32_e32 v9, 0x3f317217, v7
	v_fma_f32 v9, v7, s4, -v9
	v_fmamk_f32 v9, v7, 0x3377d1cf, v9
	v_fmac_f32_e32 v9, 0x3f317217, v7
	v_cmp_lt_f32_e64 s[4:5], |v7|, s5
	s_nop 1
	v_cndmask_b32_e64 v7, v7, v9, s[4:5]
	v_mov_b32_e32 v9, 0x41b17218
	v_cndmask_b32_e32 v9, 0, v9, vcc
	v_sub_f32_e32 v7, v7, v9
	v_cmp_lt_f32_e32 vcc, s6, v6
	s_mov_b32 s4, 0xf800000
	s_nop 0
	v_cndmask_b32_e32 v6, v7, v6, vcc
	v_mul_f32_e32 v7, 0x4f800000, v6
	v_cmp_gt_f32_e32 vcc, s4, v6
	s_nop 1
	v_cndmask_b32_e32 v6, v6, v7, vcc
	v_sqrt_f32_e32 v7, v6
	s_nop 0
	v_add_u32_e32 v9, -1, v7
	v_fma_f32 v11, -v9, v7, v6
	v_cmp_ge_f32_e64 s[4:5], 0, v11
	v_add_u32_e32 v11, 1, v7
	s_nop 0
	v_cndmask_b32_e64 v9, v7, v9, s[4:5]
	v_fma_f32 v7, -v11, v7, v6
	v_cmp_lt_f32_e64 s[4:5], 0, v7
	s_nop 1
	v_cndmask_b32_e64 v7, v9, v11, s[4:5]
	v_mul_f32_e32 v9, 0x37800000, v7
	v_cndmask_b32_e32 v7, v7, v9, vcc
	v_mov_b32_e32 v9, 0x260
	v_cmp_class_f32_e64 s[4:5], v6, v9
	s_and_b64 vcc, exec, s[2:3]
	s_nop 0
	v_cndmask_b32_e64 v6, v7, v6, s[4:5]
	s_cbranch_vccnz .LBB173_18
; %bb.17:
	global_load_dword v7, v12, s[10:11] offset:1536
	s_waitcnt vmcnt(0)
	v_add_f32_e32 v6, v6, v7
.LBB173_18:
	s_load_dwordx4 s[12:15], s[0:1], 0x30
	v_cmp_eq_u32_e64 s[6:7], 0, v10
	s_waitcnt lgkmcnt(0)
	s_bitcmp1_b32 s15, 0
	s_cselect_b64 s[4:5], -1, 0
	s_cmp_gt_i32 s12, 0
	s_cselect_b64 s[24:25], -1, 0
	s_and_b64 vcc, exec, s[24:25]
	s_cbranch_vccz .LBB173_49
; %bb.19:
	v_mbcnt_lo_u32_b32 v7, -1, 0
	v_mbcnt_hi_u32_b32 v12, -1, v7
	v_and_b32_e32 v7, 64, v12
	v_add_u32_e32 v13, 64, v7
	v_xor_b32_e32 v14, 32, v12
	v_cmp_lt_i32_e32 vcc, v14, v13
	s_load_dwordx4 s[16:19], s[0:1], 0x20
	s_mov_b32 s15, 0
	v_cndmask_b32_e32 v14, v12, v14, vcc
	v_lshlrev_b32_e32 v19, 2, v14
	v_xor_b32_e32 v14, 16, v12
	v_cmp_lt_i32_e32 vcc, v14, v13
	v_mul_lo_u32 v7, v8, s12
	v_or_b32_e32 v9, 64, v10
	v_cndmask_b32_e32 v14, v12, v14, vcc
	v_lshlrev_b32_e32 v20, 2, v14
	v_xor_b32_e32 v14, 8, v12
	v_cmp_lt_i32_e32 vcc, v14, v13
	v_or_b32_e32 v11, 0x80, v10
	v_or_b32_e32 v15, 0xc0, v10
	v_cndmask_b32_e32 v14, v12, v14, vcc
	v_lshlrev_b32_e32 v21, 2, v14
	v_xor_b32_e32 v14, 4, v12
	v_cmp_lt_i32_e32 vcc, v14, v13
	v_or_b32_e32 v16, 0x100, v10
	;; [unrolled: 6-line block ×3, first 2 shown]
	v_mov_b32_e32 v25, 0x1c0
	v_cndmask_b32_e32 v14, v12, v14, vcc
	v_lshlrev_b32_e32 v23, 2, v14
	v_xor_b32_e32 v14, 1, v12
	v_cmp_lt_i32_e32 vcc, v14, v13
	v_mov_b32_e32 v26, 0xc61c4000
	v_mov_b32_e32 v27, v8
	v_cndmask_b32_e32 v12, v12, v14, vcc
	v_lshlrev_b32_e32 v24, 2, v12
	v_mov_b32_e32 v14, 0
	s_branch .LBB173_22
.LBB173_20:                             ;   in Loop: Header=BB173_22 Depth=1
	v_add_u32_e32 v30, s15, v7
	v_cmp_le_i32_e32 vcc, s13, v12
	v_cmp_gt_i32_e64 s[0:1], s14, v12
	v_ashrrev_i32_e32 v31, 31, v30
	s_and_b64 s[0:1], vcc, s[0:1]
	v_lshlrev_b64 v[32:33], 2, v[30:31]
	v_subrev_u32_e32 v13, s13, v12
	v_lshl_add_u64 v[34:35], s[20:21], 0, v[32:33]
	s_waitcnt lgkmcnt(0)
	v_ashrrev_i32_e32 v29, 31, v13
	s_and_b64 vcc, s[22:23], s[0:1]
	global_store_dword v[34:35], v28, off
	v_cndmask_b32_e32 v35, 0, v29, vcc
	v_cndmask_b32_e32 v34, v25, v13, vcc
	v_lshl_add_u64 v[30:31], v[30:31], 3, s[16:17]
	v_add_f32_e32 v13, v14, v28
	global_store_dwordx2 v[30:31], v[34:35], off
	v_lshl_add_u64 v[30:31], s[18:19], 0, v[32:33]
	v_cndmask_b32_e64 v14, v14, v13, s[4:5]
	global_store_dword v[30:31], v27, off
.LBB173_21:                             ;   in Loop: Header=BB173_22 Depth=1
	s_or_b64 exec, exec, s[26:27]
	v_ashrrev_i32_e32 v13, 31, v12
	v_lshrrev_b32_e32 v13, 26, v13
	v_add_u32_e32 v13, v12, v13
	v_ashrrev_i32_e32 v28, 6, v13
	v_and_b32_e32 v13, 0xffffffc0, v13
	v_sub_u32_e32 v12, v12, v13
	v_cmp_ne_u32_e64 s[0:1], 0, v28
	v_cmp_eq_u32_e32 vcc, v10, v12
	s_add_i32 s15, s15, 1
	v_cndmask_b32_e64 v12, v26, v0, s[0:1]
	v_cmp_ne_u32_e64 s[0:1], 1, v28
	s_cmp_lt_i32 s15, s12
	s_cselect_b64 s[26:27], -1, 0
	v_cndmask_b32_e64 v13, v26, v1, s[0:1]
	v_cmp_ne_u32_e64 s[0:1], 2, v28
	s_and_b64 vcc, s[26:27], vcc
	v_cndmask_b32_e32 v1, v1, v13, vcc
	s_waitcnt lgkmcnt(0)
	v_cndmask_b32_e64 v29, v26, v2, s[0:1]
	v_cmp_ne_u32_e64 s[0:1], 3, v28
	v_cndmask_b32_e32 v2, v2, v29, vcc
	v_cndmask_b32_e32 v0, v0, v12, vcc
	v_cndmask_b32_e64 v30, v26, v3, s[0:1]
	v_cmp_ne_u32_e64 s[0:1], 4, v28
	v_cndmask_b32_e32 v3, v3, v30, vcc
	s_cmp_eq_u32 s12, s15
	v_cndmask_b32_e64 v31, v26, v4, s[0:1]
	v_cmp_ne_u32_e64 s[0:1], 5, v28
	v_cndmask_b32_e32 v4, v4, v31, vcc
	v_add_u32_e32 v27, s30, v27
	v_cndmask_b32_e64 v32, v26, v5, s[0:1]
	v_cmp_ne_u32_e64 s[0:1], 6, v28
	v_cndmask_b32_e32 v5, v5, v32, vcc
	s_nop 0
	v_cndmask_b32_e64 v28, v26, v6, s[0:1]
	v_cndmask_b32_e32 v6, v6, v28, vcc
	s_cbranch_scc1 .LBB173_50
.LBB173_22:                             ; =>This Inner Loop Header: Depth=1
	v_cmp_gt_f32_e32 vcc, v1, v0
	s_nop 1
	v_cndmask_b32_e32 v13, v0, v1, vcc
	v_cndmask_b32_e32 v12, v10, v9, vcc
	v_cmp_gt_f32_e32 vcc, v2, v13
	s_nop 1
	v_cndmask_b32_e32 v13, v13, v2, vcc
	v_cndmask_b32_e32 v12, v12, v11, vcc
	;; [unrolled: 4-line block ×6, first 2 shown]
	ds_bpermute_b32 v13, v19, v28
	ds_bpermute_b32 v29, v19, v12
	s_waitcnt lgkmcnt(0)
	v_cmp_lt_f32_e64 s[26:27], v28, v13
	v_cmp_nlt_f32_e32 vcc, v28, v13
	s_and_saveexec_b64 s[28:29], vcc
; %bb.23:                               ;   in Loop: Header=BB173_22 Depth=1
	v_cmp_eq_f32_e32 vcc, v28, v13
	v_cmp_lt_i32_e64 s[0:1], v29, v12
	s_and_b64 s[0:1], vcc, s[0:1]
	s_andn2_b64 s[26:27], s[26:27], exec
	s_and_b64 s[0:1], s[0:1], exec
	s_or_b64 s[26:27], s[26:27], s[0:1]
; %bb.24:                               ;   in Loop: Header=BB173_22 Depth=1
	s_or_b64 exec, exec, s[28:29]
	s_and_saveexec_b64 s[0:1], s[26:27]
; %bb.25:                               ;   in Loop: Header=BB173_22 Depth=1
	v_mov_b32_e32 v28, v13
	v_mov_b32_e32 v12, v29
; %bb.26:                               ;   in Loop: Header=BB173_22 Depth=1
	s_or_b64 exec, exec, s[0:1]
	ds_bpermute_b32 v13, v20, v28
	ds_bpermute_b32 v29, v20, v12
	s_waitcnt lgkmcnt(1)
	v_cmp_lt_f32_e64 s[26:27], v28, v13
	v_cmp_nlt_f32_e32 vcc, v28, v13
	s_and_saveexec_b64 s[28:29], vcc
	s_cbranch_execz .LBB173_28
; %bb.27:                               ;   in Loop: Header=BB173_22 Depth=1
	v_cmp_eq_f32_e32 vcc, v28, v13
	s_waitcnt lgkmcnt(0)
	v_cmp_lt_i32_e64 s[0:1], v29, v12
	s_and_b64 s[0:1], vcc, s[0:1]
	s_andn2_b64 s[26:27], s[26:27], exec
	s_and_b64 s[0:1], s[0:1], exec
	s_or_b64 s[26:27], s[26:27], s[0:1]
.LBB173_28:                             ;   in Loop: Header=BB173_22 Depth=1
	s_or_b64 exec, exec, s[28:29]
	s_and_saveexec_b64 s[0:1], s[26:27]
	s_cbranch_execz .LBB173_30
; %bb.29:                               ;   in Loop: Header=BB173_22 Depth=1
	v_mov_b32_e32 v28, v13
	s_waitcnt lgkmcnt(0)
	v_mov_b32_e32 v12, v29
.LBB173_30:                             ;   in Loop: Header=BB173_22 Depth=1
	s_or_b64 exec, exec, s[0:1]
	ds_bpermute_b32 v13, v21, v28
	s_waitcnt lgkmcnt(1)
	ds_bpermute_b32 v29, v21, v12
	s_waitcnt lgkmcnt(1)
	v_cmp_lt_f32_e64 s[26:27], v28, v13
	v_cmp_nlt_f32_e32 vcc, v28, v13
	s_and_saveexec_b64 s[28:29], vcc
	s_cbranch_execz .LBB173_32
; %bb.31:                               ;   in Loop: Header=BB173_22 Depth=1
	v_cmp_eq_f32_e32 vcc, v28, v13
	s_waitcnt lgkmcnt(0)
	v_cmp_lt_i32_e64 s[0:1], v29, v12
	s_and_b64 s[0:1], vcc, s[0:1]
	s_andn2_b64 s[26:27], s[26:27], exec
	s_and_b64 s[0:1], s[0:1], exec
	s_or_b64 s[26:27], s[26:27], s[0:1]
.LBB173_32:                             ;   in Loop: Header=BB173_22 Depth=1
	s_or_b64 exec, exec, s[28:29]
	s_and_saveexec_b64 s[0:1], s[26:27]
	s_cbranch_execz .LBB173_34
; %bb.33:                               ;   in Loop: Header=BB173_22 Depth=1
	v_mov_b32_e32 v28, v13
	s_waitcnt lgkmcnt(0)
	v_mov_b32_e32 v12, v29
.LBB173_34:                             ;   in Loop: Header=BB173_22 Depth=1
	s_or_b64 exec, exec, s[0:1]
	ds_bpermute_b32 v13, v22, v28
	s_waitcnt lgkmcnt(1)
	;; [unrolled: 26-line block ×4, first 2 shown]
	ds_bpermute_b32 v29, v24, v12
	s_waitcnt lgkmcnt(1)
	v_cmp_lt_f32_e64 s[26:27], v28, v13
	v_cmp_nlt_f32_e32 vcc, v28, v13
	s_and_saveexec_b64 s[28:29], vcc
	s_cbranch_execnz .LBB173_45
; %bb.43:                               ;   in Loop: Header=BB173_22 Depth=1
	s_or_b64 exec, exec, s[28:29]
	s_and_saveexec_b64 s[0:1], s[26:27]
	s_cbranch_execnz .LBB173_46
.LBB173_44:                             ;   in Loop: Header=BB173_22 Depth=1
	s_or_b64 exec, exec, s[0:1]
	s_and_saveexec_b64 s[26:27], s[6:7]
	s_cbranch_execz .LBB173_21
	s_branch .LBB173_47
.LBB173_45:                             ;   in Loop: Header=BB173_22 Depth=1
	v_cmp_eq_f32_e32 vcc, v28, v13
	s_waitcnt lgkmcnt(0)
	v_cmp_lt_i32_e64 s[0:1], v29, v12
	s_and_b64 s[0:1], vcc, s[0:1]
	s_andn2_b64 s[26:27], s[26:27], exec
	s_and_b64 s[0:1], s[0:1], exec
	s_or_b64 s[26:27], s[26:27], s[0:1]
	s_or_b64 exec, exec, s[28:29]
	s_and_saveexec_b64 s[0:1], s[26:27]
	s_cbranch_execz .LBB173_44
.LBB173_46:                             ;   in Loop: Header=BB173_22 Depth=1
	s_waitcnt lgkmcnt(0)
	v_mov_b32_e32 v12, v29
	v_mov_b32_e32 v28, v13
	s_or_b64 exec, exec, s[0:1]
	s_and_saveexec_b64 s[26:27], s[6:7]
	s_cbranch_execz .LBB173_21
.LBB173_47:                             ;   in Loop: Header=BB173_22 Depth=1
	s_and_b64 vcc, exec, s[2:3]
	s_cbranch_vccnz .LBB173_20
; %bb.48:                               ;   in Loop: Header=BB173_22 Depth=1
	v_ashrrev_i32_e32 v13, 31, v12
	v_lshl_add_u64 v[30:31], v[12:13], 2, s[10:11]
	global_load_dword v13, v[30:31], off
	s_waitcnt vmcnt(0)
	v_sub_f32_e32 v28, v28, v13
	s_branch .LBB173_20
.LBB173_49:
	v_mov_b32_e32 v14, 0
.LBB173_50:
	v_cmp_eq_u32_e32 vcc, 0, v10
	s_and_b64 exec, exec, vcc
	s_cbranch_execz .LBB173_63
; %bb.51:
	s_andn2_b64 vcc, exec, s[4:5]
	v_cvt_f32_f64_e32 v0, s[8:9]
	s_cbranch_vccnz .LBB173_53
; %bb.52:
	v_cmp_lt_f32_e32 vcc, 0, v14
	s_nop 1
	v_cndmask_b32_e32 v1, 1.0, v14, vcc
	v_div_scale_f32 v2, s[0:1], v1, v1, v0
	v_rcp_f32_e32 v3, v2
	s_nop 0
	v_fma_f32 v4, -v2, v3, 1.0
	v_fmac_f32_e32 v3, v4, v3
	v_div_scale_f32 v4, vcc, v0, v1, v0
	v_mul_f32_e32 v5, v4, v3
	v_fma_f32 v6, -v2, v5, v4
	v_fmac_f32_e32 v5, v6, v3
	v_fma_f32 v2, -v2, v5, v4
	v_div_fmas_f32 v2, v2, v3, v5
	v_div_fixup_f32 v0, v2, v1, v0
.LBB173_53:
	s_andn2_b64 vcc, exec, s[24:25]
	s_cbranch_vccnz .LBB173_63
; %bb.54:
	v_mul_lo_u32 v2, v8, s12
	s_cmp_gt_u32 s12, 3
	v_ashrrev_i32_e32 v3, 31, v2
	s_cbranch_scc0 .LBB173_58
; %bb.55:
	s_and_b32 s0, s12, 0x7ffffffc
	v_lshl_add_u64 v[4:5], v[2:3], 2, s[20:21]
	v_mov_b32_e32 v1, v0
	v_lshl_add_u64 v[4:5], v[4:5], 0, 8
	s_mov_b32 s1, s0
.LBB173_56:                             ; =>This Inner Loop Header: Depth=1
	global_load_dwordx4 v[6:9], v[4:5], off offset:-8
	s_add_i32 s1, s1, -4
	s_cmp_lg_u32 s1, 0
	s_waitcnt vmcnt(0)
	v_pk_mul_f32 v[6:7], v[0:1], v[6:7]
	v_pk_mul_f32 v[8:9], v[0:1], v[8:9]
	global_store_dwordx4 v[4:5], v[6:9], off offset:-8
	v_lshl_add_u64 v[4:5], v[4:5], 0, 16
	s_cbranch_scc1 .LBB173_56
; %bb.57:
	s_cmp_lg_u32 s0, s12
	s_cselect_b64 s[2:3], -1, 0
	s_branch .LBB173_60
.LBB173_58:
	s_mov_b64 s[2:3], 0
                                        ; implicit-def: $sgpr0
	s_cbranch_execz .LBB173_60
; %bb.59:
	s_mov_b64 s[2:3], -1
	s_mov_b32 s0, 0
.LBB173_60:
	s_andn2_b64 vcc, exec, s[2:3]
	s_cbranch_vccnz .LBB173_63
; %bb.61:
	s_mov_b32 s1, 0
	v_lshl_add_u64 v[2:3], v[2:3], 0, s[0:1]
	s_sub_i32 s2, s12, s0
	v_lshl_add_u64 v[2:3], v[2:3], 2, s[20:21]
.LBB173_62:                             ; =>This Inner Loop Header: Depth=1
	global_load_dword v1, v[2:3], off
	s_add_i32 s2, s2, -1
	s_cmp_lg_u32 s2, 0
	s_waitcnt vmcnt(0)
	v_mul_f32_e32 v1, v0, v1
	global_store_dword v[2:3], v1, off
	v_lshl_add_u64 v[2:3], v[2:3], 0, 4
	s_cbranch_scc1 .LBB173_62
.LBB173_63:
	s_endpgm
	.section	.rodata,"a",@progbits
	.p2align	6, 0x0
	.amdhsa_kernel _ZN4vllm3moe22topkGatingSoftplusSqrtILi7ELi448ELi4ELi4ELi64ELb0ElfEEvPKT6_PKbPfiPT5_PiiiibdPKfPKS8_SE_
		.amdhsa_group_segment_fixed_size 0
		.amdhsa_private_segment_fixed_size 0
		.amdhsa_kernarg_size 96
		.amdhsa_user_sgpr_count 2
		.amdhsa_user_sgpr_dispatch_ptr 0
		.amdhsa_user_sgpr_queue_ptr 0
		.amdhsa_user_sgpr_kernarg_segment_ptr 1
		.amdhsa_user_sgpr_dispatch_id 0
		.amdhsa_user_sgpr_kernarg_preload_length 0
		.amdhsa_user_sgpr_kernarg_preload_offset 0
		.amdhsa_user_sgpr_private_segment_size 0
		.amdhsa_uses_dynamic_stack 0
		.amdhsa_enable_private_segment 0
		.amdhsa_system_sgpr_workgroup_id_x 1
		.amdhsa_system_sgpr_workgroup_id_y 0
		.amdhsa_system_sgpr_workgroup_id_z 0
		.amdhsa_system_sgpr_workgroup_info 0
		.amdhsa_system_vgpr_workitem_id 1
		.amdhsa_next_free_vgpr 36
		.amdhsa_next_free_sgpr 31
		.amdhsa_accum_offset 36
		.amdhsa_reserve_vcc 1
		.amdhsa_float_round_mode_32 0
		.amdhsa_float_round_mode_16_64 0
		.amdhsa_float_denorm_mode_32 3
		.amdhsa_float_denorm_mode_16_64 3
		.amdhsa_dx10_clamp 1
		.amdhsa_ieee_mode 1
		.amdhsa_fp16_overflow 0
		.amdhsa_tg_split 0
		.amdhsa_exception_fp_ieee_invalid_op 0
		.amdhsa_exception_fp_denorm_src 0
		.amdhsa_exception_fp_ieee_div_zero 0
		.amdhsa_exception_fp_ieee_overflow 0
		.amdhsa_exception_fp_ieee_underflow 0
		.amdhsa_exception_fp_ieee_inexact 0
		.amdhsa_exception_int_div_zero 0
	.end_amdhsa_kernel
	.section	.text._ZN4vllm3moe22topkGatingSoftplusSqrtILi7ELi448ELi4ELi4ELi64ELb0ElfEEvPKT6_PKbPfiPT5_PiiiibdPKfPKS8_SE_,"axG",@progbits,_ZN4vllm3moe22topkGatingSoftplusSqrtILi7ELi448ELi4ELi4ELi64ELb0ElfEEvPKT6_PKbPfiPT5_PiiiibdPKfPKS8_SE_,comdat
.Lfunc_end173:
	.size	_ZN4vllm3moe22topkGatingSoftplusSqrtILi7ELi448ELi4ELi4ELi64ELb0ElfEEvPKT6_PKbPfiPT5_PiiiibdPKfPKS8_SE_, .Lfunc_end173-_ZN4vllm3moe22topkGatingSoftplusSqrtILi7ELi448ELi4ELi4ELi64ELb0ElfEEvPKT6_PKbPfiPT5_PiiiibdPKfPKS8_SE_
                                        ; -- End function
	.section	.AMDGPU.csdata,"",@progbits
; Kernel info:
; codeLenInByte = 3992
; NumSgprs: 37
; NumVgprs: 36
; NumAgprs: 0
; TotalNumVgprs: 36
; ScratchSize: 0
; MemoryBound: 0
; FloatMode: 240
; IeeeMode: 1
; LDSByteSize: 0 bytes/workgroup (compile time only)
; SGPRBlocks: 4
; VGPRBlocks: 4
; NumSGPRsForWavesPerEU: 37
; NumVGPRsForWavesPerEU: 36
; AccumOffset: 36
; Occupancy: 8
; WaveLimiterHint : 1
; COMPUTE_PGM_RSRC2:SCRATCH_EN: 0
; COMPUTE_PGM_RSRC2:USER_SGPR: 2
; COMPUTE_PGM_RSRC2:TRAP_HANDLER: 0
; COMPUTE_PGM_RSRC2:TGID_X_EN: 1
; COMPUTE_PGM_RSRC2:TGID_Y_EN: 0
; COMPUTE_PGM_RSRC2:TGID_Z_EN: 0
; COMPUTE_PGM_RSRC2:TIDIG_COMP_CNT: 1
; COMPUTE_PGM_RSRC3_GFX90A:ACCUM_OFFSET: 8
; COMPUTE_PGM_RSRC3_GFX90A:TG_SPLIT: 0
	.section	.text._ZN4vllm3moe22topkGatingSoftplusSqrtILi14ELi448ELi4ELi4ELi32ELb1ElfEEvPKT6_PKbPfiPT5_PiiiibdPKfPKS8_SE_,"axG",@progbits,_ZN4vllm3moe22topkGatingSoftplusSqrtILi14ELi448ELi4ELi4ELi32ELb1ElfEEvPKT6_PKbPfiPT5_PiiiibdPKfPKS8_SE_,comdat
	.protected	_ZN4vllm3moe22topkGatingSoftplusSqrtILi14ELi448ELi4ELi4ELi32ELb1ElfEEvPKT6_PKbPfiPT5_PiiiibdPKfPKS8_SE_ ; -- Begin function _ZN4vllm3moe22topkGatingSoftplusSqrtILi14ELi448ELi4ELi4ELi32ELb1ElfEEvPKT6_PKbPfiPT5_PiiiibdPKfPKS8_SE_
	.globl	_ZN4vllm3moe22topkGatingSoftplusSqrtILi14ELi448ELi4ELi4ELi32ELb1ElfEEvPKT6_PKbPfiPT5_PiiiibdPKfPKS8_SE_
	.p2align	8
	.type	_ZN4vllm3moe22topkGatingSoftplusSqrtILi14ELi448ELi4ELi4ELi32ELb1ElfEEvPKT6_PKbPfiPT5_PiiiibdPKfPKS8_SE_,@function
_ZN4vllm3moe22topkGatingSoftplusSqrtILi14ELi448ELi4ELi4ELi32ELb1ElfEEvPKT6_PKbPfiPT5_PiiiibdPKfPKS8_SE_: ; @_ZN4vllm3moe22topkGatingSoftplusSqrtILi14ELi448ELi4ELi4ELi32ELb1ElfEEvPKT6_PKbPfiPT5_PiiiibdPKfPKS8_SE_
; %bb.0:
	s_load_dword s3, s[0:1], 0x18
	v_and_b32_e32 v1, 0x3ff, v0
	s_lshl_b32 s2, s2, 2
	v_lshrrev_b32_e32 v2, 5, v1
	v_bfe_u32 v0, v0, 10, 10
	v_add3_u32 v18, s2, v0, v2
	s_waitcnt lgkmcnt(0)
	v_cmp_gt_i32_e32 vcc, s3, v18
	s_and_saveexec_b64 s[2:3], vcc
	s_cbranch_execz .LBB174_63
; %bb.1:
	s_load_dwordx4 s[4:7], s[0:1], 0x50
	s_load_dwordx2 s[2:3], s[0:1], 0x0
	s_load_dword s24, s[0:1], 0x30
	s_movk_i32 s8, 0x1c0
	v_mul_lo_u32 v4, v18, s8
	v_ashrrev_i32_e32 v5, 31, v4
	v_and_b32_e32 v26, 31, v1
	s_waitcnt lgkmcnt(0)
	v_mov_b32_e32 v2, s4
	v_mov_b32_e32 v3, s5
	v_lshl_add_u64 v[4:5], v[4:5], 2, s[2:3]
	v_lshlrev_b32_e32 v14, 2, v26
	v_mov_b32_e32 v15, 0
	v_ashrrev_i32_e32 v19, 31, v18
	v_lshl_add_u64 v[0:1], v[18:19], 3, v[2:3]
	v_lshl_add_u64 v[2:3], v[4:5], 0, v[14:15]
	global_load_dwordx2 v[0:1], v[0:1], off
	s_nop 0
	global_load_dword v6, v[2:3], off
	global_load_dword v7, v[2:3], off offset:128
	global_load_dword v8, v[2:3], off offset:256
	;; [unrolled: 1-line block ×13, first 2 shown]
	s_ashr_i32 s25, s24, 31
	s_mov_b32 s17, 0x800000
	v_mov_b32_e32 v13, 0x4f800000
	s_mov_b32 s15, 0x3f317217
	s_mov_b32 s16, 0x7f800000
	v_mov_b32_e32 v14, 0x41b17218
	s_mov_b32 s11, 0x41a00000
	s_mov_b32 s14, 0xf800000
	v_mov_b32_e32 v16, s6
	v_mov_b32_e32 v17, s7
	;; [unrolled: 1-line block ×3, first 2 shown]
	v_cmp_lt_i64_e64 s[12:13], s[24:25], 1
	s_mov_b32 s10, 0
	v_cmp_gt_i64_e64 s[8:9], s[24:25], 0
	s_waitcnt vmcnt(13)
	v_mul_f32_e32 v2, 0x3fb8aa3b, v6
	s_waitcnt vmcnt(12)
	v_mul_f32_e32 v3, 0x3fb8aa3b, v7
	v_exp_f32_e32 v2, v2
	v_exp_f32_e32 v3, v3
	s_waitcnt vmcnt(11)
	v_mul_f32_e32 v4, 0x3fb8aa3b, v8
	s_waitcnt vmcnt(10)
	v_mul_f32_e32 v5, 0x3fb8aa3b, v9
	v_exp_f32_e32 v4, v4
	v_exp_f32_e32 v5, v5
	v_mul_lo_u32 v1, v1, s24
	v_mul_lo_u32 v30, v0, s25
	v_mad_u64_u32 v[20:21], s[2:3], v0, s24, 0
	v_add3_u32 v21, v21, v30, v1
	v_pk_add_f32 v[0:1], v[2:3], 1.0 op_sel_hi:[1,0]
	v_pk_add_f32 v[2:3], v[4:5], 1.0 op_sel_hi:[1,0]
	v_cmp_gt_f32_e32 vcc, s17, v1
	v_cmp_gt_f32_e64 s[2:3], s17, v0
	v_cmp_gt_f32_e64 s[4:5], s17, v3
	v_cndmask_b32_e32 v4, 1.0, v13, vcc
	v_cndmask_b32_e64 v5, 1.0, v13, s[2:3]
	v_mul_f32_e32 v1, v1, v4
	v_mul_f32_e32 v0, v0, v5
	v_log_f32_e32 v1, v1
	v_log_f32_e32 v0, v0
	v_cndmask_b32_e32 v4, 0, v14, vcc
	v_cndmask_b32_e64 v5, 0, v14, s[2:3]
	v_mul_f32_e32 v31, 0x3f317217, v1
	v_mul_f32_e32 v32, 0x3f317217, v0
	v_fma_f32 v31, v1, s15, -v31
	v_fma_f32 v32, v0, s15, -v32
	v_fmac_f32_e32 v31, 0x3377d1cf, v1
	v_fmac_f32_e32 v32, 0x3377d1cf, v0
	;; [unrolled: 1-line block ×3, first 2 shown]
	v_cmp_lt_f32_e64 vcc, |v1|, s16
	v_fmac_f32_e32 v32, 0x3f317217, v0
	v_cndmask_b32_e64 v30, 1.0, v13, s[4:5]
	v_cndmask_b32_e32 v1, v1, v31, vcc
	v_cmp_lt_f32_e64 vcc, |v0|, s16
	v_sub_f32_e32 v1, v1, v4
	v_mul_f32_e32 v3, v3, v30
	v_cndmask_b32_e32 v0, v0, v32, vcc
	v_sub_f32_e32 v0, v0, v5
	v_cmp_lt_f32_e32 vcc, s11, v6
	v_log_f32_e32 v3, v3
	v_lshl_add_u64 v[16:17], v[20:21], 3, v[16:17]
	v_cndmask_b32_e32 v0, v0, v6, vcc
	v_cmp_lt_f32_e32 vcc, s11, v7
	v_mul_f32_e32 v5, 0x4f800000, v0
	v_cmp_gt_f32_e64 s[2:3], s14, v0
	v_cndmask_b32_e32 v1, v1, v7, vcc
	v_mul_f32_e32 v4, 0x4f800000, v1
	v_cmp_gt_f32_e32 vcc, s14, v1
	v_cndmask_b32_e64 v0, v0, v5, s[2:3]
	v_sqrt_f32_e32 v5, v0
	v_cndmask_b32_e32 v1, v1, v4, vcc
	v_sqrt_f32_e32 v4, v1
	v_add_u32_e32 v30, -1, v5
	v_fma_f32 v34, -v30, v5, v0
	v_add_u32_e32 v6, -1, v4
	v_fma_f32 v32, -v6, v4, v1
	v_add_u32_e32 v7, 1, v4
	v_cmp_ge_f32_e64 s[6:7], 0, v32
	v_add_u32_e32 v31, 1, v5
	v_fma_f32 v33, -v7, v4, v1
	v_cndmask_b32_e64 v4, v4, v6, s[6:7]
	v_cmp_ge_f32_e64 s[6:7], 0, v34
	v_fma_f32 v35, -v31, v5, v0
	s_nop 0
	v_cndmask_b32_e64 v5, v5, v30, s[6:7]
	v_cmp_lt_f32_e64 s[6:7], 0, v33
	s_nop 1
	v_cndmask_b32_e64 v4, v4, v7, s[6:7]
	v_cmp_lt_f32_e64 s[6:7], 0, v35
	v_mul_f32_e32 v6, 0x37800000, v4
	v_cndmask_b32_e32 v4, v4, v6, vcc
	v_cndmask_b32_e64 v5, v5, v31, s[6:7]
	v_mul_f32_e32 v7, 0x37800000, v5
	v_cmp_class_f32_e32 vcc, v1, v12
	s_nop 1
	v_cndmask_b32_e32 v1, v4, v1, vcc
	v_cndmask_b32_e64 v4, v5, v7, s[2:3]
	v_cmp_class_f32_e32 vcc, v0, v12
	v_cmp_lt_f32_e64 s[2:3], |v3|, s16
	s_nop 0
	v_cndmask_b32_e32 v0, v4, v0, vcc
	v_cmp_gt_f32_e32 vcc, s17, v2
	v_mul_f32_e32 v4, 0x3f317217, v3
	v_fma_f32 v4, v3, s15, -v4
	v_cndmask_b32_e32 v5, 1.0, v13, vcc
	v_mul_f32_e32 v2, v2, v5
	v_log_f32_e32 v2, v2
	v_fmac_f32_e32 v4, 0x3377d1cf, v3
	v_fmac_f32_e32 v4, 0x3f317217, v3
	v_cndmask_b32_e64 v3, v3, v4, s[2:3]
	v_cndmask_b32_e64 v4, 0, v14, s[4:5]
	v_sub_f32_e32 v3, v3, v4
	v_mul_f32_e32 v4, 0x3f317217, v2
	v_fma_f32 v4, v2, s15, -v4
	v_fmac_f32_e32 v4, 0x3377d1cf, v2
	v_fmac_f32_e32 v4, 0x3f317217, v2
	v_cmp_lt_f32_e64 s[2:3], |v2|, s16
	s_nop 1
	v_cndmask_b32_e64 v2, v2, v4, s[2:3]
	v_cndmask_b32_e32 v4, 0, v14, vcc
	v_cmp_lt_f32_e32 vcc, s11, v9
	v_sub_f32_e32 v2, v2, v4
	v_cmp_lt_f32_e64 s[2:3], s11, v8
	v_cndmask_b32_e32 v3, v3, v9, vcc
	v_mul_f32_e32 v5, 0x4f800000, v3
	v_cmp_gt_f32_e32 vcc, s14, v3
	v_cndmask_b32_e64 v2, v2, v8, s[2:3]
	s_nop 0
	v_cndmask_b32_e32 v3, v3, v5, vcc
	v_sqrt_f32_e32 v5, v3
	s_nop 0
	v_add_u32_e32 v4, -1, v5
	v_fma_f32 v6, -v4, v5, v3
	v_cmp_ge_f32_e64 s[2:3], 0, v6
	v_add_u32_e32 v6, 1, v5
	s_nop 0
	v_cndmask_b32_e64 v4, v5, v4, s[2:3]
	v_fma_f32 v5, -v6, v5, v3
	v_cmp_lt_f32_e64 s[2:3], 0, v5
	s_nop 1
	v_cndmask_b32_e64 v4, v4, v6, s[2:3]
	v_mul_f32_e32 v6, 0x4f800000, v2
	v_cmp_gt_f32_e64 s[2:3], s14, v2
	v_mul_f32_e32 v5, 0x37800000, v4
	v_cndmask_b32_e32 v4, v4, v5, vcc
	v_cndmask_b32_e64 v2, v2, v6, s[2:3]
	v_sqrt_f32_e32 v6, v2
	v_cmp_class_f32_e32 vcc, v3, v12
	v_add_u32_e32 v8, 1, v6
	s_nop 0
	v_cndmask_b32_e32 v3, v4, v3, vcc
	v_add_u32_e32 v4, -1, v6
	v_fma_f32 v5, -v4, v6, v2
	v_cmp_ge_f32_e32 vcc, 0, v5
	s_waitcnt vmcnt(8)
	v_mul_f32_e32 v5, 0x3fb8aa3b, v11
	v_exp_f32_e32 v5, v5
	v_cndmask_b32_e32 v7, v6, v4, vcc
	v_mul_f32_e32 v4, 0x3fb8aa3b, v10
	v_exp_f32_e32 v4, v4
	v_fma_f32 v6, -v8, v6, v2
	v_cmp_lt_f32_e32 vcc, 0, v6
	v_pk_add_f32 v[4:5], v[4:5], 1.0 op_sel_hi:[1,0]
	s_nop 0
	v_cndmask_b32_e32 v6, v7, v8, vcc
	v_cmp_gt_f32_e32 vcc, s17, v5
	v_mul_f32_e32 v7, 0x37800000, v6
	v_cndmask_b32_e64 v6, v6, v7, s[2:3]
	v_cndmask_b32_e32 v8, 1.0, v13, vcc
	v_mul_f32_e32 v5, v5, v8
	v_log_f32_e32 v5, v5
	v_cmp_class_f32_e64 s[2:3], v2, v12
	v_cmp_lt_f32_e64 s[4:5], |v5|, s16
	s_nop 0
	v_cndmask_b32_e64 v2, v6, v2, s[2:3]
	v_cmp_gt_f32_e64 s[2:3], s17, v4
	v_mul_f32_e32 v6, 0x3f317217, v5
	v_fma_f32 v6, v5, s15, -v6
	v_cndmask_b32_e64 v7, 1.0, v13, s[2:3]
	v_mul_f32_e32 v4, v4, v7
	v_log_f32_e32 v4, v4
	v_fmac_f32_e32 v6, 0x3377d1cf, v5
	v_fmac_f32_e32 v6, 0x3f317217, v5
	v_cndmask_b32_e64 v5, v5, v6, s[4:5]
	v_cndmask_b32_e32 v6, 0, v14, vcc
	v_sub_f32_e32 v5, v5, v6
	v_mul_f32_e32 v6, 0x3f317217, v4
	v_fma_f32 v6, v4, s15, -v6
	v_fmac_f32_e32 v6, 0x3377d1cf, v4
	v_fmac_f32_e32 v6, 0x3f317217, v4
	v_cmp_lt_f32_e64 vcc, |v4|, s16
	s_nop 1
	v_cndmask_b32_e32 v4, v4, v6, vcc
	v_cmp_lt_f32_e32 vcc, s11, v11
	v_cndmask_b32_e64 v6, 0, v14, s[2:3]
	v_sub_f32_e32 v4, v4, v6
	v_cndmask_b32_e32 v5, v5, v11, vcc
	v_mul_f32_e32 v7, 0x4f800000, v5
	v_cmp_gt_f32_e32 vcc, s14, v5
	v_cmp_lt_f32_e64 s[2:3], s11, v10
	s_nop 0
	v_cndmask_b32_e32 v5, v5, v7, vcc
	v_sqrt_f32_e32 v7, v5
	v_cndmask_b32_e64 v4, v4, v10, s[2:3]
	v_add_u32_e32 v6, -1, v7
	v_fma_f32 v8, -v6, v7, v5
	v_cmp_ge_f32_e64 s[2:3], 0, v8
	v_add_u32_e32 v8, 1, v7
	s_nop 0
	v_cndmask_b32_e64 v6, v7, v6, s[2:3]
	v_fma_f32 v7, -v8, v7, v5
	v_cmp_lt_f32_e64 s[2:3], 0, v7
	s_nop 1
	v_cndmask_b32_e64 v6, v6, v8, s[2:3]
	v_mul_f32_e32 v8, 0x4f800000, v4
	v_cmp_gt_f32_e64 s[2:3], s14, v4
	v_mul_f32_e32 v7, 0x37800000, v6
	v_cndmask_b32_e32 v6, v6, v7, vcc
	v_cndmask_b32_e64 v4, v4, v8, s[2:3]
	v_sqrt_f32_e32 v8, v4
	v_cmp_class_f32_e32 vcc, v5, v12
	v_add_u32_e32 v10, 1, v8
	s_nop 0
	v_cndmask_b32_e32 v5, v6, v5, vcc
	v_add_u32_e32 v6, -1, v8
	v_fma_f32 v7, -v6, v8, v4
	v_cmp_ge_f32_e32 vcc, 0, v7
	s_waitcnt vmcnt(6)
	v_mul_f32_e32 v7, 0x3fb8aa3b, v24
	v_exp_f32_e32 v7, v7
	v_cndmask_b32_e32 v9, v8, v6, vcc
	v_mul_f32_e32 v6, 0x3fb8aa3b, v23
	v_exp_f32_e32 v6, v6
	v_fma_f32 v8, -v10, v8, v4
	v_cmp_lt_f32_e32 vcc, 0, v8
	v_pk_add_f32 v[6:7], v[6:7], 1.0 op_sel_hi:[1,0]
	s_nop 0
	v_cndmask_b32_e32 v8, v9, v10, vcc
	v_cmp_gt_f32_e32 vcc, s17, v7
	v_mul_f32_e32 v9, 0x37800000, v8
	v_cndmask_b32_e64 v8, v8, v9, s[2:3]
	v_cndmask_b32_e32 v10, 1.0, v13, vcc
	v_mul_f32_e32 v7, v7, v10
	v_log_f32_e32 v7, v7
	v_cmp_class_f32_e64 s[2:3], v4, v12
	v_cmp_lt_f32_e64 s[4:5], |v7|, s16
	s_nop 0
	v_cndmask_b32_e64 v4, v8, v4, s[2:3]
	v_cmp_gt_f32_e64 s[2:3], s17, v6
	v_mul_f32_e32 v8, 0x3f317217, v7
	v_fma_f32 v8, v7, s15, -v8
	v_cndmask_b32_e64 v9, 1.0, v13, s[2:3]
	v_mul_f32_e32 v6, v6, v9
	v_log_f32_e32 v6, v6
	v_fmac_f32_e32 v8, 0x3377d1cf, v7
	v_fmac_f32_e32 v8, 0x3f317217, v7
	v_cndmask_b32_e64 v7, v7, v8, s[4:5]
	v_cndmask_b32_e32 v8, 0, v14, vcc
	v_sub_f32_e32 v7, v7, v8
	v_mul_f32_e32 v8, 0x3f317217, v6
	v_fma_f32 v8, v6, s15, -v8
	v_fmac_f32_e32 v8, 0x3377d1cf, v6
	v_fmac_f32_e32 v8, 0x3f317217, v6
	v_cmp_lt_f32_e64 vcc, |v6|, s16
	s_nop 1
	v_cndmask_b32_e32 v6, v6, v8, vcc
	v_cmp_lt_f32_e32 vcc, s11, v24
	v_cndmask_b32_e64 v8, 0, v14, s[2:3]
	v_sub_f32_e32 v6, v6, v8
	v_cndmask_b32_e32 v7, v7, v24, vcc
	v_mul_f32_e32 v9, 0x4f800000, v7
	v_cmp_gt_f32_e32 vcc, s14, v7
	v_cmp_lt_f32_e64 s[2:3], s11, v23
	s_nop 0
	v_cndmask_b32_e32 v7, v7, v9, vcc
	v_sqrt_f32_e32 v9, v7
	v_cndmask_b32_e64 v6, v6, v23, s[2:3]
	v_add_u32_e32 v8, -1, v9
	v_fma_f32 v10, -v8, v9, v7
	v_cmp_ge_f32_e64 s[2:3], 0, v10
	v_add_u32_e32 v10, 1, v9
	s_nop 0
	v_cndmask_b32_e64 v8, v9, v8, s[2:3]
	v_fma_f32 v9, -v10, v9, v7
	v_cmp_lt_f32_e64 s[2:3], 0, v9
	s_nop 1
	v_cndmask_b32_e64 v8, v8, v10, s[2:3]
	v_mul_f32_e32 v10, 0x4f800000, v6
	v_cmp_gt_f32_e64 s[2:3], s14, v6
	v_mul_f32_e32 v9, 0x37800000, v8
	v_cndmask_b32_e32 v8, v8, v9, vcc
	v_cndmask_b32_e64 v6, v6, v10, s[2:3]
	v_sqrt_f32_e32 v10, v6
	v_cmp_class_f32_e32 vcc, v7, v12
	v_add_u32_e32 v23, 1, v10
	s_nop 0
	v_cndmask_b32_e32 v7, v8, v7, vcc
	v_add_u32_e32 v8, -1, v10
	v_fma_f32 v9, -v8, v10, v6
	v_cmp_ge_f32_e32 vcc, 0, v9
	s_waitcnt vmcnt(4)
	v_mul_f32_e32 v9, 0x3fb8aa3b, v27
	v_exp_f32_e32 v9, v9
	v_cndmask_b32_e32 v11, v10, v8, vcc
	v_mul_f32_e32 v8, 0x3fb8aa3b, v25
	v_exp_f32_e32 v8, v8
	v_fma_f32 v10, -v23, v10, v6
	v_cmp_lt_f32_e32 vcc, 0, v10
	v_pk_add_f32 v[8:9], v[8:9], 1.0 op_sel_hi:[1,0]
	s_nop 0
	v_cndmask_b32_e32 v10, v11, v23, vcc
	v_cmp_gt_f32_e32 vcc, s17, v9
	v_mul_f32_e32 v11, 0x37800000, v10
	v_cndmask_b32_e64 v10, v10, v11, s[2:3]
	v_cndmask_b32_e32 v23, 1.0, v13, vcc
	v_mul_f32_e32 v9, v9, v23
	v_log_f32_e32 v9, v9
	v_cmp_class_f32_e64 s[2:3], v6, v12
	v_cmp_lt_f32_e64 s[4:5], |v9|, s16
	s_nop 0
	v_cndmask_b32_e64 v6, v10, v6, s[2:3]
	v_cmp_gt_f32_e64 s[2:3], s17, v8
	v_mul_f32_e32 v10, 0x3f317217, v9
	v_fma_f32 v10, v9, s15, -v10
	v_cndmask_b32_e64 v11, 1.0, v13, s[2:3]
	v_mul_f32_e32 v8, v8, v11
	v_log_f32_e32 v8, v8
	v_fmac_f32_e32 v10, 0x3377d1cf, v9
	v_fmac_f32_e32 v10, 0x3f317217, v9
	v_cndmask_b32_e64 v9, v9, v10, s[4:5]
	v_cndmask_b32_e32 v10, 0, v14, vcc
	v_sub_f32_e32 v9, v9, v10
	v_mul_f32_e32 v10, 0x3f317217, v8
	v_fma_f32 v10, v8, s15, -v10
	v_fmac_f32_e32 v10, 0x3377d1cf, v8
	v_fmac_f32_e32 v10, 0x3f317217, v8
	v_cmp_lt_f32_e64 vcc, |v8|, s16
	s_nop 1
	v_cndmask_b32_e32 v8, v8, v10, vcc
	v_cmp_lt_f32_e32 vcc, s11, v27
	v_cndmask_b32_e64 v10, 0, v14, s[2:3]
	v_sub_f32_e32 v8, v8, v10
	v_cndmask_b32_e32 v9, v9, v27, vcc
	v_mul_f32_e32 v11, 0x4f800000, v9
	v_cmp_gt_f32_e32 vcc, s14, v9
	v_cmp_lt_f32_e64 s[2:3], s11, v25
	s_nop 0
	v_cndmask_b32_e32 v9, v9, v11, vcc
	v_sqrt_f32_e32 v11, v9
	v_cndmask_b32_e64 v8, v8, v25, s[2:3]
	v_add_u32_e32 v10, -1, v11
	v_fma_f32 v23, -v10, v11, v9
	v_cmp_ge_f32_e64 s[2:3], 0, v23
	v_add_u32_e32 v23, 1, v11
	s_nop 0
	v_cndmask_b32_e64 v10, v11, v10, s[2:3]
	v_fma_f32 v11, -v23, v11, v9
	v_cmp_lt_f32_e64 s[2:3], 0, v11
	s_nop 1
	v_cndmask_b32_e64 v10, v10, v23, s[2:3]
	v_mul_f32_e32 v23, 0x4f800000, v8
	v_cmp_gt_f32_e64 s[2:3], s14, v8
	v_mul_f32_e32 v11, 0x37800000, v10
	v_cndmask_b32_e32 v10, v10, v11, vcc
	v_cndmask_b32_e64 v8, v8, v23, s[2:3]
	v_sqrt_f32_e32 v23, v8
	v_cmp_class_f32_e32 vcc, v9, v12
	v_add_u32_e32 v25, 1, v23
	s_nop 0
	v_cndmask_b32_e32 v9, v10, v9, vcc
	v_add_u32_e32 v10, -1, v23
	v_fma_f32 v11, -v10, v23, v8
	v_cmp_ge_f32_e32 vcc, 0, v11
	s_waitcnt vmcnt(2)
	v_mul_f32_e32 v11, 0x3fb8aa3b, v29
	v_exp_f32_e32 v11, v11
	v_cndmask_b32_e32 v24, v23, v10, vcc
	v_mul_f32_e32 v10, 0x3fb8aa3b, v28
	v_exp_f32_e32 v10, v10
	v_fma_f32 v23, -v25, v23, v8
	v_cmp_lt_f32_e32 vcc, 0, v23
	v_pk_add_f32 v[10:11], v[10:11], 1.0 op_sel_hi:[1,0]
	s_nop 0
	v_cndmask_b32_e32 v23, v24, v25, vcc
	v_cmp_gt_f32_e32 vcc, s17, v11
	v_mul_f32_e32 v24, 0x37800000, v23
	v_cndmask_b32_e64 v23, v23, v24, s[2:3]
	v_cndmask_b32_e32 v25, 1.0, v13, vcc
	v_mul_f32_e32 v11, v11, v25
	v_log_f32_e32 v11, v11
	v_cmp_class_f32_e64 s[2:3], v8, v12
	v_cmp_lt_f32_e64 s[4:5], |v11|, s16
	s_nop 0
	v_cndmask_b32_e64 v8, v23, v8, s[2:3]
	v_cmp_gt_f32_e64 s[2:3], s17, v10
	v_mul_f32_e32 v23, 0x3f317217, v11
	v_fma_f32 v23, v11, s15, -v23
	v_cndmask_b32_e64 v24, 1.0, v13, s[2:3]
	v_mul_f32_e32 v10, v10, v24
	v_log_f32_e32 v10, v10
	v_fmac_f32_e32 v23, 0x3377d1cf, v11
	v_fmac_f32_e32 v23, 0x3f317217, v11
	v_cndmask_b32_e64 v11, v11, v23, s[4:5]
	v_cndmask_b32_e32 v23, 0, v14, vcc
	v_sub_f32_e32 v11, v11, v23
	v_mul_f32_e32 v23, 0x3f317217, v10
	v_fma_f32 v23, v10, s15, -v23
	v_fmac_f32_e32 v23, 0x3377d1cf, v10
	v_fmac_f32_e32 v23, 0x3f317217, v10
	v_cmp_lt_f32_e64 vcc, |v10|, s16
	s_nop 1
	v_cndmask_b32_e32 v10, v10, v23, vcc
	v_cmp_lt_f32_e32 vcc, s11, v29
	v_cndmask_b32_e64 v23, 0, v14, s[2:3]
	v_sub_f32_e32 v10, v10, v23
	v_cndmask_b32_e32 v11, v11, v29, vcc
	v_mul_f32_e32 v24, 0x4f800000, v11
	v_cmp_gt_f32_e32 vcc, s14, v11
	v_cmp_lt_f32_e64 s[2:3], s11, v28
	s_nop 0
	v_cndmask_b32_e32 v11, v11, v24, vcc
	v_sqrt_f32_e32 v24, v11
	v_cndmask_b32_e64 v10, v10, v28, s[2:3]
	v_add_u32_e32 v23, -1, v24
	v_fma_f32 v25, -v23, v24, v11
	v_cmp_ge_f32_e64 s[2:3], 0, v25
	v_add_u32_e32 v25, 1, v24
	s_nop 0
	v_cndmask_b32_e64 v23, v24, v23, s[2:3]
	v_fma_f32 v24, -v25, v24, v11
	v_cmp_lt_f32_e64 s[2:3], 0, v24
	s_nop 1
	v_cndmask_b32_e64 v23, v23, v25, s[2:3]
	v_mul_f32_e32 v25, 0x4f800000, v10
	v_cmp_gt_f32_e64 s[2:3], s14, v10
	v_mul_f32_e32 v24, 0x37800000, v23
	v_cndmask_b32_e32 v23, v23, v24, vcc
	v_cndmask_b32_e64 v10, v10, v25, s[2:3]
	v_sqrt_f32_e32 v25, v10
	v_cmp_class_f32_e32 vcc, v11, v12
	v_add_u32_e32 v27, 1, v25
	s_nop 0
	v_cndmask_b32_e32 v11, v23, v11, vcc
	v_add_u32_e32 v23, -1, v25
	v_fma_f32 v24, -v23, v25, v10
	v_cmp_ge_f32_e32 vcc, 0, v24
	v_fma_f32 v28, -v27, v25, v10
	s_waitcnt vmcnt(1)
	v_mul_f32_e32 v24, 0x3fb8aa3b, v19
	v_cndmask_b32_e32 v23, v25, v23, vcc
	s_waitcnt vmcnt(0)
	v_mul_f32_e32 v25, 0x3fb8aa3b, v22
	v_exp_f32_e32 v24, v24
	v_exp_f32_e32 v25, v25
	v_cmp_lt_f32_e32 vcc, 0, v28
	v_pk_add_f32 v[24:25], v[24:25], 1.0 op_sel_hi:[1,0]
	s_nop 0
	v_cndmask_b32_e32 v23, v23, v27, vcc
	v_cmp_gt_f32_e32 vcc, s17, v25
	v_mul_f32_e32 v27, 0x37800000, v23
	v_cndmask_b32_e64 v23, v23, v27, s[2:3]
	v_cndmask_b32_e32 v28, 1.0, v13, vcc
	v_mul_f32_e32 v25, v25, v28
	v_log_f32_e32 v25, v25
	v_cmp_class_f32_e64 s[2:3], v10, v12
	v_cmp_lt_f32_e64 s[4:5], |v25|, s16
	s_nop 0
	v_cndmask_b32_e64 v10, v23, v10, s[2:3]
	v_cmp_gt_f32_e64 s[2:3], s17, v24
	v_mul_f32_e32 v23, 0x3f317217, v25
	v_fma_f32 v23, v25, s15, -v23
	v_cndmask_b32_e64 v13, 1.0, v13, s[2:3]
	v_mul_f32_e32 v13, v24, v13
	v_log_f32_e32 v13, v13
	v_fmac_f32_e32 v23, 0x3377d1cf, v25
	v_fmac_f32_e32 v23, 0x3f317217, v25
	v_cndmask_b32_e64 v23, v25, v23, s[4:5]
	v_cndmask_b32_e32 v24, 0, v14, vcc
	v_sub_f32_e32 v23, v23, v24
	v_mul_f32_e32 v24, 0x3f317217, v13
	v_fma_f32 v24, v13, s15, -v24
	v_fmac_f32_e32 v24, 0x3377d1cf, v13
	v_fmac_f32_e32 v24, 0x3f317217, v13
	v_cmp_lt_f32_e64 vcc, |v13|, s16
	v_cndmask_b32_e64 v14, 0, v14, s[2:3]
	v_cmp_lt_f32_e64 s[2:3], s11, v19
	v_cndmask_b32_e32 v13, v13, v24, vcc
	v_cmp_lt_f32_e32 vcc, s11, v22
	v_sub_f32_e32 v13, v13, v14
	v_cndmask_b32_e64 v13, v13, v19, s[2:3]
	v_cndmask_b32_e32 v22, v23, v22, vcc
	v_mul_f32_e32 v23, 0x4f800000, v22
	v_cmp_gt_f32_e32 vcc, s14, v22
	s_nop 1
	v_cndmask_b32_e32 v22, v22, v23, vcc
	v_sqrt_f32_e32 v23, v22
	s_nop 0
	v_add_u32_e32 v14, -1, v23
	v_fma_f32 v19, -v14, v23, v22
	v_cmp_ge_f32_e64 s[2:3], 0, v19
	v_add_u32_e32 v19, 1, v23
	s_nop 0
	v_cndmask_b32_e64 v14, v23, v14, s[2:3]
	v_fma_f32 v23, -v19, v23, v22
	v_cmp_lt_f32_e64 s[2:3], 0, v23
	v_mul_f32_e32 v23, 0x4f800000, v13
	s_nop 0
	v_cndmask_b32_e64 v14, v14, v19, s[2:3]
	v_cmp_gt_f32_e64 s[2:3], s14, v13
	v_mul_f32_e32 v19, 0x37800000, v14
	s_nop 0
	v_cndmask_b32_e64 v23, v13, v23, s[2:3]
	v_sqrt_f32_e32 v24, v23
	v_cndmask_b32_e32 v13, v14, v19, vcc
	v_cmp_class_f32_e32 vcc, v22, v12
	v_add_u32_e32 v14, -1, v24
	v_fma_f32 v19, -v14, v24, v23
	v_cndmask_b32_e32 v13, v13, v22, vcc
	v_cmp_ge_f32_e32 vcc, 0, v19
	v_add_u32_e32 v19, 1, v24
	v_fma_f32 v22, -v19, v24, v23
	v_cndmask_b32_e32 v14, v24, v14, vcc
	v_cmp_lt_f32_e32 vcc, 0, v22
	s_nop 1
	v_cndmask_b32_e32 v14, v14, v19, vcc
	v_mul_f32_e32 v19, 0x37800000, v14
	v_cndmask_b32_e64 v14, v14, v19, s[2:3]
	v_cmp_class_f32_e32 vcc, v23, v12
	s_nop 1
	v_cndmask_b32_e32 v12, v14, v23, vcc
	s_and_b64 vcc, exec, s[12:13]
	v_mul_lo_u32 v14, v18, s24
	s_cbranch_vccnz .LBB174_28
; %bb.2:
	s_load_dwordx2 s[4:5], s[0:1], 0x20
	v_mul_lo_u32 v18, v18, s24
	s_cmp_lt_u32 s24, 4
	v_sub_u32_e32 v27, 0, v26
	s_cbranch_scc1 .LBB174_21
; %bb.3:
	s_mov_b32 s7, 0
	s_and_b32 s10, s24, 0x7ffffffc
	v_ashrrev_i32_e32 v19, 31, v18
	v_mov_b32_e32 v15, 0
	s_mov_b32 s6, s7
	s_branch .LBB174_5
.LBB174_4:                              ;   in Loop: Header=BB174_5 Depth=1
	s_or_b64 exec, exec, s[12:13]
	s_add_i32 s6, s6, 4
	s_cmp_eq_u32 s6, s10
	s_cbranch_scc1 .LBB174_21
.LBB174_5:                              ; =>This Loop Header: Depth=1
                                        ;     Child Loop BB174_7 Depth 2
                                        ;     Child Loop BB174_11 Depth 2
	;; [unrolled: 1-line block ×4, first 2 shown]
	v_lshl_add_u64 v[20:21], s[6:7], 3, v[16:17]
	global_load_dwordx2 v[22:23], v[20:21], off
	v_add_u32_e32 v24, s6, v18
	v_ashrrev_i32_e32 v25, 31, v24
	s_mov_b64 s[12:13], 0
	s_waitcnt lgkmcnt(0)
	v_lshl_add_u64 v[24:25], v[24:25], 3, s[4:5]
	s_mov_b64 s[14:15], 0
	s_waitcnt vmcnt(0)
	v_ashrrev_i32_e32 v23, 31, v22
	v_add_u32_e32 v28, v27, v22
	s_branch .LBB174_7
.LBB174_6:                              ;   in Loop: Header=BB174_7 Depth=2
	s_or_b64 exec, exec, s[16:17]
	s_cmp_gt_u32 s14, 12
	s_cselect_b64 s[2:3], -1, 0
	s_xor_b64 s[16:17], vcc, -1
	s_or_b64 s[2:3], s[16:17], s[2:3]
	s_add_u32 s14, s14, 1
	s_addc_u32 s15, s15, 0
	s_and_b64 s[2:3], exec, s[2:3]
	s_or_b64 s[12:13], s[2:3], s[12:13]
	v_subrev_u32_e32 v28, 32, v28
	s_andn2_b64 exec, exec, s[12:13]
	s_cbranch_execz .LBB174_9
.LBB174_7:                              ;   Parent Loop BB174_5 Depth=1
                                        ; =>  This Inner Loop Header: Depth=2
	v_cmp_ne_u32_e32 vcc, 0, v28
	v_cmp_eq_u32_e64 s[2:3], 0, v28
	s_and_saveexec_b64 s[16:17], s[2:3]
	s_cbranch_execz .LBB174_6
; %bb.8:                                ;   in Loop: Header=BB174_7 Depth=2
	s_set_gpr_idx_on s14, gpr_idx(SRC0)
	v_mov_b32_e32 v29, v0
	s_set_gpr_idx_off
	v_add_f32_e32 v15, v15, v29
	global_store_dwordx2 v[24:25], v[22:23], off
	s_branch .LBB174_6
.LBB174_9:                              ;   in Loop: Header=BB174_5 Depth=1
	s_or_b64 exec, exec, s[12:13]
	global_load_dwordx2 v[24:25], v[20:21], off offset:8
	s_ashr_i32 s3, s6, 31
	s_mov_b32 s2, s6
	v_lshl_add_u64 v[22:23], s[2:3], 0, v[18:19]
	s_mov_b64 s[12:13], 0
	v_lshl_add_u64 v[22:23], v[22:23], 3, s[4:5]
	s_mov_b64 s[14:15], 0
	s_waitcnt vmcnt(0)
	v_ashrrev_i32_e32 v25, 31, v24
	v_add_u32_e32 v28, v27, v24
	s_branch .LBB174_11
.LBB174_10:                             ;   in Loop: Header=BB174_11 Depth=2
	s_or_b64 exec, exec, s[16:17]
	s_cmp_gt_u32 s14, 12
	s_cselect_b64 s[2:3], -1, 0
	s_xor_b64 s[16:17], vcc, -1
	s_or_b64 s[2:3], s[16:17], s[2:3]
	s_add_u32 s14, s14, 1
	s_addc_u32 s15, s15, 0
	s_and_b64 s[2:3], exec, s[2:3]
	s_or_b64 s[12:13], s[2:3], s[12:13]
	v_subrev_u32_e32 v28, 32, v28
	s_andn2_b64 exec, exec, s[12:13]
	s_cbranch_execz .LBB174_13
.LBB174_11:                             ;   Parent Loop BB174_5 Depth=1
                                        ; =>  This Inner Loop Header: Depth=2
	v_cmp_ne_u32_e32 vcc, 0, v28
	v_cmp_eq_u32_e64 s[2:3], 0, v28
	s_and_saveexec_b64 s[16:17], s[2:3]
	s_cbranch_execz .LBB174_10
; %bb.12:                               ;   in Loop: Header=BB174_11 Depth=2
	s_set_gpr_idx_on s14, gpr_idx(SRC0)
	v_mov_b32_e32 v29, v0
	s_set_gpr_idx_off
	v_add_f32_e32 v15, v15, v29
	global_store_dwordx2 v[22:23], v[24:25], off offset:8
	s_branch .LBB174_10
.LBB174_13:                             ;   in Loop: Header=BB174_5 Depth=1
	s_or_b64 exec, exec, s[12:13]
	global_load_dwordx2 v[24:25], v[20:21], off offset:16
	s_mov_b64 s[12:13], 0
	s_mov_b64 s[14:15], 0
	s_waitcnt vmcnt(0)
	v_ashrrev_i32_e32 v25, 31, v24
	v_add_u32_e32 v28, v27, v24
	s_branch .LBB174_15
.LBB174_14:                             ;   in Loop: Header=BB174_15 Depth=2
	s_or_b64 exec, exec, s[16:17]
	s_cmp_gt_u32 s14, 12
	s_cselect_b64 s[2:3], -1, 0
	s_xor_b64 s[16:17], vcc, -1
	s_or_b64 s[2:3], s[16:17], s[2:3]
	s_add_u32 s14, s14, 1
	s_addc_u32 s15, s15, 0
	s_and_b64 s[2:3], exec, s[2:3]
	s_or_b64 s[12:13], s[2:3], s[12:13]
	v_subrev_u32_e32 v28, 32, v28
	s_andn2_b64 exec, exec, s[12:13]
	s_cbranch_execz .LBB174_17
.LBB174_15:                             ;   Parent Loop BB174_5 Depth=1
                                        ; =>  This Inner Loop Header: Depth=2
	v_cmp_ne_u32_e32 vcc, 0, v28
	v_cmp_eq_u32_e64 s[2:3], 0, v28
	s_and_saveexec_b64 s[16:17], s[2:3]
	s_cbranch_execz .LBB174_14
; %bb.16:                               ;   in Loop: Header=BB174_15 Depth=2
	s_set_gpr_idx_on s14, gpr_idx(SRC0)
	v_mov_b32_e32 v29, v0
	s_set_gpr_idx_off
	v_add_f32_e32 v15, v15, v29
	global_store_dwordx2 v[22:23], v[24:25], off offset:16
	s_branch .LBB174_14
.LBB174_17:                             ;   in Loop: Header=BB174_5 Depth=1
	s_or_b64 exec, exec, s[12:13]
	global_load_dwordx2 v[20:21], v[20:21], off offset:24
	s_mov_b64 s[12:13], 0
	s_mov_b64 s[14:15], 0
	s_waitcnt vmcnt(0)
	v_ashrrev_i32_e32 v21, 31, v20
	v_add_u32_e32 v24, v27, v20
	s_branch .LBB174_19
.LBB174_18:                             ;   in Loop: Header=BB174_19 Depth=2
	s_or_b64 exec, exec, s[16:17]
	s_cmp_gt_u32 s14, 12
	s_cselect_b64 s[2:3], -1, 0
	s_xor_b64 s[16:17], vcc, -1
	s_or_b64 s[2:3], s[16:17], s[2:3]
	s_add_u32 s14, s14, 1
	s_addc_u32 s15, s15, 0
	s_and_b64 s[2:3], exec, s[2:3]
	s_or_b64 s[12:13], s[2:3], s[12:13]
	v_subrev_u32_e32 v24, 32, v24
	s_andn2_b64 exec, exec, s[12:13]
	s_cbranch_execz .LBB174_4
.LBB174_19:                             ;   Parent Loop BB174_5 Depth=1
                                        ; =>  This Inner Loop Header: Depth=2
	v_cmp_ne_u32_e32 vcc, 0, v24
	v_cmp_eq_u32_e64 s[2:3], 0, v24
	s_and_saveexec_b64 s[16:17], s[2:3]
	s_cbranch_execz .LBB174_18
; %bb.20:                               ;   in Loop: Header=BB174_19 Depth=2
	s_set_gpr_idx_on s14, gpr_idx(SRC0)
	v_mov_b32_e32 v25, v0
	s_set_gpr_idx_off
	v_add_f32_e32 v15, v15, v25
	global_store_dwordx2 v[22:23], v[20:21], off offset:24
	s_branch .LBB174_18
.LBB174_21:
	s_and_b32 s16, s24, 3
	s_cmp_eq_u32 s16, 0
	s_mov_b32 s11, 0
	s_cbranch_scc1 .LBB174_28
; %bb.22:
	s_mov_b32 s17, s11
	s_branch .LBB174_24
.LBB174_23:                             ;   in Loop: Header=BB174_24 Depth=1
	s_or_b64 exec, exec, s[6:7]
	s_add_i32 s10, s10, 1
	s_add_i32 s17, s17, 1
	s_cmp_lg_u32 s17, s16
	s_cbranch_scc0 .LBB174_28
.LBB174_24:                             ; =>This Loop Header: Depth=1
                                        ;     Child Loop BB174_26 Depth 2
	v_lshl_add_u64 v[20:21], s[10:11], 3, v[16:17]
	global_load_dwordx2 v[20:21], v[20:21], off
	v_add_u32_e32 v22, s10, v18
	v_ashrrev_i32_e32 v23, 31, v22
	s_mov_b64 s[6:7], 0
	s_waitcnt lgkmcnt(0)
	v_lshl_add_u64 v[22:23], v[22:23], 3, s[4:5]
	s_mov_b64 s[12:13], 0
	s_waitcnt vmcnt(0)
	v_ashrrev_i32_e32 v21, 31, v20
	v_add_u32_e32 v19, v27, v20
	s_branch .LBB174_26
.LBB174_25:                             ;   in Loop: Header=BB174_26 Depth=2
	s_or_b64 exec, exec, s[14:15]
	s_cmp_gt_u32 s12, 12
	s_cselect_b64 s[2:3], -1, 0
	s_xor_b64 s[14:15], vcc, -1
	s_or_b64 s[2:3], s[14:15], s[2:3]
	s_add_u32 s12, s12, 1
	s_addc_u32 s13, s13, 0
	s_and_b64 s[2:3], exec, s[2:3]
	s_or_b64 s[6:7], s[2:3], s[6:7]
	v_subrev_u32_e32 v19, 32, v19
	s_andn2_b64 exec, exec, s[6:7]
	s_cbranch_execz .LBB174_23
.LBB174_26:                             ;   Parent Loop BB174_24 Depth=1
                                        ; =>  This Inner Loop Header: Depth=2
	v_cmp_ne_u32_e32 vcc, 0, v19
	v_cmp_eq_u32_e64 s[2:3], 0, v19
	s_and_saveexec_b64 s[14:15], s[2:3]
	s_cbranch_execz .LBB174_25
; %bb.27:                               ;   in Loop: Header=BB174_26 Depth=2
	s_set_gpr_idx_on s12, gpr_idx(SRC0)
	v_mov_b32_e32 v24, v0
	s_set_gpr_idx_off
	v_add_f32_e32 v15, v15, v24
	global_store_dwordx2 v[22:23], v[20:21], off
	s_branch .LBB174_25
.LBB174_28:
	s_waitcnt lgkmcnt(0)
	s_load_dword s4, s[0:1], 0x3c
	s_waitcnt lgkmcnt(0)
	s_bitcmp1_b32 s4, 0
	s_cselect_b64 s[2:3], -1, 0
	s_bitcmp0_b32 s4, 0
	s_cbranch_scc0 .LBB174_31
; %bb.29:
	s_load_dwordx2 s[4:5], s[0:1], 0x40
	s_andn2_b64 vcc, exec, s[2:3]
	s_waitcnt lgkmcnt(0)
	v_cvt_f32_f64_e32 v20, s[4:5]
	s_cbranch_vccz .LBB174_32
.LBB174_30:
	s_andn2_b64 vcc, exec, s[8:9]
	s_cbranch_vccz .LBB174_33
	s_branch .LBB174_63
.LBB174_31:
	v_mbcnt_lo_u32_b32 v18, -1, 0
	v_mbcnt_hi_u32_b32 v18, -1, v18
	v_and_b32_e32 v19, 0x60, v18
	v_add_u32_e32 v19, 32, v19
	v_xor_b32_e32 v20, 16, v18
	v_cmp_lt_i32_e32 vcc, v20, v19
	v_xor_b32_e32 v21, 8, v18
	s_nop 0
	v_cndmask_b32_e32 v20, v18, v20, vcc
	v_lshlrev_b32_e32 v20, 2, v20
	ds_bpermute_b32 v20, v20, v15
	v_cmp_lt_i32_e32 vcc, v21, v19
	s_waitcnt lgkmcnt(0)
	v_add_f32_e32 v15, v15, v20
	v_cndmask_b32_e32 v20, v18, v21, vcc
	v_lshlrev_b32_e32 v20, 2, v20
	ds_bpermute_b32 v20, v20, v15
	v_xor_b32_e32 v21, 4, v18
	v_cmp_lt_i32_e32 vcc, v21, v19
	s_waitcnt lgkmcnt(0)
	v_add_f32_e32 v15, v15, v20
	v_cndmask_b32_e32 v20, v18, v21, vcc
	v_lshlrev_b32_e32 v20, 2, v20
	ds_bpermute_b32 v20, v20, v15
	v_xor_b32_e32 v21, 2, v18
	;; [unrolled: 7-line block ×3, first 2 shown]
	v_cmp_lt_i32_e32 vcc, v21, v19
	s_waitcnt lgkmcnt(0)
	v_add_f32_e32 v15, v15, v20
	v_cndmask_b32_e32 v18, v18, v21, vcc
	v_lshlrev_b32_e32 v18, 2, v18
	ds_bpermute_b32 v18, v18, v15
	s_waitcnt lgkmcnt(0)
	v_add_f32_e32 v15, v15, v18
	s_load_dwordx2 s[4:5], s[0:1], 0x40
	s_andn2_b64 vcc, exec, s[2:3]
	s_waitcnt lgkmcnt(0)
	v_cvt_f32_f64_e32 v20, s[4:5]
	s_cbranch_vccnz .LBB174_30
.LBB174_32:
	v_cmp_lt_f32_e32 vcc, 0, v15
	s_nop 1
	v_cndmask_b32_e32 v15, 1.0, v15, vcc
	v_div_scale_f32 v18, s[2:3], v15, v15, v20
	v_rcp_f32_e32 v19, v18
	s_nop 0
	v_fma_f32 v21, -v18, v19, 1.0
	v_fmac_f32_e32 v19, v21, v19
	v_div_scale_f32 v21, vcc, v20, v15, v20
	v_mul_f32_e32 v22, v21, v19
	v_fma_f32 v23, -v18, v22, v21
	v_fmac_f32_e32 v22, v23, v19
	v_fma_f32 v18, -v18, v22, v21
	v_div_fmas_f32 v18, v18, v19, v22
	v_div_fixup_f32 v20, v18, v15, v20
	s_andn2_b64 vcc, exec, s[8:9]
	s_cbranch_vccnz .LBB174_63
.LBB174_33:
	s_load_dwordx2 s[26:27], s[0:1], 0x10
	v_or_b32_e32 v21, 32, v26
	v_or_b32_e32 v22, 64, v26
	;; [unrolled: 1-line block ×13, first 2 shown]
	s_branch .LBB174_35
.LBB174_34:                             ;   in Loop: Header=BB174_35 Depth=1
	s_or_b64 exec, exec, s[0:1]
	s_add_i32 s24, s24, -1
	v_add_u32_e32 v14, 1, v14
	s_cmp_lg_u32 s24, 0
	v_lshl_add_u64 v[16:17], v[16:17], 0, 8
	s_cbranch_scc0 .LBB174_63
.LBB174_35:                             ; =>This Inner Loop Header: Depth=1
	global_load_dword v15, v[16:17], off
	v_mov_b64_e32 v[18:19], 0
	s_waitcnt vmcnt(0)
	v_cmp_eq_u32_e32 vcc, v26, v15
	v_cmp_ne_u32_e64 s[0:1], v26, v15
	s_and_saveexec_b64 s[28:29], s[0:1]
	s_cbranch_execz .LBB174_61
; %bb.36:                               ;   in Loop: Header=BB174_35 Depth=1
	v_cmp_eq_u32_e64 s[0:1], v21, v15
	v_cmp_ne_u32_e64 s[2:3], v21, v15
	v_mov_b64_e32 v[18:19], 1
	s_and_saveexec_b64 s[30:31], s[2:3]
	s_cbranch_execz .LBB174_60
; %bb.37:                               ;   in Loop: Header=BB174_35 Depth=1
	v_cmp_eq_u32_e64 s[2:3], v22, v15
	v_cmp_ne_u32_e64 s[4:5], v22, v15
	v_mov_b64_e32 v[18:19], 2
	;; [unrolled: 6-line block ×12, first 2 shown]
	s_and_saveexec_b64 s[56:57], s[22:23]
	s_xor_b64 s[56:57], exec, s[56:57]
; %bb.48:                               ;   in Loop: Header=BB174_35 Depth=1
	v_cmp_eq_u32_e64 s[22:23], v34, v15
	s_andn2_b64 s[54:55], s[54:55], exec
	s_and_b64 s[22:23], s[22:23], exec
	v_mov_b64_e32 v[18:19], 13
	s_or_b64 s[54:55], s[54:55], s[22:23]
; %bb.49:                               ;   in Loop: Header=BB174_35 Depth=1
	s_or_b64 exec, exec, s[56:57]
	s_andn2_b64 s[20:21], s[20:21], exec
	s_and_b64 s[22:23], s[54:55], exec
	s_or_b64 s[20:21], s[20:21], s[22:23]
.LBB174_50:                             ;   in Loop: Header=BB174_35 Depth=1
	s_or_b64 exec, exec, s[52:53]
	s_andn2_b64 s[18:19], s[18:19], exec
	s_and_b64 s[20:21], s[20:21], exec
	s_or_b64 s[18:19], s[18:19], s[20:21]
.LBB174_51:                             ;   in Loop: Header=BB174_35 Depth=1
	s_or_b64 exec, exec, s[50:51]
	s_andn2_b64 s[16:17], s[16:17], exec
	s_and_b64 s[18:19], s[18:19], exec
	s_or_b64 s[16:17], s[16:17], s[18:19]
.LBB174_52:                             ;   in Loop: Header=BB174_35 Depth=1
	s_or_b64 exec, exec, s[48:49]
	s_andn2_b64 s[14:15], s[14:15], exec
	s_and_b64 s[16:17], s[16:17], exec
	s_or_b64 s[14:15], s[14:15], s[16:17]
.LBB174_53:                             ;   in Loop: Header=BB174_35 Depth=1
	s_or_b64 exec, exec, s[46:47]
	s_andn2_b64 s[12:13], s[12:13], exec
	s_and_b64 s[14:15], s[14:15], exec
	s_or_b64 s[12:13], s[12:13], s[14:15]
.LBB174_54:                             ;   in Loop: Header=BB174_35 Depth=1
	s_or_b64 exec, exec, s[44:45]
	s_andn2_b64 s[10:11], s[10:11], exec
	s_and_b64 s[12:13], s[12:13], exec
	s_or_b64 s[10:11], s[10:11], s[12:13]
.LBB174_55:                             ;   in Loop: Header=BB174_35 Depth=1
	s_or_b64 exec, exec, s[42:43]
	s_andn2_b64 s[8:9], s[8:9], exec
	s_and_b64 s[10:11], s[10:11], exec
	s_or_b64 s[8:9], s[8:9], s[10:11]
.LBB174_56:                             ;   in Loop: Header=BB174_35 Depth=1
	s_or_b64 exec, exec, s[40:41]
	s_andn2_b64 s[6:7], s[6:7], exec
	s_and_b64 s[8:9], s[8:9], exec
	s_or_b64 s[6:7], s[6:7], s[8:9]
.LBB174_57:                             ;   in Loop: Header=BB174_35 Depth=1
	s_or_b64 exec, exec, s[38:39]
	s_andn2_b64 s[4:5], s[4:5], exec
	s_and_b64 s[6:7], s[6:7], exec
	s_or_b64 s[4:5], s[4:5], s[6:7]
.LBB174_58:                             ;   in Loop: Header=BB174_35 Depth=1
	s_or_b64 exec, exec, s[36:37]
	s_andn2_b64 s[2:3], s[2:3], exec
	s_and_b64 s[4:5], s[4:5], exec
	s_or_b64 s[2:3], s[2:3], s[4:5]
.LBB174_59:                             ;   in Loop: Header=BB174_35 Depth=1
	s_or_b64 exec, exec, s[34:35]
	s_andn2_b64 s[0:1], s[0:1], exec
	s_and_b64 s[2:3], s[2:3], exec
	s_or_b64 s[0:1], s[0:1], s[2:3]
.LBB174_60:                             ;   in Loop: Header=BB174_35 Depth=1
	s_or_b64 exec, exec, s[30:31]
	s_andn2_b64 s[2:3], vcc, exec
	s_and_b64 s[0:1], s[0:1], exec
	s_or_b64 vcc, s[2:3], s[0:1]
.LBB174_61:                             ;   in Loop: Header=BB174_35 Depth=1
	s_or_b64 exec, exec, s[28:29]
	s_and_saveexec_b64 s[0:1], vcc
	s_cbranch_execz .LBB174_34
; %bb.62:                               ;   in Loop: Header=BB174_35 Depth=1
	v_cmp_eq_u32_e32 vcc, 1, v18
	s_nop 1
	v_cndmask_b32_e32 v15, v0, v1, vcc
	v_cmp_eq_u32_e32 vcc, 2, v18
	s_nop 1
	v_cndmask_b32_e32 v15, v15, v2, vcc
	;; [unrolled: 3-line block ×13, first 2 shown]
	v_mul_f32_e32 v35, v20, v15
	v_ashrrev_i32_e32 v15, 31, v14
	s_waitcnt lgkmcnt(0)
	v_lshl_add_u64 v[18:19], v[14:15], 2, s[26:27]
	global_store_dword v[18:19], v35, off
	s_branch .LBB174_34
.LBB174_63:
	s_endpgm
	.section	.rodata,"a",@progbits
	.p2align	6, 0x0
	.amdhsa_kernel _ZN4vllm3moe22topkGatingSoftplusSqrtILi14ELi448ELi4ELi4ELi32ELb1ElfEEvPKT6_PKbPfiPT5_PiiiibdPKfPKS8_SE_
		.amdhsa_group_segment_fixed_size 0
		.amdhsa_private_segment_fixed_size 0
		.amdhsa_kernarg_size 96
		.amdhsa_user_sgpr_count 2
		.amdhsa_user_sgpr_dispatch_ptr 0
		.amdhsa_user_sgpr_queue_ptr 0
		.amdhsa_user_sgpr_kernarg_segment_ptr 1
		.amdhsa_user_sgpr_dispatch_id 0
		.amdhsa_user_sgpr_kernarg_preload_length 0
		.amdhsa_user_sgpr_kernarg_preload_offset 0
		.amdhsa_user_sgpr_private_segment_size 0
		.amdhsa_uses_dynamic_stack 0
		.amdhsa_enable_private_segment 0
		.amdhsa_system_sgpr_workgroup_id_x 1
		.amdhsa_system_sgpr_workgroup_id_y 0
		.amdhsa_system_sgpr_workgroup_id_z 0
		.amdhsa_system_sgpr_workgroup_info 0
		.amdhsa_system_vgpr_workitem_id 1
		.amdhsa_next_free_vgpr 36
		.amdhsa_next_free_sgpr 58
		.amdhsa_accum_offset 36
		.amdhsa_reserve_vcc 1
		.amdhsa_float_round_mode_32 0
		.amdhsa_float_round_mode_16_64 0
		.amdhsa_float_denorm_mode_32 3
		.amdhsa_float_denorm_mode_16_64 3
		.amdhsa_dx10_clamp 1
		.amdhsa_ieee_mode 1
		.amdhsa_fp16_overflow 0
		.amdhsa_tg_split 0
		.amdhsa_exception_fp_ieee_invalid_op 0
		.amdhsa_exception_fp_denorm_src 0
		.amdhsa_exception_fp_ieee_div_zero 0
		.amdhsa_exception_fp_ieee_overflow 0
		.amdhsa_exception_fp_ieee_underflow 0
		.amdhsa_exception_fp_ieee_inexact 0
		.amdhsa_exception_int_div_zero 0
	.end_amdhsa_kernel
	.section	.text._ZN4vllm3moe22topkGatingSoftplusSqrtILi14ELi448ELi4ELi4ELi32ELb1ElfEEvPKT6_PKbPfiPT5_PiiiibdPKfPKS8_SE_,"axG",@progbits,_ZN4vllm3moe22topkGatingSoftplusSqrtILi14ELi448ELi4ELi4ELi32ELb1ElfEEvPKT6_PKbPfiPT5_PiiiibdPKfPKS8_SE_,comdat
.Lfunc_end174:
	.size	_ZN4vllm3moe22topkGatingSoftplusSqrtILi14ELi448ELi4ELi4ELi32ELb1ElfEEvPKT6_PKbPfiPT5_PiiiibdPKfPKS8_SE_, .Lfunc_end174-_ZN4vllm3moe22topkGatingSoftplusSqrtILi14ELi448ELi4ELi4ELi32ELb1ElfEEvPKT6_PKbPfiPT5_PiiiibdPKfPKS8_SE_
                                        ; -- End function
	.section	.AMDGPU.csdata,"",@progbits
; Kernel info:
; codeLenInByte = 5628
; NumSgprs: 64
; NumVgprs: 36
; NumAgprs: 0
; TotalNumVgprs: 36
; ScratchSize: 0
; MemoryBound: 0
; FloatMode: 240
; IeeeMode: 1
; LDSByteSize: 0 bytes/workgroup (compile time only)
; SGPRBlocks: 7
; VGPRBlocks: 4
; NumSGPRsForWavesPerEU: 64
; NumVGPRsForWavesPerEU: 36
; AccumOffset: 36
; Occupancy: 8
; WaveLimiterHint : 1
; COMPUTE_PGM_RSRC2:SCRATCH_EN: 0
; COMPUTE_PGM_RSRC2:USER_SGPR: 2
; COMPUTE_PGM_RSRC2:TRAP_HANDLER: 0
; COMPUTE_PGM_RSRC2:TGID_X_EN: 1
; COMPUTE_PGM_RSRC2:TGID_Y_EN: 0
; COMPUTE_PGM_RSRC2:TGID_Z_EN: 0
; COMPUTE_PGM_RSRC2:TIDIG_COMP_CNT: 1
; COMPUTE_PGM_RSRC3_GFX90A:ACCUM_OFFSET: 8
; COMPUTE_PGM_RSRC3_GFX90A:TG_SPLIT: 0
	.section	.text._ZN4vllm3moe22topkGatingSoftplusSqrtILi14ELi448ELi4ELi4ELi32ELb0ElfEEvPKT6_PKbPfiPT5_PiiiibdPKfPKS8_SE_,"axG",@progbits,_ZN4vllm3moe22topkGatingSoftplusSqrtILi14ELi448ELi4ELi4ELi32ELb0ElfEEvPKT6_PKbPfiPT5_PiiiibdPKfPKS8_SE_,comdat
	.protected	_ZN4vllm3moe22topkGatingSoftplusSqrtILi14ELi448ELi4ELi4ELi32ELb0ElfEEvPKT6_PKbPfiPT5_PiiiibdPKfPKS8_SE_ ; -- Begin function _ZN4vllm3moe22topkGatingSoftplusSqrtILi14ELi448ELi4ELi4ELi32ELb0ElfEEvPKT6_PKbPfiPT5_PiiiibdPKfPKS8_SE_
	.globl	_ZN4vllm3moe22topkGatingSoftplusSqrtILi14ELi448ELi4ELi4ELi32ELb0ElfEEvPKT6_PKbPfiPT5_PiiiibdPKfPKS8_SE_
	.p2align	8
	.type	_ZN4vllm3moe22topkGatingSoftplusSqrtILi14ELi448ELi4ELi4ELi32ELb0ElfEEvPKT6_PKbPfiPT5_PiiiibdPKfPKS8_SE_,@function
_ZN4vllm3moe22topkGatingSoftplusSqrtILi14ELi448ELi4ELi4ELi32ELb0ElfEEvPKT6_PKbPfiPT5_PiiiibdPKfPKS8_SE_: ; @_ZN4vllm3moe22topkGatingSoftplusSqrtILi14ELi448ELi4ELi4ELi32ELb0ElfEEvPKT6_PKbPfiPT5_PiiiibdPKfPKS8_SE_
; %bb.0:
	s_load_dword s30, s[0:1], 0x18
	v_and_b32_e32 v1, 0x3ff, v0
	s_lshl_b32 s2, s2, 2
	v_lshrrev_b32_e32 v2, 5, v1
	v_bfe_u32 v0, v0, 10, 10
	v_add3_u32 v14, s2, v0, v2
	s_waitcnt lgkmcnt(0)
	v_cmp_gt_i32_e32 vcc, s30, v14
	s_and_saveexec_b64 s[2:3], vcc
	s_cbranch_execz .LBB175_73
; %bb.1:
	s_load_dwordx4 s[4:7], s[0:1], 0x0
	s_load_dwordx2 s[20:21], s[0:1], 0x10
	s_waitcnt lgkmcnt(0)
	s_cmp_eq_u64 s[6:7], 0
	s_cbranch_scc1 .LBB175_3
; %bb.2:
	v_ashrrev_i32_e32 v15, 31, v14
	v_lshl_add_u64 v[2:3], s[6:7], 0, v[14:15]
	global_load_ubyte v0, v[2:3], off
	s_waitcnt vmcnt(0)
	v_and_b32_e32 v0, 1, v0
	v_cmp_eq_u32_e32 vcc, 1, v0
	s_xor_b64 s[2:3], vcc, -1
	s_orn2_b64 s[22:23], s[2:3], exec
	s_branch .LBB175_4
.LBB175_3:
	s_mov_b64 s[22:23], -1
.LBB175_4:
	s_movk_i32 s2, 0x1c0
	v_mul_lo_u32 v4, v14, s2
	v_mov_b32_e32 v2, s4
	v_mov_b32_e32 v3, s5
	v_ashrrev_i32_e32 v5, 31, v4
	v_and_b32_e32 v16, 31, v1
	v_lshl_add_u64 v[2:3], v[4:5], 2, v[2:3]
	v_mov_b32_e32 v19, 0
	v_lshlrev_b32_e32 v18, 2, v16
	v_lshl_add_u64 v[20:21], v[2:3], 0, v[18:19]
	global_load_dword v0, v[20:21], off
	global_load_dword v1, v[20:21], off offset:128
	global_load_dword v2, v[20:21], off offset:256
	;; [unrolled: 1-line block ×13, first 2 shown]
	s_mov_b32 s16, 0x800000
	v_mov_b32_e32 v19, 0x4f800000
	s_mov_b32 s13, 0x3f317217
	s_mov_b32 s14, 0x7f800000
	v_mov_b32_e32 v17, 0x41b17218
	s_mov_b32 s12, 0x41a00000
	s_mov_b32 s15, 0xf800000
	s_load_dwordx4 s[8:11], s[0:1], 0x40
	s_waitcnt lgkmcnt(0)
	s_cmp_lg_u64 s[10:11], 0
	s_cselect_b64 s[6:7], -1, 0
	s_and_b64 s[2:3], exec, s[6:7]
	s_waitcnt vmcnt(13)
	v_mul_f32_e32 v15, 0x3fb8aa3b, v0
	v_exp_f32_e32 v15, v15
	s_nop 0
	v_add_f32_e32 v15, 1.0, v15
	v_cmp_gt_f32_e32 vcc, s16, v15
	s_nop 1
	v_cndmask_b32_e32 v20, 1.0, v19, vcc
	v_mul_f32_e32 v15, v15, v20
	v_log_f32_e32 v20, v15
	v_cndmask_b32_e32 v21, 0, v17, vcc
	v_mov_b32_e32 v15, 0x260
	v_mul_f32_e32 v22, 0x3f317217, v20
	v_fma_f32 v22, v20, s13, -v22
	v_fmac_f32_e32 v22, 0x3377d1cf, v20
	v_fmac_f32_e32 v22, 0x3f317217, v20
	v_cmp_lt_f32_e64 vcc, |v20|, s14
	s_nop 1
	v_cndmask_b32_e32 v20, v20, v22, vcc
	v_sub_f32_e32 v20, v20, v21
	v_cmp_lt_f32_e32 vcc, s12, v0
	s_nop 1
	v_cndmask_b32_e32 v0, v20, v0, vcc
	v_mul_f32_e32 v20, 0x4f800000, v0
	v_cmp_gt_f32_e32 vcc, s15, v0
	s_nop 1
	v_cndmask_b32_e32 v0, v0, v20, vcc
	v_sqrt_f32_e32 v20, v0
	s_nop 0
	v_add_u32_e32 v21, -1, v20
	v_add_u32_e32 v22, 1, v20
	v_fma_f32 v23, -v21, v20, v0
	v_fma_f32 v24, -v22, v20, v0
	v_cmp_ge_f32_e64 s[4:5], 0, v23
	s_nop 1
	v_cndmask_b32_e64 v20, v20, v21, s[4:5]
	v_cmp_lt_f32_e64 s[4:5], 0, v24
	s_nop 1
	v_cndmask_b32_e64 v20, v20, v22, s[4:5]
	v_mul_f32_e32 v21, 0x37800000, v20
	v_cndmask_b32_e32 v20, v20, v21, vcc
	v_cmp_class_f32_e32 vcc, v0, v15
	s_nop 1
	v_cndmask_b32_e32 v0, v20, v0, vcc
	s_mov_b64 vcc, s[2:3]
	s_cbranch_vccz .LBB175_6
; %bb.5:
	global_load_dword v20, v18, s[10:11]
	s_waitcnt vmcnt(0)
	v_add_f32_e32 v0, v0, v20
.LBB175_6:
	s_waitcnt vmcnt(12)
	v_mul_f32_e32 v20, 0x3fb8aa3b, v1
	v_exp_f32_e32 v20, v20
	s_nop 0
	v_add_f32_e32 v20, 1.0, v20
	v_cmp_gt_f32_e32 vcc, s16, v20
	s_nop 1
	v_cndmask_b32_e32 v19, 1.0, v19, vcc
	v_mul_f32_e32 v19, v20, v19
	v_log_f32_e32 v19, v19
	v_cndmask_b32_e32 v17, 0, v17, vcc
	v_mul_f32_e32 v20, 0x3f317217, v19
	v_fma_f32 v20, v19, s13, -v20
	v_fmac_f32_e32 v20, 0x3377d1cf, v19
	v_fmac_f32_e32 v20, 0x3f317217, v19
	v_cmp_lt_f32_e64 vcc, |v19|, s14
	s_nop 1
	v_cndmask_b32_e32 v19, v19, v20, vcc
	v_sub_f32_e32 v17, v19, v17
	v_cmp_lt_f32_e32 vcc, s12, v1
	s_nop 1
	v_cndmask_b32_e32 v1, v17, v1, vcc
	v_mul_f32_e32 v17, 0x4f800000, v1
	v_cmp_gt_f32_e32 vcc, s15, v1
	s_nop 1
	v_cndmask_b32_e32 v1, v1, v17, vcc
	v_sqrt_f32_e32 v17, v1
	v_cmp_class_f32_e64 s[4:5], v1, v15
	v_add_u32_e32 v19, -1, v17
	v_add_u32_e32 v20, 1, v17
	v_fma_f32 v21, -v19, v17, v1
	v_fma_f32 v22, -v20, v17, v1
	v_cmp_ge_f32_e64 s[2:3], 0, v21
	s_nop 1
	v_cndmask_b32_e64 v17, v17, v19, s[2:3]
	v_cmp_lt_f32_e64 s[2:3], 0, v22
	s_nop 1
	v_cndmask_b32_e64 v17, v17, v20, s[2:3]
	v_mul_f32_e32 v19, 0x37800000, v17
	v_cndmask_b32_e32 v17, v17, v19, vcc
	v_cndmask_b32_e64 v19, 0, 1, s[6:7]
	v_cmp_ne_u32_e64 s[2:3], 1, v19
	s_andn2_b64 vcc, exec, s[6:7]
	v_cndmask_b32_e64 v1, v17, v1, s[4:5]
	s_cbranch_vccnz .LBB175_8
; %bb.7:
	global_load_dword v15, v18, s[10:11] offset:128
	s_waitcnt vmcnt(0)
	v_add_f32_e32 v1, v1, v15
.LBB175_8:
	s_waitcnt vmcnt(11)
	v_mul_f32_e32 v15, 0x3fb8aa3b, v2
	v_exp_f32_e32 v15, v15
	s_mov_b32 s14, 0x800000
	v_mov_b32_e32 v17, 0x4f800000
	s_mov_b32 s7, 0x3f317217
	v_add_f32_e32 v15, 1.0, v15
	v_cmp_gt_f32_e32 vcc, s14, v15
	s_mov_b32 s12, 0x7f800000
	s_mov_b32 s6, 0x41a00000
	v_cndmask_b32_e32 v19, 1.0, v17, vcc
	v_mul_f32_e32 v15, v15, v19
	v_log_f32_e32 v15, v15
	s_mov_b32 s13, 0xf800000
	v_mul_f32_e32 v19, 0x3f317217, v15
	v_fma_f32 v19, v15, s7, -v19
	v_fmac_f32_e32 v19, 0x3377d1cf, v15
	v_fmac_f32_e32 v19, 0x3f317217, v15
	v_cmp_lt_f32_e64 s[4:5], |v15|, s12
	s_nop 1
	v_cndmask_b32_e64 v15, v15, v19, s[4:5]
	v_mov_b32_e32 v19, 0x41b17218
	v_cndmask_b32_e32 v20, 0, v19, vcc
	v_sub_f32_e32 v15, v15, v20
	v_cmp_lt_f32_e32 vcc, s6, v2
	s_nop 1
	v_cndmask_b32_e32 v2, v15, v2, vcc
	v_mul_f32_e32 v15, 0x4f800000, v2
	v_cmp_gt_f32_e32 vcc, s13, v2
	s_nop 1
	v_cndmask_b32_e32 v2, v2, v15, vcc
	v_sqrt_f32_e32 v15, v2
	s_nop 0
	v_add_u32_e32 v20, -1, v15
	v_fma_f32 v21, -v20, v15, v2
	v_cmp_ge_f32_e64 s[4:5], 0, v21
	v_add_u32_e32 v21, 1, v15
	s_nop 0
	v_cndmask_b32_e64 v20, v15, v20, s[4:5]
	v_fma_f32 v15, -v21, v15, v2
	v_cmp_lt_f32_e64 s[4:5], 0, v15
	s_nop 1
	v_cndmask_b32_e64 v15, v20, v21, s[4:5]
	v_mul_f32_e32 v20, 0x37800000, v15
	v_cndmask_b32_e32 v20, v15, v20, vcc
	v_mov_b32_e32 v15, 0x260
	v_cmp_class_f32_e64 s[4:5], v2, v15
	s_and_b64 vcc, exec, s[2:3]
	s_nop 0
	v_cndmask_b32_e64 v2, v20, v2, s[4:5]
	s_cbranch_vccnz .LBB175_10
; %bb.9:
	global_load_dword v20, v18, s[10:11] offset:256
	s_waitcnt vmcnt(0)
	v_add_f32_e32 v2, v2, v20
.LBB175_10:
	s_waitcnt vmcnt(10)
	v_mul_f32_e32 v20, 0x3fb8aa3b, v3
	v_exp_f32_e32 v20, v20
	s_nop 0
	v_add_f32_e32 v20, 1.0, v20
	v_cmp_gt_f32_e32 vcc, s14, v20
	s_nop 1
	v_cndmask_b32_e32 v17, 1.0, v17, vcc
	v_mul_f32_e32 v17, v20, v17
	v_log_f32_e32 v17, v17
	v_cndmask_b32_e32 v19, 0, v19, vcc
	v_mul_f32_e32 v20, 0x3f317217, v17
	v_fma_f32 v20, v17, s7, -v20
	v_fmac_f32_e32 v20, 0x3377d1cf, v17
	v_fmac_f32_e32 v20, 0x3f317217, v17
	v_cmp_lt_f32_e64 vcc, |v17|, s12
	s_nop 1
	v_cndmask_b32_e32 v17, v17, v20, vcc
	v_sub_f32_e32 v17, v17, v19
	v_cmp_lt_f32_e32 vcc, s6, v3
	s_nop 1
	v_cndmask_b32_e32 v3, v17, v3, vcc
	v_mul_f32_e32 v17, 0x4f800000, v3
	v_cmp_gt_f32_e32 vcc, s13, v3
	s_nop 1
	v_cndmask_b32_e32 v3, v3, v17, vcc
	v_sqrt_f32_e32 v17, v3
	s_nop 0
	v_add_u32_e32 v19, -1, v17
	v_add_u32_e32 v20, 1, v17
	v_fma_f32 v21, -v19, v17, v3
	v_fma_f32 v22, -v20, v17, v3
	v_cmp_ge_f32_e64 s[4:5], 0, v21
	s_nop 1
	v_cndmask_b32_e64 v17, v17, v19, s[4:5]
	v_cmp_lt_f32_e64 s[4:5], 0, v22
	s_nop 1
	v_cndmask_b32_e64 v17, v17, v20, s[4:5]
	v_mul_f32_e32 v19, 0x37800000, v17
	v_cndmask_b32_e32 v17, v17, v19, vcc
	v_cmp_class_f32_e64 s[4:5], v3, v15
	s_and_b64 vcc, exec, s[2:3]
	s_nop 0
	v_cndmask_b32_e64 v3, v17, v3, s[4:5]
	s_cbranch_vccnz .LBB175_12
; %bb.11:
	global_load_dword v15, v18, s[10:11] offset:384
	s_waitcnt vmcnt(0)
	v_add_f32_e32 v3, v3, v15
.LBB175_12:
	s_waitcnt vmcnt(9)
	v_mul_f32_e32 v15, 0x3fb8aa3b, v4
	v_exp_f32_e32 v15, v15
	v_mov_b32_e32 v17, 0x4f800000
	v_add_f32_e32 v15, 1.0, v15
	v_cmp_gt_f32_e32 vcc, s14, v15
	s_nop 1
	v_cndmask_b32_e32 v19, 1.0, v17, vcc
	v_mul_f32_e32 v15, v15, v19
	v_log_f32_e32 v15, v15
	s_nop 0
	v_mul_f32_e32 v19, 0x3f317217, v15
	v_fma_f32 v19, v15, s7, -v19
	v_fmac_f32_e32 v19, 0x3377d1cf, v15
	v_fmac_f32_e32 v19, 0x3f317217, v15
	v_cmp_lt_f32_e64 s[4:5], |v15|, s12
	s_nop 1
	v_cndmask_b32_e64 v15, v15, v19, s[4:5]
	v_mov_b32_e32 v19, 0x41b17218
	v_cndmask_b32_e32 v20, 0, v19, vcc
	v_sub_f32_e32 v15, v15, v20
	v_cmp_lt_f32_e32 vcc, s6, v4
	s_nop 1
	v_cndmask_b32_e32 v4, v15, v4, vcc
	v_mul_f32_e32 v15, 0x4f800000, v4
	v_cmp_gt_f32_e32 vcc, s13, v4
	s_nop 1
	v_cndmask_b32_e32 v4, v4, v15, vcc
	v_sqrt_f32_e32 v15, v4
	s_nop 0
	v_add_u32_e32 v20, -1, v15
	v_fma_f32 v21, -v20, v15, v4
	v_cmp_ge_f32_e64 s[4:5], 0, v21
	v_add_u32_e32 v21, 1, v15
	s_nop 0
	v_cndmask_b32_e64 v20, v15, v20, s[4:5]
	v_fma_f32 v15, -v21, v15, v4
	v_cmp_lt_f32_e64 s[4:5], 0, v15
	s_nop 1
	v_cndmask_b32_e64 v15, v20, v21, s[4:5]
	v_mul_f32_e32 v20, 0x37800000, v15
	v_cndmask_b32_e32 v20, v15, v20, vcc
	v_mov_b32_e32 v15, 0x260
	v_cmp_class_f32_e64 s[4:5], v4, v15
	s_and_b64 vcc, exec, s[2:3]
	s_nop 0
	v_cndmask_b32_e64 v4, v20, v4, s[4:5]
	s_cbranch_vccnz .LBB175_14
; %bb.13:
	global_load_dword v20, v18, s[10:11] offset:512
	s_waitcnt vmcnt(0)
	v_add_f32_e32 v4, v4, v20
.LBB175_14:
	s_waitcnt vmcnt(8)
	v_mul_f32_e32 v20, 0x3fb8aa3b, v5
	v_exp_f32_e32 v20, v20
	s_nop 0
	v_add_f32_e32 v20, 1.0, v20
	v_cmp_gt_f32_e32 vcc, s14, v20
	s_nop 1
	v_cndmask_b32_e32 v17, 1.0, v17, vcc
	v_mul_f32_e32 v17, v20, v17
	v_log_f32_e32 v17, v17
	v_cndmask_b32_e32 v19, 0, v19, vcc
	v_mul_f32_e32 v20, 0x3f317217, v17
	v_fma_f32 v20, v17, s7, -v20
	v_fmac_f32_e32 v20, 0x3377d1cf, v17
	v_fmac_f32_e32 v20, 0x3f317217, v17
	v_cmp_lt_f32_e64 vcc, |v17|, s12
	s_nop 1
	v_cndmask_b32_e32 v17, v17, v20, vcc
	v_sub_f32_e32 v17, v17, v19
	v_cmp_lt_f32_e32 vcc, s6, v5
	s_nop 1
	v_cndmask_b32_e32 v5, v17, v5, vcc
	v_mul_f32_e32 v17, 0x4f800000, v5
	v_cmp_gt_f32_e32 vcc, s13, v5
	s_nop 1
	v_cndmask_b32_e32 v5, v5, v17, vcc
	v_sqrt_f32_e32 v17, v5
	s_nop 0
	v_add_u32_e32 v19, -1, v17
	v_add_u32_e32 v20, 1, v17
	v_fma_f32 v21, -v19, v17, v5
	v_fma_f32 v22, -v20, v17, v5
	v_cmp_ge_f32_e64 s[4:5], 0, v21
	s_nop 1
	v_cndmask_b32_e64 v17, v17, v19, s[4:5]
	v_cmp_lt_f32_e64 s[4:5], 0, v22
	s_nop 1
	v_cndmask_b32_e64 v17, v17, v20, s[4:5]
	v_mul_f32_e32 v19, 0x37800000, v17
	v_cndmask_b32_e32 v17, v17, v19, vcc
	v_cmp_class_f32_e64 s[4:5], v5, v15
	s_and_b64 vcc, exec, s[2:3]
	s_nop 0
	v_cndmask_b32_e64 v5, v17, v5, s[4:5]
	s_cbranch_vccnz .LBB175_16
; %bb.15:
	global_load_dword v15, v18, s[10:11] offset:640
	s_waitcnt vmcnt(0)
	v_add_f32_e32 v5, v5, v15
.LBB175_16:
	s_waitcnt vmcnt(7)
	v_mul_f32_e32 v15, 0x3fb8aa3b, v6
	v_exp_f32_e32 v15, v15
	v_mov_b32_e32 v17, 0x4f800000
	v_add_f32_e32 v15, 1.0, v15
	v_cmp_gt_f32_e32 vcc, s14, v15
	s_nop 1
	v_cndmask_b32_e32 v19, 1.0, v17, vcc
	v_mul_f32_e32 v15, v15, v19
	v_log_f32_e32 v15, v15
	s_nop 0
	v_mul_f32_e32 v19, 0x3f317217, v15
	v_fma_f32 v19, v15, s7, -v19
	v_fmac_f32_e32 v19, 0x3377d1cf, v15
	v_fmac_f32_e32 v19, 0x3f317217, v15
	v_cmp_lt_f32_e64 s[4:5], |v15|, s12
	s_nop 1
	v_cndmask_b32_e64 v15, v15, v19, s[4:5]
	v_mov_b32_e32 v19, 0x41b17218
	v_cndmask_b32_e32 v20, 0, v19, vcc
	v_sub_f32_e32 v15, v15, v20
	v_cmp_lt_f32_e32 vcc, s6, v6
	s_nop 1
	v_cndmask_b32_e32 v6, v15, v6, vcc
	v_mul_f32_e32 v15, 0x4f800000, v6
	v_cmp_gt_f32_e32 vcc, s13, v6
	s_nop 1
	v_cndmask_b32_e32 v6, v6, v15, vcc
	v_sqrt_f32_e32 v15, v6
	s_nop 0
	v_add_u32_e32 v20, -1, v15
	v_fma_f32 v21, -v20, v15, v6
	v_cmp_ge_f32_e64 s[4:5], 0, v21
	v_add_u32_e32 v21, 1, v15
	s_nop 0
	v_cndmask_b32_e64 v20, v15, v20, s[4:5]
	v_fma_f32 v15, -v21, v15, v6
	v_cmp_lt_f32_e64 s[4:5], 0, v15
	s_nop 1
	v_cndmask_b32_e64 v15, v20, v21, s[4:5]
	v_mul_f32_e32 v20, 0x37800000, v15
	v_cndmask_b32_e32 v20, v15, v20, vcc
	v_mov_b32_e32 v15, 0x260
	v_cmp_class_f32_e64 s[4:5], v6, v15
	s_and_b64 vcc, exec, s[2:3]
	s_nop 0
	v_cndmask_b32_e64 v6, v20, v6, s[4:5]
	s_cbranch_vccnz .LBB175_18
; %bb.17:
	global_load_dword v20, v18, s[10:11] offset:768
	s_waitcnt vmcnt(0)
	v_add_f32_e32 v6, v6, v20
.LBB175_18:
	s_waitcnt vmcnt(6)
	v_mul_f32_e32 v20, 0x3fb8aa3b, v7
	v_exp_f32_e32 v20, v20
	s_nop 0
	v_add_f32_e32 v20, 1.0, v20
	v_cmp_gt_f32_e32 vcc, s14, v20
	s_nop 1
	v_cndmask_b32_e32 v17, 1.0, v17, vcc
	v_mul_f32_e32 v17, v20, v17
	v_log_f32_e32 v17, v17
	v_cndmask_b32_e32 v19, 0, v19, vcc
	v_mul_f32_e32 v20, 0x3f317217, v17
	v_fma_f32 v20, v17, s7, -v20
	v_fmac_f32_e32 v20, 0x3377d1cf, v17
	v_fmac_f32_e32 v20, 0x3f317217, v17
	v_cmp_lt_f32_e64 vcc, |v17|, s12
	s_nop 1
	v_cndmask_b32_e32 v17, v17, v20, vcc
	v_sub_f32_e32 v17, v17, v19
	v_cmp_lt_f32_e32 vcc, s6, v7
	s_nop 1
	v_cndmask_b32_e32 v7, v17, v7, vcc
	v_mul_f32_e32 v17, 0x4f800000, v7
	v_cmp_gt_f32_e32 vcc, s13, v7
	s_nop 1
	v_cndmask_b32_e32 v7, v7, v17, vcc
	v_sqrt_f32_e32 v17, v7
	s_nop 0
	v_add_u32_e32 v19, -1, v17
	v_add_u32_e32 v20, 1, v17
	v_fma_f32 v21, -v19, v17, v7
	v_fma_f32 v22, -v20, v17, v7
	v_cmp_ge_f32_e64 s[4:5], 0, v21
	s_nop 1
	v_cndmask_b32_e64 v17, v17, v19, s[4:5]
	v_cmp_lt_f32_e64 s[4:5], 0, v22
	s_nop 1
	v_cndmask_b32_e64 v17, v17, v20, s[4:5]
	v_mul_f32_e32 v19, 0x37800000, v17
	v_cndmask_b32_e32 v17, v17, v19, vcc
	v_cmp_class_f32_e64 s[4:5], v7, v15
	s_and_b64 vcc, exec, s[2:3]
	s_nop 0
	v_cndmask_b32_e64 v7, v17, v7, s[4:5]
	s_cbranch_vccnz .LBB175_20
; %bb.19:
	global_load_dword v15, v18, s[10:11] offset:896
	s_waitcnt vmcnt(0)
	v_add_f32_e32 v7, v7, v15
.LBB175_20:
	s_waitcnt vmcnt(5)
	v_mul_f32_e32 v15, 0x3fb8aa3b, v8
	v_exp_f32_e32 v15, v15
	v_mov_b32_e32 v17, 0x4f800000
	v_add_f32_e32 v15, 1.0, v15
	v_cmp_gt_f32_e32 vcc, s14, v15
	s_nop 1
	v_cndmask_b32_e32 v19, 1.0, v17, vcc
	v_mul_f32_e32 v15, v15, v19
	v_log_f32_e32 v15, v15
	s_nop 0
	v_mul_f32_e32 v19, 0x3f317217, v15
	v_fma_f32 v19, v15, s7, -v19
	v_fmac_f32_e32 v19, 0x3377d1cf, v15
	v_fmac_f32_e32 v19, 0x3f317217, v15
	v_cmp_lt_f32_e64 s[4:5], |v15|, s12
	s_nop 1
	v_cndmask_b32_e64 v15, v15, v19, s[4:5]
	v_mov_b32_e32 v19, 0x41b17218
	v_cndmask_b32_e32 v20, 0, v19, vcc
	v_sub_f32_e32 v15, v15, v20
	v_cmp_lt_f32_e32 vcc, s6, v8
	s_nop 1
	v_cndmask_b32_e32 v8, v15, v8, vcc
	v_mul_f32_e32 v15, 0x4f800000, v8
	v_cmp_gt_f32_e32 vcc, s13, v8
	s_nop 1
	v_cndmask_b32_e32 v8, v8, v15, vcc
	v_sqrt_f32_e32 v15, v8
	s_nop 0
	v_add_u32_e32 v20, -1, v15
	v_fma_f32 v21, -v20, v15, v8
	v_cmp_ge_f32_e64 s[4:5], 0, v21
	v_add_u32_e32 v21, 1, v15
	s_nop 0
	v_cndmask_b32_e64 v20, v15, v20, s[4:5]
	v_fma_f32 v15, -v21, v15, v8
	v_cmp_lt_f32_e64 s[4:5], 0, v15
	s_nop 1
	v_cndmask_b32_e64 v15, v20, v21, s[4:5]
	v_mul_f32_e32 v20, 0x37800000, v15
	v_cndmask_b32_e32 v20, v15, v20, vcc
	v_mov_b32_e32 v15, 0x260
	v_cmp_class_f32_e64 s[4:5], v8, v15
	s_and_b64 vcc, exec, s[2:3]
	s_nop 0
	v_cndmask_b32_e64 v8, v20, v8, s[4:5]
	s_cbranch_vccnz .LBB175_22
; %bb.21:
	global_load_dword v20, v18, s[10:11] offset:1024
	s_waitcnt vmcnt(0)
	v_add_f32_e32 v8, v8, v20
.LBB175_22:
	s_waitcnt vmcnt(4)
	v_mul_f32_e32 v20, 0x3fb8aa3b, v9
	v_exp_f32_e32 v20, v20
	s_nop 0
	v_add_f32_e32 v20, 1.0, v20
	v_cmp_gt_f32_e32 vcc, s14, v20
	s_nop 1
	v_cndmask_b32_e32 v17, 1.0, v17, vcc
	v_mul_f32_e32 v17, v20, v17
	v_log_f32_e32 v17, v17
	v_cndmask_b32_e32 v19, 0, v19, vcc
	v_mul_f32_e32 v20, 0x3f317217, v17
	v_fma_f32 v20, v17, s7, -v20
	v_fmac_f32_e32 v20, 0x3377d1cf, v17
	v_fmac_f32_e32 v20, 0x3f317217, v17
	v_cmp_lt_f32_e64 vcc, |v17|, s12
	s_nop 1
	v_cndmask_b32_e32 v17, v17, v20, vcc
	v_sub_f32_e32 v17, v17, v19
	v_cmp_lt_f32_e32 vcc, s6, v9
	s_nop 1
	v_cndmask_b32_e32 v9, v17, v9, vcc
	v_mul_f32_e32 v17, 0x4f800000, v9
	v_cmp_gt_f32_e32 vcc, s13, v9
	s_nop 1
	v_cndmask_b32_e32 v9, v9, v17, vcc
	v_sqrt_f32_e32 v17, v9
	s_nop 0
	v_add_u32_e32 v19, -1, v17
	v_add_u32_e32 v20, 1, v17
	v_fma_f32 v21, -v19, v17, v9
	v_fma_f32 v22, -v20, v17, v9
	v_cmp_ge_f32_e64 s[4:5], 0, v21
	s_nop 1
	v_cndmask_b32_e64 v17, v17, v19, s[4:5]
	v_cmp_lt_f32_e64 s[4:5], 0, v22
	s_nop 1
	v_cndmask_b32_e64 v17, v17, v20, s[4:5]
	v_mul_f32_e32 v19, 0x37800000, v17
	v_cndmask_b32_e32 v17, v17, v19, vcc
	v_cmp_class_f32_e64 s[4:5], v9, v15
	s_and_b64 vcc, exec, s[2:3]
	s_nop 0
	v_cndmask_b32_e64 v9, v17, v9, s[4:5]
	s_cbranch_vccnz .LBB175_24
; %bb.23:
	global_load_dword v15, v18, s[10:11] offset:1152
	s_waitcnt vmcnt(0)
	v_add_f32_e32 v9, v9, v15
.LBB175_24:
	s_waitcnt vmcnt(3)
	v_mul_f32_e32 v15, 0x3fb8aa3b, v10
	v_exp_f32_e32 v15, v15
	v_mov_b32_e32 v17, 0x4f800000
	v_add_f32_e32 v15, 1.0, v15
	v_cmp_gt_f32_e32 vcc, s14, v15
	s_nop 1
	v_cndmask_b32_e32 v19, 1.0, v17, vcc
	v_mul_f32_e32 v15, v15, v19
	v_log_f32_e32 v15, v15
	s_nop 0
	v_mul_f32_e32 v19, 0x3f317217, v15
	v_fma_f32 v19, v15, s7, -v19
	v_fmac_f32_e32 v19, 0x3377d1cf, v15
	v_fmac_f32_e32 v19, 0x3f317217, v15
	v_cmp_lt_f32_e64 s[4:5], |v15|, s12
	s_nop 1
	v_cndmask_b32_e64 v15, v15, v19, s[4:5]
	v_mov_b32_e32 v19, 0x41b17218
	v_cndmask_b32_e32 v20, 0, v19, vcc
	v_sub_f32_e32 v15, v15, v20
	v_cmp_lt_f32_e32 vcc, s6, v10
	s_nop 1
	v_cndmask_b32_e32 v10, v15, v10, vcc
	v_mul_f32_e32 v15, 0x4f800000, v10
	v_cmp_gt_f32_e32 vcc, s13, v10
	s_nop 1
	v_cndmask_b32_e32 v10, v10, v15, vcc
	v_sqrt_f32_e32 v15, v10
	s_nop 0
	v_add_u32_e32 v20, -1, v15
	v_fma_f32 v21, -v20, v15, v10
	v_cmp_ge_f32_e64 s[4:5], 0, v21
	v_add_u32_e32 v21, 1, v15
	s_nop 0
	v_cndmask_b32_e64 v20, v15, v20, s[4:5]
	v_fma_f32 v15, -v21, v15, v10
	v_cmp_lt_f32_e64 s[4:5], 0, v15
	s_nop 1
	v_cndmask_b32_e64 v15, v20, v21, s[4:5]
	v_mul_f32_e32 v20, 0x37800000, v15
	v_cndmask_b32_e32 v20, v15, v20, vcc
	v_mov_b32_e32 v15, 0x260
	v_cmp_class_f32_e64 s[4:5], v10, v15
	s_and_b64 vcc, exec, s[2:3]
	s_nop 0
	v_cndmask_b32_e64 v10, v20, v10, s[4:5]
	s_cbranch_vccnz .LBB175_26
; %bb.25:
	global_load_dword v20, v18, s[10:11] offset:1280
	s_waitcnt vmcnt(0)
	v_add_f32_e32 v10, v10, v20
.LBB175_26:
	s_waitcnt vmcnt(2)
	v_mul_f32_e32 v20, 0x3fb8aa3b, v11
	v_exp_f32_e32 v20, v20
	s_nop 0
	v_add_f32_e32 v20, 1.0, v20
	v_cmp_gt_f32_e32 vcc, s14, v20
	s_nop 1
	v_cndmask_b32_e32 v17, 1.0, v17, vcc
	v_mul_f32_e32 v17, v20, v17
	v_log_f32_e32 v17, v17
	v_cndmask_b32_e32 v19, 0, v19, vcc
	v_mul_f32_e32 v20, 0x3f317217, v17
	v_fma_f32 v20, v17, s7, -v20
	v_fmac_f32_e32 v20, 0x3377d1cf, v17
	v_fmac_f32_e32 v20, 0x3f317217, v17
	v_cmp_lt_f32_e64 vcc, |v17|, s12
	s_nop 1
	v_cndmask_b32_e32 v17, v17, v20, vcc
	v_sub_f32_e32 v17, v17, v19
	v_cmp_lt_f32_e32 vcc, s6, v11
	s_nop 1
	v_cndmask_b32_e32 v11, v17, v11, vcc
	v_mul_f32_e32 v17, 0x4f800000, v11
	v_cmp_gt_f32_e32 vcc, s13, v11
	s_nop 1
	v_cndmask_b32_e32 v11, v11, v17, vcc
	v_sqrt_f32_e32 v17, v11
	s_nop 0
	v_add_u32_e32 v19, -1, v17
	v_add_u32_e32 v20, 1, v17
	v_fma_f32 v21, -v19, v17, v11
	v_fma_f32 v22, -v20, v17, v11
	v_cmp_ge_f32_e64 s[4:5], 0, v21
	s_nop 1
	v_cndmask_b32_e64 v17, v17, v19, s[4:5]
	v_cmp_lt_f32_e64 s[4:5], 0, v22
	s_nop 1
	v_cndmask_b32_e64 v17, v17, v20, s[4:5]
	v_mul_f32_e32 v19, 0x37800000, v17
	v_cndmask_b32_e32 v17, v17, v19, vcc
	v_cmp_class_f32_e64 s[4:5], v11, v15
	s_and_b64 vcc, exec, s[2:3]
	s_nop 0
	v_cndmask_b32_e64 v11, v17, v11, s[4:5]
	s_cbranch_vccnz .LBB175_28
; %bb.27:
	global_load_dword v15, v18, s[10:11] offset:1408
	s_waitcnt vmcnt(0)
	v_add_f32_e32 v11, v11, v15
.LBB175_28:
	s_waitcnt vmcnt(1)
	v_mul_f32_e32 v15, 0x3fb8aa3b, v12
	v_exp_f32_e32 v15, v15
	v_mov_b32_e32 v17, 0x4f800000
	v_add_f32_e32 v15, 1.0, v15
	v_cmp_gt_f32_e32 vcc, s14, v15
	s_nop 1
	v_cndmask_b32_e32 v19, 1.0, v17, vcc
	v_mul_f32_e32 v15, v15, v19
	v_log_f32_e32 v15, v15
	s_nop 0
	v_mul_f32_e32 v19, 0x3f317217, v15
	v_fma_f32 v19, v15, s7, -v19
	v_fmac_f32_e32 v19, 0x3377d1cf, v15
	v_fmac_f32_e32 v19, 0x3f317217, v15
	v_cmp_lt_f32_e64 s[4:5], |v15|, s12
	s_nop 1
	v_cndmask_b32_e64 v15, v15, v19, s[4:5]
	v_mov_b32_e32 v19, 0x41b17218
	v_cndmask_b32_e32 v20, 0, v19, vcc
	v_sub_f32_e32 v15, v15, v20
	v_cmp_lt_f32_e32 vcc, s6, v12
	s_nop 1
	v_cndmask_b32_e32 v12, v15, v12, vcc
	v_mul_f32_e32 v15, 0x4f800000, v12
	v_cmp_gt_f32_e32 vcc, s13, v12
	s_nop 1
	v_cndmask_b32_e32 v12, v12, v15, vcc
	v_sqrt_f32_e32 v15, v12
	s_nop 0
	v_add_u32_e32 v20, -1, v15
	v_fma_f32 v21, -v20, v15, v12
	v_cmp_ge_f32_e64 s[4:5], 0, v21
	v_add_u32_e32 v21, 1, v15
	s_nop 0
	v_cndmask_b32_e64 v20, v15, v20, s[4:5]
	v_fma_f32 v15, -v21, v15, v12
	v_cmp_lt_f32_e64 s[4:5], 0, v15
	s_nop 1
	v_cndmask_b32_e64 v15, v20, v21, s[4:5]
	v_mul_f32_e32 v20, 0x37800000, v15
	v_cndmask_b32_e32 v20, v15, v20, vcc
	v_mov_b32_e32 v15, 0x260
	v_cmp_class_f32_e64 s[4:5], v12, v15
	s_and_b64 vcc, exec, s[2:3]
	s_nop 0
	v_cndmask_b32_e64 v12, v20, v12, s[4:5]
	s_cbranch_vccnz .LBB175_30
; %bb.29:
	global_load_dword v20, v18, s[10:11] offset:1536
	s_waitcnt vmcnt(0)
	v_add_f32_e32 v12, v12, v20
.LBB175_30:
	s_waitcnt vmcnt(0)
	v_mul_f32_e32 v20, 0x3fb8aa3b, v13
	v_exp_f32_e32 v20, v20
	s_nop 0
	v_add_f32_e32 v20, 1.0, v20
	v_cmp_gt_f32_e32 vcc, s14, v20
	s_nop 1
	v_cndmask_b32_e32 v17, 1.0, v17, vcc
	v_mul_f32_e32 v17, v20, v17
	v_log_f32_e32 v17, v17
	v_cndmask_b32_e32 v19, 0, v19, vcc
	v_mul_f32_e32 v20, 0x3f317217, v17
	v_fma_f32 v20, v17, s7, -v20
	v_fmac_f32_e32 v20, 0x3377d1cf, v17
	v_fmac_f32_e32 v20, 0x3f317217, v17
	v_cmp_lt_f32_e64 vcc, |v17|, s12
	s_nop 1
	v_cndmask_b32_e32 v17, v17, v20, vcc
	v_sub_f32_e32 v17, v17, v19
	v_cmp_lt_f32_e32 vcc, s6, v13
	s_nop 1
	v_cndmask_b32_e32 v13, v17, v13, vcc
	v_mul_f32_e32 v17, 0x4f800000, v13
	v_cmp_gt_f32_e32 vcc, s13, v13
	s_nop 1
	v_cndmask_b32_e32 v13, v13, v17, vcc
	v_sqrt_f32_e32 v17, v13
	s_nop 0
	v_add_u32_e32 v19, -1, v17
	v_add_u32_e32 v20, 1, v17
	v_fma_f32 v21, -v19, v17, v13
	v_fma_f32 v22, -v20, v17, v13
	v_cmp_ge_f32_e64 s[4:5], 0, v21
	s_nop 1
	v_cndmask_b32_e64 v17, v17, v19, s[4:5]
	v_cmp_lt_f32_e64 s[4:5], 0, v22
	s_nop 1
	v_cndmask_b32_e64 v17, v17, v20, s[4:5]
	v_mul_f32_e32 v19, 0x37800000, v17
	v_cndmask_b32_e32 v17, v17, v19, vcc
	v_cmp_class_f32_e64 s[4:5], v13, v15
	s_and_b64 vcc, exec, s[2:3]
	s_nop 0
	v_cndmask_b32_e64 v13, v17, v13, s[4:5]
	s_cbranch_vccnz .LBB175_32
; %bb.31:
	global_load_dword v15, v18, s[10:11] offset:1664
	s_waitcnt vmcnt(0)
	v_add_f32_e32 v13, v13, v15
.LBB175_32:
	s_load_dwordx4 s[12:15], s[0:1], 0x30
	s_mov_b32 s31, 0
	v_cmp_eq_u32_e64 s[6:7], 0, v16
	s_waitcnt lgkmcnt(0)
	s_bitcmp1_b32 s15, 0
	s_cselect_b64 s[4:5], -1, 0
	s_cmp_gt_i32 s12, 0
	s_cselect_b64 s[24:25], -1, 0
	s_and_b64 vcc, exec, s[24:25]
	s_cbranch_vccz .LBB175_59
; %bb.33:
	v_mbcnt_lo_u32_b32 v15, -1, 0
	v_mbcnt_hi_u32_b32 v18, -1, v15
	v_and_b32_e32 v15, 0x60, v18
	v_add_u32_e32 v19, 32, v15
	v_xor_b32_e32 v24, 16, v18
	v_cmp_lt_i32_e32 vcc, v24, v19
	s_load_dwordx4 s[16:19], s[0:1], 0x20
	v_mul_lo_u32 v15, v14, s12
	v_cndmask_b32_e32 v24, v18, v24, vcc
	v_lshlrev_b32_e32 v33, 2, v24
	v_xor_b32_e32 v24, 8, v18
	v_cmp_lt_i32_e32 vcc, v24, v19
	v_or_b32_e32 v17, 32, v16
	v_or_b32_e32 v20, 64, v16
	v_cndmask_b32_e32 v24, v18, v24, vcc
	v_lshlrev_b32_e32 v34, 2, v24
	v_xor_b32_e32 v24, 4, v18
	v_cmp_lt_i32_e32 vcc, v24, v19
	v_or_b32_e32 v21, 0x60, v16
	v_or_b32_e32 v22, 0x80, v16
	;; [unrolled: 6-line block ×4, first 2 shown]
	v_cndmask_b32_e32 v18, v18, v24, vcc
	v_or_b32_e32 v28, 0x120, v16
	v_or_b32_e32 v29, 0x140, v16
	;; [unrolled: 1-line block ×5, first 2 shown]
	v_lshlrev_b32_e32 v37, 2, v18
	v_mov_b32_e32 v24, 0
	v_mov_b32_e32 v38, 0x1c0
	;; [unrolled: 1-line block ×4, first 2 shown]
	s_branch .LBB175_36
.LBB175_34:                             ;   in Loop: Header=BB175_36 Depth=1
	s_waitcnt lgkmcnt(0)
	v_add_u32_e32 v42, s31, v15
	v_ashrrev_i32_e32 v43, 31, v42
	v_cmp_le_i32_e32 vcc, s13, v18
	v_cmp_gt_i32_e64 s[0:1], s14, v18
	v_lshlrev_b64 v[44:45], 2, v[42:43]
	s_and_b64 s[0:1], vcc, s[0:1]
	v_lshl_add_u64 v[46:47], s[20:21], 0, v[44:45]
	v_subrev_u32_e32 v19, s13, v18
	global_store_dword v[46:47], v41, off
	v_ashrrev_i32_e32 v46, 31, v19
	s_and_b64 vcc, s[22:23], s[0:1]
	v_cndmask_b32_e32 v47, 0, v46, vcc
	v_cndmask_b32_e32 v46, v38, v19, vcc
	v_lshl_add_u64 v[42:43], v[42:43], 3, s[16:17]
	v_add_f32_e32 v19, v24, v41
	global_store_dwordx2 v[42:43], v[46:47], off
	v_lshl_add_u64 v[42:43], s[18:19], 0, v[44:45]
	v_cndmask_b32_e64 v24, v24, v19, s[4:5]
	global_store_dword v[42:43], v40, off
.LBB175_35:                             ;   in Loop: Header=BB175_36 Depth=1
	s_or_b64 exec, exec, s[26:27]
	v_ashrrev_i32_e32 v19, 31, v18
	v_lshrrev_b32_e32 v19, 27, v19
	v_add_u32_e32 v19, v18, v19
	v_and_b32_e32 v41, 0xffffffe0, v19
	v_sub_u32_e32 v18, v18, v41
	s_add_i32 s31, s31, 1
	v_cmp_eq_u32_e32 vcc, v16, v18
	s_cmp_lt_i32 s31, s12
	v_ashrrev_i32_e32 v18, 5, v19
	s_cselect_b64 s[26:27], -1, 0
	v_cmp_ne_u32_e64 s[0:1], 13, v18
	s_and_b64 vcc, s[26:27], vcc
	s_cmp_eq_u32 s12, s31
	v_cndmask_b32_e64 v19, v39, v13, s[0:1]
	v_cmp_ne_u32_e64 s[0:1], 12, v18
	v_cndmask_b32_e32 v13, v13, v19, vcc
	v_add_u32_e32 v40, s30, v40
	v_cndmask_b32_e64 v19, v39, v12, s[0:1]
	v_cmp_ne_u32_e64 s[0:1], 11, v18
	v_cndmask_b32_e32 v12, v12, v19, vcc
	s_nop 0
	v_cndmask_b32_e64 v19, v39, v11, s[0:1]
	v_cmp_ne_u32_e64 s[0:1], 10, v18
	v_cndmask_b32_e32 v11, v11, v19, vcc
	s_nop 0
	;; [unrolled: 4-line block ×12, first 2 shown]
	v_cndmask_b32_e64 v18, v39, v0, s[0:1]
	v_cndmask_b32_e32 v0, v0, v18, vcc
	s_cbranch_scc1 .LBB175_60
.LBB175_36:                             ; =>This Inner Loop Header: Depth=1
	v_cmp_gt_f32_e32 vcc, v1, v0
	s_nop 1
	v_cndmask_b32_e32 v19, v0, v1, vcc
	v_cndmask_b32_e32 v18, v16, v17, vcc
	v_cmp_gt_f32_e32 vcc, v2, v19
	s_nop 1
	v_cndmask_b32_e32 v19, v19, v2, vcc
	v_cndmask_b32_e32 v18, v18, v20, vcc
	;; [unrolled: 4-line block ×13, first 2 shown]
	ds_bpermute_b32 v19, v33, v41
	s_waitcnt lgkmcnt(0)
	ds_bpermute_b32 v42, v33, v18
	s_waitcnt lgkmcnt(0)
	v_cmp_lt_f32_e64 s[26:27], v41, v19
	v_cmp_nlt_f32_e32 vcc, v41, v19
	s_and_saveexec_b64 s[28:29], vcc
; %bb.37:                               ;   in Loop: Header=BB175_36 Depth=1
	v_cmp_eq_f32_e32 vcc, v41, v19
	v_cmp_lt_i32_e64 s[0:1], v42, v18
	s_and_b64 s[0:1], vcc, s[0:1]
	s_andn2_b64 s[26:27], s[26:27], exec
	s_and_b64 s[0:1], s[0:1], exec
	s_or_b64 s[26:27], s[26:27], s[0:1]
; %bb.38:                               ;   in Loop: Header=BB175_36 Depth=1
	s_or_b64 exec, exec, s[28:29]
	s_and_saveexec_b64 s[0:1], s[26:27]
; %bb.39:                               ;   in Loop: Header=BB175_36 Depth=1
	v_mov_b32_e32 v41, v19
	v_mov_b32_e32 v18, v42
; %bb.40:                               ;   in Loop: Header=BB175_36 Depth=1
	s_or_b64 exec, exec, s[0:1]
	ds_bpermute_b32 v19, v34, v41
	ds_bpermute_b32 v42, v34, v18
	s_waitcnt lgkmcnt(1)
	v_cmp_lt_f32_e64 s[26:27], v41, v19
	v_cmp_nlt_f32_e32 vcc, v41, v19
	s_and_saveexec_b64 s[28:29], vcc
	s_cbranch_execz .LBB175_42
; %bb.41:                               ;   in Loop: Header=BB175_36 Depth=1
	v_cmp_eq_f32_e32 vcc, v41, v19
	s_waitcnt lgkmcnt(0)
	v_cmp_lt_i32_e64 s[0:1], v42, v18
	s_and_b64 s[0:1], vcc, s[0:1]
	s_andn2_b64 s[26:27], s[26:27], exec
	s_and_b64 s[0:1], s[0:1], exec
	s_or_b64 s[26:27], s[26:27], s[0:1]
.LBB175_42:                             ;   in Loop: Header=BB175_36 Depth=1
	s_or_b64 exec, exec, s[28:29]
	s_and_saveexec_b64 s[0:1], s[26:27]
	s_cbranch_execz .LBB175_44
; %bb.43:                               ;   in Loop: Header=BB175_36 Depth=1
	v_mov_b32_e32 v41, v19
	s_waitcnt lgkmcnt(0)
	v_mov_b32_e32 v18, v42
.LBB175_44:                             ;   in Loop: Header=BB175_36 Depth=1
	s_or_b64 exec, exec, s[0:1]
	ds_bpermute_b32 v19, v35, v41
	s_waitcnt lgkmcnt(1)
	ds_bpermute_b32 v42, v35, v18
	s_waitcnt lgkmcnt(1)
	v_cmp_lt_f32_e64 s[26:27], v41, v19
	v_cmp_nlt_f32_e32 vcc, v41, v19
	s_and_saveexec_b64 s[28:29], vcc
	s_cbranch_execz .LBB175_46
; %bb.45:                               ;   in Loop: Header=BB175_36 Depth=1
	v_cmp_eq_f32_e32 vcc, v41, v19
	s_waitcnt lgkmcnt(0)
	v_cmp_lt_i32_e64 s[0:1], v42, v18
	s_and_b64 s[0:1], vcc, s[0:1]
	s_andn2_b64 s[26:27], s[26:27], exec
	s_and_b64 s[0:1], s[0:1], exec
	s_or_b64 s[26:27], s[26:27], s[0:1]
.LBB175_46:                             ;   in Loop: Header=BB175_36 Depth=1
	s_or_b64 exec, exec, s[28:29]
	s_and_saveexec_b64 s[0:1], s[26:27]
	s_cbranch_execz .LBB175_48
; %bb.47:                               ;   in Loop: Header=BB175_36 Depth=1
	v_mov_b32_e32 v41, v19
	s_waitcnt lgkmcnt(0)
	v_mov_b32_e32 v18, v42
.LBB175_48:                             ;   in Loop: Header=BB175_36 Depth=1
	s_or_b64 exec, exec, s[0:1]
	ds_bpermute_b32 v19, v36, v41
	s_waitcnt lgkmcnt(1)
	;; [unrolled: 26-line block ×3, first 2 shown]
	ds_bpermute_b32 v42, v37, v18
	s_waitcnt lgkmcnt(1)
	v_cmp_lt_f32_e64 s[26:27], v41, v19
	v_cmp_nlt_f32_e32 vcc, v41, v19
	s_and_saveexec_b64 s[28:29], vcc
	s_cbranch_execnz .LBB175_55
; %bb.53:                               ;   in Loop: Header=BB175_36 Depth=1
	s_or_b64 exec, exec, s[28:29]
	s_and_saveexec_b64 s[0:1], s[26:27]
	s_cbranch_execnz .LBB175_56
.LBB175_54:                             ;   in Loop: Header=BB175_36 Depth=1
	s_or_b64 exec, exec, s[0:1]
	s_and_saveexec_b64 s[26:27], s[6:7]
	s_cbranch_execz .LBB175_35
	s_branch .LBB175_57
.LBB175_55:                             ;   in Loop: Header=BB175_36 Depth=1
	v_cmp_eq_f32_e32 vcc, v41, v19
	s_waitcnt lgkmcnt(0)
	v_cmp_lt_i32_e64 s[0:1], v42, v18
	s_and_b64 s[0:1], vcc, s[0:1]
	s_andn2_b64 s[26:27], s[26:27], exec
	s_and_b64 s[0:1], s[0:1], exec
	s_or_b64 s[26:27], s[26:27], s[0:1]
	s_or_b64 exec, exec, s[28:29]
	s_and_saveexec_b64 s[0:1], s[26:27]
	s_cbranch_execz .LBB175_54
.LBB175_56:                             ;   in Loop: Header=BB175_36 Depth=1
	s_waitcnt lgkmcnt(0)
	v_mov_b32_e32 v18, v42
	v_mov_b32_e32 v41, v19
	s_or_b64 exec, exec, s[0:1]
	s_and_saveexec_b64 s[26:27], s[6:7]
	s_cbranch_execz .LBB175_35
.LBB175_57:                             ;   in Loop: Header=BB175_36 Depth=1
	s_and_b64 vcc, exec, s[2:3]
	s_cbranch_vccnz .LBB175_34
; %bb.58:                               ;   in Loop: Header=BB175_36 Depth=1
	v_ashrrev_i32_e32 v19, 31, v18
	s_waitcnt lgkmcnt(0)
	v_lshl_add_u64 v[42:43], v[18:19], 2, s[10:11]
	global_load_dword v19, v[42:43], off
	s_waitcnt vmcnt(0)
	v_sub_f32_e32 v41, v41, v19
	s_branch .LBB175_34
.LBB175_59:
	v_mov_b32_e32 v24, 0
.LBB175_60:
	v_cmp_eq_u32_e32 vcc, 0, v16
	s_and_b64 exec, exec, vcc
	s_cbranch_execz .LBB175_73
; %bb.61:
	s_andn2_b64 vcc, exec, s[4:5]
	v_cvt_f32_f64_e32 v0, s[8:9]
	s_cbranch_vccnz .LBB175_63
; %bb.62:
	v_cmp_lt_f32_e32 vcc, 0, v24
	s_nop 1
	v_cndmask_b32_e32 v1, 1.0, v24, vcc
	v_div_scale_f32 v2, s[0:1], v1, v1, v0
	v_rcp_f32_e32 v3, v2
	s_nop 0
	v_fma_f32 v4, -v2, v3, 1.0
	v_fmac_f32_e32 v3, v4, v3
	v_div_scale_f32 v4, vcc, v0, v1, v0
	v_mul_f32_e32 v5, v4, v3
	v_fma_f32 v6, -v2, v5, v4
	v_fmac_f32_e32 v5, v6, v3
	v_fma_f32 v2, -v2, v5, v4
	v_div_fmas_f32 v2, v2, v3, v5
	v_div_fixup_f32 v0, v2, v1, v0
.LBB175_63:
	s_andn2_b64 vcc, exec, s[24:25]
	s_cbranch_vccnz .LBB175_73
; %bb.64:
	v_mul_lo_u32 v2, v14, s12
	s_cmp_gt_u32 s12, 3
	v_ashrrev_i32_e32 v3, 31, v2
	s_cbranch_scc0 .LBB175_68
; %bb.65:
	s_and_b32 s0, s12, 0x7ffffffc
	v_lshl_add_u64 v[4:5], v[2:3], 2, s[20:21]
	v_mov_b32_e32 v1, v0
	v_lshl_add_u64 v[4:5], v[4:5], 0, 8
	s_mov_b32 s1, s0
.LBB175_66:                             ; =>This Inner Loop Header: Depth=1
	global_load_dwordx4 v[6:9], v[4:5], off offset:-8
	s_add_i32 s1, s1, -4
	s_cmp_lg_u32 s1, 0
	s_waitcnt vmcnt(0)
	v_pk_mul_f32 v[6:7], v[0:1], v[6:7]
	v_pk_mul_f32 v[8:9], v[0:1], v[8:9]
	global_store_dwordx4 v[4:5], v[6:9], off offset:-8
	v_lshl_add_u64 v[4:5], v[4:5], 0, 16
	s_cbranch_scc1 .LBB175_66
; %bb.67:
	s_cmp_lg_u32 s0, s12
	s_cselect_b64 s[2:3], -1, 0
	s_branch .LBB175_70
.LBB175_68:
	s_mov_b64 s[2:3], 0
                                        ; implicit-def: $sgpr0
	s_cbranch_execz .LBB175_70
; %bb.69:
	s_mov_b64 s[2:3], -1
	s_mov_b32 s0, 0
.LBB175_70:
	s_andn2_b64 vcc, exec, s[2:3]
	s_cbranch_vccnz .LBB175_73
; %bb.71:
	s_mov_b32 s1, 0
	v_lshl_add_u64 v[2:3], v[2:3], 0, s[0:1]
	s_sub_i32 s2, s12, s0
	v_lshl_add_u64 v[2:3], v[2:3], 2, s[20:21]
.LBB175_72:                             ; =>This Inner Loop Header: Depth=1
	global_load_dword v1, v[2:3], off
	s_add_i32 s2, s2, -1
	s_cmp_lg_u32 s2, 0
	s_waitcnt vmcnt(0)
	v_mul_f32_e32 v1, v0, v1
	global_store_dword v[2:3], v1, off
	v_lshl_add_u64 v[2:3], v[2:3], 0, 4
	s_cbranch_scc1 .LBB175_72
.LBB175_73:
	s_endpgm
	.section	.rodata,"a",@progbits
	.p2align	6, 0x0
	.amdhsa_kernel _ZN4vllm3moe22topkGatingSoftplusSqrtILi14ELi448ELi4ELi4ELi32ELb0ElfEEvPKT6_PKbPfiPT5_PiiiibdPKfPKS8_SE_
		.amdhsa_group_segment_fixed_size 0
		.amdhsa_private_segment_fixed_size 0
		.amdhsa_kernarg_size 96
		.amdhsa_user_sgpr_count 2
		.amdhsa_user_sgpr_dispatch_ptr 0
		.amdhsa_user_sgpr_queue_ptr 0
		.amdhsa_user_sgpr_kernarg_segment_ptr 1
		.amdhsa_user_sgpr_dispatch_id 0
		.amdhsa_user_sgpr_kernarg_preload_length 0
		.amdhsa_user_sgpr_kernarg_preload_offset 0
		.amdhsa_user_sgpr_private_segment_size 0
		.amdhsa_uses_dynamic_stack 0
		.amdhsa_enable_private_segment 0
		.amdhsa_system_sgpr_workgroup_id_x 1
		.amdhsa_system_sgpr_workgroup_id_y 0
		.amdhsa_system_sgpr_workgroup_id_z 0
		.amdhsa_system_sgpr_workgroup_info 0
		.amdhsa_system_vgpr_workitem_id 1
		.amdhsa_next_free_vgpr 48
		.amdhsa_next_free_sgpr 32
		.amdhsa_accum_offset 48
		.amdhsa_reserve_vcc 1
		.amdhsa_float_round_mode_32 0
		.amdhsa_float_round_mode_16_64 0
		.amdhsa_float_denorm_mode_32 3
		.amdhsa_float_denorm_mode_16_64 3
		.amdhsa_dx10_clamp 1
		.amdhsa_ieee_mode 1
		.amdhsa_fp16_overflow 0
		.amdhsa_tg_split 0
		.amdhsa_exception_fp_ieee_invalid_op 0
		.amdhsa_exception_fp_denorm_src 0
		.amdhsa_exception_fp_ieee_div_zero 0
		.amdhsa_exception_fp_ieee_overflow 0
		.amdhsa_exception_fp_ieee_underflow 0
		.amdhsa_exception_fp_ieee_inexact 0
		.amdhsa_exception_int_div_zero 0
	.end_amdhsa_kernel
	.section	.text._ZN4vllm3moe22topkGatingSoftplusSqrtILi14ELi448ELi4ELi4ELi32ELb0ElfEEvPKT6_PKbPfiPT5_PiiiibdPKfPKS8_SE_,"axG",@progbits,_ZN4vllm3moe22topkGatingSoftplusSqrtILi14ELi448ELi4ELi4ELi32ELb0ElfEEvPKT6_PKbPfiPT5_PiiiibdPKfPKS8_SE_,comdat
.Lfunc_end175:
	.size	_ZN4vllm3moe22topkGatingSoftplusSqrtILi14ELi448ELi4ELi4ELi32ELb0ElfEEvPKT6_PKbPfiPT5_PiiiibdPKfPKS8_SE_, .Lfunc_end175-_ZN4vllm3moe22topkGatingSoftplusSqrtILi14ELi448ELi4ELi4ELi32ELb0ElfEEvPKT6_PKbPfiPT5_PiiiibdPKfPKS8_SE_
                                        ; -- End function
	.section	.AMDGPU.csdata,"",@progbits
; Kernel info:
; codeLenInByte = 6156
; NumSgprs: 38
; NumVgprs: 48
; NumAgprs: 0
; TotalNumVgprs: 48
; ScratchSize: 0
; MemoryBound: 0
; FloatMode: 240
; IeeeMode: 1
; LDSByteSize: 0 bytes/workgroup (compile time only)
; SGPRBlocks: 4
; VGPRBlocks: 5
; NumSGPRsForWavesPerEU: 38
; NumVGPRsForWavesPerEU: 48
; AccumOffset: 48
; Occupancy: 8
; WaveLimiterHint : 1
; COMPUTE_PGM_RSRC2:SCRATCH_EN: 0
; COMPUTE_PGM_RSRC2:USER_SGPR: 2
; COMPUTE_PGM_RSRC2:TRAP_HANDLER: 0
; COMPUTE_PGM_RSRC2:TGID_X_EN: 1
; COMPUTE_PGM_RSRC2:TGID_Y_EN: 0
; COMPUTE_PGM_RSRC2:TGID_Z_EN: 0
; COMPUTE_PGM_RSRC2:TIDIG_COMP_CNT: 1
; COMPUTE_PGM_RSRC3_GFX90A:ACCUM_OFFSET: 11
; COMPUTE_PGM_RSRC3_GFX90A:TG_SPLIT: 0
	.section	.text._ZN4vllm3moe22topkGatingSoftplusSqrtILi9ELi576ELi4ELi4ELi64ELb1ElfEEvPKT6_PKbPfiPT5_PiiiibdPKfPKS8_SE_,"axG",@progbits,_ZN4vllm3moe22topkGatingSoftplusSqrtILi9ELi576ELi4ELi4ELi64ELb1ElfEEvPKT6_PKbPfiPT5_PiiiibdPKfPKS8_SE_,comdat
	.protected	_ZN4vllm3moe22topkGatingSoftplusSqrtILi9ELi576ELi4ELi4ELi64ELb1ElfEEvPKT6_PKbPfiPT5_PiiiibdPKfPKS8_SE_ ; -- Begin function _ZN4vllm3moe22topkGatingSoftplusSqrtILi9ELi576ELi4ELi4ELi64ELb1ElfEEvPKT6_PKbPfiPT5_PiiiibdPKfPKS8_SE_
	.globl	_ZN4vllm3moe22topkGatingSoftplusSqrtILi9ELi576ELi4ELi4ELi64ELb1ElfEEvPKT6_PKbPfiPT5_PiiiibdPKfPKS8_SE_
	.p2align	8
	.type	_ZN4vllm3moe22topkGatingSoftplusSqrtILi9ELi576ELi4ELi4ELi64ELb1ElfEEvPKT6_PKbPfiPT5_PiiiibdPKfPKS8_SE_,@function
_ZN4vllm3moe22topkGatingSoftplusSqrtILi9ELi576ELi4ELi4ELi64ELb1ElfEEvPKT6_PKbPfiPT5_PiiiibdPKfPKS8_SE_: ; @_ZN4vllm3moe22topkGatingSoftplusSqrtILi9ELi576ELi4ELi4ELi64ELb1ElfEEvPKT6_PKbPfiPT5_PiiiibdPKfPKS8_SE_
; %bb.0:
	s_load_dword s3, s[0:1], 0x18
	v_and_b32_e32 v1, 0x3ff, v0
	s_lshl_b32 s2, s2, 2
	v_lshrrev_b32_e32 v2, 6, v1
	v_bfe_u32 v0, v0, 10, 10
	v_add3_u32 v10, s2, v0, v2
	s_waitcnt lgkmcnt(0)
	v_cmp_gt_i32_e32 vcc, s3, v10
	s_and_saveexec_b64 s[2:3], vcc
	s_cbranch_execz .LBB176_31
; %bb.1:
	s_load_dwordx4 s[8:11], s[0:1], 0x50
	s_load_dwordx2 s[2:3], s[0:1], 0x0
	s_load_dword s14, s[0:1], 0x30
	s_movk_i32 s4, 0x240
	v_mul_lo_u32 v4, v10, s4
	v_ashrrev_i32_e32 v5, 31, v4
	v_and_b32_e32 v20, 63, v1
	s_waitcnt lgkmcnt(0)
	v_mov_b32_e32 v2, s8
	v_mov_b32_e32 v3, s9
	v_lshl_add_u64 v[4:5], v[4:5], 2, s[2:3]
	v_lshlrev_b32_e32 v8, 2, v20
	v_mov_b32_e32 v9, 0
	v_ashrrev_i32_e32 v11, 31, v10
	v_lshl_add_u64 v[0:1], v[10:11], 3, v[2:3]
	v_lshl_add_u64 v[2:3], v[4:5], 0, v[8:9]
	global_load_dwordx2 v[0:1], v[0:1], off
	s_nop 0
	global_load_dword v6, v[2:3], off
	global_load_dword v7, v[2:3], off offset:256
	global_load_dword v8, v[2:3], off offset:512
	;; [unrolled: 1-line block ×8, first 2 shown]
	s_ashr_i32 s15, s14, 31
	s_mov_b32 s19, 0x800000
	v_mov_b32_e32 v14, 0x4f800000
	s_mov_b32 s18, 0x3f317217
	s_mov_b32 s20, 0x7f800000
	v_mov_b32_e32 v15, 0x41b17218
	s_mov_b32 s13, 0x41a00000
	s_mov_b32 s21, 0xf800000
	v_mov_b32_e32 v16, 0x260
	v_cmp_lt_i64_e64 s[16:17], s[14:15], 1
	s_mov_b32 s12, 0
	v_cmp_gt_i64_e64 s[8:9], s[14:15], 0
	v_mul_lo_u32 v10, v10, s14
	s_waitcnt vmcnt(8)
	v_mul_f32_e32 v2, 0x3fb8aa3b, v6
	s_waitcnt vmcnt(7)
	v_mul_f32_e32 v3, 0x3fb8aa3b, v7
	v_exp_f32_e32 v2, v2
	v_exp_f32_e32 v3, v3
	s_waitcnt vmcnt(6)
	v_mul_f32_e32 v4, 0x3fb8aa3b, v8
	s_waitcnt vmcnt(5)
	v_mul_f32_e32 v5, 0x3fb8aa3b, v11
	v_exp_f32_e32 v4, v4
	v_exp_f32_e32 v5, v5
	v_mul_lo_u32 v1, v1, s14
	v_mul_lo_u32 v23, v0, s15
	v_mad_u64_u32 v[12:13], s[2:3], v0, s14, 0
	v_add3_u32 v13, v13, v23, v1
	v_pk_add_f32 v[0:1], v[2:3], 1.0 op_sel_hi:[1,0]
	v_pk_add_f32 v[2:3], v[4:5], 1.0 op_sel_hi:[1,0]
	v_cmp_gt_f32_e32 vcc, s19, v1
	v_cmp_gt_f32_e64 s[2:3], s19, v0
	v_cmp_gt_f32_e64 s[4:5], s19, v3
	v_cndmask_b32_e32 v4, 1.0, v14, vcc
	v_cndmask_b32_e64 v5, 1.0, v14, s[2:3]
	v_mul_f32_e32 v1, v1, v4
	v_mul_f32_e32 v0, v0, v5
	v_log_f32_e32 v1, v1
	v_log_f32_e32 v0, v0
	v_cndmask_b32_e64 v23, 1.0, v14, s[4:5]
	v_mul_f32_e32 v3, v3, v23
	v_mul_f32_e32 v23, 0x3f317217, v1
	;; [unrolled: 1-line block ×3, first 2 shown]
	v_fma_f32 v23, v1, s18, -v23
	v_fma_f32 v24, v0, s18, -v24
	v_fmac_f32_e32 v23, 0x3377d1cf, v1
	v_cndmask_b32_e32 v4, 0, v15, vcc
	v_fmac_f32_e32 v24, 0x3377d1cf, v0
	v_fmac_f32_e32 v23, 0x3f317217, v1
	v_cmp_lt_f32_e64 vcc, |v1|, s20
	v_fmac_f32_e32 v24, 0x3f317217, v0
	v_cndmask_b32_e64 v5, 0, v15, s[2:3]
	v_cndmask_b32_e32 v1, v1, v23, vcc
	v_cmp_lt_f32_e64 vcc, |v0|, s20
	v_sub_f32_e32 v1, v1, v4
	v_log_f32_e32 v3, v3
	v_cndmask_b32_e32 v0, v0, v24, vcc
	v_sub_f32_e32 v0, v0, v5
	v_cmp_lt_f32_e32 vcc, s13, v6
	v_mul_f32_e32 v25, 0x3f317217, v3
	v_fma_f32 v25, v3, s18, -v25
	v_cndmask_b32_e32 v0, v0, v6, vcc
	v_cmp_lt_f32_e32 vcc, s13, v7
	v_mul_f32_e32 v5, 0x4f800000, v0
	v_cmp_gt_f32_e64 s[2:3], s21, v0
	v_cndmask_b32_e32 v1, v1, v7, vcc
	v_mul_f32_e32 v4, 0x4f800000, v1
	v_cmp_gt_f32_e32 vcc, s21, v1
	v_cndmask_b32_e64 v0, v0, v5, s[2:3]
	v_sqrt_f32_e32 v5, v0
	v_cndmask_b32_e32 v1, v1, v4, vcc
	v_sqrt_f32_e32 v4, v1
	v_fmac_f32_e32 v25, 0x3377d1cf, v3
	v_add_u32_e32 v23, -1, v5
	v_fma_f32 v28, -v23, v5, v0
	v_add_u32_e32 v6, -1, v4
	v_fma_f32 v26, -v6, v4, v1
	v_add_u32_e32 v7, 1, v4
	v_cmp_ge_f32_e64 s[6:7], 0, v26
	v_add_u32_e32 v24, 1, v5
	v_fma_f32 v27, -v7, v4, v1
	v_cndmask_b32_e64 v4, v4, v6, s[6:7]
	v_cmp_ge_f32_e64 s[6:7], 0, v28
	v_fma_f32 v29, -v24, v5, v0
	v_fmac_f32_e32 v25, 0x3f317217, v3
	v_cndmask_b32_e64 v5, v5, v23, s[6:7]
	v_cmp_lt_f32_e64 s[6:7], 0, v27
	v_lshl_add_u64 v[12:13], v[12:13], 3, s[10:11]
	s_nop 0
	v_cndmask_b32_e64 v4, v4, v7, s[6:7]
	v_cmp_lt_f32_e64 s[6:7], 0, v29
	v_mul_f32_e32 v6, 0x37800000, v4
	v_cndmask_b32_e32 v4, v4, v6, vcc
	v_cndmask_b32_e64 v5, v5, v24, s[6:7]
	v_mul_f32_e32 v7, 0x37800000, v5
	v_cmp_class_f32_e32 vcc, v1, v16
	v_cndmask_b32_e64 v5, v5, v7, s[2:3]
	v_cmp_lt_f32_e64 s[2:3], |v3|, s20
	v_cndmask_b32_e32 v1, v4, v1, vcc
	v_cmp_class_f32_e32 vcc, v0, v16
	v_cndmask_b32_e64 v3, v3, v25, s[2:3]
	s_nop 0
	v_cndmask_b32_e32 v0, v5, v0, vcc
	v_cmp_gt_f32_e32 vcc, s19, v2
	s_nop 1
	v_cndmask_b32_e32 v4, 1.0, v14, vcc
	v_mul_f32_e32 v2, v2, v4
	v_log_f32_e32 v2, v2
	v_cndmask_b32_e64 v4, 0, v15, s[4:5]
	v_sub_f32_e32 v3, v3, v4
	v_mul_f32_e32 v4, 0x3f317217, v2
	v_fma_f32 v4, v2, s18, -v4
	v_fmac_f32_e32 v4, 0x3377d1cf, v2
	v_fmac_f32_e32 v4, 0x3f317217, v2
	v_cmp_lt_f32_e64 s[2:3], |v2|, s20
	s_nop 1
	v_cndmask_b32_e64 v2, v2, v4, s[2:3]
	v_cndmask_b32_e32 v4, 0, v15, vcc
	v_cmp_lt_f32_e32 vcc, s13, v11
	v_sub_f32_e32 v2, v2, v4
	v_cmp_lt_f32_e64 s[2:3], s13, v8
	v_cndmask_b32_e32 v3, v3, v11, vcc
	v_mul_f32_e32 v5, 0x4f800000, v3
	v_cmp_gt_f32_e32 vcc, s21, v3
	v_cndmask_b32_e64 v2, v2, v8, s[2:3]
	s_nop 0
	v_cndmask_b32_e32 v3, v3, v5, vcc
	v_sqrt_f32_e32 v5, v3
	s_nop 0
	v_add_u32_e32 v4, -1, v5
	v_fma_f32 v6, -v4, v5, v3
	v_cmp_ge_f32_e64 s[2:3], 0, v6
	v_add_u32_e32 v6, 1, v5
	s_nop 0
	v_cndmask_b32_e64 v4, v5, v4, s[2:3]
	v_fma_f32 v5, -v6, v5, v3
	v_cmp_lt_f32_e64 s[2:3], 0, v5
	s_nop 1
	v_cndmask_b32_e64 v4, v4, v6, s[2:3]
	v_mul_f32_e32 v6, 0x4f800000, v2
	v_cmp_gt_f32_e64 s[2:3], s21, v2
	v_mul_f32_e32 v5, 0x37800000, v4
	v_cndmask_b32_e32 v4, v4, v5, vcc
	v_cndmask_b32_e64 v2, v2, v6, s[2:3]
	v_sqrt_f32_e32 v6, v2
	v_cmp_class_f32_e32 vcc, v3, v16
	v_add_u32_e32 v8, 1, v6
	s_nop 0
	v_cndmask_b32_e32 v3, v4, v3, vcc
	v_add_u32_e32 v4, -1, v6
	v_fma_f32 v5, -v4, v6, v2
	v_cmp_ge_f32_e32 vcc, 0, v5
	s_waitcnt vmcnt(3)
	v_mul_f32_e32 v5, 0x3fb8aa3b, v18
	v_exp_f32_e32 v5, v5
	v_cndmask_b32_e32 v7, v6, v4, vcc
	v_mul_f32_e32 v4, 0x3fb8aa3b, v17
	v_exp_f32_e32 v4, v4
	v_fma_f32 v6, -v8, v6, v2
	v_cmp_lt_f32_e32 vcc, 0, v6
	v_pk_add_f32 v[4:5], v[4:5], 1.0 op_sel_hi:[1,0]
	s_nop 0
	v_cndmask_b32_e32 v6, v7, v8, vcc
	v_cmp_gt_f32_e32 vcc, s19, v5
	v_mul_f32_e32 v7, 0x37800000, v6
	v_cndmask_b32_e64 v6, v6, v7, s[2:3]
	v_cndmask_b32_e32 v8, 1.0, v14, vcc
	v_mul_f32_e32 v5, v5, v8
	v_log_f32_e32 v5, v5
	v_cmp_class_f32_e64 s[2:3], v2, v16
	v_cmp_lt_f32_e64 s[4:5], |v5|, s20
	s_nop 0
	v_cndmask_b32_e64 v2, v6, v2, s[2:3]
	v_cmp_gt_f32_e64 s[2:3], s19, v4
	v_mul_f32_e32 v6, 0x3f317217, v5
	v_fma_f32 v6, v5, s18, -v6
	v_cndmask_b32_e64 v7, 1.0, v14, s[2:3]
	v_mul_f32_e32 v4, v4, v7
	v_log_f32_e32 v4, v4
	v_fmac_f32_e32 v6, 0x3377d1cf, v5
	v_fmac_f32_e32 v6, 0x3f317217, v5
	v_cndmask_b32_e64 v5, v5, v6, s[4:5]
	v_cndmask_b32_e32 v6, 0, v15, vcc
	v_sub_f32_e32 v5, v5, v6
	v_mul_f32_e32 v6, 0x3f317217, v4
	v_fma_f32 v6, v4, s18, -v6
	v_fmac_f32_e32 v6, 0x3377d1cf, v4
	v_fmac_f32_e32 v6, 0x3f317217, v4
	v_cmp_lt_f32_e64 vcc, |v4|, s20
	s_nop 1
	v_cndmask_b32_e32 v4, v4, v6, vcc
	v_cmp_lt_f32_e32 vcc, s13, v18
	v_cndmask_b32_e64 v6, 0, v15, s[2:3]
	v_sub_f32_e32 v4, v4, v6
	v_cndmask_b32_e32 v5, v5, v18, vcc
	v_mul_f32_e32 v7, 0x4f800000, v5
	v_cmp_gt_f32_e32 vcc, s21, v5
	v_cmp_lt_f32_e64 s[2:3], s13, v17
	s_waitcnt vmcnt(0)
	v_mul_f32_e32 v18, 0x3fb8aa3b, v22
	v_cndmask_b32_e32 v5, v5, v7, vcc
	v_sqrt_f32_e32 v7, v5
	v_cndmask_b32_e64 v4, v4, v17, s[2:3]
	v_exp_f32_e32 v18, v18
	v_add_u32_e32 v6, -1, v7
	v_fma_f32 v8, -v6, v7, v5
	v_cmp_ge_f32_e64 s[2:3], 0, v8
	v_add_u32_e32 v8, 1, v7
	v_add_f32_e32 v18, 1.0, v18
	v_cndmask_b32_e64 v6, v7, v6, s[2:3]
	v_fma_f32 v7, -v8, v7, v5
	v_cmp_lt_f32_e64 s[2:3], 0, v7
	s_nop 1
	v_cndmask_b32_e64 v6, v6, v8, s[2:3]
	v_mul_f32_e32 v8, 0x4f800000, v4
	v_cmp_gt_f32_e64 s[2:3], s21, v4
	v_mul_f32_e32 v7, 0x37800000, v6
	v_cndmask_b32_e32 v6, v6, v7, vcc
	v_cndmask_b32_e64 v4, v4, v8, s[2:3]
	v_sqrt_f32_e32 v8, v4
	v_cmp_class_f32_e32 vcc, v5, v16
	v_add_u32_e32 v17, 1, v8
	s_nop 0
	v_cndmask_b32_e32 v5, v6, v5, vcc
	v_add_u32_e32 v6, -1, v8
	v_fma_f32 v7, -v6, v8, v4
	v_cmp_ge_f32_e32 vcc, 0, v7
	v_mul_f32_e32 v7, 0x3fb8aa3b, v21
	v_exp_f32_e32 v7, v7
	v_cndmask_b32_e32 v11, v8, v6, vcc
	v_mul_f32_e32 v6, 0x3fb8aa3b, v19
	v_exp_f32_e32 v6, v6
	v_fma_f32 v8, -v17, v8, v4
	v_cmp_lt_f32_e32 vcc, 0, v8
	v_pk_add_f32 v[6:7], v[6:7], 1.0 op_sel_hi:[1,0]
	s_nop 0
	v_cndmask_b32_e32 v8, v11, v17, vcc
	v_cmp_gt_f32_e32 vcc, s19, v7
	v_mul_f32_e32 v11, 0x37800000, v8
	v_cndmask_b32_e64 v8, v8, v11, s[2:3]
	v_cndmask_b32_e32 v17, 1.0, v14, vcc
	v_mul_f32_e32 v7, v7, v17
	v_log_f32_e32 v7, v7
	v_cmp_class_f32_e64 s[2:3], v4, v16
	v_cmp_lt_f32_e64 s[4:5], |v7|, s20
	s_nop 0
	v_cndmask_b32_e64 v4, v8, v4, s[2:3]
	v_cmp_gt_f32_e64 s[2:3], s19, v6
	v_mul_f32_e32 v8, 0x3f317217, v7
	v_fma_f32 v8, v7, s18, -v8
	v_cndmask_b32_e64 v11, 1.0, v14, s[2:3]
	v_mul_f32_e32 v6, v6, v11
	v_log_f32_e32 v6, v6
	v_fmac_f32_e32 v8, 0x3377d1cf, v7
	v_fmac_f32_e32 v8, 0x3f317217, v7
	v_cndmask_b32_e64 v7, v7, v8, s[4:5]
	v_cndmask_b32_e32 v8, 0, v15, vcc
	v_sub_f32_e32 v7, v7, v8
	v_mul_f32_e32 v8, 0x3f317217, v6
	v_fma_f32 v8, v6, s18, -v8
	v_fmac_f32_e32 v8, 0x3377d1cf, v6
	v_fmac_f32_e32 v8, 0x3f317217, v6
	v_cmp_lt_f32_e64 vcc, |v6|, s20
	s_nop 1
	v_cndmask_b32_e32 v6, v6, v8, vcc
	v_cmp_lt_f32_e32 vcc, s13, v21
	v_cndmask_b32_e64 v8, 0, v15, s[2:3]
	v_sub_f32_e32 v6, v6, v8
	v_cndmask_b32_e32 v7, v7, v21, vcc
	v_mul_f32_e32 v11, 0x4f800000, v7
	v_cmp_gt_f32_e32 vcc, s21, v7
	v_cmp_lt_f32_e64 s[2:3], s13, v19
	s_nop 0
	v_cndmask_b32_e32 v7, v7, v11, vcc
	v_sqrt_f32_e32 v11, v7
	v_cndmask_b32_e64 v6, v6, v19, s[2:3]
	v_add_u32_e32 v8, -1, v11
	v_fma_f32 v17, -v8, v11, v7
	v_cmp_ge_f32_e64 s[2:3], 0, v17
	v_add_u32_e32 v17, 1, v11
	s_nop 0
	v_cndmask_b32_e64 v8, v11, v8, s[2:3]
	v_fma_f32 v11, -v17, v11, v7
	v_cmp_lt_f32_e64 s[2:3], 0, v11
	s_nop 1
	v_cndmask_b32_e64 v8, v8, v17, s[2:3]
	v_mul_f32_e32 v17, 0x4f800000, v6
	v_cmp_gt_f32_e64 s[2:3], s21, v6
	v_mul_f32_e32 v11, 0x37800000, v8
	v_cndmask_b32_e32 v8, v8, v11, vcc
	v_cndmask_b32_e64 v6, v6, v17, s[2:3]
	v_sqrt_f32_e32 v17, v6
	v_cmp_class_f32_e32 vcc, v7, v16
	s_nop 1
	v_cndmask_b32_e32 v7, v8, v7, vcc
	v_add_u32_e32 v8, -1, v17
	v_fma_f32 v11, -v8, v17, v6
	v_cmp_ge_f32_e32 vcc, 0, v11
	v_add_u32_e32 v11, 1, v17
	s_nop 0
	v_cndmask_b32_e32 v8, v17, v8, vcc
	v_cmp_gt_f32_e32 vcc, s19, v18
	v_fma_f32 v17, -v11, v17, v6
	v_cmp_lt_f32_e64 s[4:5], 0, v17
	v_cndmask_b32_e32 v14, 1.0, v14, vcc
	v_mul_f32_e32 v14, v18, v14
	v_log_f32_e32 v14, v14
	v_cndmask_b32_e64 v8, v8, v11, s[4:5]
	v_cndmask_b32_e32 v15, 0, v15, vcc
	v_cmp_lt_f32_e32 vcc, s13, v22
	v_mul_f32_e32 v17, 0x3f317217, v14
	v_fma_f32 v17, v14, s18, -v17
	v_fmac_f32_e32 v17, 0x3377d1cf, v14
	v_fmac_f32_e32 v17, 0x3f317217, v14
	v_cmp_lt_f32_e64 s[4:5], |v14|, s20
	v_mul_f32_e32 v11, 0x37800000, v8
	v_cndmask_b32_e64 v8, v8, v11, s[2:3]
	v_cndmask_b32_e64 v14, v14, v17, s[4:5]
	v_sub_f32_e32 v14, v14, v15
	v_cndmask_b32_e32 v14, v14, v22, vcc
	v_mul_f32_e32 v15, 0x4f800000, v14
	v_cmp_gt_f32_e32 vcc, s21, v14
	v_cmp_class_f32_e64 s[2:3], v6, v16
	s_nop 0
	v_cndmask_b32_e32 v14, v14, v15, vcc
	v_sqrt_f32_e32 v15, v14
	v_cndmask_b32_e64 v6, v8, v6, s[2:3]
	v_add_u32_e32 v8, -1, v15
	v_fma_f32 v11, -v8, v15, v14
	v_cmp_ge_f32_e64 s[2:3], 0, v11
	v_add_u32_e32 v11, 1, v15
	s_nop 0
	v_cndmask_b32_e64 v8, v15, v8, s[2:3]
	v_fma_f32 v15, -v11, v15, v14
	v_cmp_lt_f32_e64 s[2:3], 0, v15
	s_nop 1
	v_cndmask_b32_e64 v8, v8, v11, s[2:3]
	v_mul_f32_e32 v11, 0x37800000, v8
	v_cndmask_b32_e32 v8, v8, v11, vcc
	v_cmp_class_f32_e32 vcc, v14, v16
	s_nop 1
	v_cndmask_b32_e32 v8, v8, v14, vcc
	s_and_b64 vcc, exec, s[16:17]
	s_cbranch_vccnz .LBB176_28
; %bb.2:
	s_load_dwordx2 s[4:5], s[0:1], 0x20
	s_cmp_lt_u32 s14, 4
	v_sub_u32_e32 v21, 0, v20
	s_cbranch_scc1 .LBB176_21
; %bb.3:
	s_mov_b32 s7, 0
	s_and_b32 s12, s14, 0x7ffffffc
	v_ashrrev_i32_e32 v11, 31, v10
	v_mov_b32_e32 v9, 0
	s_mov_b32 s6, s7
	s_branch .LBB176_5
.LBB176_4:                              ;   in Loop: Header=BB176_5 Depth=1
	s_or_b64 exec, exec, s[10:11]
	s_add_i32 s6, s6, 4
	s_cmp_eq_u32 s6, s12
	s_cbranch_scc1 .LBB176_21
.LBB176_5:                              ; =>This Loop Header: Depth=1
                                        ;     Child Loop BB176_7 Depth 2
                                        ;     Child Loop BB176_11 Depth 2
	;; [unrolled: 1-line block ×4, first 2 shown]
	v_lshl_add_u64 v[14:15], s[6:7], 3, v[12:13]
	global_load_dwordx2 v[16:17], v[14:15], off
	v_add_u32_e32 v18, s6, v10
	v_ashrrev_i32_e32 v19, 31, v18
	s_mov_b64 s[10:11], 0
	s_waitcnt lgkmcnt(0)
	v_lshl_add_u64 v[18:19], v[18:19], 3, s[4:5]
	s_mov_b64 s[16:17], 0
	s_waitcnt vmcnt(0)
	v_ashrrev_i32_e32 v17, 31, v16
	v_add_u32_e32 v22, v21, v16
	s_branch .LBB176_7
.LBB176_6:                              ;   in Loop: Header=BB176_7 Depth=2
	s_or_b64 exec, exec, s[18:19]
	s_cmp_gt_u32 s16, 7
	s_cselect_b64 s[2:3], -1, 0
	s_xor_b64 s[18:19], vcc, -1
	s_or_b64 s[2:3], s[18:19], s[2:3]
	s_add_u32 s16, s16, 1
	s_addc_u32 s17, s17, 0
	s_and_b64 s[2:3], exec, s[2:3]
	s_or_b64 s[10:11], s[2:3], s[10:11]
	v_subrev_u32_e32 v22, 64, v22
	s_andn2_b64 exec, exec, s[10:11]
	s_cbranch_execz .LBB176_9
.LBB176_7:                              ;   Parent Loop BB176_5 Depth=1
                                        ; =>  This Inner Loop Header: Depth=2
	v_cmp_ne_u32_e32 vcc, 0, v22
	v_cmp_eq_u32_e64 s[2:3], 0, v22
	s_and_saveexec_b64 s[18:19], s[2:3]
	s_cbranch_execz .LBB176_6
; %bb.8:                                ;   in Loop: Header=BB176_7 Depth=2
	s_set_gpr_idx_on s16, gpr_idx(SRC0)
	v_mov_b32_e32 v23, v0
	s_set_gpr_idx_off
	v_add_f32_e32 v9, v9, v23
	global_store_dwordx2 v[18:19], v[16:17], off
	s_branch .LBB176_6
.LBB176_9:                              ;   in Loop: Header=BB176_5 Depth=1
	s_or_b64 exec, exec, s[10:11]
	global_load_dwordx2 v[18:19], v[14:15], off offset:8
	s_ashr_i32 s3, s6, 31
	s_mov_b32 s2, s6
	v_lshl_add_u64 v[16:17], s[2:3], 0, v[10:11]
	s_mov_b64 s[10:11], 0
	v_lshl_add_u64 v[16:17], v[16:17], 3, s[4:5]
	s_mov_b64 s[16:17], 0
	s_waitcnt vmcnt(0)
	v_ashrrev_i32_e32 v19, 31, v18
	v_add_u32_e32 v22, v21, v18
	s_branch .LBB176_11
.LBB176_10:                             ;   in Loop: Header=BB176_11 Depth=2
	s_or_b64 exec, exec, s[18:19]
	s_cmp_gt_u32 s16, 7
	s_cselect_b64 s[2:3], -1, 0
	s_xor_b64 s[18:19], vcc, -1
	s_or_b64 s[2:3], s[18:19], s[2:3]
	s_add_u32 s16, s16, 1
	s_addc_u32 s17, s17, 0
	s_and_b64 s[2:3], exec, s[2:3]
	s_or_b64 s[10:11], s[2:3], s[10:11]
	v_subrev_u32_e32 v22, 64, v22
	s_andn2_b64 exec, exec, s[10:11]
	s_cbranch_execz .LBB176_13
.LBB176_11:                             ;   Parent Loop BB176_5 Depth=1
                                        ; =>  This Inner Loop Header: Depth=2
	v_cmp_ne_u32_e32 vcc, 0, v22
	v_cmp_eq_u32_e64 s[2:3], 0, v22
	s_and_saveexec_b64 s[18:19], s[2:3]
	s_cbranch_execz .LBB176_10
; %bb.12:                               ;   in Loop: Header=BB176_11 Depth=2
	s_set_gpr_idx_on s16, gpr_idx(SRC0)
	v_mov_b32_e32 v23, v0
	s_set_gpr_idx_off
	v_add_f32_e32 v9, v9, v23
	global_store_dwordx2 v[16:17], v[18:19], off offset:8
	s_branch .LBB176_10
.LBB176_13:                             ;   in Loop: Header=BB176_5 Depth=1
	s_or_b64 exec, exec, s[10:11]
	global_load_dwordx2 v[18:19], v[14:15], off offset:16
	s_mov_b64 s[10:11], 0
	s_mov_b64 s[16:17], 0
	s_waitcnt vmcnt(0)
	v_ashrrev_i32_e32 v19, 31, v18
	v_add_u32_e32 v22, v21, v18
	s_branch .LBB176_15
.LBB176_14:                             ;   in Loop: Header=BB176_15 Depth=2
	s_or_b64 exec, exec, s[18:19]
	s_cmp_gt_u32 s16, 7
	s_cselect_b64 s[2:3], -1, 0
	s_xor_b64 s[18:19], vcc, -1
	s_or_b64 s[2:3], s[18:19], s[2:3]
	s_add_u32 s16, s16, 1
	s_addc_u32 s17, s17, 0
	s_and_b64 s[2:3], exec, s[2:3]
	s_or_b64 s[10:11], s[2:3], s[10:11]
	v_subrev_u32_e32 v22, 64, v22
	s_andn2_b64 exec, exec, s[10:11]
	s_cbranch_execz .LBB176_17
.LBB176_15:                             ;   Parent Loop BB176_5 Depth=1
                                        ; =>  This Inner Loop Header: Depth=2
	v_cmp_ne_u32_e32 vcc, 0, v22
	v_cmp_eq_u32_e64 s[2:3], 0, v22
	s_and_saveexec_b64 s[18:19], s[2:3]
	s_cbranch_execz .LBB176_14
; %bb.16:                               ;   in Loop: Header=BB176_15 Depth=2
	s_set_gpr_idx_on s16, gpr_idx(SRC0)
	v_mov_b32_e32 v23, v0
	s_set_gpr_idx_off
	v_add_f32_e32 v9, v9, v23
	global_store_dwordx2 v[16:17], v[18:19], off offset:16
	s_branch .LBB176_14
.LBB176_17:                             ;   in Loop: Header=BB176_5 Depth=1
	s_or_b64 exec, exec, s[10:11]
	global_load_dwordx2 v[14:15], v[14:15], off offset:24
	s_mov_b64 s[10:11], 0
	s_mov_b64 s[16:17], 0
	s_waitcnt vmcnt(0)
	v_ashrrev_i32_e32 v15, 31, v14
	v_add_u32_e32 v18, v21, v14
	s_branch .LBB176_19
.LBB176_18:                             ;   in Loop: Header=BB176_19 Depth=2
	s_or_b64 exec, exec, s[18:19]
	s_cmp_gt_u32 s16, 7
	s_cselect_b64 s[2:3], -1, 0
	s_xor_b64 s[18:19], vcc, -1
	s_or_b64 s[2:3], s[18:19], s[2:3]
	s_add_u32 s16, s16, 1
	s_addc_u32 s17, s17, 0
	s_and_b64 s[2:3], exec, s[2:3]
	s_or_b64 s[10:11], s[2:3], s[10:11]
	v_subrev_u32_e32 v18, 64, v18
	s_andn2_b64 exec, exec, s[10:11]
	s_cbranch_execz .LBB176_4
.LBB176_19:                             ;   Parent Loop BB176_5 Depth=1
                                        ; =>  This Inner Loop Header: Depth=2
	v_cmp_ne_u32_e32 vcc, 0, v18
	v_cmp_eq_u32_e64 s[2:3], 0, v18
	s_and_saveexec_b64 s[18:19], s[2:3]
	s_cbranch_execz .LBB176_18
; %bb.20:                               ;   in Loop: Header=BB176_19 Depth=2
	s_set_gpr_idx_on s16, gpr_idx(SRC0)
	v_mov_b32_e32 v19, v0
	s_set_gpr_idx_off
	v_add_f32_e32 v9, v9, v19
	global_store_dwordx2 v[16:17], v[14:15], off offset:24
	s_branch .LBB176_18
.LBB176_21:
	s_and_b32 s15, s14, 3
	s_cmp_eq_u32 s15, 0
	s_mov_b32 s13, 0
	s_cbranch_scc1 .LBB176_28
; %bb.22:
	s_mov_b32 s18, s13
	s_branch .LBB176_24
.LBB176_23:                             ;   in Loop: Header=BB176_24 Depth=1
	s_or_b64 exec, exec, s[6:7]
	s_add_i32 s12, s12, 1
	s_add_i32 s18, s18, 1
	s_cmp_lg_u32 s18, s15
	s_cbranch_scc0 .LBB176_28
.LBB176_24:                             ; =>This Loop Header: Depth=1
                                        ;     Child Loop BB176_26 Depth 2
	v_lshl_add_u64 v[14:15], s[12:13], 3, v[12:13]
	global_load_dwordx2 v[14:15], v[14:15], off
	v_add_u32_e32 v16, s12, v10
	v_ashrrev_i32_e32 v17, 31, v16
	s_mov_b64 s[6:7], 0
	s_waitcnt lgkmcnt(0)
	v_lshl_add_u64 v[16:17], v[16:17], 3, s[4:5]
	s_mov_b64 s[10:11], 0
	s_waitcnt vmcnt(0)
	v_ashrrev_i32_e32 v15, 31, v14
	v_add_u32_e32 v11, v21, v14
	s_branch .LBB176_26
.LBB176_25:                             ;   in Loop: Header=BB176_26 Depth=2
	s_or_b64 exec, exec, s[16:17]
	s_cmp_gt_u32 s10, 7
	s_cselect_b64 s[2:3], -1, 0
	s_xor_b64 s[16:17], vcc, -1
	s_or_b64 s[2:3], s[16:17], s[2:3]
	s_add_u32 s10, s10, 1
	s_addc_u32 s11, s11, 0
	s_and_b64 s[2:3], exec, s[2:3]
	s_or_b64 s[6:7], s[2:3], s[6:7]
	v_subrev_u32_e32 v11, 64, v11
	s_andn2_b64 exec, exec, s[6:7]
	s_cbranch_execz .LBB176_23
.LBB176_26:                             ;   Parent Loop BB176_24 Depth=1
                                        ; =>  This Inner Loop Header: Depth=2
	v_cmp_ne_u32_e32 vcc, 0, v11
	v_cmp_eq_u32_e64 s[2:3], 0, v11
	s_and_saveexec_b64 s[16:17], s[2:3]
	s_cbranch_execz .LBB176_25
; %bb.27:                               ;   in Loop: Header=BB176_26 Depth=2
	s_set_gpr_idx_on s10, gpr_idx(SRC0)
	v_mov_b32_e32 v18, v0
	s_set_gpr_idx_off
	v_add_f32_e32 v9, v9, v18
	global_store_dwordx2 v[16:17], v[14:15], off
	s_branch .LBB176_25
.LBB176_28:
	s_waitcnt lgkmcnt(0)
	s_load_dword s4, s[0:1], 0x3c
	s_waitcnt lgkmcnt(0)
	s_bitcmp1_b32 s4, 0
	s_cselect_b64 s[2:3], -1, 0
	s_bitcmp0_b32 s4, 0
	s_cbranch_scc0 .LBB176_32
; %bb.29:
	s_load_dwordx2 s[4:5], s[0:1], 0x40
	s_andn2_b64 vcc, exec, s[2:3]
	s_waitcnt lgkmcnt(0)
	v_cvt_f32_f64_e32 v21, s[4:5]
	s_cbranch_vccz .LBB176_33
.LBB176_30:
	s_andn2_b64 vcc, exec, s[8:9]
	s_cbranch_vccz .LBB176_34
.LBB176_31:
	s_endpgm
.LBB176_32:
	v_mbcnt_lo_u32_b32 v11, -1, 0
	v_mbcnt_hi_u32_b32 v11, -1, v11
	v_and_b32_e32 v14, 64, v11
	v_add_u32_e32 v14, 64, v14
	v_xor_b32_e32 v15, 32, v11
	v_cmp_lt_i32_e32 vcc, v15, v14
	v_xor_b32_e32 v16, 16, v11
	s_nop 0
	v_cndmask_b32_e32 v15, v11, v15, vcc
	v_lshlrev_b32_e32 v15, 2, v15
	ds_bpermute_b32 v15, v15, v9
	v_cmp_lt_i32_e32 vcc, v16, v14
	s_waitcnt lgkmcnt(0)
	v_add_f32_e32 v9, v9, v15
	v_cndmask_b32_e32 v15, v11, v16, vcc
	v_lshlrev_b32_e32 v15, 2, v15
	ds_bpermute_b32 v15, v15, v9
	v_xor_b32_e32 v16, 8, v11
	v_cmp_lt_i32_e32 vcc, v16, v14
	s_waitcnt lgkmcnt(0)
	v_add_f32_e32 v9, v9, v15
	v_cndmask_b32_e32 v15, v11, v16, vcc
	v_lshlrev_b32_e32 v15, 2, v15
	ds_bpermute_b32 v15, v15, v9
	v_xor_b32_e32 v16, 4, v11
	;; [unrolled: 7-line block ×4, first 2 shown]
	v_cmp_lt_i32_e32 vcc, v16, v14
	s_waitcnt lgkmcnt(0)
	v_add_f32_e32 v9, v9, v15
	v_cndmask_b32_e32 v11, v11, v16, vcc
	v_lshlrev_b32_e32 v11, 2, v11
	ds_bpermute_b32 v11, v11, v9
	s_waitcnt lgkmcnt(0)
	v_add_f32_e32 v9, v9, v11
	s_load_dwordx2 s[4:5], s[0:1], 0x40
	s_andn2_b64 vcc, exec, s[2:3]
	s_waitcnt lgkmcnt(0)
	v_cvt_f32_f64_e32 v21, s[4:5]
	s_cbranch_vccnz .LBB176_30
.LBB176_33:
	v_cmp_lt_f32_e32 vcc, 0, v9
	s_nop 1
	v_cndmask_b32_e32 v9, 1.0, v9, vcc
	v_div_scale_f32 v11, s[2:3], v9, v9, v21
	v_rcp_f32_e32 v14, v11
	s_nop 0
	v_fma_f32 v15, -v11, v14, 1.0
	v_fmac_f32_e32 v14, v15, v14
	v_div_scale_f32 v15, vcc, v21, v9, v21
	v_mul_f32_e32 v16, v15, v14
	v_fma_f32 v17, -v11, v16, v15
	v_fmac_f32_e32 v16, v17, v14
	v_fma_f32 v11, -v11, v16, v15
	v_div_fmas_f32 v11, v11, v14, v16
	v_div_fixup_f32 v21, v11, v9, v21
	s_andn2_b64 vcc, exec, s[8:9]
	s_cbranch_vccnz .LBB176_31
.LBB176_34:
	s_load_dwordx2 s[16:17], s[0:1], 0x10
	v_or_b32_e32 v28, 64, v20
	v_or_b32_e32 v27, 0x80, v20
	;; [unrolled: 1-line block ×8, first 2 shown]
	s_cmp_eq_u32 s14, 1
	s_mov_b32 s18, 0
	s_cbranch_scc1 .LBB176_73
; %bb.35:
	v_ashrrev_i32_e32 v11, 31, v10
	s_waitcnt lgkmcnt(0)
	v_lshl_add_u64 v[14:15], v[10:11], 2, s[16:17]
	s_and_b32 s18, s14, 0x7ffffffe
	v_lshl_add_u64 v[14:15], v[14:15], 0, 4
	v_lshl_add_u64 v[16:17], v[12:13], 0, 8
	s_mov_b32 s15, 0
	s_branch .LBB176_37
.LBB176_36:                             ;   in Loop: Header=BB176_37 Depth=1
	s_or_b64 exec, exec, s[0:1]
	s_add_i32 s15, s15, 2
	v_lshl_add_u64 v[14:15], v[14:15], 0, 8
	s_cmp_lg_u32 s18, s15
	v_lshl_add_u64 v[16:17], v[16:17], 0, 16
	s_cbranch_scc0 .LBB176_73
.LBB176_37:                             ; =>This Inner Loop Header: Depth=1
	global_load_dword v11, v[16:17], off offset:-8
	v_mov_b64_e32 v[18:19], 0
	s_waitcnt vmcnt(0)
	v_cmp_eq_u32_e32 vcc, v20, v11
	v_cmp_ne_u32_e64 s[0:1], v20, v11
	s_and_saveexec_b64 s[20:21], s[0:1]
	s_cbranch_execz .LBB176_53
; %bb.38:                               ;   in Loop: Header=BB176_37 Depth=1
	v_cmp_eq_u32_e64 s[0:1], v28, v11
	v_cmp_ne_u32_e64 s[2:3], v28, v11
	v_mov_b64_e32 v[18:19], 1
	s_and_saveexec_b64 s[22:23], s[2:3]
	s_cbranch_execz .LBB176_52
; %bb.39:                               ;   in Loop: Header=BB176_37 Depth=1
	v_cmp_eq_u32_e64 s[2:3], v27, v11
	v_cmp_ne_u32_e64 s[4:5], v27, v11
	v_mov_b64_e32 v[18:19], 2
	;; [unrolled: 6-line block ×7, first 2 shown]
	s_and_saveexec_b64 s[38:39], s[12:13]
	s_xor_b64 s[38:39], exec, s[38:39]
; %bb.45:                               ;   in Loop: Header=BB176_37 Depth=1
	v_cmp_eq_u32_e64 s[12:13], v9, v11
	s_andn2_b64 s[36:37], s[36:37], exec
	s_and_b64 s[12:13], s[12:13], exec
	v_mov_b64_e32 v[18:19], 8
	s_or_b64 s[36:37], s[36:37], s[12:13]
; %bb.46:                               ;   in Loop: Header=BB176_37 Depth=1
	s_or_b64 exec, exec, s[38:39]
	s_andn2_b64 s[10:11], s[10:11], exec
	s_and_b64 s[12:13], s[36:37], exec
	s_or_b64 s[10:11], s[10:11], s[12:13]
.LBB176_47:                             ;   in Loop: Header=BB176_37 Depth=1
	s_or_b64 exec, exec, s[34:35]
	s_andn2_b64 s[8:9], s[8:9], exec
	s_and_b64 s[10:11], s[10:11], exec
	s_or_b64 s[8:9], s[8:9], s[10:11]
.LBB176_48:                             ;   in Loop: Header=BB176_37 Depth=1
	s_or_b64 exec, exec, s[30:31]
	s_andn2_b64 s[6:7], s[6:7], exec
	s_and_b64 s[8:9], s[8:9], exec
	s_or_b64 s[6:7], s[6:7], s[8:9]
.LBB176_49:                             ;   in Loop: Header=BB176_37 Depth=1
	s_or_b64 exec, exec, s[28:29]
	s_andn2_b64 s[4:5], s[4:5], exec
	s_and_b64 s[6:7], s[6:7], exec
	s_or_b64 s[4:5], s[4:5], s[6:7]
.LBB176_50:                             ;   in Loop: Header=BB176_37 Depth=1
	s_or_b64 exec, exec, s[26:27]
	s_andn2_b64 s[2:3], s[2:3], exec
	s_and_b64 s[4:5], s[4:5], exec
	s_or_b64 s[2:3], s[2:3], s[4:5]
.LBB176_51:                             ;   in Loop: Header=BB176_37 Depth=1
	s_or_b64 exec, exec, s[24:25]
	s_andn2_b64 s[0:1], s[0:1], exec
	s_and_b64 s[2:3], s[2:3], exec
	s_or_b64 s[0:1], s[0:1], s[2:3]
.LBB176_52:                             ;   in Loop: Header=BB176_37 Depth=1
	s_or_b64 exec, exec, s[22:23]
	s_andn2_b64 s[2:3], vcc, exec
	s_and_b64 s[0:1], s[0:1], exec
	s_or_b64 vcc, s[2:3], s[0:1]
.LBB176_53:                             ;   in Loop: Header=BB176_37 Depth=1
	s_or_b64 exec, exec, s[20:21]
	s_and_saveexec_b64 s[0:1], vcc
	s_cbranch_execz .LBB176_55
; %bb.54:                               ;   in Loop: Header=BB176_37 Depth=1
	v_cmp_eq_u32_e32 vcc, 1, v18
	v_add_u32_e32 v30, s15, v10
	v_ashrrev_i32_e32 v31, 31, v30
	v_cndmask_b32_e32 v11, v0, v1, vcc
	v_cmp_eq_u32_e32 vcc, 2, v18
	s_nop 1
	v_cndmask_b32_e32 v11, v11, v2, vcc
	v_cmp_eq_u32_e32 vcc, 3, v18
	s_nop 1
	;; [unrolled: 3-line block ×6, first 2 shown]
	v_cndmask_b32_e32 v11, v11, v7, vcc
	v_cmp_eq_u32_e32 vcc, 8, v18
	v_lshl_add_u64 v[18:19], v[30:31], 2, s[16:17]
	s_nop 0
	v_cndmask_b32_e32 v11, v11, v8, vcc
	v_mul_f32_e32 v11, v21, v11
	global_store_dword v[18:19], v11, off
.LBB176_55:                             ;   in Loop: Header=BB176_37 Depth=1
	s_or_b64 exec, exec, s[0:1]
	global_load_dword v11, v[16:17], off
	v_mov_b64_e32 v[18:19], 0
	s_waitcnt vmcnt(0)
	v_cmp_eq_u32_e64 s[10:11], v20, v11
	v_cmp_ne_u32_e32 vcc, v20, v11
	s_and_saveexec_b64 s[12:13], vcc
	s_cbranch_execz .LBB176_71
; %bb.56:                               ;   in Loop: Header=BB176_37 Depth=1
	v_cmp_eq_u32_e32 vcc, v28, v11
	v_cmp_ne_u32_e64 s[0:1], v28, v11
	v_mov_b64_e32 v[18:19], 1
	s_and_saveexec_b64 s[20:21], s[0:1]
	s_cbranch_execz .LBB176_70
; %bb.57:                               ;   in Loop: Header=BB176_37 Depth=1
	v_cmp_eq_u32_e64 s[0:1], v27, v11
	v_cmp_ne_u32_e64 s[2:3], v27, v11
	v_mov_b64_e32 v[18:19], 2
	s_and_saveexec_b64 s[22:23], s[2:3]
	s_cbranch_execz .LBB176_69
; %bb.58:                               ;   in Loop: Header=BB176_37 Depth=1
	v_cmp_eq_u32_e64 s[2:3], v26, v11
	;; [unrolled: 6-line block ×6, first 2 shown]
	v_cmp_ne_u32_e64 s[8:9], v22, v11
	v_mov_b64_e32 v[18:19], 7
	s_and_saveexec_b64 s[38:39], s[8:9]
; %bb.63:                               ;   in Loop: Header=BB176_37 Depth=1
	v_cmp_eq_u32_e64 s[8:9], v9, v11
	s_andn2_b64 s[36:37], s[36:37], exec
	s_and_b64 s[8:9], s[8:9], exec
	v_mov_b64_e32 v[18:19], 8
	s_or_b64 s[36:37], s[36:37], s[8:9]
; %bb.64:                               ;   in Loop: Header=BB176_37 Depth=1
	s_or_b64 exec, exec, s[38:39]
	s_andn2_b64 s[8:9], s[30:31], exec
	s_and_b64 s[30:31], s[36:37], exec
	s_or_b64 s[30:31], s[8:9], s[30:31]
.LBB176_65:                             ;   in Loop: Header=BB176_37 Depth=1
	s_or_b64 exec, exec, s[34:35]
	s_andn2_b64 s[6:7], s[6:7], exec
	s_and_b64 s[8:9], s[30:31], exec
	s_or_b64 s[6:7], s[6:7], s[8:9]
.LBB176_66:                             ;   in Loop: Header=BB176_37 Depth=1
	s_or_b64 exec, exec, s[28:29]
	s_andn2_b64 s[4:5], s[4:5], exec
	s_and_b64 s[6:7], s[6:7], exec
	s_or_b64 s[4:5], s[4:5], s[6:7]
.LBB176_67:                             ;   in Loop: Header=BB176_37 Depth=1
	s_or_b64 exec, exec, s[26:27]
	s_andn2_b64 s[2:3], s[2:3], exec
	s_and_b64 s[4:5], s[4:5], exec
	s_or_b64 s[2:3], s[2:3], s[4:5]
.LBB176_68:                             ;   in Loop: Header=BB176_37 Depth=1
	s_or_b64 exec, exec, s[24:25]
	s_andn2_b64 s[0:1], s[0:1], exec
	s_and_b64 s[2:3], s[2:3], exec
	s_or_b64 s[0:1], s[0:1], s[2:3]
.LBB176_69:                             ;   in Loop: Header=BB176_37 Depth=1
	s_or_b64 exec, exec, s[22:23]
	s_andn2_b64 s[2:3], vcc, exec
	s_and_b64 s[0:1], s[0:1], exec
	s_or_b64 vcc, s[2:3], s[0:1]
.LBB176_70:                             ;   in Loop: Header=BB176_37 Depth=1
	s_or_b64 exec, exec, s[20:21]
	s_andn2_b64 s[0:1], s[10:11], exec
	s_and_b64 s[2:3], vcc, exec
	s_or_b64 s[10:11], s[0:1], s[2:3]
.LBB176_71:                             ;   in Loop: Header=BB176_37 Depth=1
	s_or_b64 exec, exec, s[12:13]
	s_and_saveexec_b64 s[0:1], s[10:11]
	s_cbranch_execz .LBB176_36
; %bb.72:                               ;   in Loop: Header=BB176_37 Depth=1
	v_cmp_eq_u32_e32 vcc, 1, v18
	s_nop 1
	v_cndmask_b32_e32 v11, v0, v1, vcc
	v_cmp_eq_u32_e32 vcc, 2, v18
	s_nop 1
	v_cndmask_b32_e32 v11, v11, v2, vcc
	;; [unrolled: 3-line block ×8, first 2 shown]
	v_mul_f32_e32 v11, v21, v11
	global_store_dword v[14:15], v11, off
	s_branch .LBB176_36
.LBB176_73:
	s_bitcmp0_b32 s14, 0
	s_mov_b32 s19, 0
	s_cbranch_scc1 .LBB176_31
; %bb.74:
	v_lshl_add_u64 v[12:13], s[18:19], 3, v[12:13]
	global_load_dword v11, v[12:13], off
	v_mov_b64_e32 v[12:13], 0
	s_waitcnt vmcnt(0)
	v_cmp_eq_u32_e64 s[10:11], v20, v11
	v_cmp_ne_u32_e32 vcc, v20, v11
	s_and_saveexec_b64 s[12:13], vcc
	s_cbranch_execz .LBB176_90
; %bb.75:
	v_cmp_eq_u32_e32 vcc, v28, v11
	v_cmp_ne_u32_e64 s[0:1], v28, v11
	v_mov_b64_e32 v[12:13], 1
	s_and_saveexec_b64 s[14:15], s[0:1]
	s_cbranch_execz .LBB176_89
; %bb.76:
	v_cmp_eq_u32_e64 s[0:1], v27, v11
	v_cmp_ne_u32_e64 s[2:3], v27, v11
	v_mov_b64_e32 v[12:13], 2
	s_and_saveexec_b64 s[20:21], s[2:3]
	s_cbranch_execz .LBB176_88
; %bb.77:
	v_cmp_eq_u32_e64 s[2:3], v26, v11
	;; [unrolled: 6-line block ×6, first 2 shown]
	v_cmp_ne_u32_e64 s[8:9], v22, v11
	v_mov_b64_e32 v[12:13], 7
	s_and_saveexec_b64 s[36:37], s[8:9]
; %bb.82:
	v_cmp_eq_u32_e64 s[8:9], v9, v11
	s_andn2_b64 s[34:35], s[34:35], exec
	s_and_b64 s[8:9], s[8:9], exec
	v_mov_b64_e32 v[12:13], 8
	s_or_b64 s[34:35], s[34:35], s[8:9]
; %bb.83:
	s_or_b64 exec, exec, s[36:37]
	s_andn2_b64 s[8:9], s[28:29], exec
	s_and_b64 s[28:29], s[34:35], exec
	s_or_b64 s[28:29], s[8:9], s[28:29]
.LBB176_84:
	s_or_b64 exec, exec, s[30:31]
	s_andn2_b64 s[6:7], s[6:7], exec
	s_and_b64 s[8:9], s[28:29], exec
	s_or_b64 s[6:7], s[6:7], s[8:9]
.LBB176_85:
	s_or_b64 exec, exec, s[26:27]
	s_andn2_b64 s[4:5], s[4:5], exec
	s_and_b64 s[6:7], s[6:7], exec
	s_or_b64 s[4:5], s[4:5], s[6:7]
.LBB176_86:
	s_or_b64 exec, exec, s[24:25]
	s_andn2_b64 s[2:3], s[2:3], exec
	s_and_b64 s[4:5], s[4:5], exec
	s_or_b64 s[2:3], s[2:3], s[4:5]
.LBB176_87:
	s_or_b64 exec, exec, s[22:23]
	s_andn2_b64 s[0:1], s[0:1], exec
	s_and_b64 s[2:3], s[2:3], exec
	s_or_b64 s[0:1], s[0:1], s[2:3]
.LBB176_88:
	s_or_b64 exec, exec, s[20:21]
	s_andn2_b64 s[2:3], vcc, exec
	s_and_b64 s[0:1], s[0:1], exec
	s_or_b64 vcc, s[2:3], s[0:1]
.LBB176_89:
	s_or_b64 exec, exec, s[14:15]
	s_andn2_b64 s[0:1], s[10:11], exec
	s_and_b64 s[2:3], vcc, exec
	s_or_b64 s[10:11], s[0:1], s[2:3]
.LBB176_90:
	s_or_b64 exec, exec, s[12:13]
	s_and_b64 exec, exec, s[10:11]
	s_cbranch_execz .LBB176_31
; %bb.91:
	v_cmp_eq_u32_e32 vcc, 1, v12
	v_add_u32_e32 v10, s18, v10
	v_ashrrev_i32_e32 v11, 31, v10
	v_cndmask_b32_e32 v0, v0, v1, vcc
	v_cmp_eq_u32_e32 vcc, 2, v12
	s_nop 1
	v_cndmask_b32_e32 v0, v0, v2, vcc
	v_cmp_eq_u32_e32 vcc, 3, v12
	s_nop 1
	;; [unrolled: 3-line block ×7, first 2 shown]
	v_cndmask_b32_e32 v0, v0, v8, vcc
	v_mul_f32_e32 v2, v21, v0
	s_waitcnt lgkmcnt(0)
	v_lshl_add_u64 v[0:1], v[10:11], 2, s[16:17]
	global_store_dword v[0:1], v2, off
	s_endpgm
	.section	.rodata,"a",@progbits
	.p2align	6, 0x0
	.amdhsa_kernel _ZN4vllm3moe22topkGatingSoftplusSqrtILi9ELi576ELi4ELi4ELi64ELb1ElfEEvPKT6_PKbPfiPT5_PiiiibdPKfPKS8_SE_
		.amdhsa_group_segment_fixed_size 0
		.amdhsa_private_segment_fixed_size 0
		.amdhsa_kernarg_size 96
		.amdhsa_user_sgpr_count 2
		.amdhsa_user_sgpr_dispatch_ptr 0
		.amdhsa_user_sgpr_queue_ptr 0
		.amdhsa_user_sgpr_kernarg_segment_ptr 1
		.amdhsa_user_sgpr_dispatch_id 0
		.amdhsa_user_sgpr_kernarg_preload_length 0
		.amdhsa_user_sgpr_kernarg_preload_offset 0
		.amdhsa_user_sgpr_private_segment_size 0
		.amdhsa_uses_dynamic_stack 0
		.amdhsa_enable_private_segment 0
		.amdhsa_system_sgpr_workgroup_id_x 1
		.amdhsa_system_sgpr_workgroup_id_y 0
		.amdhsa_system_sgpr_workgroup_id_z 0
		.amdhsa_system_sgpr_workgroup_info 0
		.amdhsa_system_vgpr_workitem_id 1
		.amdhsa_next_free_vgpr 32
		.amdhsa_next_free_sgpr 40
		.amdhsa_accum_offset 32
		.amdhsa_reserve_vcc 1
		.amdhsa_float_round_mode_32 0
		.amdhsa_float_round_mode_16_64 0
		.amdhsa_float_denorm_mode_32 3
		.amdhsa_float_denorm_mode_16_64 3
		.amdhsa_dx10_clamp 1
		.amdhsa_ieee_mode 1
		.amdhsa_fp16_overflow 0
		.amdhsa_tg_split 0
		.amdhsa_exception_fp_ieee_invalid_op 0
		.amdhsa_exception_fp_denorm_src 0
		.amdhsa_exception_fp_ieee_div_zero 0
		.amdhsa_exception_fp_ieee_overflow 0
		.amdhsa_exception_fp_ieee_underflow 0
		.amdhsa_exception_fp_ieee_inexact 0
		.amdhsa_exception_int_div_zero 0
	.end_amdhsa_kernel
	.section	.text._ZN4vllm3moe22topkGatingSoftplusSqrtILi9ELi576ELi4ELi4ELi64ELb1ElfEEvPKT6_PKbPfiPT5_PiiiibdPKfPKS8_SE_,"axG",@progbits,_ZN4vllm3moe22topkGatingSoftplusSqrtILi9ELi576ELi4ELi4ELi64ELb1ElfEEvPKT6_PKbPfiPT5_PiiiibdPKfPKS8_SE_,comdat
.Lfunc_end176:
	.size	_ZN4vllm3moe22topkGatingSoftplusSqrtILi9ELi576ELi4ELi4ELi64ELb1ElfEEvPKT6_PKbPfiPT5_PiiiibdPKfPKS8_SE_, .Lfunc_end176-_ZN4vllm3moe22topkGatingSoftplusSqrtILi9ELi576ELi4ELi4ELi64ELb1ElfEEvPKT6_PKbPfiPT5_PiiiibdPKfPKS8_SE_
                                        ; -- End function
	.section	.AMDGPU.csdata,"",@progbits
; Kernel info:
; codeLenInByte = 5236
; NumSgprs: 46
; NumVgprs: 32
; NumAgprs: 0
; TotalNumVgprs: 32
; ScratchSize: 0
; MemoryBound: 0
; FloatMode: 240
; IeeeMode: 1
; LDSByteSize: 0 bytes/workgroup (compile time only)
; SGPRBlocks: 5
; VGPRBlocks: 3
; NumSGPRsForWavesPerEU: 46
; NumVGPRsForWavesPerEU: 32
; AccumOffset: 32
; Occupancy: 8
; WaveLimiterHint : 1
; COMPUTE_PGM_RSRC2:SCRATCH_EN: 0
; COMPUTE_PGM_RSRC2:USER_SGPR: 2
; COMPUTE_PGM_RSRC2:TRAP_HANDLER: 0
; COMPUTE_PGM_RSRC2:TGID_X_EN: 1
; COMPUTE_PGM_RSRC2:TGID_Y_EN: 0
; COMPUTE_PGM_RSRC2:TGID_Z_EN: 0
; COMPUTE_PGM_RSRC2:TIDIG_COMP_CNT: 1
; COMPUTE_PGM_RSRC3_GFX90A:ACCUM_OFFSET: 7
; COMPUTE_PGM_RSRC3_GFX90A:TG_SPLIT: 0
	.section	.text._ZN4vllm3moe22topkGatingSoftplusSqrtILi9ELi576ELi4ELi4ELi64ELb0ElfEEvPKT6_PKbPfiPT5_PiiiibdPKfPKS8_SE_,"axG",@progbits,_ZN4vllm3moe22topkGatingSoftplusSqrtILi9ELi576ELi4ELi4ELi64ELb0ElfEEvPKT6_PKbPfiPT5_PiiiibdPKfPKS8_SE_,comdat
	.protected	_ZN4vllm3moe22topkGatingSoftplusSqrtILi9ELi576ELi4ELi4ELi64ELb0ElfEEvPKT6_PKbPfiPT5_PiiiibdPKfPKS8_SE_ ; -- Begin function _ZN4vllm3moe22topkGatingSoftplusSqrtILi9ELi576ELi4ELi4ELi64ELb0ElfEEvPKT6_PKbPfiPT5_PiiiibdPKfPKS8_SE_
	.globl	_ZN4vllm3moe22topkGatingSoftplusSqrtILi9ELi576ELi4ELi4ELi64ELb0ElfEEvPKT6_PKbPfiPT5_PiiiibdPKfPKS8_SE_
	.p2align	8
	.type	_ZN4vllm3moe22topkGatingSoftplusSqrtILi9ELi576ELi4ELi4ELi64ELb0ElfEEvPKT6_PKbPfiPT5_PiiiibdPKfPKS8_SE_,@function
_ZN4vllm3moe22topkGatingSoftplusSqrtILi9ELi576ELi4ELi4ELi64ELb0ElfEEvPKT6_PKbPfiPT5_PiiiibdPKfPKS8_SE_: ; @_ZN4vllm3moe22topkGatingSoftplusSqrtILi9ELi576ELi4ELi4ELi64ELb0ElfEEvPKT6_PKbPfiPT5_PiiiibdPKfPKS8_SE_
; %bb.0:
	s_load_dword s30, s[0:1], 0x18
	v_and_b32_e32 v1, 0x3ff, v0
	s_lshl_b32 s2, s2, 2
	v_lshrrev_b32_e32 v2, 6, v1
	v_bfe_u32 v0, v0, 10, 10
	v_add3_u32 v10, s2, v0, v2
	s_waitcnt lgkmcnt(0)
	v_cmp_gt_i32_e32 vcc, s30, v10
	s_and_saveexec_b64 s[2:3], vcc
	s_cbranch_execz .LBB177_67
; %bb.1:
	s_load_dwordx4 s[4:7], s[0:1], 0x0
	s_load_dwordx2 s[20:21], s[0:1], 0x10
	s_waitcnt lgkmcnt(0)
	s_cmp_eq_u64 s[6:7], 0
	s_cbranch_scc1 .LBB177_3
; %bb.2:
	v_ashrrev_i32_e32 v11, 31, v10
	v_lshl_add_u64 v[2:3], s[6:7], 0, v[10:11]
	global_load_ubyte v0, v[2:3], off
	s_waitcnt vmcnt(0)
	v_and_b32_e32 v0, 1, v0
	v_cmp_eq_u32_e32 vcc, 1, v0
	s_xor_b64 s[2:3], vcc, -1
	s_orn2_b64 s[22:23], s[2:3], exec
	s_branch .LBB177_4
.LBB177_3:
	s_mov_b64 s[22:23], -1
.LBB177_4:
	s_movk_i32 s2, 0x240
	v_mul_lo_u32 v4, v10, s2
	v_mov_b32_e32 v2, s4
	v_mov_b32_e32 v3, s5
	v_ashrrev_i32_e32 v5, 31, v4
	v_and_b32_e32 v12, 63, v1
	v_lshl_add_u64 v[2:3], v[4:5], 2, v[2:3]
	v_mov_b32_e32 v15, 0
	v_lshlrev_b32_e32 v14, 2, v12
	v_lshl_add_u64 v[16:17], v[2:3], 0, v[14:15]
	global_load_dword v0, v[16:17], off
	global_load_dword v1, v[16:17], off offset:256
	global_load_dword v2, v[16:17], off offset:512
	;; [unrolled: 1-line block ×8, first 2 shown]
	s_mov_b32 s16, 0x800000
	v_mov_b32_e32 v13, 0x4f800000
	s_mov_b32 s13, 0x3f317217
	s_mov_b32 s14, 0x7f800000
	v_mov_b32_e32 v11, 0x41b17218
	s_mov_b32 s12, 0x41a00000
	s_mov_b32 s15, 0xf800000
	s_load_dwordx4 s[8:11], s[0:1], 0x40
	s_waitcnt lgkmcnt(0)
	s_cmp_lg_u64 s[10:11], 0
	s_cselect_b64 s[6:7], -1, 0
	s_and_b64 s[2:3], exec, s[6:7]
	s_waitcnt vmcnt(8)
	v_mul_f32_e32 v9, 0x3fb8aa3b, v0
	v_exp_f32_e32 v9, v9
	s_nop 0
	v_add_f32_e32 v9, 1.0, v9
	v_cmp_gt_f32_e32 vcc, s16, v9
	s_nop 1
	v_cndmask_b32_e32 v15, 1.0, v13, vcc
	v_mul_f32_e32 v9, v9, v15
	v_log_f32_e32 v15, v9
	v_cndmask_b32_e32 v16, 0, v11, vcc
	v_mov_b32_e32 v9, 0x260
	v_mul_f32_e32 v17, 0x3f317217, v15
	v_fma_f32 v17, v15, s13, -v17
	v_fmac_f32_e32 v17, 0x3377d1cf, v15
	v_fmac_f32_e32 v17, 0x3f317217, v15
	v_cmp_lt_f32_e64 vcc, |v15|, s14
	s_nop 1
	v_cndmask_b32_e32 v15, v15, v17, vcc
	v_sub_f32_e32 v15, v15, v16
	v_cmp_lt_f32_e32 vcc, s12, v0
	s_nop 1
	v_cndmask_b32_e32 v0, v15, v0, vcc
	v_mul_f32_e32 v15, 0x4f800000, v0
	v_cmp_gt_f32_e32 vcc, s15, v0
	s_nop 1
	v_cndmask_b32_e32 v0, v0, v15, vcc
	v_sqrt_f32_e32 v15, v0
	s_nop 0
	v_add_u32_e32 v16, -1, v15
	v_add_u32_e32 v17, 1, v15
	v_fma_f32 v18, -v16, v15, v0
	v_fma_f32 v19, -v17, v15, v0
	v_cmp_ge_f32_e64 s[4:5], 0, v18
	s_nop 1
	v_cndmask_b32_e64 v15, v15, v16, s[4:5]
	v_cmp_lt_f32_e64 s[4:5], 0, v19
	s_nop 1
	v_cndmask_b32_e64 v15, v15, v17, s[4:5]
	v_mul_f32_e32 v16, 0x37800000, v15
	v_cndmask_b32_e32 v15, v15, v16, vcc
	v_cmp_class_f32_e32 vcc, v0, v9
	s_nop 1
	v_cndmask_b32_e32 v0, v15, v0, vcc
	s_mov_b64 vcc, s[2:3]
	s_cbranch_vccz .LBB177_6
; %bb.5:
	global_load_dword v15, v14, s[10:11]
	s_waitcnt vmcnt(0)
	v_add_f32_e32 v0, v0, v15
.LBB177_6:
	s_waitcnt vmcnt(7)
	v_mul_f32_e32 v15, 0x3fb8aa3b, v1
	v_exp_f32_e32 v15, v15
	s_nop 0
	v_add_f32_e32 v15, 1.0, v15
	v_cmp_gt_f32_e32 vcc, s16, v15
	s_nop 1
	v_cndmask_b32_e32 v13, 1.0, v13, vcc
	v_mul_f32_e32 v13, v15, v13
	v_log_f32_e32 v13, v13
	v_cndmask_b32_e32 v11, 0, v11, vcc
	v_mul_f32_e32 v15, 0x3f317217, v13
	v_fma_f32 v15, v13, s13, -v15
	v_fmac_f32_e32 v15, 0x3377d1cf, v13
	v_fmac_f32_e32 v15, 0x3f317217, v13
	v_cmp_lt_f32_e64 vcc, |v13|, s14
	s_nop 1
	v_cndmask_b32_e32 v13, v13, v15, vcc
	v_sub_f32_e32 v11, v13, v11
	v_cmp_lt_f32_e32 vcc, s12, v1
	s_nop 1
	v_cndmask_b32_e32 v1, v11, v1, vcc
	v_mul_f32_e32 v11, 0x4f800000, v1
	v_cmp_gt_f32_e32 vcc, s15, v1
	s_nop 1
	v_cndmask_b32_e32 v1, v1, v11, vcc
	v_sqrt_f32_e32 v11, v1
	v_cmp_class_f32_e64 s[4:5], v1, v9
	v_add_u32_e32 v13, -1, v11
	v_add_u32_e32 v15, 1, v11
	v_fma_f32 v16, -v13, v11, v1
	v_fma_f32 v17, -v15, v11, v1
	v_cmp_ge_f32_e64 s[2:3], 0, v16
	s_nop 1
	v_cndmask_b32_e64 v11, v11, v13, s[2:3]
	v_cmp_lt_f32_e64 s[2:3], 0, v17
	s_nop 1
	v_cndmask_b32_e64 v11, v11, v15, s[2:3]
	v_mul_f32_e32 v13, 0x37800000, v11
	v_cndmask_b32_e32 v11, v11, v13, vcc
	v_cndmask_b32_e64 v13, 0, 1, s[6:7]
	v_cmp_ne_u32_e64 s[2:3], 1, v13
	s_andn2_b64 vcc, exec, s[6:7]
	v_cndmask_b32_e64 v1, v11, v1, s[4:5]
	s_cbranch_vccnz .LBB177_8
; %bb.7:
	global_load_dword v9, v14, s[10:11] offset:256
	s_waitcnt vmcnt(0)
	v_add_f32_e32 v1, v1, v9
.LBB177_8:
	s_waitcnt vmcnt(6)
	v_mul_f32_e32 v9, 0x3fb8aa3b, v2
	v_exp_f32_e32 v9, v9
	s_mov_b32 s14, 0x800000
	v_mov_b32_e32 v11, 0x4f800000
	s_mov_b32 s7, 0x3f317217
	v_add_f32_e32 v9, 1.0, v9
	v_cmp_gt_f32_e32 vcc, s14, v9
	s_mov_b32 s12, 0x7f800000
	s_mov_b32 s6, 0x41a00000
	v_cndmask_b32_e32 v13, 1.0, v11, vcc
	v_mul_f32_e32 v9, v9, v13
	v_log_f32_e32 v9, v9
	s_mov_b32 s13, 0xf800000
	v_mul_f32_e32 v13, 0x3f317217, v9
	v_fma_f32 v13, v9, s7, -v13
	v_fmac_f32_e32 v13, 0x3377d1cf, v9
	v_fmac_f32_e32 v13, 0x3f317217, v9
	v_cmp_lt_f32_e64 s[4:5], |v9|, s12
	s_nop 1
	v_cndmask_b32_e64 v9, v9, v13, s[4:5]
	v_mov_b32_e32 v13, 0x41b17218
	v_cndmask_b32_e32 v15, 0, v13, vcc
	v_sub_f32_e32 v9, v9, v15
	v_cmp_lt_f32_e32 vcc, s6, v2
	s_nop 1
	v_cndmask_b32_e32 v2, v9, v2, vcc
	v_mul_f32_e32 v9, 0x4f800000, v2
	v_cmp_gt_f32_e32 vcc, s13, v2
	s_nop 1
	v_cndmask_b32_e32 v2, v2, v9, vcc
	v_sqrt_f32_e32 v9, v2
	s_nop 0
	v_add_u32_e32 v15, -1, v9
	v_fma_f32 v16, -v15, v9, v2
	v_cmp_ge_f32_e64 s[4:5], 0, v16
	v_add_u32_e32 v16, 1, v9
	s_nop 0
	v_cndmask_b32_e64 v15, v9, v15, s[4:5]
	v_fma_f32 v9, -v16, v9, v2
	v_cmp_lt_f32_e64 s[4:5], 0, v9
	s_nop 1
	v_cndmask_b32_e64 v9, v15, v16, s[4:5]
	v_mul_f32_e32 v15, 0x37800000, v9
	v_cndmask_b32_e32 v15, v9, v15, vcc
	v_mov_b32_e32 v9, 0x260
	v_cmp_class_f32_e64 s[4:5], v2, v9
	s_and_b64 vcc, exec, s[2:3]
	s_nop 0
	v_cndmask_b32_e64 v2, v15, v2, s[4:5]
	s_cbranch_vccnz .LBB177_10
; %bb.9:
	global_load_dword v15, v14, s[10:11] offset:512
	s_waitcnt vmcnt(0)
	v_add_f32_e32 v2, v2, v15
.LBB177_10:
	s_waitcnt vmcnt(5)
	v_mul_f32_e32 v15, 0x3fb8aa3b, v3
	v_exp_f32_e32 v15, v15
	s_nop 0
	v_add_f32_e32 v15, 1.0, v15
	v_cmp_gt_f32_e32 vcc, s14, v15
	s_nop 1
	v_cndmask_b32_e32 v11, 1.0, v11, vcc
	v_mul_f32_e32 v11, v15, v11
	v_log_f32_e32 v11, v11
	v_cndmask_b32_e32 v13, 0, v13, vcc
	v_mul_f32_e32 v15, 0x3f317217, v11
	v_fma_f32 v15, v11, s7, -v15
	v_fmac_f32_e32 v15, 0x3377d1cf, v11
	v_fmac_f32_e32 v15, 0x3f317217, v11
	v_cmp_lt_f32_e64 vcc, |v11|, s12
	s_nop 1
	v_cndmask_b32_e32 v11, v11, v15, vcc
	v_sub_f32_e32 v11, v11, v13
	v_cmp_lt_f32_e32 vcc, s6, v3
	s_nop 1
	v_cndmask_b32_e32 v3, v11, v3, vcc
	v_mul_f32_e32 v11, 0x4f800000, v3
	v_cmp_gt_f32_e32 vcc, s13, v3
	s_nop 1
	v_cndmask_b32_e32 v3, v3, v11, vcc
	v_sqrt_f32_e32 v11, v3
	s_nop 0
	v_add_u32_e32 v13, -1, v11
	v_add_u32_e32 v15, 1, v11
	v_fma_f32 v16, -v13, v11, v3
	v_fma_f32 v17, -v15, v11, v3
	v_cmp_ge_f32_e64 s[4:5], 0, v16
	s_nop 1
	v_cndmask_b32_e64 v11, v11, v13, s[4:5]
	v_cmp_lt_f32_e64 s[4:5], 0, v17
	s_nop 1
	v_cndmask_b32_e64 v11, v11, v15, s[4:5]
	v_mul_f32_e32 v13, 0x37800000, v11
	v_cndmask_b32_e32 v11, v11, v13, vcc
	v_cmp_class_f32_e64 s[4:5], v3, v9
	s_and_b64 vcc, exec, s[2:3]
	s_nop 0
	v_cndmask_b32_e64 v3, v11, v3, s[4:5]
	s_cbranch_vccnz .LBB177_12
; %bb.11:
	global_load_dword v9, v14, s[10:11] offset:768
	s_waitcnt vmcnt(0)
	v_add_f32_e32 v3, v3, v9
.LBB177_12:
	s_waitcnt vmcnt(4)
	v_mul_f32_e32 v9, 0x3fb8aa3b, v4
	v_exp_f32_e32 v9, v9
	v_mov_b32_e32 v11, 0x4f800000
	v_add_f32_e32 v9, 1.0, v9
	v_cmp_gt_f32_e32 vcc, s14, v9
	s_nop 1
	v_cndmask_b32_e32 v13, 1.0, v11, vcc
	v_mul_f32_e32 v9, v9, v13
	v_log_f32_e32 v9, v9
	s_nop 0
	v_mul_f32_e32 v13, 0x3f317217, v9
	v_fma_f32 v13, v9, s7, -v13
	v_fmac_f32_e32 v13, 0x3377d1cf, v9
	v_fmac_f32_e32 v13, 0x3f317217, v9
	v_cmp_lt_f32_e64 s[4:5], |v9|, s12
	s_nop 1
	v_cndmask_b32_e64 v9, v9, v13, s[4:5]
	v_mov_b32_e32 v13, 0x41b17218
	v_cndmask_b32_e32 v15, 0, v13, vcc
	v_sub_f32_e32 v9, v9, v15
	v_cmp_lt_f32_e32 vcc, s6, v4
	s_nop 1
	v_cndmask_b32_e32 v4, v9, v4, vcc
	v_mul_f32_e32 v9, 0x4f800000, v4
	v_cmp_gt_f32_e32 vcc, s13, v4
	s_nop 1
	v_cndmask_b32_e32 v4, v4, v9, vcc
	v_sqrt_f32_e32 v9, v4
	s_nop 0
	v_add_u32_e32 v15, -1, v9
	v_fma_f32 v16, -v15, v9, v4
	v_cmp_ge_f32_e64 s[4:5], 0, v16
	v_add_u32_e32 v16, 1, v9
	s_nop 0
	v_cndmask_b32_e64 v15, v9, v15, s[4:5]
	v_fma_f32 v9, -v16, v9, v4
	v_cmp_lt_f32_e64 s[4:5], 0, v9
	s_nop 1
	v_cndmask_b32_e64 v9, v15, v16, s[4:5]
	v_mul_f32_e32 v15, 0x37800000, v9
	v_cndmask_b32_e32 v15, v9, v15, vcc
	v_mov_b32_e32 v9, 0x260
	v_cmp_class_f32_e64 s[4:5], v4, v9
	s_and_b64 vcc, exec, s[2:3]
	s_nop 0
	v_cndmask_b32_e64 v4, v15, v4, s[4:5]
	s_cbranch_vccnz .LBB177_14
; %bb.13:
	global_load_dword v15, v14, s[10:11] offset:1024
	s_waitcnt vmcnt(0)
	v_add_f32_e32 v4, v4, v15
.LBB177_14:
	s_waitcnt vmcnt(3)
	v_mul_f32_e32 v15, 0x3fb8aa3b, v5
	v_exp_f32_e32 v15, v15
	s_nop 0
	v_add_f32_e32 v15, 1.0, v15
	v_cmp_gt_f32_e32 vcc, s14, v15
	s_nop 1
	v_cndmask_b32_e32 v11, 1.0, v11, vcc
	v_mul_f32_e32 v11, v15, v11
	v_log_f32_e32 v11, v11
	v_cndmask_b32_e32 v13, 0, v13, vcc
	v_mul_f32_e32 v15, 0x3f317217, v11
	v_fma_f32 v15, v11, s7, -v15
	v_fmac_f32_e32 v15, 0x3377d1cf, v11
	v_fmac_f32_e32 v15, 0x3f317217, v11
	v_cmp_lt_f32_e64 vcc, |v11|, s12
	s_nop 1
	v_cndmask_b32_e32 v11, v11, v15, vcc
	v_sub_f32_e32 v11, v11, v13
	v_cmp_lt_f32_e32 vcc, s6, v5
	s_nop 1
	v_cndmask_b32_e32 v5, v11, v5, vcc
	v_mul_f32_e32 v11, 0x4f800000, v5
	v_cmp_gt_f32_e32 vcc, s13, v5
	s_nop 1
	v_cndmask_b32_e32 v5, v5, v11, vcc
	v_sqrt_f32_e32 v11, v5
	s_nop 0
	v_add_u32_e32 v13, -1, v11
	v_add_u32_e32 v15, 1, v11
	v_fma_f32 v16, -v13, v11, v5
	v_fma_f32 v17, -v15, v11, v5
	v_cmp_ge_f32_e64 s[4:5], 0, v16
	s_nop 1
	v_cndmask_b32_e64 v11, v11, v13, s[4:5]
	v_cmp_lt_f32_e64 s[4:5], 0, v17
	s_nop 1
	v_cndmask_b32_e64 v11, v11, v15, s[4:5]
	v_mul_f32_e32 v13, 0x37800000, v11
	v_cndmask_b32_e32 v11, v11, v13, vcc
	v_cmp_class_f32_e64 s[4:5], v5, v9
	s_and_b64 vcc, exec, s[2:3]
	s_nop 0
	v_cndmask_b32_e64 v5, v11, v5, s[4:5]
	s_cbranch_vccnz .LBB177_16
; %bb.15:
	global_load_dword v9, v14, s[10:11] offset:1280
	s_waitcnt vmcnt(0)
	v_add_f32_e32 v5, v5, v9
.LBB177_16:
	s_waitcnt vmcnt(2)
	v_mul_f32_e32 v9, 0x3fb8aa3b, v6
	v_exp_f32_e32 v9, v9
	v_mov_b32_e32 v11, 0x4f800000
	v_add_f32_e32 v9, 1.0, v9
	v_cmp_gt_f32_e32 vcc, s14, v9
	s_nop 1
	v_cndmask_b32_e32 v13, 1.0, v11, vcc
	v_mul_f32_e32 v9, v9, v13
	v_log_f32_e32 v9, v9
	s_nop 0
	v_mul_f32_e32 v13, 0x3f317217, v9
	v_fma_f32 v13, v9, s7, -v13
	v_fmac_f32_e32 v13, 0x3377d1cf, v9
	v_fmac_f32_e32 v13, 0x3f317217, v9
	v_cmp_lt_f32_e64 s[4:5], |v9|, s12
	s_nop 1
	v_cndmask_b32_e64 v9, v9, v13, s[4:5]
	v_mov_b32_e32 v13, 0x41b17218
	v_cndmask_b32_e32 v15, 0, v13, vcc
	v_sub_f32_e32 v9, v9, v15
	v_cmp_lt_f32_e32 vcc, s6, v6
	s_nop 1
	v_cndmask_b32_e32 v6, v9, v6, vcc
	v_mul_f32_e32 v9, 0x4f800000, v6
	v_cmp_gt_f32_e32 vcc, s13, v6
	s_nop 1
	v_cndmask_b32_e32 v6, v6, v9, vcc
	v_sqrt_f32_e32 v9, v6
	s_nop 0
	v_add_u32_e32 v15, -1, v9
	v_fma_f32 v16, -v15, v9, v6
	v_cmp_ge_f32_e64 s[4:5], 0, v16
	v_add_u32_e32 v16, 1, v9
	s_nop 0
	v_cndmask_b32_e64 v15, v9, v15, s[4:5]
	v_fma_f32 v9, -v16, v9, v6
	v_cmp_lt_f32_e64 s[4:5], 0, v9
	s_nop 1
	v_cndmask_b32_e64 v9, v15, v16, s[4:5]
	v_mul_f32_e32 v15, 0x37800000, v9
	v_cndmask_b32_e32 v15, v9, v15, vcc
	v_mov_b32_e32 v9, 0x260
	v_cmp_class_f32_e64 s[4:5], v6, v9
	s_and_b64 vcc, exec, s[2:3]
	s_nop 0
	v_cndmask_b32_e64 v6, v15, v6, s[4:5]
	s_cbranch_vccnz .LBB177_18
; %bb.17:
	global_load_dword v15, v14, s[10:11] offset:1536
	s_waitcnt vmcnt(0)
	v_add_f32_e32 v6, v6, v15
.LBB177_18:
	s_waitcnt vmcnt(1)
	v_mul_f32_e32 v15, 0x3fb8aa3b, v7
	v_exp_f32_e32 v15, v15
	s_nop 0
	v_add_f32_e32 v15, 1.0, v15
	v_cmp_gt_f32_e32 vcc, s14, v15
	s_nop 1
	v_cndmask_b32_e32 v11, 1.0, v11, vcc
	v_mul_f32_e32 v11, v15, v11
	v_log_f32_e32 v11, v11
	v_cndmask_b32_e32 v13, 0, v13, vcc
	v_mul_f32_e32 v15, 0x3f317217, v11
	v_fma_f32 v15, v11, s7, -v15
	v_fmac_f32_e32 v15, 0x3377d1cf, v11
	v_fmac_f32_e32 v15, 0x3f317217, v11
	v_cmp_lt_f32_e64 vcc, |v11|, s12
	s_nop 1
	v_cndmask_b32_e32 v11, v11, v15, vcc
	v_sub_f32_e32 v11, v11, v13
	v_cmp_lt_f32_e32 vcc, s6, v7
	s_nop 1
	v_cndmask_b32_e32 v7, v11, v7, vcc
	v_mul_f32_e32 v11, 0x4f800000, v7
	v_cmp_gt_f32_e32 vcc, s13, v7
	s_nop 1
	v_cndmask_b32_e32 v7, v7, v11, vcc
	v_sqrt_f32_e32 v11, v7
	s_nop 0
	v_add_u32_e32 v13, -1, v11
	v_add_u32_e32 v15, 1, v11
	v_fma_f32 v16, -v13, v11, v7
	v_fma_f32 v17, -v15, v11, v7
	v_cmp_ge_f32_e64 s[4:5], 0, v16
	s_nop 1
	v_cndmask_b32_e64 v11, v11, v13, s[4:5]
	v_cmp_lt_f32_e64 s[4:5], 0, v17
	s_nop 1
	v_cndmask_b32_e64 v11, v11, v15, s[4:5]
	v_mul_f32_e32 v13, 0x37800000, v11
	v_cndmask_b32_e32 v11, v11, v13, vcc
	v_cmp_class_f32_e64 s[4:5], v7, v9
	s_and_b64 vcc, exec, s[2:3]
	s_nop 0
	v_cndmask_b32_e64 v7, v11, v7, s[4:5]
	s_cbranch_vccnz .LBB177_20
; %bb.19:
	global_load_dword v9, v14, s[10:11] offset:1792
	s_waitcnt vmcnt(0)
	v_add_f32_e32 v7, v7, v9
.LBB177_20:
	s_waitcnt vmcnt(0)
	v_mul_f32_e32 v9, 0x3fb8aa3b, v8
	v_exp_f32_e32 v9, v9
	s_mov_b32 s4, 0x800000
	v_mov_b32_e32 v11, 0x4f800000
	s_mov_b32 s5, 0x7f800000
	v_add_f32_e32 v9, 1.0, v9
	v_cmp_gt_f32_e32 vcc, s4, v9
	s_mov_b32 s4, 0x3f317217
	s_nop 0
	v_cndmask_b32_e32 v11, 1.0, v11, vcc
	v_mul_f32_e32 v9, v9, v11
	v_log_f32_e32 v9, v9
	s_nop 0
	v_mul_f32_e32 v11, 0x3f317217, v9
	v_fma_f32 v11, v9, s4, -v11
	v_fmamk_f32 v11, v9, 0x3377d1cf, v11
	v_fmac_f32_e32 v11, 0x3f317217, v9
	v_cmp_lt_f32_e64 s[4:5], |v9|, s5
	s_nop 1
	v_cndmask_b32_e64 v9, v9, v11, s[4:5]
	v_mov_b32_e32 v11, 0x41b17218
	v_cndmask_b32_e32 v11, 0, v11, vcc
	v_sub_f32_e32 v9, v9, v11
	v_cmp_lt_f32_e32 vcc, s6, v8
	s_mov_b32 s4, 0xf800000
	s_nop 0
	v_cndmask_b32_e32 v8, v9, v8, vcc
	v_mul_f32_e32 v9, 0x4f800000, v8
	v_cmp_gt_f32_e32 vcc, s4, v8
	s_nop 1
	v_cndmask_b32_e32 v8, v8, v9, vcc
	v_sqrt_f32_e32 v9, v8
	s_nop 0
	v_add_u32_e32 v11, -1, v9
	v_fma_f32 v13, -v11, v9, v8
	v_cmp_ge_f32_e64 s[4:5], 0, v13
	v_add_u32_e32 v13, 1, v9
	s_nop 0
	v_cndmask_b32_e64 v11, v9, v11, s[4:5]
	v_fma_f32 v9, -v13, v9, v8
	v_cmp_lt_f32_e64 s[4:5], 0, v9
	s_nop 1
	v_cndmask_b32_e64 v9, v11, v13, s[4:5]
	v_mul_f32_e32 v11, 0x37800000, v9
	v_cndmask_b32_e32 v9, v9, v11, vcc
	v_mov_b32_e32 v11, 0x260
	v_cmp_class_f32_e64 s[4:5], v8, v11
	s_and_b64 vcc, exec, s[2:3]
	s_nop 0
	v_cndmask_b32_e64 v8, v9, v8, s[4:5]
	s_cbranch_vccnz .LBB177_22
; %bb.21:
	global_load_dword v9, v14, s[10:11] offset:2048
	s_waitcnt vmcnt(0)
	v_add_f32_e32 v8, v8, v9
.LBB177_22:
	s_load_dwordx4 s[12:15], s[0:1], 0x30
	v_cmp_eq_u32_e64 s[6:7], 0, v12
	s_waitcnt lgkmcnt(0)
	s_bitcmp1_b32 s15, 0
	s_cselect_b64 s[4:5], -1, 0
	s_cmp_gt_i32 s12, 0
	s_cselect_b64 s[24:25], -1, 0
	s_and_b64 vcc, exec, s[24:25]
	s_cbranch_vccz .LBB177_53
; %bb.23:
	v_mbcnt_lo_u32_b32 v9, -1, 0
	v_mbcnt_hi_u32_b32 v14, -1, v9
	v_and_b32_e32 v9, 64, v14
	v_add_u32_e32 v15, 64, v9
	v_xor_b32_e32 v18, 32, v14
	v_cmp_lt_i32_e32 vcc, v18, v15
	s_load_dwordx4 s[16:19], s[0:1], 0x20
	s_mov_b32 s15, 0
	v_cndmask_b32_e32 v18, v14, v18, vcc
	v_lshlrev_b32_e32 v23, 2, v18
	v_xor_b32_e32 v18, 16, v14
	v_cmp_lt_i32_e32 vcc, v18, v15
	v_mul_lo_u32 v9, v10, s12
	v_or_b32_e32 v11, 64, v12
	v_cndmask_b32_e32 v18, v14, v18, vcc
	v_lshlrev_b32_e32 v24, 2, v18
	v_xor_b32_e32 v18, 8, v14
	v_cmp_lt_i32_e32 vcc, v18, v15
	v_or_b32_e32 v13, 0x80, v12
	v_or_b32_e32 v16, 0xc0, v12
	v_cndmask_b32_e32 v18, v14, v18, vcc
	v_lshlrev_b32_e32 v25, 2, v18
	v_xor_b32_e32 v18, 4, v14
	v_cmp_lt_i32_e32 vcc, v18, v15
	v_or_b32_e32 v17, 0x100, v12
	;; [unrolled: 6-line block ×4, first 2 shown]
	v_mov_b32_e32 v29, 0x240
	v_cndmask_b32_e32 v14, v14, v18, vcc
	v_lshlrev_b32_e32 v28, 2, v14
	v_mov_b32_e32 v18, 0
	v_mov_b32_e32 v30, 0xc61c4000
	;; [unrolled: 1-line block ×3, first 2 shown]
	s_branch .LBB177_26
.LBB177_24:                             ;   in Loop: Header=BB177_26 Depth=1
	v_add_u32_e32 v34, s15, v9
	v_cmp_le_i32_e32 vcc, s13, v14
	v_cmp_gt_i32_e64 s[0:1], s14, v14
	v_ashrrev_i32_e32 v35, 31, v34
	s_and_b64 s[0:1], vcc, s[0:1]
	v_lshlrev_b64 v[36:37], 2, v[34:35]
	v_subrev_u32_e32 v15, s13, v14
	v_lshl_add_u64 v[38:39], s[20:21], 0, v[36:37]
	s_waitcnt lgkmcnt(0)
	v_ashrrev_i32_e32 v33, 31, v15
	s_and_b64 vcc, s[22:23], s[0:1]
	global_store_dword v[38:39], v32, off
	v_cndmask_b32_e32 v39, 0, v33, vcc
	v_cndmask_b32_e32 v38, v29, v15, vcc
	v_lshl_add_u64 v[34:35], v[34:35], 3, s[16:17]
	v_add_f32_e32 v15, v18, v32
	global_store_dwordx2 v[34:35], v[38:39], off
	v_lshl_add_u64 v[34:35], s[18:19], 0, v[36:37]
	v_cndmask_b32_e64 v18, v18, v15, s[4:5]
	global_store_dword v[34:35], v31, off
.LBB177_25:                             ;   in Loop: Header=BB177_26 Depth=1
	s_or_b64 exec, exec, s[26:27]
	v_ashrrev_i32_e32 v15, 31, v14
	v_lshrrev_b32_e32 v15, 26, v15
	v_add_u32_e32 v15, v14, v15
	v_and_b32_e32 v32, 0xffffffc0, v15
	v_sub_u32_e32 v14, v14, v32
	s_add_i32 s15, s15, 1
	v_cmp_eq_u32_e32 vcc, v12, v14
	s_cmp_lt_i32 s15, s12
	v_ashrrev_i32_e32 v14, 6, v15
	s_cselect_b64 s[26:27], -1, 0
	v_cmp_ne_u32_e64 s[0:1], 8, v14
	s_and_b64 vcc, s[26:27], vcc
	s_cmp_eq_u32 s12, s15
	v_cndmask_b32_e64 v15, v30, v8, s[0:1]
	v_cmp_ne_u32_e64 s[0:1], 7, v14
	v_cndmask_b32_e32 v8, v8, v15, vcc
	v_add_u32_e32 v31, s30, v31
	v_cndmask_b32_e64 v15, v30, v7, s[0:1]
	v_cmp_ne_u32_e64 s[0:1], 6, v14
	v_cndmask_b32_e32 v7, v7, v15, vcc
	s_nop 0
	v_cndmask_b32_e64 v15, v30, v6, s[0:1]
	v_cmp_ne_u32_e64 s[0:1], 5, v14
	v_cndmask_b32_e32 v6, v6, v15, vcc
	s_nop 0
	;; [unrolled: 4-line block ×7, first 2 shown]
	v_cndmask_b32_e64 v14, v30, v0, s[0:1]
	v_cndmask_b32_e32 v0, v0, v14, vcc
	s_cbranch_scc1 .LBB177_54
.LBB177_26:                             ; =>This Inner Loop Header: Depth=1
	v_cmp_gt_f32_e32 vcc, v1, v0
	s_nop 1
	v_cndmask_b32_e32 v15, v0, v1, vcc
	v_cndmask_b32_e32 v14, v12, v11, vcc
	v_cmp_gt_f32_e32 vcc, v2, v15
	s_nop 1
	v_cndmask_b32_e32 v15, v15, v2, vcc
	v_cndmask_b32_e32 v14, v14, v13, vcc
	;; [unrolled: 4-line block ×8, first 2 shown]
	ds_bpermute_b32 v15, v23, v32
	s_waitcnt lgkmcnt(0)
	ds_bpermute_b32 v33, v23, v14
	s_waitcnt lgkmcnt(0)
	v_cmp_lt_f32_e64 s[26:27], v32, v15
	v_cmp_nlt_f32_e32 vcc, v32, v15
	s_and_saveexec_b64 s[28:29], vcc
; %bb.27:                               ;   in Loop: Header=BB177_26 Depth=1
	v_cmp_eq_f32_e32 vcc, v32, v15
	v_cmp_lt_i32_e64 s[0:1], v33, v14
	s_and_b64 s[0:1], vcc, s[0:1]
	s_andn2_b64 s[26:27], s[26:27], exec
	s_and_b64 s[0:1], s[0:1], exec
	s_or_b64 s[26:27], s[26:27], s[0:1]
; %bb.28:                               ;   in Loop: Header=BB177_26 Depth=1
	s_or_b64 exec, exec, s[28:29]
	s_and_saveexec_b64 s[0:1], s[26:27]
; %bb.29:                               ;   in Loop: Header=BB177_26 Depth=1
	v_mov_b32_e32 v32, v15
	v_mov_b32_e32 v14, v33
; %bb.30:                               ;   in Loop: Header=BB177_26 Depth=1
	s_or_b64 exec, exec, s[0:1]
	ds_bpermute_b32 v15, v24, v32
	ds_bpermute_b32 v33, v24, v14
	s_waitcnt lgkmcnt(1)
	v_cmp_lt_f32_e64 s[26:27], v32, v15
	v_cmp_nlt_f32_e32 vcc, v32, v15
	s_and_saveexec_b64 s[28:29], vcc
	s_cbranch_execz .LBB177_32
; %bb.31:                               ;   in Loop: Header=BB177_26 Depth=1
	v_cmp_eq_f32_e32 vcc, v32, v15
	s_waitcnt lgkmcnt(0)
	v_cmp_lt_i32_e64 s[0:1], v33, v14
	s_and_b64 s[0:1], vcc, s[0:1]
	s_andn2_b64 s[26:27], s[26:27], exec
	s_and_b64 s[0:1], s[0:1], exec
	s_or_b64 s[26:27], s[26:27], s[0:1]
.LBB177_32:                             ;   in Loop: Header=BB177_26 Depth=1
	s_or_b64 exec, exec, s[28:29]
	s_and_saveexec_b64 s[0:1], s[26:27]
	s_cbranch_execz .LBB177_34
; %bb.33:                               ;   in Loop: Header=BB177_26 Depth=1
	v_mov_b32_e32 v32, v15
	s_waitcnt lgkmcnt(0)
	v_mov_b32_e32 v14, v33
.LBB177_34:                             ;   in Loop: Header=BB177_26 Depth=1
	s_or_b64 exec, exec, s[0:1]
	ds_bpermute_b32 v15, v25, v32
	s_waitcnt lgkmcnt(1)
	ds_bpermute_b32 v33, v25, v14
	s_waitcnt lgkmcnt(1)
	v_cmp_lt_f32_e64 s[26:27], v32, v15
	v_cmp_nlt_f32_e32 vcc, v32, v15
	s_and_saveexec_b64 s[28:29], vcc
	s_cbranch_execz .LBB177_36
; %bb.35:                               ;   in Loop: Header=BB177_26 Depth=1
	v_cmp_eq_f32_e32 vcc, v32, v15
	s_waitcnt lgkmcnt(0)
	v_cmp_lt_i32_e64 s[0:1], v33, v14
	s_and_b64 s[0:1], vcc, s[0:1]
	s_andn2_b64 s[26:27], s[26:27], exec
	s_and_b64 s[0:1], s[0:1], exec
	s_or_b64 s[26:27], s[26:27], s[0:1]
.LBB177_36:                             ;   in Loop: Header=BB177_26 Depth=1
	s_or_b64 exec, exec, s[28:29]
	s_and_saveexec_b64 s[0:1], s[26:27]
	s_cbranch_execz .LBB177_38
; %bb.37:                               ;   in Loop: Header=BB177_26 Depth=1
	v_mov_b32_e32 v32, v15
	s_waitcnt lgkmcnt(0)
	v_mov_b32_e32 v14, v33
.LBB177_38:                             ;   in Loop: Header=BB177_26 Depth=1
	s_or_b64 exec, exec, s[0:1]
	ds_bpermute_b32 v15, v26, v32
	s_waitcnt lgkmcnt(1)
	;; [unrolled: 26-line block ×4, first 2 shown]
	ds_bpermute_b32 v33, v28, v14
	s_waitcnt lgkmcnt(1)
	v_cmp_lt_f32_e64 s[26:27], v32, v15
	v_cmp_nlt_f32_e32 vcc, v32, v15
	s_and_saveexec_b64 s[28:29], vcc
	s_cbranch_execnz .LBB177_49
; %bb.47:                               ;   in Loop: Header=BB177_26 Depth=1
	s_or_b64 exec, exec, s[28:29]
	s_and_saveexec_b64 s[0:1], s[26:27]
	s_cbranch_execnz .LBB177_50
.LBB177_48:                             ;   in Loop: Header=BB177_26 Depth=1
	s_or_b64 exec, exec, s[0:1]
	s_and_saveexec_b64 s[26:27], s[6:7]
	s_cbranch_execz .LBB177_25
	s_branch .LBB177_51
.LBB177_49:                             ;   in Loop: Header=BB177_26 Depth=1
	v_cmp_eq_f32_e32 vcc, v32, v15
	s_waitcnt lgkmcnt(0)
	v_cmp_lt_i32_e64 s[0:1], v33, v14
	s_and_b64 s[0:1], vcc, s[0:1]
	s_andn2_b64 s[26:27], s[26:27], exec
	s_and_b64 s[0:1], s[0:1], exec
	s_or_b64 s[26:27], s[26:27], s[0:1]
	s_or_b64 exec, exec, s[28:29]
	s_and_saveexec_b64 s[0:1], s[26:27]
	s_cbranch_execz .LBB177_48
.LBB177_50:                             ;   in Loop: Header=BB177_26 Depth=1
	s_waitcnt lgkmcnt(0)
	v_mov_b32_e32 v14, v33
	v_mov_b32_e32 v32, v15
	s_or_b64 exec, exec, s[0:1]
	s_and_saveexec_b64 s[26:27], s[6:7]
	s_cbranch_execz .LBB177_25
.LBB177_51:                             ;   in Loop: Header=BB177_26 Depth=1
	s_and_b64 vcc, exec, s[2:3]
	s_cbranch_vccnz .LBB177_24
; %bb.52:                               ;   in Loop: Header=BB177_26 Depth=1
	v_ashrrev_i32_e32 v15, 31, v14
	v_lshl_add_u64 v[34:35], v[14:15], 2, s[10:11]
	global_load_dword v15, v[34:35], off
	s_waitcnt vmcnt(0)
	v_sub_f32_e32 v32, v32, v15
	s_branch .LBB177_24
.LBB177_53:
	v_mov_b32_e32 v18, 0
.LBB177_54:
	v_cmp_eq_u32_e32 vcc, 0, v12
	s_and_b64 exec, exec, vcc
	s_cbranch_execz .LBB177_67
; %bb.55:
	s_andn2_b64 vcc, exec, s[4:5]
	v_cvt_f32_f64_e32 v0, s[8:9]
	s_cbranch_vccnz .LBB177_57
; %bb.56:
	v_cmp_lt_f32_e32 vcc, 0, v18
	s_nop 1
	v_cndmask_b32_e32 v1, 1.0, v18, vcc
	v_div_scale_f32 v2, s[0:1], v1, v1, v0
	v_rcp_f32_e32 v3, v2
	s_nop 0
	v_fma_f32 v4, -v2, v3, 1.0
	v_fmac_f32_e32 v3, v4, v3
	v_div_scale_f32 v4, vcc, v0, v1, v0
	v_mul_f32_e32 v5, v4, v3
	v_fma_f32 v6, -v2, v5, v4
	v_fmac_f32_e32 v5, v6, v3
	v_fma_f32 v2, -v2, v5, v4
	v_div_fmas_f32 v2, v2, v3, v5
	v_div_fixup_f32 v0, v2, v1, v0
.LBB177_57:
	s_andn2_b64 vcc, exec, s[24:25]
	s_cbranch_vccnz .LBB177_67
; %bb.58:
	v_mul_lo_u32 v2, v10, s12
	s_cmp_gt_u32 s12, 3
	v_ashrrev_i32_e32 v3, 31, v2
	s_cbranch_scc0 .LBB177_62
; %bb.59:
	s_and_b32 s0, s12, 0x7ffffffc
	v_lshl_add_u64 v[4:5], v[2:3], 2, s[20:21]
	v_mov_b32_e32 v1, v0
	v_lshl_add_u64 v[4:5], v[4:5], 0, 8
	s_mov_b32 s1, s0
.LBB177_60:                             ; =>This Inner Loop Header: Depth=1
	global_load_dwordx4 v[6:9], v[4:5], off offset:-8
	s_add_i32 s1, s1, -4
	s_cmp_lg_u32 s1, 0
	s_waitcnt vmcnt(0)
	v_pk_mul_f32 v[6:7], v[0:1], v[6:7]
	v_pk_mul_f32 v[8:9], v[0:1], v[8:9]
	global_store_dwordx4 v[4:5], v[6:9], off offset:-8
	v_lshl_add_u64 v[4:5], v[4:5], 0, 16
	s_cbranch_scc1 .LBB177_60
; %bb.61:
	s_cmp_lg_u32 s0, s12
	s_cselect_b64 s[2:3], -1, 0
	s_branch .LBB177_64
.LBB177_62:
	s_mov_b64 s[2:3], 0
                                        ; implicit-def: $sgpr0
	s_cbranch_execz .LBB177_64
; %bb.63:
	s_mov_b64 s[2:3], -1
	s_mov_b32 s0, 0
.LBB177_64:
	s_andn2_b64 vcc, exec, s[2:3]
	s_cbranch_vccnz .LBB177_67
; %bb.65:
	s_mov_b32 s1, 0
	v_lshl_add_u64 v[2:3], v[2:3], 0, s[0:1]
	s_sub_i32 s2, s12, s0
	v_lshl_add_u64 v[2:3], v[2:3], 2, s[20:21]
.LBB177_66:                             ; =>This Inner Loop Header: Depth=1
	global_load_dword v1, v[2:3], off
	s_add_i32 s2, s2, -1
	s_cmp_lg_u32 s2, 0
	s_waitcnt vmcnt(0)
	v_mul_f32_e32 v1, v0, v1
	global_store_dword v[2:3], v1, off
	v_lshl_add_u64 v[2:3], v[2:3], 0, 4
	s_cbranch_scc1 .LBB177_66
.LBB177_67:
	s_endpgm
	.section	.rodata,"a",@progbits
	.p2align	6, 0x0
	.amdhsa_kernel _ZN4vllm3moe22topkGatingSoftplusSqrtILi9ELi576ELi4ELi4ELi64ELb0ElfEEvPKT6_PKbPfiPT5_PiiiibdPKfPKS8_SE_
		.amdhsa_group_segment_fixed_size 0
		.amdhsa_private_segment_fixed_size 0
		.amdhsa_kernarg_size 96
		.amdhsa_user_sgpr_count 2
		.amdhsa_user_sgpr_dispatch_ptr 0
		.amdhsa_user_sgpr_queue_ptr 0
		.amdhsa_user_sgpr_kernarg_segment_ptr 1
		.amdhsa_user_sgpr_dispatch_id 0
		.amdhsa_user_sgpr_kernarg_preload_length 0
		.amdhsa_user_sgpr_kernarg_preload_offset 0
		.amdhsa_user_sgpr_private_segment_size 0
		.amdhsa_uses_dynamic_stack 0
		.amdhsa_enable_private_segment 0
		.amdhsa_system_sgpr_workgroup_id_x 1
		.amdhsa_system_sgpr_workgroup_id_y 0
		.amdhsa_system_sgpr_workgroup_id_z 0
		.amdhsa_system_sgpr_workgroup_info 0
		.amdhsa_system_vgpr_workitem_id 1
		.amdhsa_next_free_vgpr 40
		.amdhsa_next_free_sgpr 31
		.amdhsa_accum_offset 40
		.amdhsa_reserve_vcc 1
		.amdhsa_float_round_mode_32 0
		.amdhsa_float_round_mode_16_64 0
		.amdhsa_float_denorm_mode_32 3
		.amdhsa_float_denorm_mode_16_64 3
		.amdhsa_dx10_clamp 1
		.amdhsa_ieee_mode 1
		.amdhsa_fp16_overflow 0
		.amdhsa_tg_split 0
		.amdhsa_exception_fp_ieee_invalid_op 0
		.amdhsa_exception_fp_denorm_src 0
		.amdhsa_exception_fp_ieee_div_zero 0
		.amdhsa_exception_fp_ieee_overflow 0
		.amdhsa_exception_fp_ieee_underflow 0
		.amdhsa_exception_fp_ieee_inexact 0
		.amdhsa_exception_int_div_zero 0
	.end_amdhsa_kernel
	.section	.text._ZN4vllm3moe22topkGatingSoftplusSqrtILi9ELi576ELi4ELi4ELi64ELb0ElfEEvPKT6_PKbPfiPT5_PiiiibdPKfPKS8_SE_,"axG",@progbits,_ZN4vllm3moe22topkGatingSoftplusSqrtILi9ELi576ELi4ELi4ELi64ELb0ElfEEvPKT6_PKbPfiPT5_PiiiibdPKfPKS8_SE_,comdat
.Lfunc_end177:
	.size	_ZN4vllm3moe22topkGatingSoftplusSqrtILi9ELi576ELi4ELi4ELi64ELb0ElfEEvPKT6_PKbPfiPT5_PiiiibdPKfPKS8_SE_, .Lfunc_end177-_ZN4vllm3moe22topkGatingSoftplusSqrtILi9ELi576ELi4ELi4ELi64ELb0ElfEEvPKT6_PKbPfiPT5_PiiiibdPKfPKS8_SE_
                                        ; -- End function
	.section	.AMDGPU.csdata,"",@progbits
; Kernel info:
; codeLenInByte = 4668
; NumSgprs: 37
; NumVgprs: 40
; NumAgprs: 0
; TotalNumVgprs: 40
; ScratchSize: 0
; MemoryBound: 0
; FloatMode: 240
; IeeeMode: 1
; LDSByteSize: 0 bytes/workgroup (compile time only)
; SGPRBlocks: 4
; VGPRBlocks: 4
; NumSGPRsForWavesPerEU: 37
; NumVGPRsForWavesPerEU: 40
; AccumOffset: 40
; Occupancy: 8
; WaveLimiterHint : 1
; COMPUTE_PGM_RSRC2:SCRATCH_EN: 0
; COMPUTE_PGM_RSRC2:USER_SGPR: 2
; COMPUTE_PGM_RSRC2:TRAP_HANDLER: 0
; COMPUTE_PGM_RSRC2:TGID_X_EN: 1
; COMPUTE_PGM_RSRC2:TGID_Y_EN: 0
; COMPUTE_PGM_RSRC2:TGID_Z_EN: 0
; COMPUTE_PGM_RSRC2:TIDIG_COMP_CNT: 1
; COMPUTE_PGM_RSRC3_GFX90A:ACCUM_OFFSET: 9
; COMPUTE_PGM_RSRC3_GFX90A:TG_SPLIT: 0
	.section	.text._ZN4vllm3moe22topkGatingSoftplusSqrtILi18ELi576ELi4ELi4ELi32ELb1ElfEEvPKT6_PKbPfiPT5_PiiiibdPKfPKS8_SE_,"axG",@progbits,_ZN4vllm3moe22topkGatingSoftplusSqrtILi18ELi576ELi4ELi4ELi32ELb1ElfEEvPKT6_PKbPfiPT5_PiiiibdPKfPKS8_SE_,comdat
	.protected	_ZN4vllm3moe22topkGatingSoftplusSqrtILi18ELi576ELi4ELi4ELi32ELb1ElfEEvPKT6_PKbPfiPT5_PiiiibdPKfPKS8_SE_ ; -- Begin function _ZN4vllm3moe22topkGatingSoftplusSqrtILi18ELi576ELi4ELi4ELi32ELb1ElfEEvPKT6_PKbPfiPT5_PiiiibdPKfPKS8_SE_
	.globl	_ZN4vllm3moe22topkGatingSoftplusSqrtILi18ELi576ELi4ELi4ELi32ELb1ElfEEvPKT6_PKbPfiPT5_PiiiibdPKfPKS8_SE_
	.p2align	8
	.type	_ZN4vllm3moe22topkGatingSoftplusSqrtILi18ELi576ELi4ELi4ELi32ELb1ElfEEvPKT6_PKbPfiPT5_PiiiibdPKfPKS8_SE_,@function
_ZN4vllm3moe22topkGatingSoftplusSqrtILi18ELi576ELi4ELi4ELi32ELb1ElfEEvPKT6_PKbPfiPT5_PiiiibdPKfPKS8_SE_: ; @_ZN4vllm3moe22topkGatingSoftplusSqrtILi18ELi576ELi4ELi4ELi32ELb1ElfEEvPKT6_PKbPfiPT5_PiiiibdPKfPKS8_SE_
; %bb.0:
	s_load_dword s3, s[0:1], 0x18
	v_and_b32_e32 v1, 0x3ff, v0
	s_lshl_b32 s2, s2, 2
	v_lshrrev_b32_e32 v2, 5, v1
	v_bfe_u32 v0, v0, 10, 10
	v_add3_u32 v6, s2, v0, v2
	s_waitcnt lgkmcnt(0)
	v_cmp_gt_i32_e32 vcc, s3, v6
	s_and_saveexec_b64 s[2:3], vcc
	s_cbranch_execz .LBB178_71
; %bb.1:
	s_load_dwordx4 s[4:7], s[0:1], 0x50
	s_load_dwordx2 s[2:3], s[0:1], 0x0
	s_load_dword s34, s[0:1], 0x30
	s_movk_i32 s8, 0x240
	v_mul_lo_u32 v2, v6, s8
	v_ashrrev_i32_e32 v3, 31, v2
	v_and_b32_e32 v14, 31, v1
	s_waitcnt lgkmcnt(0)
	v_mov_b32_e32 v8, s4
	v_mov_b32_e32 v9, s5
	v_lshl_add_u64 v[2:3], v[2:3], 2, s[2:3]
	v_lshlrev_b32_e32 v4, 2, v14
	v_mov_b32_e32 v5, 0
	v_ashrrev_i32_e32 v7, 31, v6
	v_lshl_add_u64 v[10:11], v[2:3], 0, v[4:5]
	v_lshl_add_u64 v[8:9], v[6:7], 3, v[8:9]
	global_load_dword v0, v[10:11], off offset:1024
	global_load_dword v1, v[10:11], off offset:1152
	;; [unrolled: 1-line block ×4, first 2 shown]
	global_load_dwordx2 v[20:21], v[8:9], off
	global_load_dword v23, v[10:11], off
	global_load_dword v24, v[10:11], off offset:128
	global_load_dword v25, v[10:11], off offset:256
	;; [unrolled: 1-line block ×3, first 2 shown]
	s_ashr_i32 s35, s34, 31
	global_load_dword v27, v[10:11], off offset:512
	global_load_dword v28, v[10:11], off offset:640
	global_load_dword v29, v[10:11], off offset:768
	global_load_dword v30, v[10:11], off offset:896
	global_load_dword v18, v[10:11], off offset:1536
	global_load_dword v19, v[10:11], off offset:1664
	global_load_dword v16, v[10:11], off offset:1792
	global_load_dword v17, v[10:11], off offset:1920
	global_load_dword v13, v[10:11], off offset:2048
	global_load_dword v15, v[10:11], off offset:2176
	s_mov_b32 s15, 0x800000
	v_mov_b32_e32 v7, 0x4f800000
	s_mov_b32 s13, 0x3f317217
	s_mov_b32 s14, 0x7f800000
	v_mov_b32_e32 v12, 0x41b17218
	s_mov_b32 s9, 0x41a00000
	s_mov_b32 s12, 0xf800000
	v_mov_b32_e32 v4, 0x260
	v_mov_b32_e32 v8, s6
	;; [unrolled: 1-line block ×3, first 2 shown]
	v_cmp_lt_i64_e64 s[10:11], s[34:35], 1
	s_mov_b32 s8, 0
	v_cmp_gt_i64_e64 s[6:7], s[34:35], 0
	s_waitcnt vmcnt(14)
	v_mul_lo_u32 v22, v21, s34
	v_mul_lo_u32 v31, v20, s35
	v_mad_u64_u32 v[10:11], s[2:3], v20, s34, 0
	s_waitcnt vmcnt(13)
	v_mul_f32_e32 v20, 0x3fb8aa3b, v23
	s_waitcnt vmcnt(12)
	v_mul_f32_e32 v21, 0x3fb8aa3b, v24
	v_exp_f32_e32 v20, v20
	v_exp_f32_e32 v21, v21
	s_waitcnt vmcnt(11)
	v_mul_f32_e32 v32, 0x3fb8aa3b, v25
	v_add3_u32 v11, v11, v31, v22
	v_exp_f32_e32 v22, v32
	v_pk_add_f32 v[20:21], v[20:21], 1.0 op_sel_hi:[1,0]
	s_waitcnt vmcnt(10)
	v_mul_f32_e32 v33, 0x3fb8aa3b, v26
	v_cmp_gt_f32_e32 vcc, s15, v21
	v_cmp_gt_f32_e64 s[2:3], s15, v20
	scratch_store_dwordx4 off, v[0:3], off offset:32
	v_cndmask_b32_e32 v31, 1.0, v7, vcc
	v_cndmask_b32_e64 v32, 1.0, v7, s[2:3]
	v_mul_f32_e32 v21, v21, v31
	v_mul_f32_e32 v20, v20, v32
	v_log_f32_e32 v21, v21
	v_log_f32_e32 v20, v20
	v_cndmask_b32_e32 v31, 0, v12, vcc
	v_cndmask_b32_e64 v32, 0, v12, s[2:3]
	v_mul_f32_e32 v34, 0x3f317217, v21
	v_mul_f32_e32 v35, 0x3f317217, v20
	v_fma_f32 v34, v21, s13, -v34
	v_fma_f32 v35, v20, s13, -v35
	v_fmac_f32_e32 v34, 0x3377d1cf, v21
	v_fmac_f32_e32 v35, 0x3377d1cf, v20
	;; [unrolled: 1-line block ×3, first 2 shown]
	v_cmp_lt_f32_e64 vcc, |v21|, s14
	v_fmac_f32_e32 v35, 0x3f317217, v20
	s_nop 0
	v_cndmask_b32_e32 v21, v21, v34, vcc
	v_cmp_lt_f32_e64 vcc, |v20|, s14
	v_sub_f32_e32 v21, v21, v31
	s_nop 0
	v_cndmask_b32_e32 v20, v20, v35, vcc
	v_sub_f32_e32 v20, v20, v32
	v_cmp_lt_f32_e32 vcc, s9, v23
	s_nop 1
	v_cndmask_b32_e32 v20, v20, v23, vcc
	v_cmp_lt_f32_e32 vcc, s9, v24
	v_cmp_gt_f32_e64 s[2:3], s12, v20
	s_nop 0
	v_cndmask_b32_e32 v21, v21, v24, vcc
	v_mul_f32_e32 v23, 0x4f800000, v21
	v_cmp_gt_f32_e32 vcc, s12, v21
	v_mul_f32_e32 v24, 0x4f800000, v20
	v_cndmask_b32_e64 v20, v20, v24, s[2:3]
	v_cndmask_b32_e32 v21, v21, v23, vcc
	v_sqrt_f32_e32 v31, v21
	v_sqrt_f32_e32 v24, v20
	v_exp_f32_e32 v23, v33
	v_add_u32_e32 v32, -1, v31
	v_add_u32_e32 v34, -1, v24
	v_fma_f32 v36, -v32, v31, v21
	v_add_u32_e32 v33, 1, v31
	v_fma_f32 v38, -v34, v24, v20
	v_cmp_ge_f32_e64 s[4:5], 0, v36
	v_add_u32_e32 v35, 1, v24
	v_fma_f32 v37, -v33, v31, v21
	v_cndmask_b32_e64 v31, v31, v32, s[4:5]
	v_cmp_ge_f32_e64 s[4:5], 0, v38
	v_fma_f32 v39, -v35, v24, v20
	v_pk_add_f32 v[22:23], v[22:23], 1.0 op_sel_hi:[1,0]
	v_cndmask_b32_e64 v24, v24, v34, s[4:5]
	v_cmp_lt_f32_e64 s[4:5], 0, v37
	s_nop 1
	v_cndmask_b32_e64 v31, v31, v33, s[4:5]
	v_mul_f32_e32 v32, 0x37800000, v31
	v_cndmask_b32_e32 v31, v31, v32, vcc
	v_cmp_class_f32_e32 vcc, v21, v4
	v_cmp_lt_f32_e64 s[4:5], 0, v39
	s_nop 0
	v_cndmask_b32_e32 v21, v31, v21, vcc
	v_cmp_gt_f32_e32 vcc, s15, v23
	v_cndmask_b32_e64 v24, v24, v35, s[4:5]
	v_mul_f32_e32 v31, 0x37800000, v24
	v_cndmask_b32_e32 v32, 1.0, v7, vcc
	v_mul_f32_e32 v23, v23, v32
	v_log_f32_e32 v23, v23
	v_cndmask_b32_e64 v24, v24, v31, s[2:3]
	v_cmp_class_f32_e64 s[2:3], v20, v4
	v_cmp_lt_f32_e64 s[4:5], |v23|, s14
	s_nop 0
	v_cndmask_b32_e64 v20, v24, v20, s[2:3]
	v_cmp_gt_f32_e64 s[2:3], s15, v22
	v_mul_f32_e32 v24, 0x3f317217, v23
	v_fma_f32 v24, v23, s13, -v24
	v_cndmask_b32_e64 v31, 1.0, v7, s[2:3]
	v_mul_f32_e32 v22, v22, v31
	v_log_f32_e32 v22, v22
	v_fmac_f32_e32 v24, 0x3377d1cf, v23
	v_fmac_f32_e32 v24, 0x3f317217, v23
	v_cndmask_b32_e64 v23, v23, v24, s[4:5]
	v_cndmask_b32_e32 v24, 0, v12, vcc
	v_sub_f32_e32 v23, v23, v24
	v_mul_f32_e32 v24, 0x3f317217, v22
	v_fma_f32 v24, v22, s13, -v24
	v_fmac_f32_e32 v24, 0x3377d1cf, v22
	v_fmac_f32_e32 v24, 0x3f317217, v22
	v_cmp_lt_f32_e64 vcc, |v22|, s14
	s_nop 1
	v_cndmask_b32_e32 v22, v22, v24, vcc
	v_cmp_lt_f32_e32 vcc, s9, v26
	v_cndmask_b32_e64 v24, 0, v12, s[2:3]
	v_sub_f32_e32 v22, v22, v24
	v_cndmask_b32_e32 v23, v23, v26, vcc
	v_mul_f32_e32 v26, 0x4f800000, v23
	v_cmp_gt_f32_e32 vcc, s12, v23
	v_cmp_lt_f32_e64 s[2:3], s9, v25
	s_nop 0
	v_cndmask_b32_e32 v23, v23, v26, vcc
	v_sqrt_f32_e32 v26, v23
	v_cndmask_b32_e64 v22, v22, v25, s[2:3]
	v_add_u32_e32 v24, -1, v26
	v_fma_f32 v25, -v24, v26, v23
	v_cmp_ge_f32_e64 s[2:3], 0, v25
	v_add_u32_e32 v25, 1, v26
	s_nop 0
	v_cndmask_b32_e64 v24, v26, v24, s[2:3]
	v_fma_f32 v26, -v25, v26, v23
	v_cmp_lt_f32_e64 s[2:3], 0, v26
	v_mul_f32_e32 v26, 0x4f800000, v22
	s_nop 0
	v_cndmask_b32_e64 v24, v24, v25, s[2:3]
	v_cmp_gt_f32_e64 s[2:3], s12, v22
	v_mul_f32_e32 v25, 0x37800000, v24
	v_cndmask_b32_e32 v24, v24, v25, vcc
	v_cndmask_b32_e64 v22, v22, v26, s[2:3]
	v_sqrt_f32_e32 v26, v22
	v_cmp_class_f32_e32 vcc, v23, v4
	v_add_u32_e32 v32, 1, v26
	s_nop 0
	v_cndmask_b32_e32 v23, v24, v23, vcc
	v_add_u32_e32 v24, -1, v26
	v_fma_f32 v25, -v24, v26, v22
	v_cmp_ge_f32_e32 vcc, 0, v25
	s_waitcnt vmcnt(9)
	v_mul_f32_e32 v25, 0x3fb8aa3b, v28
	v_exp_f32_e32 v25, v25
	v_cndmask_b32_e32 v31, v26, v24, vcc
	v_mul_f32_e32 v24, 0x3fb8aa3b, v27
	v_exp_f32_e32 v24, v24
	v_fma_f32 v26, -v32, v26, v22
	v_cmp_lt_f32_e32 vcc, 0, v26
	v_pk_add_f32 v[24:25], v[24:25], 1.0 op_sel_hi:[1,0]
	s_nop 0
	v_cndmask_b32_e32 v26, v31, v32, vcc
	v_mul_f32_e32 v31, 0x37800000, v26
	v_cmp_gt_f32_e32 vcc, s15, v25
	v_cndmask_b32_e64 v26, v26, v31, s[2:3]
	v_cmp_class_f32_e64 s[2:3], v22, v4
	v_cndmask_b32_e32 v31, 1.0, v7, vcc
	v_mul_f32_e32 v25, v25, v31
	v_log_f32_e32 v25, v25
	v_cndmask_b32_e64 v22, v26, v22, s[2:3]
	v_cmp_gt_f32_e64 s[2:3], s15, v24
	scratch_store_dwordx4 off, v[20:23], off
	v_cmp_lt_f32_e64 s[4:5], |v25|, s14
	s_nop 0
	v_cndmask_b32_e64 v21, 1.0, v7, s[2:3]
	v_mul_f32_e32 v20, 0x3f317217, v25
	v_mul_f32_e32 v21, v24, v21
	v_fma_f32 v20, v25, s13, -v20
	v_log_f32_e32 v21, v21
	v_fmac_f32_e32 v20, 0x3377d1cf, v25
	v_fmac_f32_e32 v20, 0x3f317217, v25
	v_cndmask_b32_e64 v20, v25, v20, s[4:5]
	v_cndmask_b32_e32 v22, 0, v12, vcc
	v_sub_f32_e32 v20, v20, v22
	v_mul_f32_e32 v22, 0x3f317217, v21
	v_fma_f32 v22, v21, s13, -v22
	v_fmac_f32_e32 v22, 0x3377d1cf, v21
	v_fmac_f32_e32 v22, 0x3f317217, v21
	v_cmp_lt_f32_e64 vcc, |v21|, s14
	s_nop 1
	v_cndmask_b32_e32 v21, v21, v22, vcc
	v_cmp_lt_f32_e32 vcc, s9, v28
	v_cndmask_b32_e64 v22, 0, v12, s[2:3]
	v_sub_f32_e32 v21, v21, v22
	v_cndmask_b32_e32 v20, v20, v28, vcc
	v_mul_f32_e32 v23, 0x4f800000, v20
	v_cmp_gt_f32_e32 vcc, s12, v20
	v_cmp_lt_f32_e64 s[2:3], s9, v27
	s_nop 0
	v_cndmask_b32_e32 v20, v20, v23, vcc
	v_sqrt_f32_e32 v23, v20
	v_cndmask_b32_e64 v21, v21, v27, s[2:3]
	v_add_u32_e32 v22, -1, v23
	v_fma_f32 v24, -v22, v23, v20
	v_cmp_ge_f32_e64 s[2:3], 0, v24
	v_add_u32_e32 v24, 1, v23
	s_nop 0
	v_cndmask_b32_e64 v22, v23, v22, s[2:3]
	v_fma_f32 v23, -v24, v23, v20
	v_cmp_lt_f32_e64 s[2:3], 0, v23
	s_nop 1
	v_cndmask_b32_e64 v22, v22, v24, s[2:3]
	v_mul_f32_e32 v24, 0x4f800000, v21
	v_cmp_gt_f32_e64 s[2:3], s12, v21
	v_mul_f32_e32 v23, 0x37800000, v22
	s_nop 0
	v_cndmask_b32_e64 v24, v21, v24, s[2:3]
	v_sqrt_f32_e32 v25, v24
	v_cndmask_b32_e32 v21, v22, v23, vcc
	v_cmp_class_f32_e32 vcc, v20, v4
	s_waitcnt vmcnt(8)
	v_mul_f32_e32 v23, 0x3fb8aa3b, v30
	v_exp_f32_e32 v23, v23
	v_cndmask_b32_e32 v21, v21, v20, vcc
	v_add_u32_e32 v20, -1, v25
	v_fma_f32 v22, -v20, v25, v24
	v_cmp_ge_f32_e32 vcc, 0, v22
	v_mul_f32_e32 v22, 0x3fb8aa3b, v29
	v_exp_f32_e32 v22, v22
	v_add_u32_e32 v26, 1, v25
	v_cndmask_b32_e32 v20, v25, v20, vcc
	v_fma_f32 v25, -v26, v25, v24
	v_cmp_lt_f32_e32 vcc, 0, v25
	v_pk_add_f32 v[22:23], v[22:23], 1.0 op_sel_hi:[1,0]
	s_nop 0
	v_cndmask_b32_e32 v20, v20, v26, vcc
	v_cmp_gt_f32_e32 vcc, s15, v23
	v_mul_f32_e32 v25, 0x37800000, v20
	v_cndmask_b32_e64 v20, v20, v25, s[2:3]
	v_cndmask_b32_e32 v26, 1.0, v7, vcc
	v_mul_f32_e32 v23, v23, v26
	v_log_f32_e32 v23, v23
	v_cmp_class_f32_e64 s[2:3], v24, v4
	v_cmp_lt_f32_e64 s[4:5], |v23|, s14
	s_nop 0
	v_cndmask_b32_e64 v20, v20, v24, s[2:3]
	v_cmp_gt_f32_e64 s[2:3], s15, v22
	v_mul_f32_e32 v24, 0x3f317217, v23
	v_fma_f32 v24, v23, s13, -v24
	v_cndmask_b32_e64 v25, 1.0, v7, s[2:3]
	v_mul_f32_e32 v22, v22, v25
	v_log_f32_e32 v22, v22
	v_fmac_f32_e32 v24, 0x3377d1cf, v23
	v_fmac_f32_e32 v24, 0x3f317217, v23
	v_cndmask_b32_e64 v23, v23, v24, s[4:5]
	v_cndmask_b32_e32 v24, 0, v12, vcc
	v_sub_f32_e32 v23, v23, v24
	v_mul_f32_e32 v24, 0x3f317217, v22
	v_fma_f32 v24, v22, s13, -v24
	v_fmac_f32_e32 v24, 0x3377d1cf, v22
	v_fmac_f32_e32 v24, 0x3f317217, v22
	v_cmp_lt_f32_e64 vcc, |v22|, s14
	s_nop 1
	v_cndmask_b32_e32 v22, v22, v24, vcc
	v_cmp_lt_f32_e32 vcc, s9, v30
	v_cndmask_b32_e64 v24, 0, v12, s[2:3]
	v_sub_f32_e32 v22, v22, v24
	v_cndmask_b32_e32 v23, v23, v30, vcc
	v_mul_f32_e32 v25, 0x4f800000, v23
	v_cmp_gt_f32_e32 vcc, s12, v23
	v_cmp_lt_f32_e64 s[2:3], s9, v29
	s_nop 0
	v_cndmask_b32_e32 v23, v23, v25, vcc
	v_sqrt_f32_e32 v25, v23
	v_cndmask_b32_e64 v22, v22, v29, s[2:3]
	v_add_u32_e32 v24, -1, v25
	v_fma_f32 v26, -v24, v25, v23
	v_cmp_ge_f32_e64 s[2:3], 0, v26
	v_add_u32_e32 v26, 1, v25
	s_nop 0
	v_cndmask_b32_e64 v24, v25, v24, s[2:3]
	v_fma_f32 v25, -v26, v25, v23
	v_cmp_lt_f32_e64 s[2:3], 0, v25
	s_nop 1
	v_cndmask_b32_e64 v24, v24, v26, s[2:3]
	v_mul_f32_e32 v26, 0x4f800000, v22
	v_cmp_gt_f32_e64 s[2:3], s12, v22
	v_mul_f32_e32 v25, 0x37800000, v24
	v_cndmask_b32_e32 v24, v24, v25, vcc
	v_cndmask_b32_e64 v22, v22, v26, s[2:3]
	v_sqrt_f32_e32 v26, v22
	v_cmp_class_f32_e32 vcc, v23, v4
	v_add_u32_e32 v28, 1, v26
	s_nop 0
	v_cndmask_b32_e32 v23, v24, v23, vcc
	v_add_u32_e32 v24, -1, v26
	v_fma_f32 v25, -v24, v26, v22
	v_cmp_ge_f32_e32 vcc, 0, v25
	v_mul_f32_e32 v25, 0x3fb8aa3b, v1
	v_exp_f32_e32 v25, v25
	v_cndmask_b32_e32 v27, v26, v24, vcc
	v_mul_f32_e32 v24, 0x3fb8aa3b, v0
	v_exp_f32_e32 v24, v24
	v_fma_f32 v26, -v28, v26, v22
	v_cmp_lt_f32_e32 vcc, 0, v26
	v_pk_add_f32 v[24:25], v[24:25], 1.0 op_sel_hi:[1,0]
	s_nop 0
	v_cndmask_b32_e32 v26, v27, v28, vcc
	v_mul_f32_e32 v27, 0x37800000, v26
	v_cmp_gt_f32_e32 vcc, s15, v25
	v_cndmask_b32_e64 v26, v26, v27, s[2:3]
	v_cmp_class_f32_e64 s[2:3], v22, v4
	v_cndmask_b32_e32 v27, 1.0, v7, vcc
	v_mul_f32_e32 v25, v25, v27
	v_log_f32_e32 v25, v25
	v_cndmask_b32_e64 v22, v26, v22, s[2:3]
	v_cmp_gt_f32_e64 s[2:3], s15, v24
	scratch_store_dwordx4 off, v[20:23], off offset:16
	v_cmp_lt_f32_e64 s[4:5], |v25|, s14
	s_nop 0
	v_cndmask_b32_e64 v21, 1.0, v7, s[2:3]
	v_mul_f32_e32 v20, 0x3f317217, v25
	v_mul_f32_e32 v21, v24, v21
	v_fma_f32 v20, v25, s13, -v20
	v_log_f32_e32 v21, v21
	v_fmac_f32_e32 v20, 0x3377d1cf, v25
	v_fmac_f32_e32 v20, 0x3f317217, v25
	v_cndmask_b32_e64 v20, v25, v20, s[4:5]
	v_cndmask_b32_e32 v22, 0, v12, vcc
	v_sub_f32_e32 v20, v20, v22
	v_mul_f32_e32 v22, 0x3f317217, v21
	v_fma_f32 v22, v21, s13, -v22
	v_fmac_f32_e32 v22, 0x3377d1cf, v21
	v_fmac_f32_e32 v22, 0x3f317217, v21
	v_cmp_lt_f32_e64 vcc, |v21|, s14
	s_nop 1
	v_cndmask_b32_e32 v21, v21, v22, vcc
	v_cmp_lt_f32_e32 vcc, s9, v1
	v_cndmask_b32_e64 v22, 0, v12, s[2:3]
	v_sub_f32_e32 v21, v21, v22
	v_cndmask_b32_e32 v1, v20, v1, vcc
	v_mul_f32_e32 v20, 0x4f800000, v1
	v_cmp_gt_f32_e32 vcc, s12, v1
	v_cmp_lt_f32_e64 s[2:3], s9, v0
	s_nop 0
	v_cndmask_b32_e32 v1, v1, v20, vcc
	v_sqrt_f32_e32 v20, v1
	v_cndmask_b32_e64 v0, v21, v0, s[2:3]
	v_add_u32_e32 v21, -1, v20
	v_fma_f32 v22, -v21, v20, v1
	v_cmp_ge_f32_e64 s[2:3], 0, v22
	v_add_u32_e32 v22, 1, v20
	s_nop 0
	v_cndmask_b32_e64 v21, v20, v21, s[2:3]
	v_fma_f32 v20, -v22, v20, v1
	v_cmp_lt_f32_e64 s[2:3], 0, v20
	s_nop 1
	v_cndmask_b32_e64 v20, v21, v22, s[2:3]
	v_mul_f32_e32 v22, 0x4f800000, v0
	v_cmp_gt_f32_e64 s[2:3], s12, v0
	v_mul_f32_e32 v21, 0x37800000, v20
	v_cndmask_b32_e32 v20, v20, v21, vcc
	v_cndmask_b32_e64 v0, v0, v22, s[2:3]
	v_sqrt_f32_e32 v22, v0
	v_cmp_class_f32_e32 vcc, v1, v4
	v_add_u32_e32 v24, 1, v22
	s_nop 0
	v_cndmask_b32_e32 v1, v20, v1, vcc
	v_add_u32_e32 v20, -1, v22
	v_fma_f32 v21, -v20, v22, v0
	v_cmp_ge_f32_e32 vcc, 0, v21
	v_mul_f32_e32 v21, 0x3fb8aa3b, v3
	v_exp_f32_e32 v21, v21
	v_cndmask_b32_e32 v23, v22, v20, vcc
	v_mul_f32_e32 v20, 0x3fb8aa3b, v2
	v_exp_f32_e32 v20, v20
	v_fma_f32 v22, -v24, v22, v0
	v_cmp_lt_f32_e32 vcc, 0, v22
	v_pk_add_f32 v[20:21], v[20:21], 1.0 op_sel_hi:[1,0]
	s_nop 0
	v_cndmask_b32_e32 v22, v23, v24, vcc
	v_cmp_gt_f32_e32 vcc, s15, v21
	v_mul_f32_e32 v23, 0x37800000, v22
	v_cndmask_b32_e64 v22, v22, v23, s[2:3]
	v_cndmask_b32_e32 v24, 1.0, v7, vcc
	v_mul_f32_e32 v21, v21, v24
	v_log_f32_e32 v21, v21
	v_cmp_class_f32_e64 s[2:3], v0, v4
	v_cmp_lt_f32_e64 s[4:5], |v21|, s14
	s_nop 0
	v_cndmask_b32_e64 v0, v22, v0, s[2:3]
	v_cmp_gt_f32_e64 s[2:3], s15, v20
	v_mul_f32_e32 v22, 0x3f317217, v21
	v_fma_f32 v22, v21, s13, -v22
	v_cndmask_b32_e64 v23, 1.0, v7, s[2:3]
	v_mul_f32_e32 v20, v20, v23
	v_log_f32_e32 v20, v20
	v_fmac_f32_e32 v22, 0x3377d1cf, v21
	v_fmac_f32_e32 v22, 0x3f317217, v21
	v_cndmask_b32_e64 v21, v21, v22, s[4:5]
	v_cndmask_b32_e32 v22, 0, v12, vcc
	v_sub_f32_e32 v21, v21, v22
	v_mul_f32_e32 v22, 0x3f317217, v20
	v_fma_f32 v22, v20, s13, -v22
	v_fmac_f32_e32 v22, 0x3377d1cf, v20
	v_fmac_f32_e32 v22, 0x3f317217, v20
	v_cmp_lt_f32_e64 vcc, |v20|, s14
	s_nop 1
	v_cndmask_b32_e32 v20, v20, v22, vcc
	v_cmp_lt_f32_e32 vcc, s9, v3
	v_cndmask_b32_e64 v22, 0, v12, s[2:3]
	v_sub_f32_e32 v20, v20, v22
	v_cndmask_b32_e32 v3, v21, v3, vcc
	v_mul_f32_e32 v21, 0x4f800000, v3
	v_cmp_gt_f32_e32 vcc, s12, v3
	v_cmp_lt_f32_e64 s[2:3], s9, v2
	s_nop 0
	v_cndmask_b32_e32 v3, v3, v21, vcc
	v_sqrt_f32_e32 v21, v3
	v_cndmask_b32_e64 v2, v20, v2, s[2:3]
	v_add_u32_e32 v20, -1, v21
	v_fma_f32 v22, -v20, v21, v3
	v_cmp_ge_f32_e64 s[2:3], 0, v22
	v_add_u32_e32 v22, 1, v21
	s_nop 0
	v_cndmask_b32_e64 v20, v21, v20, s[2:3]
	v_fma_f32 v21, -v22, v21, v3
	v_cmp_lt_f32_e64 s[2:3], 0, v21
	s_nop 1
	v_cndmask_b32_e64 v20, v20, v22, s[2:3]
	v_mul_f32_e32 v22, 0x4f800000, v2
	v_cmp_gt_f32_e64 s[2:3], s12, v2
	v_mul_f32_e32 v21, 0x37800000, v20
	v_cndmask_b32_e32 v20, v20, v21, vcc
	v_cndmask_b32_e64 v2, v2, v22, s[2:3]
	v_sqrt_f32_e32 v22, v2
	v_cmp_class_f32_e32 vcc, v3, v4
	v_add_u32_e32 v24, 1, v22
	s_nop 0
	v_cndmask_b32_e32 v3, v20, v3, vcc
	v_add_u32_e32 v20, -1, v22
	v_fma_f32 v21, -v20, v22, v2
	v_cmp_ge_f32_e32 vcc, 0, v21
	s_waitcnt vmcnt(7)
	v_mul_f32_e32 v21, 0x3fb8aa3b, v19
	v_exp_f32_e32 v21, v21
	v_cndmask_b32_e32 v23, v22, v20, vcc
	v_mul_f32_e32 v20, 0x3fb8aa3b, v18
	v_exp_f32_e32 v20, v20
	v_fma_f32 v22, -v24, v22, v2
	v_cmp_lt_f32_e32 vcc, 0, v22
	v_pk_add_f32 v[20:21], v[20:21], 1.0 op_sel_hi:[1,0]
	s_nop 0
	v_cndmask_b32_e32 v22, v23, v24, vcc
	v_mul_f32_e32 v23, 0x37800000, v22
	v_cmp_gt_f32_e32 vcc, s15, v21
	v_cndmask_b32_e64 v22, v22, v23, s[2:3]
	v_cmp_class_f32_e64 s[2:3], v2, v4
	v_cndmask_b32_e32 v23, 1.0, v7, vcc
	v_mul_f32_e32 v21, v21, v23
	v_log_f32_e32 v21, v21
	v_cndmask_b32_e64 v2, v22, v2, s[2:3]
	v_cmp_gt_f32_e64 s[2:3], s15, v20
	scratch_store_dwordx4 off, v[0:3], off offset:32
	v_cmp_lt_f32_e64 s[4:5], |v21|, s14
	s_nop 0
	v_cndmask_b32_e64 v1, 1.0, v7, s[2:3]
	v_mul_f32_e32 v0, 0x3f317217, v21
	v_mul_f32_e32 v1, v20, v1
	v_fma_f32 v0, v21, s13, -v0
	v_log_f32_e32 v1, v1
	v_fmac_f32_e32 v0, 0x3377d1cf, v21
	v_fmac_f32_e32 v0, 0x3f317217, v21
	v_cndmask_b32_e64 v0, v21, v0, s[4:5]
	v_cndmask_b32_e32 v2, 0, v12, vcc
	v_sub_f32_e32 v0, v0, v2
	v_mul_f32_e32 v2, 0x3f317217, v1
	v_fma_f32 v2, v1, s13, -v2
	v_fmac_f32_e32 v2, 0x3377d1cf, v1
	v_fmac_f32_e32 v2, 0x3f317217, v1
	v_cmp_lt_f32_e64 vcc, |v1|, s14
	s_nop 1
	v_cndmask_b32_e32 v1, v1, v2, vcc
	v_cmp_lt_f32_e32 vcc, s9, v19
	v_cndmask_b32_e64 v2, 0, v12, s[2:3]
	v_sub_f32_e32 v1, v1, v2
	v_cndmask_b32_e32 v0, v0, v19, vcc
	v_mul_f32_e32 v3, 0x4f800000, v0
	v_cmp_gt_f32_e32 vcc, s12, v0
	v_cmp_lt_f32_e64 s[2:3], s9, v18
	s_nop 0
	v_cndmask_b32_e32 v0, v0, v3, vcc
	v_sqrt_f32_e32 v3, v0
	v_cndmask_b32_e64 v1, v1, v18, s[2:3]
	v_add_u32_e32 v2, -1, v3
	v_fma_f32 v18, -v2, v3, v0
	v_cmp_ge_f32_e64 s[2:3], 0, v18
	v_add_u32_e32 v18, 1, v3
	s_nop 0
	v_cndmask_b32_e64 v2, v3, v2, s[2:3]
	v_fma_f32 v3, -v18, v3, v0
	v_cmp_lt_f32_e64 s[2:3], 0, v3
	s_nop 1
	v_cndmask_b32_e64 v2, v2, v18, s[2:3]
	v_mul_f32_e32 v18, 0x4f800000, v1
	v_cmp_gt_f32_e64 s[2:3], s12, v1
	v_mul_f32_e32 v3, 0x37800000, v2
	s_nop 0
	v_cndmask_b32_e64 v18, v1, v18, s[2:3]
	v_sqrt_f32_e32 v19, v18
	v_cndmask_b32_e32 v1, v2, v3, vcc
	v_cmp_class_f32_e32 vcc, v0, v4
	s_waitcnt vmcnt(6)
	v_mul_f32_e32 v3, 0x3fb8aa3b, v17
	v_exp_f32_e32 v3, v3
	v_cndmask_b32_e32 v1, v1, v0, vcc
	v_add_u32_e32 v0, -1, v19
	v_fma_f32 v2, -v0, v19, v18
	v_cmp_ge_f32_e32 vcc, 0, v2
	v_mul_f32_e32 v2, 0x3fb8aa3b, v16
	v_exp_f32_e32 v2, v2
	v_add_u32_e32 v20, 1, v19
	v_cndmask_b32_e32 v0, v19, v0, vcc
	v_fma_f32 v19, -v20, v19, v18
	v_cmp_lt_f32_e32 vcc, 0, v19
	v_pk_add_f32 v[2:3], v[2:3], 1.0 op_sel_hi:[1,0]
	s_nop 0
	v_cndmask_b32_e32 v0, v0, v20, vcc
	v_cmp_gt_f32_e32 vcc, s15, v3
	v_mul_f32_e32 v19, 0x37800000, v0
	v_cndmask_b32_e64 v0, v0, v19, s[2:3]
	v_cndmask_b32_e32 v20, 1.0, v7, vcc
	v_mul_f32_e32 v3, v3, v20
	v_log_f32_e32 v3, v3
	v_cmp_class_f32_e64 s[2:3], v18, v4
	v_cmp_lt_f32_e64 s[4:5], |v3|, s14
	s_nop 0
	v_cndmask_b32_e64 v0, v0, v18, s[2:3]
	v_cmp_gt_f32_e64 s[2:3], s15, v2
	v_mul_f32_e32 v18, 0x3f317217, v3
	v_fma_f32 v18, v3, s13, -v18
	v_cndmask_b32_e64 v19, 1.0, v7, s[2:3]
	v_mul_f32_e32 v2, v2, v19
	v_log_f32_e32 v2, v2
	v_fmac_f32_e32 v18, 0x3377d1cf, v3
	v_fmac_f32_e32 v18, 0x3f317217, v3
	v_cndmask_b32_e64 v3, v3, v18, s[4:5]
	v_cndmask_b32_e32 v18, 0, v12, vcc
	v_sub_f32_e32 v3, v3, v18
	v_mul_f32_e32 v18, 0x3f317217, v2
	v_fma_f32 v18, v2, s13, -v18
	v_fmac_f32_e32 v18, 0x3377d1cf, v2
	v_fmac_f32_e32 v18, 0x3f317217, v2
	v_cmp_lt_f32_e64 vcc, |v2|, s14
	s_nop 1
	v_cndmask_b32_e32 v2, v2, v18, vcc
	v_cmp_lt_f32_e32 vcc, s9, v17
	v_cndmask_b32_e64 v18, 0, v12, s[2:3]
	v_sub_f32_e32 v2, v2, v18
	v_cndmask_b32_e32 v3, v3, v17, vcc
	v_mul_f32_e32 v17, 0x4f800000, v3
	v_cmp_gt_f32_e32 vcc, s12, v3
	v_cmp_lt_f32_e64 s[2:3], s9, v16
	s_nop 0
	v_cndmask_b32_e32 v3, v3, v17, vcc
	v_sqrt_f32_e32 v17, v3
	v_cndmask_b32_e64 v2, v2, v16, s[2:3]
	v_add_u32_e32 v16, -1, v17
	v_fma_f32 v18, -v16, v17, v3
	v_cmp_ge_f32_e64 s[2:3], 0, v18
	v_add_u32_e32 v18, 1, v17
	s_nop 0
	v_cndmask_b32_e64 v16, v17, v16, s[2:3]
	v_fma_f32 v17, -v18, v17, v3
	v_cmp_lt_f32_e64 s[2:3], 0, v17
	s_nop 1
	v_cndmask_b32_e64 v16, v16, v18, s[2:3]
	v_mul_f32_e32 v18, 0x4f800000, v2
	v_cmp_gt_f32_e64 s[2:3], s12, v2
	v_mul_f32_e32 v17, 0x37800000, v16
	v_cndmask_b32_e32 v16, v16, v17, vcc
	v_cndmask_b32_e64 v2, v2, v18, s[2:3]
	v_sqrt_f32_e32 v18, v2
	v_cmp_class_f32_e32 vcc, v3, v4
	v_add_u32_e32 v20, 1, v18
	s_nop 0
	v_cndmask_b32_e32 v3, v16, v3, vcc
	v_add_u32_e32 v16, -1, v18
	v_fma_f32 v17, -v16, v18, v2
	v_cmp_ge_f32_e32 vcc, 0, v17
	s_waitcnt vmcnt(4)
	v_mul_f32_e32 v17, 0x3fb8aa3b, v15
	v_exp_f32_e32 v17, v17
	v_cndmask_b32_e32 v19, v18, v16, vcc
	v_mul_f32_e32 v16, 0x3fb8aa3b, v13
	v_exp_f32_e32 v16, v16
	v_fma_f32 v18, -v20, v18, v2
	v_cmp_lt_f32_e32 vcc, 0, v18
	v_pk_add_f32 v[16:17], v[16:17], 1.0 op_sel_hi:[1,0]
	s_nop 0
	v_cndmask_b32_e32 v18, v19, v20, vcc
	v_mul_f32_e32 v19, 0x37800000, v18
	v_cmp_gt_f32_e32 vcc, s15, v17
	v_cndmask_b32_e64 v18, v18, v19, s[2:3]
	v_cmp_class_f32_e64 s[2:3], v2, v4
	v_cndmask_b32_e32 v19, 1.0, v7, vcc
	v_mul_f32_e32 v17, v17, v19
	v_log_f32_e32 v17, v17
	v_cndmask_b32_e64 v2, v18, v2, s[2:3]
	v_cmp_gt_f32_e64 s[2:3], s15, v16
	scratch_store_dwordx4 off, v[0:3], off offset:48
	v_cmp_lt_f32_e64 s[4:5], |v17|, s14
	s_nop 0
	v_cndmask_b32_e64 v1, 1.0, v7, s[2:3]
	v_mul_f32_e32 v0, 0x3f317217, v17
	v_mul_f32_e32 v1, v16, v1
	v_fma_f32 v0, v17, s13, -v0
	v_log_f32_e32 v1, v1
	v_fmac_f32_e32 v0, 0x3377d1cf, v17
	v_fmac_f32_e32 v0, 0x3f317217, v17
	v_cndmask_b32_e64 v0, v17, v0, s[4:5]
	v_cndmask_b32_e32 v2, 0, v12, vcc
	v_sub_f32_e32 v0, v0, v2
	v_mul_f32_e32 v2, 0x3f317217, v1
	v_fma_f32 v2, v1, s13, -v2
	v_fmac_f32_e32 v2, 0x3377d1cf, v1
	v_fmac_f32_e32 v2, 0x3f317217, v1
	v_cmp_lt_f32_e64 vcc, |v1|, s14
	s_nop 1
	v_cndmask_b32_e32 v1, v1, v2, vcc
	v_cmp_lt_f32_e32 vcc, s9, v15
	v_cndmask_b32_e64 v2, 0, v12, s[2:3]
	v_sub_f32_e32 v1, v1, v2
	v_cndmask_b32_e32 v0, v0, v15, vcc
	v_mul_f32_e32 v3, 0x4f800000, v0
	v_cmp_gt_f32_e32 vcc, s12, v0
	v_cmp_lt_f32_e64 s[2:3], s9, v13
	s_nop 0
	v_cndmask_b32_e32 v0, v0, v3, vcc
	v_sqrt_f32_e32 v3, v0
	v_cndmask_b32_e64 v1, v1, v13, s[2:3]
	v_add_u32_e32 v2, -1, v3
	v_fma_f32 v7, -v2, v3, v0
	v_cmp_ge_f32_e64 s[2:3], 0, v7
	v_add_u32_e32 v7, 1, v3
	s_nop 0
	v_cndmask_b32_e64 v2, v3, v2, s[2:3]
	v_fma_f32 v3, -v7, v3, v0
	v_cmp_lt_f32_e64 s[2:3], 0, v3
	s_nop 1
	v_cndmask_b32_e64 v2, v2, v7, s[2:3]
	v_mul_f32_e32 v7, 0x4f800000, v1
	v_cmp_gt_f32_e64 s[2:3], s12, v1
	v_mul_f32_e32 v3, 0x37800000, v2
	s_nop 0
	v_cndmask_b32_e64 v7, v1, v7, s[2:3]
	v_sqrt_f32_e32 v12, v7
	v_cndmask_b32_e32 v1, v2, v3, vcc
	v_cmp_class_f32_e32 vcc, v0, v4
	s_nop 1
	v_cndmask_b32_e32 v1, v1, v0, vcc
	v_add_u32_e32 v0, -1, v12
	v_fma_f32 v2, -v0, v12, v7
	v_cmp_ge_f32_e32 vcc, 0, v2
	v_add_u32_e32 v2, 1, v12
	v_fma_f32 v3, -v2, v12, v7
	v_cndmask_b32_e32 v0, v12, v0, vcc
	v_cmp_lt_f32_e32 vcc, 0, v3
	s_nop 1
	v_cndmask_b32_e32 v0, v0, v2, vcc
	v_mul_f32_e32 v2, 0x37800000, v0
	v_cndmask_b32_e64 v0, v0, v2, s[2:3]
	v_cmp_class_f32_e32 vcc, v7, v4
	v_mul_lo_u32 v2, v6, s34
	s_nop 0
	v_cndmask_b32_e32 v0, v0, v7, vcc
	scratch_store_dwordx2 off, v[0:1], off offset:64
	v_lshl_add_u64 v[0:1], v[10:11], 3, v[8:9]
	s_and_b64 vcc, exec, s[10:11]
	s_cbranch_vccnz .LBB178_28
; %bb.2:
	s_load_dwordx2 s[4:5], s[0:1], 0x20
	v_mul_lo_u32 v6, v6, s34
	s_cmp_lt_u32 s34, 4
	v_sub_u32_e32 v3, 0, v14
	s_cbranch_scc1 .LBB178_21
; %bb.3:
	s_mov_b32 s11, 0
	s_and_b32 s8, s34, 0x7ffffffc
	v_ashrrev_i32_e32 v7, 31, v6
	v_mov_b32_e32 v5, 0
	s_mov_b32 s10, s11
	s_branch .LBB178_5
.LBB178_4:                              ;   in Loop: Header=BB178_5 Depth=1
	s_or_b64 exec, exec, s[12:13]
	s_add_i32 s10, s10, 4
	s_cmp_eq_u32 s10, s8
	s_cbranch_scc1 .LBB178_21
.LBB178_5:                              ; =>This Loop Header: Depth=1
                                        ;     Child Loop BB178_7 Depth 2
                                        ;     Child Loop BB178_11 Depth 2
	;; [unrolled: 1-line block ×4, first 2 shown]
	v_lshl_add_u64 v[8:9], s[10:11], 3, v[0:1]
	global_load_dwordx2 v[10:11], v[8:9], off
	v_add_u32_e32 v12, s10, v6
	v_ashrrev_i32_e32 v13, 31, v12
	v_mov_b32_e32 v4, 0
	s_mov_b64 s[12:13], 0
	s_waitcnt lgkmcnt(0)
	v_lshl_add_u64 v[12:13], v[12:13], 3, s[4:5]
	s_mov_b32 s9, 0
	s_waitcnt vmcnt(0)
	v_ashrrev_i32_e32 v11, 31, v10
	v_add_u32_e32 v15, v3, v10
	s_branch .LBB178_7
.LBB178_6:                              ;   in Loop: Header=BB178_7 Depth=2
	s_or_b64 exec, exec, s[14:15]
	s_add_i32 s16, s9, 1
	s_cmp_gt_u32 s9, 16
	s_cselect_b64 s[2:3], -1, 0
	s_xor_b64 s[14:15], vcc, -1
	s_or_b64 s[2:3], s[14:15], s[2:3]
	s_and_b64 s[2:3], exec, s[2:3]
	v_subrev_u32_e32 v15, 32, v15
	v_add_u32_e32 v4, 4, v4
	s_or_b64 s[12:13], s[2:3], s[12:13]
	s_mov_b32 s9, s16
	s_andn2_b64 exec, exec, s[12:13]
	s_cbranch_execz .LBB178_9
.LBB178_7:                              ;   Parent Loop BB178_5 Depth=1
                                        ; =>  This Inner Loop Header: Depth=2
	v_cmp_ne_u32_e32 vcc, 0, v15
	v_cmp_eq_u32_e64 s[2:3], 0, v15
	s_and_saveexec_b64 s[14:15], s[2:3]
	s_cbranch_execz .LBB178_6
; %bb.8:                                ;   in Loop: Header=BB178_7 Depth=2
	scratch_load_dword v16, v4, off
	s_waitcnt vmcnt(0)
	v_add_f32_e32 v5, v5, v16
	global_store_dwordx2 v[12:13], v[10:11], off
	s_branch .LBB178_6
.LBB178_9:                              ;   in Loop: Header=BB178_5 Depth=1
	s_or_b64 exec, exec, s[12:13]
	global_load_dwordx2 v[12:13], v[8:9], off offset:8
	s_ashr_i32 s3, s10, 31
	s_mov_b32 s2, s10
	v_lshl_add_u64 v[10:11], s[2:3], 0, v[6:7]
	v_mov_b32_e32 v4, 0
	s_mov_b32 s9, 0
	v_lshl_add_u64 v[10:11], v[10:11], 3, s[4:5]
	s_mov_b64 s[12:13], 0
	s_waitcnt vmcnt(0)
	v_ashrrev_i32_e32 v13, 31, v12
	v_add_u32_e32 v15, v3, v12
	s_branch .LBB178_11
.LBB178_10:                             ;   in Loop: Header=BB178_11 Depth=2
	s_or_b64 exec, exec, s[14:15]
	s_add_i32 s16, s9, 1
	s_cmp_gt_u32 s9, 16
	s_cselect_b64 s[2:3], -1, 0
	s_xor_b64 s[14:15], vcc, -1
	s_or_b64 s[2:3], s[14:15], s[2:3]
	s_and_b64 s[2:3], exec, s[2:3]
	v_add_u32_e32 v4, 4, v4
	v_subrev_u32_e32 v15, 32, v15
	s_or_b64 s[12:13], s[2:3], s[12:13]
	s_mov_b32 s9, s16
	s_andn2_b64 exec, exec, s[12:13]
	s_cbranch_execz .LBB178_13
.LBB178_11:                             ;   Parent Loop BB178_5 Depth=1
                                        ; =>  This Inner Loop Header: Depth=2
	v_cmp_ne_u32_e32 vcc, 0, v15
	v_cmp_eq_u32_e64 s[2:3], 0, v15
	s_and_saveexec_b64 s[14:15], s[2:3]
	s_cbranch_execz .LBB178_10
; %bb.12:                               ;   in Loop: Header=BB178_11 Depth=2
	scratch_load_dword v16, v4, off
	s_waitcnt vmcnt(0)
	v_add_f32_e32 v5, v5, v16
	global_store_dwordx2 v[10:11], v[12:13], off offset:8
	s_branch .LBB178_10
.LBB178_13:                             ;   in Loop: Header=BB178_5 Depth=1
	s_or_b64 exec, exec, s[12:13]
	global_load_dwordx2 v[12:13], v[8:9], off offset:16
	v_mov_b32_e32 v4, 0
	s_mov_b32 s9, 0
	s_mov_b64 s[12:13], 0
	s_waitcnt vmcnt(0)
	v_ashrrev_i32_e32 v13, 31, v12
	v_add_u32_e32 v15, v3, v12
	s_branch .LBB178_15
.LBB178_14:                             ;   in Loop: Header=BB178_15 Depth=2
	s_or_b64 exec, exec, s[14:15]
	s_add_i32 s16, s9, 1
	s_cmp_gt_u32 s9, 16
	s_cselect_b64 s[2:3], -1, 0
	s_xor_b64 s[14:15], vcc, -1
	s_or_b64 s[2:3], s[14:15], s[2:3]
	s_and_b64 s[2:3], exec, s[2:3]
	v_add_u32_e32 v4, 4, v4
	v_subrev_u32_e32 v15, 32, v15
	s_or_b64 s[12:13], s[2:3], s[12:13]
	s_mov_b32 s9, s16
	s_andn2_b64 exec, exec, s[12:13]
	s_cbranch_execz .LBB178_17
.LBB178_15:                             ;   Parent Loop BB178_5 Depth=1
                                        ; =>  This Inner Loop Header: Depth=2
	v_cmp_ne_u32_e32 vcc, 0, v15
	v_cmp_eq_u32_e64 s[2:3], 0, v15
	s_and_saveexec_b64 s[14:15], s[2:3]
	s_cbranch_execz .LBB178_14
; %bb.16:                               ;   in Loop: Header=BB178_15 Depth=2
	scratch_load_dword v16, v4, off
	s_waitcnt vmcnt(0)
	v_add_f32_e32 v5, v5, v16
	global_store_dwordx2 v[10:11], v[12:13], off offset:16
	s_branch .LBB178_14
.LBB178_17:                             ;   in Loop: Header=BB178_5 Depth=1
	s_or_b64 exec, exec, s[12:13]
	global_load_dwordx2 v[8:9], v[8:9], off offset:24
	v_mov_b32_e32 v4, 0
	s_mov_b32 s9, 0
	s_mov_b64 s[12:13], 0
	s_waitcnt vmcnt(0)
	v_ashrrev_i32_e32 v9, 31, v8
	v_add_u32_e32 v12, v3, v8
	s_branch .LBB178_19
.LBB178_18:                             ;   in Loop: Header=BB178_19 Depth=2
	s_or_b64 exec, exec, s[14:15]
	s_add_i32 s16, s9, 1
	s_cmp_gt_u32 s9, 16
	s_cselect_b64 s[2:3], -1, 0
	s_xor_b64 s[14:15], vcc, -1
	s_or_b64 s[2:3], s[14:15], s[2:3]
	s_and_b64 s[2:3], exec, s[2:3]
	v_add_u32_e32 v4, 4, v4
	v_subrev_u32_e32 v12, 32, v12
	s_or_b64 s[12:13], s[2:3], s[12:13]
	s_mov_b32 s9, s16
	s_andn2_b64 exec, exec, s[12:13]
	s_cbranch_execz .LBB178_4
.LBB178_19:                             ;   Parent Loop BB178_5 Depth=1
                                        ; =>  This Inner Loop Header: Depth=2
	v_cmp_ne_u32_e32 vcc, 0, v12
	v_cmp_eq_u32_e64 s[2:3], 0, v12
	s_and_saveexec_b64 s[14:15], s[2:3]
	s_cbranch_execz .LBB178_18
; %bb.20:                               ;   in Loop: Header=BB178_19 Depth=2
	scratch_load_dword v13, v4, off
	s_waitcnt vmcnt(0)
	v_add_f32_e32 v5, v5, v13
	global_store_dwordx2 v[10:11], v[8:9], off offset:24
	s_branch .LBB178_18
.LBB178_21:
	s_and_b32 s14, s34, 3
	s_cmp_eq_u32 s14, 0
	s_mov_b32 s9, 0
	s_cbranch_scc1 .LBB178_28
; %bb.22:
	s_mov_b32 s15, s9
	s_branch .LBB178_24
.LBB178_23:                             ;   in Loop: Header=BB178_24 Depth=1
	s_or_b64 exec, exec, s[10:11]
	s_add_i32 s8, s8, 1
	s_add_i32 s15, s15, 1
	s_cmp_lg_u32 s15, s14
	s_cbranch_scc0 .LBB178_28
.LBB178_24:                             ; =>This Loop Header: Depth=1
                                        ;     Child Loop BB178_26 Depth 2
	v_lshl_add_u64 v[8:9], s[8:9], 3, v[0:1]
	global_load_dwordx2 v[8:9], v[8:9], off
	v_add_u32_e32 v10, s8, v6
	v_ashrrev_i32_e32 v11, 31, v10
	v_mov_b32_e32 v4, 0
	s_mov_b32 s16, 0
	s_waitcnt lgkmcnt(0)
	v_lshl_add_u64 v[10:11], v[10:11], 3, s[4:5]
	s_mov_b64 s[10:11], 0
	s_waitcnt vmcnt(0)
	v_ashrrev_i32_e32 v9, 31, v8
	v_add_u32_e32 v7, v3, v8
	s_branch .LBB178_26
.LBB178_25:                             ;   in Loop: Header=BB178_26 Depth=2
	s_or_b64 exec, exec, s[12:13]
	s_add_i32 s17, s16, 1
	s_cmp_gt_u32 s16, 16
	s_cselect_b64 s[2:3], -1, 0
	s_xor_b64 s[12:13], vcc, -1
	s_or_b64 s[2:3], s[12:13], s[2:3]
	s_and_b64 s[2:3], exec, s[2:3]
	v_add_u32_e32 v4, 4, v4
	v_subrev_u32_e32 v7, 32, v7
	s_or_b64 s[10:11], s[2:3], s[10:11]
	s_mov_b32 s16, s17
	s_andn2_b64 exec, exec, s[10:11]
	s_cbranch_execz .LBB178_23
.LBB178_26:                             ;   Parent Loop BB178_24 Depth=1
                                        ; =>  This Inner Loop Header: Depth=2
	v_cmp_ne_u32_e32 vcc, 0, v7
	v_cmp_eq_u32_e64 s[2:3], 0, v7
	s_and_saveexec_b64 s[12:13], s[2:3]
	s_cbranch_execz .LBB178_25
; %bb.27:                               ;   in Loop: Header=BB178_26 Depth=2
	scratch_load_dword v12, v4, off
	s_waitcnt vmcnt(0)
	v_add_f32_e32 v5, v5, v12
	global_store_dwordx2 v[10:11], v[8:9], off
	s_branch .LBB178_25
.LBB178_28:
	s_waitcnt lgkmcnt(0)
	s_load_dword s4, s[0:1], 0x3c
	s_waitcnt lgkmcnt(0)
	s_bitcmp1_b32 s4, 0
	s_cselect_b64 s[2:3], -1, 0
	s_bitcmp0_b32 s4, 0
	s_cbranch_scc0 .LBB178_31
; %bb.29:
	s_load_dwordx2 s[4:5], s[0:1], 0x40
	s_andn2_b64 vcc, exec, s[2:3]
	s_waitcnt lgkmcnt(0)
	v_cvt_f32_f64_e32 v4, s[4:5]
	s_cbranch_vccz .LBB178_32
.LBB178_30:
	s_andn2_b64 vcc, exec, s[6:7]
	s_cbranch_vccz .LBB178_33
	s_branch .LBB178_71
.LBB178_31:
	v_mbcnt_lo_u32_b32 v3, -1, 0
	v_mbcnt_hi_u32_b32 v3, -1, v3
	v_and_b32_e32 v4, 0x60, v3
	v_add_u32_e32 v4, 32, v4
	v_xor_b32_e32 v6, 16, v3
	v_cmp_lt_i32_e32 vcc, v6, v4
	v_xor_b32_e32 v7, 8, v3
	s_nop 0
	v_cndmask_b32_e32 v6, v3, v6, vcc
	v_lshlrev_b32_e32 v6, 2, v6
	ds_bpermute_b32 v6, v6, v5
	v_cmp_lt_i32_e32 vcc, v7, v4
	s_waitcnt lgkmcnt(0)
	v_add_f32_e32 v5, v5, v6
	v_cndmask_b32_e32 v6, v3, v7, vcc
	v_lshlrev_b32_e32 v6, 2, v6
	ds_bpermute_b32 v6, v6, v5
	v_xor_b32_e32 v7, 4, v3
	v_cmp_lt_i32_e32 vcc, v7, v4
	s_waitcnt lgkmcnt(0)
	v_add_f32_e32 v5, v5, v6
	v_cndmask_b32_e32 v6, v3, v7, vcc
	v_lshlrev_b32_e32 v6, 2, v6
	ds_bpermute_b32 v6, v6, v5
	v_xor_b32_e32 v7, 2, v3
	v_cmp_lt_i32_e32 vcc, v7, v4
	s_waitcnt lgkmcnt(0)
	v_add_f32_e32 v5, v5, v6
	v_cndmask_b32_e32 v6, v3, v7, vcc
	v_lshlrev_b32_e32 v6, 2, v6
	ds_bpermute_b32 v6, v6, v5
	v_xor_b32_e32 v7, 1, v3
	v_cmp_lt_i32_e32 vcc, v7, v4
	s_waitcnt lgkmcnt(0)
	v_add_f32_e32 v5, v5, v6
	v_cndmask_b32_e32 v3, v3, v7, vcc
	v_lshlrev_b32_e32 v3, 2, v3
	ds_bpermute_b32 v3, v3, v5
	s_waitcnt lgkmcnt(0)
	v_add_f32_e32 v5, v5, v3
	s_load_dwordx2 s[4:5], s[0:1], 0x40
	s_andn2_b64 vcc, exec, s[2:3]
	s_waitcnt lgkmcnt(0)
	v_cvt_f32_f64_e32 v4, s[4:5]
	s_cbranch_vccnz .LBB178_30
.LBB178_32:
	v_cmp_lt_f32_e32 vcc, 0, v5
	s_nop 1
	v_cndmask_b32_e32 v3, 1.0, v5, vcc
	v_div_scale_f32 v5, s[2:3], v3, v3, v4
	v_rcp_f32_e32 v6, v5
	s_nop 0
	v_fma_f32 v7, -v5, v6, 1.0
	v_fmac_f32_e32 v6, v7, v6
	v_div_scale_f32 v7, vcc, v4, v3, v4
	v_mul_f32_e32 v8, v7, v6
	v_fma_f32 v9, -v5, v8, v7
	v_fmac_f32_e32 v8, v9, v6
	v_fma_f32 v5, -v5, v8, v7
	v_div_fmas_f32 v5, v5, v6, v8
	v_div_fixup_f32 v4, v5, v3, v4
	s_andn2_b64 vcc, exec, s[6:7]
	s_cbranch_vccnz .LBB178_71
.LBB178_33:
	s_load_dwordx2 s[36:37], s[0:1], 0x10
	v_mov_b32_e32 v3, 0
	v_or_b32_e32 v5, 4, v3
	v_or_b32_e32 v6, 8, v3
	;; [unrolled: 1-line block ×3, first 2 shown]
	v_add_u32_e32 v8, 16, v3
	v_add_u32_e32 v9, 20, v3
	;; [unrolled: 1-line block ×14, first 2 shown]
	v_or_b32_e32 v23, 32, v14
	v_or_b32_e32 v24, 64, v14
	;; [unrolled: 1-line block ×17, first 2 shown]
	s_branch .LBB178_35
.LBB178_34:                             ;   in Loop: Header=BB178_35 Depth=1
	s_or_b64 exec, exec, s[0:1]
	s_add_i32 s34, s34, -1
	v_add_u32_e32 v2, 1, v2
	s_cmp_eq_u32 s34, 0
	v_lshl_add_u64 v[0:1], v[0:1], 0, 8
	s_cbranch_scc1 .LBB178_71
.LBB178_35:                             ; =>This Inner Loop Header: Depth=1
	global_load_dword v40, v[0:1], off
	v_mov_b32_e32 v3, 0
	s_waitcnt vmcnt(0)
	v_cmp_eq_u32_e32 vcc, v14, v40
	v_cmp_ne_u32_e64 s[0:1], v14, v40
	s_and_saveexec_b64 s[38:39], s[0:1]
	s_cbranch_execz .LBB178_69
; %bb.36:                               ;   in Loop: Header=BB178_35 Depth=1
	v_cmp_eq_u32_e64 s[0:1], v23, v40
	v_cmp_ne_u32_e64 s[2:3], v23, v40
	v_mov_b32_e32 v3, v5
	s_and_saveexec_b64 s[40:41], s[2:3]
	s_cbranch_execz .LBB178_68
; %bb.37:                               ;   in Loop: Header=BB178_35 Depth=1
	v_cmp_eq_u32_e64 s[2:3], v24, v40
	v_cmp_ne_u32_e64 s[4:5], v24, v40
	v_mov_b32_e32 v3, v6
	;; [unrolled: 6-line block ×16, first 2 shown]
	s_and_saveexec_b64 s[72:73], s[30:31]
	s_xor_b64 s[72:73], exec, s[72:73]
; %bb.52:                               ;   in Loop: Header=BB178_35 Depth=1
	v_cmp_eq_u32_e64 s[30:31], v39, v40
	s_andn2_b64 s[70:71], s[70:71], exec
	s_and_b64 s[30:31], s[30:31], exec
	s_or_b64 s[70:71], s[70:71], s[30:31]
	v_mov_b32_e32 v3, v22
; %bb.53:                               ;   in Loop: Header=BB178_35 Depth=1
	s_or_b64 exec, exec, s[72:73]
	s_andn2_b64 s[28:29], s[28:29], exec
	s_and_b64 s[30:31], s[70:71], exec
	s_or_b64 s[28:29], s[28:29], s[30:31]
.LBB178_54:                             ;   in Loop: Header=BB178_35 Depth=1
	s_or_b64 exec, exec, s[68:69]
	s_andn2_b64 s[26:27], s[26:27], exec
	s_and_b64 s[28:29], s[28:29], exec
	s_or_b64 s[26:27], s[26:27], s[28:29]
.LBB178_55:                             ;   in Loop: Header=BB178_35 Depth=1
	s_or_b64 exec, exec, s[66:67]
	s_andn2_b64 s[24:25], s[24:25], exec
	s_and_b64 s[26:27], s[26:27], exec
	s_or_b64 s[24:25], s[24:25], s[26:27]
.LBB178_56:                             ;   in Loop: Header=BB178_35 Depth=1
	s_or_b64 exec, exec, s[64:65]
	s_andn2_b64 s[22:23], s[22:23], exec
	s_and_b64 s[24:25], s[24:25], exec
	s_or_b64 s[22:23], s[22:23], s[24:25]
.LBB178_57:                             ;   in Loop: Header=BB178_35 Depth=1
	s_or_b64 exec, exec, s[62:63]
	s_andn2_b64 s[20:21], s[20:21], exec
	s_and_b64 s[22:23], s[22:23], exec
	s_or_b64 s[20:21], s[20:21], s[22:23]
.LBB178_58:                             ;   in Loop: Header=BB178_35 Depth=1
	s_or_b64 exec, exec, s[60:61]
	s_andn2_b64 s[18:19], s[18:19], exec
	s_and_b64 s[20:21], s[20:21], exec
	s_or_b64 s[18:19], s[18:19], s[20:21]
.LBB178_59:                             ;   in Loop: Header=BB178_35 Depth=1
	s_or_b64 exec, exec, s[58:59]
	s_andn2_b64 s[16:17], s[16:17], exec
	s_and_b64 s[18:19], s[18:19], exec
	s_or_b64 s[16:17], s[16:17], s[18:19]
.LBB178_60:                             ;   in Loop: Header=BB178_35 Depth=1
	s_or_b64 exec, exec, s[56:57]
	s_andn2_b64 s[14:15], s[14:15], exec
	s_and_b64 s[16:17], s[16:17], exec
	s_or_b64 s[14:15], s[14:15], s[16:17]
.LBB178_61:                             ;   in Loop: Header=BB178_35 Depth=1
	s_or_b64 exec, exec, s[54:55]
	s_andn2_b64 s[12:13], s[12:13], exec
	s_and_b64 s[14:15], s[14:15], exec
	s_or_b64 s[12:13], s[12:13], s[14:15]
.LBB178_62:                             ;   in Loop: Header=BB178_35 Depth=1
	s_or_b64 exec, exec, s[52:53]
	s_andn2_b64 s[10:11], s[10:11], exec
	s_and_b64 s[12:13], s[12:13], exec
	s_or_b64 s[10:11], s[10:11], s[12:13]
.LBB178_63:                             ;   in Loop: Header=BB178_35 Depth=1
	s_or_b64 exec, exec, s[50:51]
	s_andn2_b64 s[8:9], s[8:9], exec
	s_and_b64 s[10:11], s[10:11], exec
	s_or_b64 s[8:9], s[8:9], s[10:11]
.LBB178_64:                             ;   in Loop: Header=BB178_35 Depth=1
	s_or_b64 exec, exec, s[48:49]
	s_andn2_b64 s[6:7], s[6:7], exec
	s_and_b64 s[8:9], s[8:9], exec
	s_or_b64 s[6:7], s[6:7], s[8:9]
.LBB178_65:                             ;   in Loop: Header=BB178_35 Depth=1
	s_or_b64 exec, exec, s[46:47]
	s_andn2_b64 s[4:5], s[4:5], exec
	s_and_b64 s[6:7], s[6:7], exec
	s_or_b64 s[4:5], s[4:5], s[6:7]
.LBB178_66:                             ;   in Loop: Header=BB178_35 Depth=1
	s_or_b64 exec, exec, s[44:45]
	s_andn2_b64 s[2:3], s[2:3], exec
	s_and_b64 s[4:5], s[4:5], exec
	s_or_b64 s[2:3], s[2:3], s[4:5]
.LBB178_67:                             ;   in Loop: Header=BB178_35 Depth=1
	s_or_b64 exec, exec, s[42:43]
	s_andn2_b64 s[0:1], s[0:1], exec
	s_and_b64 s[2:3], s[2:3], exec
	s_or_b64 s[0:1], s[0:1], s[2:3]
.LBB178_68:                             ;   in Loop: Header=BB178_35 Depth=1
	s_or_b64 exec, exec, s[40:41]
	s_andn2_b64 s[2:3], vcc, exec
	s_and_b64 s[0:1], s[0:1], exec
	s_or_b64 vcc, s[2:3], s[0:1]
.LBB178_69:                             ;   in Loop: Header=BB178_35 Depth=1
	s_or_b64 exec, exec, s[38:39]
	s_and_saveexec_b64 s[0:1], vcc
	s_cbranch_execz .LBB178_34
; %bb.70:                               ;   in Loop: Header=BB178_35 Depth=1
	scratch_load_dword v40, v3, off
	v_ashrrev_i32_e32 v3, 31, v2
	s_waitcnt vmcnt(0)
	v_mul_f32_e32 v42, v4, v40
	s_waitcnt lgkmcnt(0)
	v_lshl_add_u64 v[40:41], v[2:3], 2, s[36:37]
	global_store_dword v[40:41], v42, off
	s_branch .LBB178_34
.LBB178_71:
	s_endpgm
	.section	.rodata,"a",@progbits
	.p2align	6, 0x0
	.amdhsa_kernel _ZN4vllm3moe22topkGatingSoftplusSqrtILi18ELi576ELi4ELi4ELi32ELb1ElfEEvPKT6_PKbPfiPT5_PiiiibdPKfPKS8_SE_
		.amdhsa_group_segment_fixed_size 0
		.amdhsa_private_segment_fixed_size 80
		.amdhsa_kernarg_size 96
		.amdhsa_user_sgpr_count 2
		.amdhsa_user_sgpr_dispatch_ptr 0
		.amdhsa_user_sgpr_queue_ptr 0
		.amdhsa_user_sgpr_kernarg_segment_ptr 1
		.amdhsa_user_sgpr_dispatch_id 0
		.amdhsa_user_sgpr_kernarg_preload_length 0
		.amdhsa_user_sgpr_kernarg_preload_offset 0
		.amdhsa_user_sgpr_private_segment_size 0
		.amdhsa_uses_dynamic_stack 0
		.amdhsa_enable_private_segment 1
		.amdhsa_system_sgpr_workgroup_id_x 1
		.amdhsa_system_sgpr_workgroup_id_y 0
		.amdhsa_system_sgpr_workgroup_id_z 0
		.amdhsa_system_sgpr_workgroup_info 0
		.amdhsa_system_vgpr_workitem_id 1
		.amdhsa_next_free_vgpr 43
		.amdhsa_next_free_sgpr 74
		.amdhsa_accum_offset 44
		.amdhsa_reserve_vcc 1
		.amdhsa_float_round_mode_32 0
		.amdhsa_float_round_mode_16_64 0
		.amdhsa_float_denorm_mode_32 3
		.amdhsa_float_denorm_mode_16_64 3
		.amdhsa_dx10_clamp 1
		.amdhsa_ieee_mode 1
		.amdhsa_fp16_overflow 0
		.amdhsa_tg_split 0
		.amdhsa_exception_fp_ieee_invalid_op 0
		.amdhsa_exception_fp_denorm_src 0
		.amdhsa_exception_fp_ieee_div_zero 0
		.amdhsa_exception_fp_ieee_overflow 0
		.amdhsa_exception_fp_ieee_underflow 0
		.amdhsa_exception_fp_ieee_inexact 0
		.amdhsa_exception_int_div_zero 0
	.end_amdhsa_kernel
	.section	.text._ZN4vllm3moe22topkGatingSoftplusSqrtILi18ELi576ELi4ELi4ELi32ELb1ElfEEvPKT6_PKbPfiPT5_PiiiibdPKfPKS8_SE_,"axG",@progbits,_ZN4vllm3moe22topkGatingSoftplusSqrtILi18ELi576ELi4ELi4ELi32ELb1ElfEEvPKT6_PKbPfiPT5_PiiiibdPKfPKS8_SE_,comdat
.Lfunc_end178:
	.size	_ZN4vllm3moe22topkGatingSoftplusSqrtILi18ELi576ELi4ELi4ELi32ELb1ElfEEvPKT6_PKbPfiPT5_PiiiibdPKfPKS8_SE_, .Lfunc_end178-_ZN4vllm3moe22topkGatingSoftplusSqrtILi18ELi576ELi4ELi4ELi32ELb1ElfEEvPKT6_PKbPfiPT5_PiiiibdPKfPKS8_SE_
                                        ; -- End function
	.section	.AMDGPU.csdata,"",@progbits
; Kernel info:
; codeLenInByte = 6764
; NumSgprs: 80
; NumVgprs: 43
; NumAgprs: 0
; TotalNumVgprs: 43
; ScratchSize: 80
; MemoryBound: 0
; FloatMode: 240
; IeeeMode: 1
; LDSByteSize: 0 bytes/workgroup (compile time only)
; SGPRBlocks: 9
; VGPRBlocks: 5
; NumSGPRsForWavesPerEU: 80
; NumVGPRsForWavesPerEU: 43
; AccumOffset: 44
; Occupancy: 8
; WaveLimiterHint : 1
; COMPUTE_PGM_RSRC2:SCRATCH_EN: 1
; COMPUTE_PGM_RSRC2:USER_SGPR: 2
; COMPUTE_PGM_RSRC2:TRAP_HANDLER: 0
; COMPUTE_PGM_RSRC2:TGID_X_EN: 1
; COMPUTE_PGM_RSRC2:TGID_Y_EN: 0
; COMPUTE_PGM_RSRC2:TGID_Z_EN: 0
; COMPUTE_PGM_RSRC2:TIDIG_COMP_CNT: 1
; COMPUTE_PGM_RSRC3_GFX90A:ACCUM_OFFSET: 10
; COMPUTE_PGM_RSRC3_GFX90A:TG_SPLIT: 0
	.section	.text._ZN4vllm3moe22topkGatingSoftplusSqrtILi18ELi576ELi4ELi4ELi32ELb0ElfEEvPKT6_PKbPfiPT5_PiiiibdPKfPKS8_SE_,"axG",@progbits,_ZN4vllm3moe22topkGatingSoftplusSqrtILi18ELi576ELi4ELi4ELi32ELb0ElfEEvPKT6_PKbPfiPT5_PiiiibdPKfPKS8_SE_,comdat
	.protected	_ZN4vllm3moe22topkGatingSoftplusSqrtILi18ELi576ELi4ELi4ELi32ELb0ElfEEvPKT6_PKbPfiPT5_PiiiibdPKfPKS8_SE_ ; -- Begin function _ZN4vllm3moe22topkGatingSoftplusSqrtILi18ELi576ELi4ELi4ELi32ELb0ElfEEvPKT6_PKbPfiPT5_PiiiibdPKfPKS8_SE_
	.globl	_ZN4vllm3moe22topkGatingSoftplusSqrtILi18ELi576ELi4ELi4ELi32ELb0ElfEEvPKT6_PKbPfiPT5_PiiiibdPKfPKS8_SE_
	.p2align	8
	.type	_ZN4vllm3moe22topkGatingSoftplusSqrtILi18ELi576ELi4ELi4ELi32ELb0ElfEEvPKT6_PKbPfiPT5_PiiiibdPKfPKS8_SE_,@function
_ZN4vllm3moe22topkGatingSoftplusSqrtILi18ELi576ELi4ELi4ELi32ELb0ElfEEvPKT6_PKbPfiPT5_PiiiibdPKfPKS8_SE_: ; @_ZN4vllm3moe22topkGatingSoftplusSqrtILi18ELi576ELi4ELi4ELi32ELb0ElfEEvPKT6_PKbPfiPT5_PiiiibdPKfPKS8_SE_
; %bb.0:
	s_load_dword s30, s[0:1], 0x18
	v_and_b32_e32 v1, 0x3ff, v0
	s_lshl_b32 s2, s2, 2
	v_lshrrev_b32_e32 v2, 5, v1
	v_bfe_u32 v0, v0, 10, 10
	v_add3_u32 v16, s2, v0, v2
	s_waitcnt lgkmcnt(0)
	v_cmp_gt_i32_e32 vcc, s30, v16
	s_and_saveexec_b64 s[2:3], vcc
	s_cbranch_execz .LBB179_83
; %bb.1:
	s_load_dwordx4 s[4:7], s[0:1], 0x0
	s_load_dwordx2 s[20:21], s[0:1], 0x10
	s_waitcnt lgkmcnt(0)
	s_cmp_eq_u64 s[6:7], 0
	s_cbranch_scc1 .LBB179_3
; %bb.2:
	v_ashrrev_i32_e32 v17, 31, v16
	v_lshl_add_u64 v[2:3], s[6:7], 0, v[16:17]
	global_load_ubyte v0, v[2:3], off
	s_waitcnt vmcnt(0)
	v_and_b32_e32 v0, 1, v0
	v_cmp_eq_u32_e32 vcc, 1, v0
	s_xor_b64 s[2:3], vcc, -1
	s_orn2_b64 s[22:23], s[2:3], exec
	s_branch .LBB179_4
.LBB179_3:
	s_mov_b64 s[22:23], -1
.LBB179_4:
	s_movk_i32 s2, 0x240
	v_mul_lo_u32 v4, v16, s2
	v_mov_b32_e32 v2, s4
	v_mov_b32_e32 v3, s5
	v_ashrrev_i32_e32 v5, 31, v4
	v_and_b32_e32 v18, 31, v1
	v_lshl_add_u64 v[2:3], v[4:5], 2, v[2:3]
	v_mov_b32_e32 v21, 0
	v_lshlrev_b32_e32 v20, 2, v18
	v_lshl_add_u64 v[24:25], v[2:3], 0, v[20:21]
	global_load_dword v12, v[24:25], off
	global_load_dword v13, v[24:25], off offset:128
	global_load_dword v14, v[24:25], off offset:256
	;; [unrolled: 1-line block ×17, first 2 shown]
	s_mov_b32 s16, 0x800000
	v_mov_b32_e32 v19, 0x4f800000
	s_mov_b32 s13, 0x3f317217
	s_mov_b32 s14, 0x7f800000
	v_mov_b32_e32 v21, 0x41b17218
	s_mov_b32 s12, 0x41a00000
	s_mov_b32 s15, 0xf800000
	s_load_dwordx4 s[8:11], s[0:1], 0x40
	v_mov_b32_e32 v17, 0x260
	s_waitcnt vmcnt(14)
	scratch_store_dwordx4 off, v[12:15], off
	s_waitcnt vmcnt(11)
	scratch_store_dwordx4 off, v[8:11], off offset:16
	v_mul_f32_e32 v24, 0x3fb8aa3b, v12
	v_exp_f32_e32 v24, v24
	s_waitcnt lgkmcnt(0)
	s_cmp_lg_u64 s[10:11], 0
	s_cselect_b64 s[6:7], -1, 0
	s_and_b64 vcc, exec, s[6:7]
	v_add_f32_e32 v24, 1.0, v24
	v_cmp_gt_f32_e64 s[2:3], s16, v24
	s_waitcnt vmcnt(8)
	scratch_store_dwordx4 off, v[4:7], off offset:32
	s_waitcnt vmcnt(5)
	scratch_store_dwordx4 off, v[0:3], off offset:48
	s_waitcnt vmcnt(4)
	scratch_store_dwordx2 off, v[22:23], off offset:64
	v_cndmask_b32_e64 v25, 1.0, v19, s[2:3]
	v_mul_f32_e32 v24, v24, v25
	v_log_f32_e32 v24, v24
	v_cndmask_b32_e64 v25, 0, v21, s[2:3]
	v_mul_f32_e32 v26, 0x3f317217, v24
	v_fma_f32 v26, v24, s13, -v26
	v_fmac_f32_e32 v26, 0x3377d1cf, v24
	v_fmac_f32_e32 v26, 0x3f317217, v24
	v_cmp_lt_f32_e64 s[2:3], |v24|, s14
	s_nop 1
	v_cndmask_b32_e64 v24, v24, v26, s[2:3]
	v_sub_f32_e32 v24, v24, v25
	v_cmp_lt_f32_e64 s[2:3], s12, v12
	s_nop 1
	v_cndmask_b32_e64 v12, v24, v12, s[2:3]
	v_mul_f32_e32 v24, 0x4f800000, v12
	v_cmp_gt_f32_e64 s[2:3], s15, v12
	s_nop 1
	v_cndmask_b32_e64 v12, v12, v24, s[2:3]
	v_sqrt_f32_e32 v24, v12
	s_nop 0
	v_add_u32_e32 v25, -1, v24
	v_add_u32_e32 v26, 1, v24
	v_fma_f32 v27, -v25, v24, v12
	v_fma_f32 v28, -v26, v24, v12
	v_cmp_ge_f32_e64 s[4:5], 0, v27
	s_nop 1
	v_cndmask_b32_e64 v24, v24, v25, s[4:5]
	v_cmp_lt_f32_e64 s[4:5], 0, v28
	s_nop 1
	v_cndmask_b32_e64 v24, v24, v26, s[4:5]
	v_mul_f32_e32 v25, 0x37800000, v24
	v_cndmask_b32_e64 v24, v24, v25, s[2:3]
	v_cmp_class_f32_e64 s[2:3], v12, v17
	s_nop 1
	v_cndmask_b32_e64 v12, v24, v12, s[2:3]
	s_cbranch_vccz .LBB179_6
; %bb.5:
	global_load_dword v24, v20, s[10:11]
	s_waitcnt vmcnt(0)
	v_add_f32_e32 v12, v12, v24
.LBB179_6:
	v_mul_f32_e32 v24, 0x3fb8aa3b, v13
	v_exp_f32_e32 v24, v24
	scratch_store_dword off, v12, off
	v_add_f32_e32 v24, 1.0, v24
	v_cmp_gt_f32_e32 vcc, s16, v24
	s_nop 1
	v_cndmask_b32_e32 v19, 1.0, v19, vcc
	v_mul_f32_e32 v19, v24, v19
	v_log_f32_e32 v19, v19
	v_cndmask_b32_e32 v21, 0, v21, vcc
	v_mul_f32_e32 v24, 0x3f317217, v19
	v_fma_f32 v24, v19, s13, -v24
	v_fmac_f32_e32 v24, 0x3377d1cf, v19
	v_fmac_f32_e32 v24, 0x3f317217, v19
	v_cmp_lt_f32_e64 vcc, |v19|, s14
	s_nop 1
	v_cndmask_b32_e32 v19, v19, v24, vcc
	v_sub_f32_e32 v19, v19, v21
	v_cmp_lt_f32_e32 vcc, s12, v13
	s_nop 1
	v_cndmask_b32_e32 v13, v19, v13, vcc
	v_mul_f32_e32 v19, 0x4f800000, v13
	v_cmp_gt_f32_e32 vcc, s15, v13
	s_nop 1
	v_cndmask_b32_e32 v13, v13, v19, vcc
	v_sqrt_f32_e32 v19, v13
	v_cmp_class_f32_e64 s[4:5], v13, v17
	v_add_u32_e32 v12, -1, v19
	v_add_u32_e32 v21, 1, v19
	v_fma_f32 v24, -v12, v19, v13
	v_fma_f32 v25, -v21, v19, v13
	v_cmp_ge_f32_e64 s[2:3], 0, v24
	s_nop 1
	v_cndmask_b32_e64 v12, v19, v12, s[2:3]
	v_cmp_lt_f32_e64 s[2:3], 0, v25
	s_nop 1
	v_cndmask_b32_e64 v12, v12, v21, s[2:3]
	v_mul_f32_e32 v19, 0x37800000, v12
	v_cndmask_b32_e32 v12, v12, v19, vcc
	v_cndmask_b32_e64 v19, 0, 1, s[6:7]
	v_cmp_ne_u32_e64 s[2:3], 1, v19
	s_andn2_b64 vcc, exec, s[6:7]
	v_cndmask_b32_e64 v13, v12, v13, s[4:5]
	s_cbranch_vccnz .LBB179_8
; %bb.7:
	global_load_dword v12, v20, s[10:11] offset:128
	s_waitcnt vmcnt(0)
	v_add_f32_e32 v13, v13, v12
.LBB179_8:
	v_mul_f32_e32 v12, 0x3fb8aa3b, v14
	v_exp_f32_e32 v17, v12
	s_mov_b32 s13, 0x800000
	v_mov_b32_e32 v12, 0x4f800000
	s_mov_b32 s7, 0x3f317217
	v_add_f32_e32 v17, 1.0, v17
	v_cmp_gt_f32_e32 vcc, s13, v17
	s_mov_b32 s12, 0x7f800000
	s_mov_b32 s6, 0x41a00000
	v_cndmask_b32_e32 v19, 1.0, v12, vcc
	v_mul_f32_e32 v17, v17, v19
	v_log_f32_e32 v17, v17
	s_mov_b32 s14, 0xf800000
	scratch_store_dword off, v13, off offset:4
	v_mul_f32_e32 v19, 0x3f317217, v17
	v_fma_f32 v19, v17, s7, -v19
	v_fmac_f32_e32 v19, 0x3377d1cf, v17
	v_fmac_f32_e32 v19, 0x3f317217, v17
	v_cmp_lt_f32_e64 s[4:5], |v17|, s12
	s_nop 1
	v_cndmask_b32_e64 v19, v17, v19, s[4:5]
	v_mov_b32_e32 v17, 0x41b17218
	v_cndmask_b32_e32 v21, 0, v17, vcc
	v_sub_f32_e32 v19, v19, v21
	v_cmp_lt_f32_e32 vcc, s6, v14
	s_nop 1
	v_cndmask_b32_e32 v14, v19, v14, vcc
	v_mul_f32_e32 v19, 0x4f800000, v14
	v_cmp_gt_f32_e32 vcc, s14, v14
	s_nop 1
	v_cndmask_b32_e32 v14, v14, v19, vcc
	v_sqrt_f32_e32 v19, v14
	s_nop 0
	v_add_u32_e32 v13, -1, v19
	v_fma_f32 v21, -v13, v19, v14
	v_cmp_ge_f32_e64 s[4:5], 0, v21
	v_add_u32_e32 v21, 1, v19
	s_nop 0
	v_cndmask_b32_e64 v13, v19, v13, s[4:5]
	v_fma_f32 v19, -v21, v19, v14
	v_cmp_lt_f32_e64 s[4:5], 0, v19
	s_nop 1
	v_cndmask_b32_e64 v13, v13, v21, s[4:5]
	v_mul_f32_e32 v19, 0x37800000, v13
	v_cndmask_b32_e32 v19, v13, v19, vcc
	v_mov_b32_e32 v13, 0x260
	v_cmp_class_f32_e64 s[4:5], v14, v13
	s_and_b64 vcc, exec, s[2:3]
	s_nop 0
	v_cndmask_b32_e64 v14, v19, v14, s[4:5]
	s_cbranch_vccnz .LBB179_10
; %bb.9:
	global_load_dword v19, v20, s[10:11] offset:256
	s_waitcnt vmcnt(0)
	v_add_f32_e32 v14, v14, v19
.LBB179_10:
	v_mul_f32_e32 v19, 0x3fb8aa3b, v15
	v_exp_f32_e32 v19, v19
	scratch_store_dword off, v14, off offset:8
	v_add_f32_e32 v19, 1.0, v19
	v_cmp_gt_f32_e32 vcc, s13, v19
	s_nop 1
	v_cndmask_b32_e32 v12, 1.0, v12, vcc
	v_mul_f32_e32 v12, v19, v12
	v_log_f32_e32 v12, v12
	v_cndmask_b32_e32 v17, 0, v17, vcc
	v_mul_f32_e32 v19, 0x3f317217, v12
	v_fma_f32 v19, v12, s7, -v19
	v_fmac_f32_e32 v19, 0x3377d1cf, v12
	v_fmac_f32_e32 v19, 0x3f317217, v12
	v_cmp_lt_f32_e64 vcc, |v12|, s12
	s_nop 1
	v_cndmask_b32_e32 v12, v12, v19, vcc
	v_sub_f32_e32 v12, v12, v17
	v_cmp_lt_f32_e32 vcc, s6, v15
	s_nop 1
	v_cndmask_b32_e32 v12, v12, v15, vcc
	v_mul_f32_e32 v15, 0x4f800000, v12
	v_cmp_gt_f32_e32 vcc, s14, v12
	s_nop 1
	v_cndmask_b32_e32 v12, v12, v15, vcc
	v_sqrt_f32_e32 v15, v12
	s_nop 0
	v_add_u32_e32 v14, -1, v15
	v_add_u32_e32 v17, 1, v15
	v_fma_f32 v19, -v14, v15, v12
	v_fma_f32 v21, -v17, v15, v12
	v_cmp_ge_f32_e64 s[4:5], 0, v19
	s_nop 1
	v_cndmask_b32_e64 v14, v15, v14, s[4:5]
	v_cmp_lt_f32_e64 s[4:5], 0, v21
	s_nop 1
	v_cndmask_b32_e64 v14, v14, v17, s[4:5]
	v_mul_f32_e32 v15, 0x37800000, v14
	v_cndmask_b32_e32 v14, v14, v15, vcc
	v_cmp_class_f32_e64 s[4:5], v12, v13
	s_and_b64 vcc, exec, s[2:3]
	s_nop 0
	v_cndmask_b32_e64 v14, v14, v12, s[4:5]
	s_cbranch_vccnz .LBB179_12
; %bb.11:
	global_load_dword v12, v20, s[10:11] offset:384
	s_waitcnt vmcnt(0)
	v_add_f32_e32 v14, v14, v12
.LBB179_12:
	v_mul_f32_e32 v12, 0x3fb8aa3b, v8
	v_exp_f32_e32 v13, v12
	v_mov_b32_e32 v12, 0x4f800000
	scratch_store_dword off, v14, off offset:12
	v_add_f32_e32 v13, 1.0, v13
	v_cmp_gt_f32_e32 vcc, s13, v13
	s_nop 1
	v_cndmask_b32_e32 v15, 1.0, v12, vcc
	v_mul_f32_e32 v13, v13, v15
	v_log_f32_e32 v13, v13
	s_nop 0
	v_mul_f32_e32 v15, 0x3f317217, v13
	v_fma_f32 v15, v13, s7, -v15
	v_fmac_f32_e32 v15, 0x3377d1cf, v13
	v_fmac_f32_e32 v15, 0x3f317217, v13
	v_cmp_lt_f32_e64 s[4:5], |v13|, s12
	s_nop 1
	v_cndmask_b32_e64 v15, v13, v15, s[4:5]
	v_mov_b32_e32 v13, 0x41b17218
	v_cndmask_b32_e32 v17, 0, v13, vcc
	v_sub_f32_e32 v15, v15, v17
	v_cmp_lt_f32_e32 vcc, s6, v8
	s_nop 1
	v_cndmask_b32_e32 v8, v15, v8, vcc
	v_mul_f32_e32 v15, 0x4f800000, v8
	v_cmp_gt_f32_e32 vcc, s14, v8
	s_nop 1
	v_cndmask_b32_e32 v15, v8, v15, vcc
	v_sqrt_f32_e32 v8, v15
	s_nop 0
	v_add_u32_e32 v14, -1, v8
	v_fma_f32 v17, -v14, v8, v15
	v_cmp_ge_f32_e64 s[4:5], 0, v17
	v_add_u32_e32 v17, 1, v8
	s_nop 0
	v_cndmask_b32_e64 v14, v8, v14, s[4:5]
	v_fma_f32 v8, -v17, v8, v15
	v_cmp_lt_f32_e64 s[4:5], 0, v8
	s_nop 1
	v_cndmask_b32_e64 v8, v14, v17, s[4:5]
	v_mul_f32_e32 v14, 0x37800000, v8
	v_cndmask_b32_e32 v14, v8, v14, vcc
	v_mov_b32_e32 v8, 0x260
	v_cmp_class_f32_e64 s[4:5], v15, v8
	s_and_b64 vcc, exec, s[2:3]
	s_nop 0
	v_cndmask_b32_e64 v14, v14, v15, s[4:5]
	s_cbranch_vccnz .LBB179_14
; %bb.13:
	global_load_dword v15, v20, s[10:11] offset:512
	s_waitcnt vmcnt(0)
	v_add_f32_e32 v14, v14, v15
.LBB179_14:
	v_mul_f32_e32 v15, 0x3fb8aa3b, v9
	v_exp_f32_e32 v15, v15
	scratch_store_dword off, v14, off offset:16
	v_add_f32_e32 v15, 1.0, v15
	v_cmp_gt_f32_e32 vcc, s13, v15
	s_nop 1
	v_cndmask_b32_e32 v12, 1.0, v12, vcc
	v_mul_f32_e32 v12, v15, v12
	v_log_f32_e32 v12, v12
	v_cndmask_b32_e32 v13, 0, v13, vcc
	v_mul_f32_e32 v15, 0x3f317217, v12
	v_fma_f32 v15, v12, s7, -v15
	v_fmac_f32_e32 v15, 0x3377d1cf, v12
	v_fmac_f32_e32 v15, 0x3f317217, v12
	v_cmp_lt_f32_e64 vcc, |v12|, s12
	s_nop 1
	v_cndmask_b32_e32 v12, v12, v15, vcc
	v_sub_f32_e32 v12, v12, v13
	v_cmp_lt_f32_e32 vcc, s6, v9
	s_nop 1
	v_cndmask_b32_e32 v9, v12, v9, vcc
	v_mul_f32_e32 v12, 0x4f800000, v9
	v_cmp_gt_f32_e32 vcc, s14, v9
	s_nop 1
	v_cndmask_b32_e32 v9, v9, v12, vcc
	v_sqrt_f32_e32 v12, v9
	s_nop 0
	v_add_u32_e32 v13, -1, v12
	v_add_u32_e32 v14, 1, v12
	v_fma_f32 v15, -v13, v12, v9
	v_fma_f32 v17, -v14, v12, v9
	v_cmp_ge_f32_e64 s[4:5], 0, v15
	s_nop 1
	v_cndmask_b32_e64 v12, v12, v13, s[4:5]
	v_cmp_lt_f32_e64 s[4:5], 0, v17
	s_nop 1
	v_cndmask_b32_e64 v12, v12, v14, s[4:5]
	v_mul_f32_e32 v13, 0x37800000, v12
	v_cndmask_b32_e32 v12, v12, v13, vcc
	v_cmp_class_f32_e64 s[4:5], v9, v8
	s_and_b64 vcc, exec, s[2:3]
	s_nop 0
	v_cndmask_b32_e64 v9, v12, v9, s[4:5]
	s_cbranch_vccnz .LBB179_16
; %bb.15:
	global_load_dword v8, v20, s[10:11] offset:640
	s_waitcnt vmcnt(0)
	v_add_f32_e32 v9, v9, v8
.LBB179_16:
	v_mul_f32_e32 v8, 0x3fb8aa3b, v10
	v_exp_f32_e32 v12, v8
	v_mov_b32_e32 v8, 0x4f800000
	scratch_store_dword off, v9, off offset:20
	v_add_f32_e32 v12, 1.0, v12
	v_cmp_gt_f32_e32 vcc, s13, v12
	s_nop 1
	v_cndmask_b32_e32 v13, 1.0, v8, vcc
	v_mul_f32_e32 v12, v12, v13
	v_log_f32_e32 v12, v12
	s_nop 0
	v_mul_f32_e32 v13, 0x3f317217, v12
	v_fma_f32 v13, v12, s7, -v13
	v_fmac_f32_e32 v13, 0x3377d1cf, v12
	v_fmac_f32_e32 v13, 0x3f317217, v12
	v_cmp_lt_f32_e64 s[4:5], |v12|, s12
	s_nop 1
	v_cndmask_b32_e64 v13, v12, v13, s[4:5]
	v_mov_b32_e32 v12, 0x41b17218
	v_cndmask_b32_e32 v14, 0, v12, vcc
	v_sub_f32_e32 v13, v13, v14
	v_cmp_lt_f32_e32 vcc, s6, v10
	s_nop 1
	v_cndmask_b32_e32 v10, v13, v10, vcc
	v_mul_f32_e32 v13, 0x4f800000, v10
	v_cmp_gt_f32_e32 vcc, s14, v10
	s_nop 1
	v_cndmask_b32_e32 v10, v10, v13, vcc
	v_sqrt_f32_e32 v13, v10
	s_nop 0
	v_add_u32_e32 v9, -1, v13
	v_fma_f32 v14, -v9, v13, v10
	v_cmp_ge_f32_e64 s[4:5], 0, v14
	v_add_u32_e32 v14, 1, v13
	s_nop 0
	v_cndmask_b32_e64 v9, v13, v9, s[4:5]
	v_fma_f32 v13, -v14, v13, v10
	v_cmp_lt_f32_e64 s[4:5], 0, v13
	s_nop 1
	v_cndmask_b32_e64 v9, v9, v14, s[4:5]
	v_mul_f32_e32 v13, 0x37800000, v9
	v_cndmask_b32_e32 v13, v9, v13, vcc
	v_mov_b32_e32 v9, 0x260
	v_cmp_class_f32_e64 s[4:5], v10, v9
	s_and_b64 vcc, exec, s[2:3]
	s_nop 0
	v_cndmask_b32_e64 v10, v13, v10, s[4:5]
	s_cbranch_vccnz .LBB179_18
; %bb.17:
	global_load_dword v13, v20, s[10:11] offset:768
	s_waitcnt vmcnt(0)
	v_add_f32_e32 v10, v10, v13
.LBB179_18:
	v_mul_f32_e32 v13, 0x3fb8aa3b, v11
	v_exp_f32_e32 v13, v13
	scratch_store_dword off, v10, off offset:24
	v_add_f32_e32 v13, 1.0, v13
	v_cmp_gt_f32_e32 vcc, s13, v13
	s_nop 1
	v_cndmask_b32_e32 v8, 1.0, v8, vcc
	v_mul_f32_e32 v8, v13, v8
	v_log_f32_e32 v8, v8
	v_cndmask_b32_e32 v12, 0, v12, vcc
	v_mul_f32_e32 v13, 0x3f317217, v8
	v_fma_f32 v13, v8, s7, -v13
	v_fmac_f32_e32 v13, 0x3377d1cf, v8
	v_fmac_f32_e32 v13, 0x3f317217, v8
	v_cmp_lt_f32_e64 vcc, |v8|, s12
	s_nop 1
	v_cndmask_b32_e32 v8, v8, v13, vcc
	v_sub_f32_e32 v8, v8, v12
	v_cmp_lt_f32_e32 vcc, s6, v11
	s_nop 1
	v_cndmask_b32_e32 v8, v8, v11, vcc
	v_mul_f32_e32 v11, 0x4f800000, v8
	v_cmp_gt_f32_e32 vcc, s14, v8
	s_nop 1
	v_cndmask_b32_e32 v8, v8, v11, vcc
	v_sqrt_f32_e32 v11, v8
	s_nop 0
	v_add_u32_e32 v10, -1, v11
	v_add_u32_e32 v12, 1, v11
	v_fma_f32 v13, -v10, v11, v8
	v_fma_f32 v14, -v12, v11, v8
	v_cmp_ge_f32_e64 s[4:5], 0, v13
	s_nop 1
	v_cndmask_b32_e64 v10, v11, v10, s[4:5]
	v_cmp_lt_f32_e64 s[4:5], 0, v14
	s_nop 1
	v_cndmask_b32_e64 v10, v10, v12, s[4:5]
	v_mul_f32_e32 v11, 0x37800000, v10
	v_cndmask_b32_e32 v10, v10, v11, vcc
	v_cmp_class_f32_e64 s[4:5], v8, v9
	s_and_b64 vcc, exec, s[2:3]
	s_nop 0
	v_cndmask_b32_e64 v10, v10, v8, s[4:5]
	s_cbranch_vccnz .LBB179_20
; %bb.19:
	global_load_dword v8, v20, s[10:11] offset:896
	s_waitcnt vmcnt(0)
	v_add_f32_e32 v10, v10, v8
.LBB179_20:
	v_mul_f32_e32 v8, 0x3fb8aa3b, v4
	v_exp_f32_e32 v9, v8
	v_mov_b32_e32 v8, 0x4f800000
	scratch_store_dword off, v10, off offset:28
	v_add_f32_e32 v9, 1.0, v9
	v_cmp_gt_f32_e32 vcc, s13, v9
	s_nop 1
	v_cndmask_b32_e32 v11, 1.0, v8, vcc
	v_mul_f32_e32 v9, v9, v11
	v_log_f32_e32 v9, v9
	s_nop 0
	v_mul_f32_e32 v11, 0x3f317217, v9
	v_fma_f32 v11, v9, s7, -v11
	v_fmac_f32_e32 v11, 0x3377d1cf, v9
	v_fmac_f32_e32 v11, 0x3f317217, v9
	v_cmp_lt_f32_e64 s[4:5], |v9|, s12
	s_nop 1
	v_cndmask_b32_e64 v11, v9, v11, s[4:5]
	v_mov_b32_e32 v9, 0x41b17218
	v_cndmask_b32_e32 v12, 0, v9, vcc
	v_sub_f32_e32 v11, v11, v12
	v_cmp_lt_f32_e32 vcc, s6, v4
	s_nop 1
	v_cndmask_b32_e32 v4, v11, v4, vcc
	v_mul_f32_e32 v11, 0x4f800000, v4
	v_cmp_gt_f32_e32 vcc, s14, v4
	s_nop 1
	v_cndmask_b32_e32 v11, v4, v11, vcc
	v_sqrt_f32_e32 v4, v11
	s_nop 0
	v_add_u32_e32 v10, -1, v4
	v_fma_f32 v12, -v10, v4, v11
	v_cmp_ge_f32_e64 s[4:5], 0, v12
	v_add_u32_e32 v12, 1, v4
	s_nop 0
	v_cndmask_b32_e64 v10, v4, v10, s[4:5]
	v_fma_f32 v4, -v12, v4, v11
	v_cmp_lt_f32_e64 s[4:5], 0, v4
	s_nop 1
	v_cndmask_b32_e64 v4, v10, v12, s[4:5]
	v_mul_f32_e32 v10, 0x37800000, v4
	v_cndmask_b32_e32 v10, v4, v10, vcc
	v_mov_b32_e32 v4, 0x260
	v_cmp_class_f32_e64 s[4:5], v11, v4
	s_and_b64 vcc, exec, s[2:3]
	s_nop 0
	v_cndmask_b32_e64 v10, v10, v11, s[4:5]
	s_cbranch_vccnz .LBB179_22
; %bb.21:
	global_load_dword v11, v20, s[10:11] offset:1024
	s_waitcnt vmcnt(0)
	v_add_f32_e32 v10, v10, v11
.LBB179_22:
	v_mul_f32_e32 v11, 0x3fb8aa3b, v5
	v_exp_f32_e32 v11, v11
	scratch_store_dword off, v10, off offset:32
	v_add_f32_e32 v11, 1.0, v11
	v_cmp_gt_f32_e32 vcc, s13, v11
	s_nop 1
	v_cndmask_b32_e32 v8, 1.0, v8, vcc
	v_mul_f32_e32 v8, v11, v8
	v_log_f32_e32 v8, v8
	v_cndmask_b32_e32 v9, 0, v9, vcc
	v_mul_f32_e32 v11, 0x3f317217, v8
	v_fma_f32 v11, v8, s7, -v11
	v_fmac_f32_e32 v11, 0x3377d1cf, v8
	v_fmac_f32_e32 v11, 0x3f317217, v8
	v_cmp_lt_f32_e64 vcc, |v8|, s12
	s_nop 1
	v_cndmask_b32_e32 v8, v8, v11, vcc
	v_sub_f32_e32 v8, v8, v9
	v_cmp_lt_f32_e32 vcc, s6, v5
	s_nop 1
	v_cndmask_b32_e32 v5, v8, v5, vcc
	v_mul_f32_e32 v8, 0x4f800000, v5
	v_cmp_gt_f32_e32 vcc, s14, v5
	s_nop 1
	v_cndmask_b32_e32 v5, v5, v8, vcc
	v_sqrt_f32_e32 v8, v5
	s_nop 0
	v_add_u32_e32 v9, -1, v8
	v_add_u32_e32 v10, 1, v8
	v_fma_f32 v11, -v9, v8, v5
	v_fma_f32 v12, -v10, v8, v5
	v_cmp_ge_f32_e64 s[4:5], 0, v11
	s_nop 1
	v_cndmask_b32_e64 v8, v8, v9, s[4:5]
	v_cmp_lt_f32_e64 s[4:5], 0, v12
	s_nop 1
	v_cndmask_b32_e64 v8, v8, v10, s[4:5]
	v_mul_f32_e32 v9, 0x37800000, v8
	v_cndmask_b32_e32 v8, v8, v9, vcc
	v_cmp_class_f32_e64 s[4:5], v5, v4
	s_and_b64 vcc, exec, s[2:3]
	s_nop 0
	v_cndmask_b32_e64 v5, v8, v5, s[4:5]
	s_cbranch_vccnz .LBB179_24
; %bb.23:
	global_load_dword v4, v20, s[10:11] offset:1152
	s_waitcnt vmcnt(0)
	v_add_f32_e32 v5, v5, v4
.LBB179_24:
	v_mul_f32_e32 v4, 0x3fb8aa3b, v6
	v_exp_f32_e32 v8, v4
	v_mov_b32_e32 v4, 0x4f800000
	scratch_store_dword off, v5, off offset:36
	v_add_f32_e32 v8, 1.0, v8
	v_cmp_gt_f32_e32 vcc, s13, v8
	s_nop 1
	v_cndmask_b32_e32 v9, 1.0, v4, vcc
	v_mul_f32_e32 v8, v8, v9
	v_log_f32_e32 v8, v8
	s_nop 0
	v_mul_f32_e32 v9, 0x3f317217, v8
	v_fma_f32 v9, v8, s7, -v9
	v_fmac_f32_e32 v9, 0x3377d1cf, v8
	v_fmac_f32_e32 v9, 0x3f317217, v8
	v_cmp_lt_f32_e64 s[4:5], |v8|, s12
	s_nop 1
	v_cndmask_b32_e64 v9, v8, v9, s[4:5]
	v_mov_b32_e32 v8, 0x41b17218
	v_cndmask_b32_e32 v10, 0, v8, vcc
	v_sub_f32_e32 v9, v9, v10
	v_cmp_lt_f32_e32 vcc, s6, v6
	s_nop 1
	v_cndmask_b32_e32 v6, v9, v6, vcc
	v_mul_f32_e32 v9, 0x4f800000, v6
	v_cmp_gt_f32_e32 vcc, s14, v6
	s_nop 1
	v_cndmask_b32_e32 v6, v6, v9, vcc
	v_sqrt_f32_e32 v9, v6
	s_nop 0
	v_add_u32_e32 v5, -1, v9
	v_fma_f32 v10, -v5, v9, v6
	v_cmp_ge_f32_e64 s[4:5], 0, v10
	v_add_u32_e32 v10, 1, v9
	s_nop 0
	v_cndmask_b32_e64 v5, v9, v5, s[4:5]
	v_fma_f32 v9, -v10, v9, v6
	v_cmp_lt_f32_e64 s[4:5], 0, v9
	s_nop 1
	v_cndmask_b32_e64 v5, v5, v10, s[4:5]
	v_mul_f32_e32 v9, 0x37800000, v5
	v_cndmask_b32_e32 v9, v5, v9, vcc
	v_mov_b32_e32 v5, 0x260
	v_cmp_class_f32_e64 s[4:5], v6, v5
	s_and_b64 vcc, exec, s[2:3]
	s_nop 0
	v_cndmask_b32_e64 v6, v9, v6, s[4:5]
	s_cbranch_vccnz .LBB179_26
; %bb.25:
	global_load_dword v9, v20, s[10:11] offset:1280
	s_waitcnt vmcnt(0)
	v_add_f32_e32 v6, v6, v9
.LBB179_26:
	v_mul_f32_e32 v9, 0x3fb8aa3b, v7
	v_exp_f32_e32 v9, v9
	scratch_store_dword off, v6, off offset:40
	v_add_f32_e32 v9, 1.0, v9
	v_cmp_gt_f32_e32 vcc, s13, v9
	s_nop 1
	v_cndmask_b32_e32 v4, 1.0, v4, vcc
	v_mul_f32_e32 v4, v9, v4
	v_log_f32_e32 v4, v4
	v_cndmask_b32_e32 v8, 0, v8, vcc
	v_mul_f32_e32 v9, 0x3f317217, v4
	v_fma_f32 v9, v4, s7, -v9
	v_fmac_f32_e32 v9, 0x3377d1cf, v4
	v_fmac_f32_e32 v9, 0x3f317217, v4
	v_cmp_lt_f32_e64 vcc, |v4|, s12
	s_nop 1
	v_cndmask_b32_e32 v4, v4, v9, vcc
	v_sub_f32_e32 v4, v4, v8
	v_cmp_lt_f32_e32 vcc, s6, v7
	s_nop 1
	v_cndmask_b32_e32 v4, v4, v7, vcc
	v_mul_f32_e32 v7, 0x4f800000, v4
	v_cmp_gt_f32_e32 vcc, s14, v4
	s_nop 1
	v_cndmask_b32_e32 v4, v4, v7, vcc
	v_sqrt_f32_e32 v7, v4
	s_nop 0
	v_add_u32_e32 v6, -1, v7
	v_add_u32_e32 v8, 1, v7
	v_fma_f32 v9, -v6, v7, v4
	v_fma_f32 v10, -v8, v7, v4
	v_cmp_ge_f32_e64 s[4:5], 0, v9
	s_nop 1
	v_cndmask_b32_e64 v6, v7, v6, s[4:5]
	v_cmp_lt_f32_e64 s[4:5], 0, v10
	s_nop 1
	v_cndmask_b32_e64 v6, v6, v8, s[4:5]
	v_mul_f32_e32 v7, 0x37800000, v6
	v_cndmask_b32_e32 v6, v6, v7, vcc
	v_cmp_class_f32_e64 s[4:5], v4, v5
	s_and_b64 vcc, exec, s[2:3]
	s_nop 0
	v_cndmask_b32_e64 v6, v6, v4, s[4:5]
	s_cbranch_vccnz .LBB179_28
; %bb.27:
	global_load_dword v4, v20, s[10:11] offset:1408
	s_waitcnt vmcnt(0)
	v_add_f32_e32 v6, v6, v4
.LBB179_28:
	v_mul_f32_e32 v4, 0x3fb8aa3b, v0
	v_exp_f32_e32 v5, v4
	v_mov_b32_e32 v4, 0x4f800000
	scratch_store_dword off, v6, off offset:44
	v_add_f32_e32 v5, 1.0, v5
	v_cmp_gt_f32_e32 vcc, s13, v5
	s_nop 1
	v_cndmask_b32_e32 v7, 1.0, v4, vcc
	v_mul_f32_e32 v5, v5, v7
	v_log_f32_e32 v5, v5
	s_nop 0
	v_mul_f32_e32 v7, 0x3f317217, v5
	v_fma_f32 v7, v5, s7, -v7
	v_fmac_f32_e32 v7, 0x3377d1cf, v5
	v_fmac_f32_e32 v7, 0x3f317217, v5
	v_cmp_lt_f32_e64 s[4:5], |v5|, s12
	s_nop 1
	v_cndmask_b32_e64 v7, v5, v7, s[4:5]
	v_mov_b32_e32 v5, 0x41b17218
	v_cndmask_b32_e32 v8, 0, v5, vcc
	v_sub_f32_e32 v7, v7, v8
	v_cmp_lt_f32_e32 vcc, s6, v0
	s_nop 1
	v_cndmask_b32_e32 v0, v7, v0, vcc
	v_mul_f32_e32 v7, 0x4f800000, v0
	v_cmp_gt_f32_e32 vcc, s14, v0
	s_nop 1
	v_cndmask_b32_e32 v7, v0, v7, vcc
	v_sqrt_f32_e32 v0, v7
	s_nop 0
	v_add_u32_e32 v6, -1, v0
	v_fma_f32 v8, -v6, v0, v7
	v_cmp_ge_f32_e64 s[4:5], 0, v8
	v_add_u32_e32 v8, 1, v0
	s_nop 0
	v_cndmask_b32_e64 v6, v0, v6, s[4:5]
	v_fma_f32 v0, -v8, v0, v7
	v_cmp_lt_f32_e64 s[4:5], 0, v0
	s_nop 1
	v_cndmask_b32_e64 v0, v6, v8, s[4:5]
	v_mul_f32_e32 v6, 0x37800000, v0
	v_cndmask_b32_e32 v6, v0, v6, vcc
	v_mov_b32_e32 v0, 0x260
	v_cmp_class_f32_e64 s[4:5], v7, v0
	s_and_b64 vcc, exec, s[2:3]
	s_nop 0
	v_cndmask_b32_e64 v6, v6, v7, s[4:5]
	s_cbranch_vccnz .LBB179_30
; %bb.29:
	global_load_dword v7, v20, s[10:11] offset:1536
	s_waitcnt vmcnt(0)
	v_add_f32_e32 v6, v6, v7
.LBB179_30:
	v_mul_f32_e32 v7, 0x3fb8aa3b, v1
	v_exp_f32_e32 v7, v7
	scratch_store_dword off, v6, off offset:48
	v_add_f32_e32 v7, 1.0, v7
	v_cmp_gt_f32_e32 vcc, s13, v7
	s_nop 1
	v_cndmask_b32_e32 v4, 1.0, v4, vcc
	v_mul_f32_e32 v4, v7, v4
	v_log_f32_e32 v4, v4
	v_cndmask_b32_e32 v5, 0, v5, vcc
	v_mul_f32_e32 v7, 0x3f317217, v4
	v_fma_f32 v7, v4, s7, -v7
	v_fmac_f32_e32 v7, 0x3377d1cf, v4
	v_fmac_f32_e32 v7, 0x3f317217, v4
	v_cmp_lt_f32_e64 vcc, |v4|, s12
	s_nop 1
	v_cndmask_b32_e32 v4, v4, v7, vcc
	v_sub_f32_e32 v4, v4, v5
	v_cmp_lt_f32_e32 vcc, s6, v1
	s_nop 1
	v_cndmask_b32_e32 v1, v4, v1, vcc
	v_mul_f32_e32 v4, 0x4f800000, v1
	v_cmp_gt_f32_e32 vcc, s14, v1
	s_nop 1
	v_cndmask_b32_e32 v1, v1, v4, vcc
	v_sqrt_f32_e32 v4, v1
	s_nop 0
	v_add_u32_e32 v5, -1, v4
	v_add_u32_e32 v6, 1, v4
	v_fma_f32 v7, -v5, v4, v1
	v_fma_f32 v8, -v6, v4, v1
	v_cmp_ge_f32_e64 s[4:5], 0, v7
	s_nop 1
	v_cndmask_b32_e64 v4, v4, v5, s[4:5]
	v_cmp_lt_f32_e64 s[4:5], 0, v8
	s_nop 1
	v_cndmask_b32_e64 v4, v4, v6, s[4:5]
	v_mul_f32_e32 v5, 0x37800000, v4
	v_cndmask_b32_e32 v4, v4, v5, vcc
	v_cmp_class_f32_e64 s[4:5], v1, v0
	s_and_b64 vcc, exec, s[2:3]
	s_nop 0
	v_cndmask_b32_e64 v1, v4, v1, s[4:5]
	s_cbranch_vccnz .LBB179_32
; %bb.31:
	global_load_dword v0, v20, s[10:11] offset:1664
	s_waitcnt vmcnt(0)
	v_add_f32_e32 v1, v1, v0
.LBB179_32:
	v_mul_f32_e32 v0, 0x3fb8aa3b, v2
	v_exp_f32_e32 v4, v0
	v_mov_b32_e32 v0, 0x4f800000
	scratch_store_dword off, v1, off offset:52
	v_add_f32_e32 v4, 1.0, v4
	v_cmp_gt_f32_e32 vcc, s13, v4
	s_nop 1
	v_cndmask_b32_e32 v5, 1.0, v0, vcc
	v_mul_f32_e32 v4, v4, v5
	v_log_f32_e32 v4, v4
	s_nop 0
	v_mul_f32_e32 v5, 0x3f317217, v4
	v_fma_f32 v5, v4, s7, -v5
	v_fmac_f32_e32 v5, 0x3377d1cf, v4
	v_fmac_f32_e32 v5, 0x3f317217, v4
	v_cmp_lt_f32_e64 s[4:5], |v4|, s12
	s_nop 1
	v_cndmask_b32_e64 v5, v4, v5, s[4:5]
	v_mov_b32_e32 v4, 0x41b17218
	v_cndmask_b32_e32 v6, 0, v4, vcc
	v_sub_f32_e32 v5, v5, v6
	v_cmp_lt_f32_e32 vcc, s6, v2
	s_nop 1
	v_cndmask_b32_e32 v2, v5, v2, vcc
	v_mul_f32_e32 v5, 0x4f800000, v2
	v_cmp_gt_f32_e32 vcc, s14, v2
	s_nop 1
	v_cndmask_b32_e32 v2, v2, v5, vcc
	v_sqrt_f32_e32 v5, v2
	s_nop 0
	v_add_u32_e32 v1, -1, v5
	v_fma_f32 v6, -v1, v5, v2
	v_cmp_ge_f32_e64 s[4:5], 0, v6
	v_add_u32_e32 v6, 1, v5
	s_nop 0
	v_cndmask_b32_e64 v1, v5, v1, s[4:5]
	v_fma_f32 v5, -v6, v5, v2
	v_cmp_lt_f32_e64 s[4:5], 0, v5
	s_nop 1
	v_cndmask_b32_e64 v1, v1, v6, s[4:5]
	v_mul_f32_e32 v5, 0x37800000, v1
	v_cndmask_b32_e32 v5, v1, v5, vcc
	v_mov_b32_e32 v1, 0x260
	v_cmp_class_f32_e64 s[4:5], v2, v1
	s_and_b64 vcc, exec, s[2:3]
	s_nop 0
	v_cndmask_b32_e64 v2, v5, v2, s[4:5]
	s_cbranch_vccnz .LBB179_34
; %bb.33:
	global_load_dword v5, v20, s[10:11] offset:1792
	s_waitcnt vmcnt(0)
	v_add_f32_e32 v2, v2, v5
.LBB179_34:
	v_mul_f32_e32 v5, 0x3fb8aa3b, v3
	v_exp_f32_e32 v5, v5
	scratch_store_dword off, v2, off offset:56
	v_add_f32_e32 v5, 1.0, v5
	v_cmp_gt_f32_e32 vcc, s13, v5
	s_nop 1
	v_cndmask_b32_e32 v0, 1.0, v0, vcc
	v_mul_f32_e32 v0, v5, v0
	v_log_f32_e32 v0, v0
	v_cndmask_b32_e32 v4, 0, v4, vcc
	v_mul_f32_e32 v5, 0x3f317217, v0
	v_fma_f32 v5, v0, s7, -v5
	v_fmac_f32_e32 v5, 0x3377d1cf, v0
	v_fmac_f32_e32 v5, 0x3f317217, v0
	v_cmp_lt_f32_e64 vcc, |v0|, s12
	s_nop 1
	v_cndmask_b32_e32 v0, v0, v5, vcc
	v_sub_f32_e32 v0, v0, v4
	v_cmp_lt_f32_e32 vcc, s6, v3
	s_nop 1
	v_cndmask_b32_e32 v0, v0, v3, vcc
	v_mul_f32_e32 v3, 0x4f800000, v0
	v_cmp_gt_f32_e32 vcc, s14, v0
	s_nop 1
	v_cndmask_b32_e32 v0, v0, v3, vcc
	v_sqrt_f32_e32 v3, v0
	s_nop 0
	v_add_u32_e32 v2, -1, v3
	v_add_u32_e32 v4, 1, v3
	v_fma_f32 v5, -v2, v3, v0
	v_fma_f32 v6, -v4, v3, v0
	v_cmp_ge_f32_e64 s[4:5], 0, v5
	s_nop 1
	v_cndmask_b32_e64 v2, v3, v2, s[4:5]
	v_cmp_lt_f32_e64 s[4:5], 0, v6
	s_nop 1
	v_cndmask_b32_e64 v2, v2, v4, s[4:5]
	v_mul_f32_e32 v3, 0x37800000, v2
	v_cndmask_b32_e32 v2, v2, v3, vcc
	v_cmp_class_f32_e64 s[4:5], v0, v1
	s_and_b64 vcc, exec, s[2:3]
	s_nop 0
	v_cndmask_b32_e64 v1, v2, v0, s[4:5]
	s_cbranch_vccnz .LBB179_36
; %bb.35:
	global_load_dword v0, v20, s[10:11] offset:1920
	s_waitcnt vmcnt(0)
	v_add_f32_e32 v1, v1, v0
.LBB179_36:
	v_mul_f32_e32 v0, 0x3fb8aa3b, v22
	v_exp_f32_e32 v2, v0
	v_mov_b32_e32 v0, 0x4f800000
	scratch_store_dword off, v1, off offset:60
	v_add_f32_e32 v2, 1.0, v2
	v_cmp_gt_f32_e32 vcc, s13, v2
	s_nop 1
	v_cndmask_b32_e32 v3, 1.0, v0, vcc
	v_mul_f32_e32 v2, v2, v3
	v_log_f32_e32 v2, v2
	s_nop 0
	v_mul_f32_e32 v3, 0x3f317217, v2
	v_fma_f32 v3, v2, s7, -v3
	v_fmac_f32_e32 v3, 0x3377d1cf, v2
	v_fmac_f32_e32 v3, 0x3f317217, v2
	v_cmp_lt_f32_e64 s[4:5], |v2|, s12
	s_nop 1
	v_cndmask_b32_e64 v3, v2, v3, s[4:5]
	v_mov_b32_e32 v2, 0x41b17218
	v_cndmask_b32_e32 v4, 0, v2, vcc
	v_sub_f32_e32 v3, v3, v4
	v_cmp_lt_f32_e32 vcc, s6, v22
	s_nop 1
	v_cndmask_b32_e32 v3, v3, v22, vcc
	v_mul_f32_e32 v4, 0x4f800000, v3
	v_cmp_gt_f32_e32 vcc, s14, v3
	s_nop 1
	v_cndmask_b32_e32 v3, v3, v4, vcc
	v_sqrt_f32_e32 v4, v3
	s_nop 0
	v_add_u32_e32 v1, -1, v4
	v_fma_f32 v5, -v1, v4, v3
	v_cmp_ge_f32_e64 s[4:5], 0, v5
	v_add_u32_e32 v5, 1, v4
	s_nop 0
	v_cndmask_b32_e64 v1, v4, v1, s[4:5]
	v_fma_f32 v4, -v5, v4, v3
	v_cmp_lt_f32_e64 s[4:5], 0, v4
	s_nop 1
	v_cndmask_b32_e64 v1, v1, v5, s[4:5]
	v_mul_f32_e32 v4, 0x37800000, v1
	v_cndmask_b32_e32 v4, v1, v4, vcc
	v_mov_b32_e32 v1, 0x260
	v_cmp_class_f32_e64 s[4:5], v3, v1
	s_and_b64 vcc, exec, s[2:3]
	s_nop 0
	v_cndmask_b32_e64 v3, v4, v3, s[4:5]
	s_cbranch_vccnz .LBB179_38
; %bb.37:
	global_load_dword v4, v20, s[10:11] offset:2048
	s_waitcnt vmcnt(0)
	v_add_f32_e32 v3, v3, v4
.LBB179_38:
	v_mul_f32_e32 v4, 0x3fb8aa3b, v23
	v_exp_f32_e32 v4, v4
	scratch_store_dword off, v3, off offset:64
	v_add_f32_e32 v4, 1.0, v4
	v_cmp_gt_f32_e32 vcc, s13, v4
	s_nop 1
	v_cndmask_b32_e32 v0, 1.0, v0, vcc
	v_mul_f32_e32 v0, v4, v0
	v_log_f32_e32 v0, v0
	v_cndmask_b32_e32 v2, 0, v2, vcc
	v_mul_f32_e32 v4, 0x3f317217, v0
	v_fma_f32 v4, v0, s7, -v4
	v_fmac_f32_e32 v4, 0x3377d1cf, v0
	v_fmac_f32_e32 v4, 0x3f317217, v0
	v_cmp_lt_f32_e64 vcc, |v0|, s12
	s_nop 1
	v_cndmask_b32_e32 v0, v0, v4, vcc
	v_sub_f32_e32 v0, v0, v2
	v_cmp_lt_f32_e32 vcc, s6, v23
	s_nop 1
	v_cndmask_b32_e32 v0, v0, v23, vcc
	v_mul_f32_e32 v2, 0x4f800000, v0
	v_cmp_gt_f32_e32 vcc, s14, v0
	s_nop 1
	v_cndmask_b32_e32 v0, v0, v2, vcc
	v_sqrt_f32_e32 v2, v0
	s_nop 0
	v_add_u32_e32 v3, -1, v2
	v_add_u32_e32 v4, 1, v2
	v_fma_f32 v5, -v3, v2, v0
	v_fma_f32 v6, -v4, v2, v0
	v_cmp_ge_f32_e64 s[4:5], 0, v5
	s_nop 1
	v_cndmask_b32_e64 v2, v2, v3, s[4:5]
	v_cmp_lt_f32_e64 s[4:5], 0, v6
	s_nop 1
	v_cndmask_b32_e64 v2, v2, v4, s[4:5]
	v_mul_f32_e32 v3, 0x37800000, v2
	v_cndmask_b32_e32 v2, v2, v3, vcc
	v_cmp_class_f32_e64 s[4:5], v0, v1
	s_and_b64 vcc, exec, s[2:3]
	s_nop 0
	v_cndmask_b32_e64 v0, v2, v0, s[4:5]
	s_cbranch_vccnz .LBB179_40
; %bb.39:
	global_load_dword v1, v20, s[10:11] offset:2176
	s_waitcnt vmcnt(0)
	v_add_f32_e32 v0, v0, v1
.LBB179_40:
	s_load_dwordx4 s[12:15], s[0:1], 0x30
	s_mov_b32 s31, 0
	v_cmp_eq_u32_e64 s[6:7], 0, v18
	scratch_store_dword off, v0, off offset:68
	s_waitcnt lgkmcnt(0)
	s_bitcmp1_b32 s15, 0
	s_cselect_b64 s[4:5], -1, 0
	s_cmp_gt_i32 s12, 0
	s_cselect_b64 s[24:25], -1, 0
	s_and_b64 vcc, exec, s[24:25]
	s_cbranch_vccz .LBB179_69
; %bb.41:
	v_mbcnt_lo_u32_b32 v0, -1, 0
	v_mbcnt_hi_u32_b32 v0, -1, v0
	v_and_b32_e32 v1, 0x60, v0
	v_add_u32_e32 v1, 32, v1
	v_xor_b32_e32 v12, 16, v0
	v_cmp_lt_i32_e32 vcc, v12, v1
	s_load_dwordx4 s[16:19], s[0:1], 0x20
	v_mul_lo_u32 v2, v16, s12
	v_cndmask_b32_e32 v12, v0, v12, vcc
	v_lshlrev_b32_e32 v23, 2, v12
	v_xor_b32_e32 v12, 8, v0
	v_cmp_lt_i32_e32 vcc, v12, v1
	v_or_b32_e32 v3, 32, v18
	v_or_b32_e32 v4, 64, v18
	v_cndmask_b32_e32 v12, v0, v12, vcc
	v_lshlrev_b32_e32 v24, 2, v12
	v_xor_b32_e32 v12, 4, v0
	v_cmp_lt_i32_e32 vcc, v12, v1
	v_or_b32_e32 v5, 0x60, v18
	v_or_b32_e32 v6, 0x80, v18
	;; [unrolled: 6-line block ×4, first 2 shown]
	v_cndmask_b32_e32 v0, v0, v12, vcc
	v_or_b32_e32 v11, 0x120, v18
	v_or_b32_e32 v13, 0x140, v18
	;; [unrolled: 1-line block ×9, first 2 shown]
	v_lshlrev_b32_e32 v27, 2, v0
	v_mov_b32_e32 v12, 0
	v_mov_b32_e32 v28, 0
	;; [unrolled: 1-line block ×5, first 2 shown]
	s_branch .LBB179_43
.LBB179_42:                             ;   in Loop: Header=BB179_43 Depth=1
	s_or_b64 exec, exec, s[0:1]
	s_cmp_eq_u32 s12, s31
	v_add_u32_e32 v31, s30, v31
	s_cbranch_scc1 .LBB179_70
.LBB179_43:                             ; =>This Inner Loop Header: Depth=1
	s_waitcnt lgkmcnt(0)
	scratch_load_dwordx4 v[32:35], off, off
	scratch_load_dwordx4 v[36:39], off, off offset:16
	scratch_load_dwordx4 v[40:43], off, off offset:32
	;; [unrolled: 1-line block ×3, first 2 shown]
	scratch_load_dwordx2 v[0:1], off, off offset:64
	s_waitcnt vmcnt(4)
	v_cmp_gt_f32_e32 vcc, v33, v32
	s_nop 1
	v_cndmask_b32_e32 v32, v32, v33, vcc
	v_cndmask_b32_e32 v48, v18, v3, vcc
	v_cmp_gt_f32_e32 vcc, v34, v32
	s_nop 1
	v_cndmask_b32_e32 v32, v32, v34, vcc
	v_cndmask_b32_e32 v33, v48, v4, vcc
	v_cmp_gt_f32_e32 vcc, v35, v32
	s_nop 1
	v_cndmask_b32_e32 v32, v32, v35, vcc
	v_cndmask_b32_e32 v33, v33, v5, vcc
	s_waitcnt vmcnt(3)
	v_cmp_gt_f32_e32 vcc, v36, v32
	s_nop 1
	v_cndmask_b32_e32 v32, v32, v36, vcc
	v_cndmask_b32_e32 v33, v33, v6, vcc
	v_cmp_gt_f32_e32 vcc, v37, v32
	s_nop 1
	v_cndmask_b32_e32 v32, v32, v37, vcc
	v_cndmask_b32_e32 v33, v33, v7, vcc
	v_cmp_gt_f32_e32 vcc, v38, v32
	s_nop 1
	v_cndmask_b32_e32 v32, v32, v38, vcc
	v_cndmask_b32_e32 v33, v33, v8, vcc
	v_cmp_gt_f32_e32 vcc, v39, v32
	s_nop 1
	v_cndmask_b32_e32 v32, v32, v39, vcc
	v_cndmask_b32_e32 v33, v33, v9, vcc
	s_waitcnt vmcnt(2)
	v_cmp_gt_f32_e32 vcc, v40, v32
	s_nop 1
	v_cndmask_b32_e32 v32, v32, v40, vcc
	v_cndmask_b32_e32 v33, v33, v10, vcc
	;; [unrolled: 17-line block ×4, first 2 shown]
	v_cmp_gt_f32_e32 vcc, v1, v32
	s_nop 1
	v_cndmask_b32_e32 v32, v32, v1, vcc
	v_cndmask_b32_e32 v0, v33, v22, vcc
	ds_bpermute_b32 v1, v23, v32
	ds_bpermute_b32 v33, v23, v0
	s_waitcnt lgkmcnt(0)
	v_cmp_lt_f32_e64 s[26:27], v32, v1
	v_cmp_nlt_f32_e32 vcc, v32, v1
	s_and_saveexec_b64 s[28:29], vcc
; %bb.44:                               ;   in Loop: Header=BB179_43 Depth=1
	v_cmp_eq_f32_e32 vcc, v32, v1
	v_cmp_lt_i32_e64 s[0:1], v33, v0
	s_and_b64 s[0:1], vcc, s[0:1]
	s_andn2_b64 s[26:27], s[26:27], exec
	s_and_b64 s[0:1], s[0:1], exec
	s_or_b64 s[26:27], s[26:27], s[0:1]
; %bb.45:                               ;   in Loop: Header=BB179_43 Depth=1
	s_or_b64 exec, exec, s[28:29]
	s_and_saveexec_b64 s[0:1], s[26:27]
; %bb.46:                               ;   in Loop: Header=BB179_43 Depth=1
	v_mov_b32_e32 v32, v1
	v_mov_b32_e32 v0, v33
; %bb.47:                               ;   in Loop: Header=BB179_43 Depth=1
	s_or_b64 exec, exec, s[0:1]
	ds_bpermute_b32 v1, v24, v32
	ds_bpermute_b32 v33, v24, v0
	s_waitcnt lgkmcnt(1)
	v_cmp_lt_f32_e64 s[26:27], v32, v1
	v_cmp_nlt_f32_e32 vcc, v32, v1
	s_and_saveexec_b64 s[28:29], vcc
	s_cbranch_execz .LBB179_49
; %bb.48:                               ;   in Loop: Header=BB179_43 Depth=1
	v_cmp_eq_f32_e32 vcc, v32, v1
	s_waitcnt lgkmcnt(0)
	v_cmp_lt_i32_e64 s[0:1], v33, v0
	s_and_b64 s[0:1], vcc, s[0:1]
	s_andn2_b64 s[26:27], s[26:27], exec
	s_and_b64 s[0:1], s[0:1], exec
	s_or_b64 s[26:27], s[26:27], s[0:1]
.LBB179_49:                             ;   in Loop: Header=BB179_43 Depth=1
	s_or_b64 exec, exec, s[28:29]
	s_and_saveexec_b64 s[0:1], s[26:27]
	s_cbranch_execz .LBB179_51
; %bb.50:                               ;   in Loop: Header=BB179_43 Depth=1
	v_mov_b32_e32 v32, v1
	s_waitcnt lgkmcnt(0)
	v_mov_b32_e32 v0, v33
.LBB179_51:                             ;   in Loop: Header=BB179_43 Depth=1
	s_or_b64 exec, exec, s[0:1]
	ds_bpermute_b32 v1, v25, v32
	s_waitcnt lgkmcnt(1)
	ds_bpermute_b32 v33, v25, v0
	s_waitcnt lgkmcnt(1)
	v_cmp_lt_f32_e64 s[26:27], v32, v1
	v_cmp_nlt_f32_e32 vcc, v32, v1
	s_and_saveexec_b64 s[28:29], vcc
	s_cbranch_execz .LBB179_53
; %bb.52:                               ;   in Loop: Header=BB179_43 Depth=1
	v_cmp_eq_f32_e32 vcc, v32, v1
	s_waitcnt lgkmcnt(0)
	v_cmp_lt_i32_e64 s[0:1], v33, v0
	s_and_b64 s[0:1], vcc, s[0:1]
	s_andn2_b64 s[26:27], s[26:27], exec
	s_and_b64 s[0:1], s[0:1], exec
	s_or_b64 s[26:27], s[26:27], s[0:1]
.LBB179_53:                             ;   in Loop: Header=BB179_43 Depth=1
	s_or_b64 exec, exec, s[28:29]
	s_and_saveexec_b64 s[0:1], s[26:27]
	s_cbranch_execz .LBB179_55
; %bb.54:                               ;   in Loop: Header=BB179_43 Depth=1
	v_mov_b32_e32 v32, v1
	s_waitcnt lgkmcnt(0)
	v_mov_b32_e32 v0, v33
.LBB179_55:                             ;   in Loop: Header=BB179_43 Depth=1
	s_or_b64 exec, exec, s[0:1]
	ds_bpermute_b32 v1, v26, v32
	s_waitcnt lgkmcnt(1)
	;; [unrolled: 26-line block ×3, first 2 shown]
	ds_bpermute_b32 v33, v27, v0
	s_waitcnt lgkmcnt(1)
	v_cmp_lt_f32_e64 s[26:27], v32, v1
	v_cmp_nlt_f32_e32 vcc, v32, v1
	s_and_saveexec_b64 s[28:29], vcc
	s_cbranch_execnz .LBB179_62
; %bb.60:                               ;   in Loop: Header=BB179_43 Depth=1
	s_or_b64 exec, exec, s[28:29]
	s_and_saveexec_b64 s[0:1], s[26:27]
	s_cbranch_execnz .LBB179_63
.LBB179_61:                             ;   in Loop: Header=BB179_43 Depth=1
	s_or_b64 exec, exec, s[0:1]
	s_and_saveexec_b64 s[26:27], s[6:7]
	s_cbranch_execnz .LBB179_64
	s_branch .LBB179_67
.LBB179_62:                             ;   in Loop: Header=BB179_43 Depth=1
	v_cmp_eq_f32_e32 vcc, v32, v1
	s_waitcnt lgkmcnt(0)
	v_cmp_lt_i32_e64 s[0:1], v33, v0
	s_and_b64 s[0:1], vcc, s[0:1]
	s_andn2_b64 s[26:27], s[26:27], exec
	s_and_b64 s[0:1], s[0:1], exec
	s_or_b64 s[26:27], s[26:27], s[0:1]
	s_or_b64 exec, exec, s[28:29]
	s_and_saveexec_b64 s[0:1], s[26:27]
	s_cbranch_execz .LBB179_61
.LBB179_63:                             ;   in Loop: Header=BB179_43 Depth=1
	s_waitcnt lgkmcnt(0)
	v_mov_b32_e32 v0, v33
	v_mov_b32_e32 v32, v1
	s_or_b64 exec, exec, s[0:1]
	s_and_saveexec_b64 s[26:27], s[6:7]
	s_cbranch_execz .LBB179_67
.LBB179_64:                             ;   in Loop: Header=BB179_43 Depth=1
	s_and_b64 vcc, exec, s[2:3]
	s_cbranch_vccnz .LBB179_66
; %bb.65:                               ;   in Loop: Header=BB179_43 Depth=1
	v_ashrrev_i32_e32 v1, 31, v0
	v_lshl_add_u64 v[34:35], v[0:1], 2, s[10:11]
	global_load_dword v1, v[34:35], off
	s_waitcnt vmcnt(0)
	v_sub_f32_e32 v32, v32, v1
.LBB179_66:                             ;   in Loop: Header=BB179_43 Depth=1
	v_add_u32_e32 v34, s31, v2
	v_cmp_le_i32_e32 vcc, s13, v0
	v_cmp_gt_i32_e64 s[0:1], s14, v0
	v_ashrrev_i32_e32 v35, 31, v34
	s_and_b64 s[0:1], vcc, s[0:1]
	v_lshlrev_b64 v[36:37], 2, v[34:35]
	v_subrev_u32_e32 v1, s13, v0
	v_lshl_add_u64 v[38:39], s[20:21], 0, v[36:37]
	s_waitcnt lgkmcnt(0)
	v_ashrrev_i32_e32 v33, 31, v1
	s_and_b64 vcc, s[22:23], s[0:1]
	global_store_dword v[38:39], v32, off
	v_cndmask_b32_e32 v39, 0, v33, vcc
	v_cndmask_b32_e32 v38, v30, v1, vcc
	v_lshl_add_u64 v[34:35], v[34:35], 3, s[16:17]
	v_add_f32_e32 v1, v12, v32
	global_store_dwordx2 v[34:35], v[38:39], off
	v_lshl_add_u64 v[34:35], s[18:19], 0, v[36:37]
	v_cndmask_b32_e64 v12, v12, v1, s[4:5]
	global_store_dword v[34:35], v31, off
.LBB179_67:                             ;   in Loop: Header=BB179_43 Depth=1
	s_or_b64 exec, exec, s[26:27]
	v_ashrrev_i32_e32 v1, 31, v0
	v_lshrrev_b32_e32 v1, 27, v1
	v_add_u32_e32 v1, v0, v1
	s_add_i32 s31, s31, 1
	v_and_b32_e32 v32, 0xffffffe0, v1
	s_cmp_lt_i32 s31, s12
	v_sub_u32_e32 v0, v0, v32
	s_cselect_b64 s[0:1], -1, 0
	v_cmp_eq_u32_e32 vcc, v18, v0
	s_and_b64 s[26:27], s[0:1], vcc
	s_and_saveexec_b64 s[0:1], s[26:27]
	s_cbranch_execz .LBB179_42
; %bb.68:                               ;   in Loop: Header=BB179_43 Depth=1
	v_ashrrev_i32_e32 v0, 5, v1
	v_lshl_add_u32 v0, v0, 2, v28
	scratch_store_dword v0, v29, off
	s_branch .LBB179_42
.LBB179_69:
	v_mov_b32_e32 v12, 0
.LBB179_70:
	v_cmp_eq_u32_e32 vcc, 0, v18
	s_and_b64 exec, exec, vcc
	s_cbranch_execz .LBB179_83
; %bb.71:
	s_andn2_b64 vcc, exec, s[4:5]
	v_cvt_f32_f64_e32 v0, s[8:9]
	s_cbranch_vccnz .LBB179_73
; %bb.72:
	v_cmp_lt_f32_e32 vcc, 0, v12
	s_nop 1
	v_cndmask_b32_e32 v1, 1.0, v12, vcc
	v_div_scale_f32 v2, s[0:1], v1, v1, v0
	v_rcp_f32_e32 v3, v2
	s_nop 0
	v_fma_f32 v4, -v2, v3, 1.0
	v_fmac_f32_e32 v3, v4, v3
	v_div_scale_f32 v4, vcc, v0, v1, v0
	v_mul_f32_e32 v5, v4, v3
	v_fma_f32 v6, -v2, v5, v4
	v_fmac_f32_e32 v5, v6, v3
	v_fma_f32 v2, -v2, v5, v4
	v_div_fmas_f32 v2, v2, v3, v5
	v_div_fixup_f32 v0, v2, v1, v0
.LBB179_73:
	s_andn2_b64 vcc, exec, s[24:25]
	s_cbranch_vccnz .LBB179_83
; %bb.74:
	v_mul_lo_u32 v2, v16, s12
	s_cmp_gt_u32 s12, 3
	v_ashrrev_i32_e32 v3, 31, v2
	s_cbranch_scc0 .LBB179_78
; %bb.75:
	s_and_b32 s0, s12, 0x7ffffffc
	v_lshl_add_u64 v[4:5], v[2:3], 2, s[20:21]
	v_mov_b32_e32 v1, v0
	v_lshl_add_u64 v[4:5], v[4:5], 0, 8
	s_mov_b32 s1, s0
.LBB179_76:                             ; =>This Inner Loop Header: Depth=1
	global_load_dwordx4 v[6:9], v[4:5], off offset:-8
	s_add_i32 s1, s1, -4
	s_cmp_lg_u32 s1, 0
	s_waitcnt vmcnt(0)
	v_pk_mul_f32 v[6:7], v[0:1], v[6:7]
	v_pk_mul_f32 v[8:9], v[0:1], v[8:9]
	global_store_dwordx4 v[4:5], v[6:9], off offset:-8
	v_lshl_add_u64 v[4:5], v[4:5], 0, 16
	s_cbranch_scc1 .LBB179_76
; %bb.77:
	s_cmp_lg_u32 s0, s12
	s_cselect_b64 s[2:3], -1, 0
	s_branch .LBB179_80
.LBB179_78:
	s_mov_b64 s[2:3], 0
                                        ; implicit-def: $sgpr0
	s_cbranch_execz .LBB179_80
; %bb.79:
	s_mov_b64 s[2:3], -1
	s_mov_b32 s0, 0
.LBB179_80:
	s_andn2_b64 vcc, exec, s[2:3]
	s_cbranch_vccnz .LBB179_83
; %bb.81:
	s_mov_b32 s1, 0
	v_lshl_add_u64 v[2:3], v[2:3], 0, s[0:1]
	s_sub_i32 s2, s12, s0
	v_lshl_add_u64 v[2:3], v[2:3], 2, s[20:21]
.LBB179_82:                             ; =>This Inner Loop Header: Depth=1
	global_load_dword v1, v[2:3], off
	s_add_i32 s2, s2, -1
	s_cmp_lg_u32 s2, 0
	s_waitcnt vmcnt(0)
	v_mul_f32_e32 v1, v0, v1
	global_store_dword v[2:3], v1, off
	v_lshl_add_u64 v[2:3], v[2:3], 0, 4
	s_cbranch_scc1 .LBB179_82
.LBB179_83:
	s_endpgm
	.section	.rodata,"a",@progbits
	.p2align	6, 0x0
	.amdhsa_kernel _ZN4vllm3moe22topkGatingSoftplusSqrtILi18ELi576ELi4ELi4ELi32ELb0ElfEEvPKT6_PKbPfiPT5_PiiiibdPKfPKS8_SE_
		.amdhsa_group_segment_fixed_size 0
		.amdhsa_private_segment_fixed_size 80
		.amdhsa_kernarg_size 96
		.amdhsa_user_sgpr_count 2
		.amdhsa_user_sgpr_dispatch_ptr 0
		.amdhsa_user_sgpr_queue_ptr 0
		.amdhsa_user_sgpr_kernarg_segment_ptr 1
		.amdhsa_user_sgpr_dispatch_id 0
		.amdhsa_user_sgpr_kernarg_preload_length 0
		.amdhsa_user_sgpr_kernarg_preload_offset 0
		.amdhsa_user_sgpr_private_segment_size 0
		.amdhsa_uses_dynamic_stack 0
		.amdhsa_enable_private_segment 1
		.amdhsa_system_sgpr_workgroup_id_x 1
		.amdhsa_system_sgpr_workgroup_id_y 0
		.amdhsa_system_sgpr_workgroup_id_z 0
		.amdhsa_system_sgpr_workgroup_info 0
		.amdhsa_system_vgpr_workitem_id 1
		.amdhsa_next_free_vgpr 49
		.amdhsa_next_free_sgpr 32
		.amdhsa_accum_offset 52
		.amdhsa_reserve_vcc 1
		.amdhsa_float_round_mode_32 0
		.amdhsa_float_round_mode_16_64 0
		.amdhsa_float_denorm_mode_32 3
		.amdhsa_float_denorm_mode_16_64 3
		.amdhsa_dx10_clamp 1
		.amdhsa_ieee_mode 1
		.amdhsa_fp16_overflow 0
		.amdhsa_tg_split 0
		.amdhsa_exception_fp_ieee_invalid_op 0
		.amdhsa_exception_fp_denorm_src 0
		.amdhsa_exception_fp_ieee_div_zero 0
		.amdhsa_exception_fp_ieee_overflow 0
		.amdhsa_exception_fp_ieee_underflow 0
		.amdhsa_exception_fp_ieee_inexact 0
		.amdhsa_exception_int_div_zero 0
	.end_amdhsa_kernel
	.section	.text._ZN4vllm3moe22topkGatingSoftplusSqrtILi18ELi576ELi4ELi4ELi32ELb0ElfEEvPKT6_PKbPfiPT5_PiiiibdPKfPKS8_SE_,"axG",@progbits,_ZN4vllm3moe22topkGatingSoftplusSqrtILi18ELi576ELi4ELi4ELi32ELb0ElfEEvPKT6_PKbPfiPT5_PiiiibdPKfPKS8_SE_,comdat
.Lfunc_end179:
	.size	_ZN4vllm3moe22topkGatingSoftplusSqrtILi18ELi576ELi4ELi4ELi32ELb0ElfEEvPKT6_PKbPfiPT5_PiiiibdPKfPKS8_SE_, .Lfunc_end179-_ZN4vllm3moe22topkGatingSoftplusSqrtILi18ELi576ELi4ELi4ELi32ELb0ElfEEvPKT6_PKbPfiPT5_PiiiibdPKfPKS8_SE_
                                        ; -- End function
	.section	.AMDGPU.csdata,"",@progbits
; Kernel info:
; codeLenInByte = 7268
; NumSgprs: 38
; NumVgprs: 49
; NumAgprs: 0
; TotalNumVgprs: 49
; ScratchSize: 80
; MemoryBound: 0
; FloatMode: 240
; IeeeMode: 1
; LDSByteSize: 0 bytes/workgroup (compile time only)
; SGPRBlocks: 4
; VGPRBlocks: 6
; NumSGPRsForWavesPerEU: 38
; NumVGPRsForWavesPerEU: 49
; AccumOffset: 52
; Occupancy: 8
; WaveLimiterHint : 1
; COMPUTE_PGM_RSRC2:SCRATCH_EN: 1
; COMPUTE_PGM_RSRC2:USER_SGPR: 2
; COMPUTE_PGM_RSRC2:TRAP_HANDLER: 0
; COMPUTE_PGM_RSRC2:TGID_X_EN: 1
; COMPUTE_PGM_RSRC2:TGID_Y_EN: 0
; COMPUTE_PGM_RSRC2:TGID_Z_EN: 0
; COMPUTE_PGM_RSRC2:TIDIG_COMP_CNT: 1
; COMPUTE_PGM_RSRC3_GFX90A:ACCUM_OFFSET: 12
; COMPUTE_PGM_RSRC3_GFX90A:TG_SPLIT: 0
	.section	.text._ZN4vllm3moe22topkGatingSoftplusSqrtILi1ELi1ELi4ELi2ELi64ELb1Ei6__halfEEvPKT6_PKbPfiPT5_PiiiibdPKfPKS9_SF_,"axG",@progbits,_ZN4vllm3moe22topkGatingSoftplusSqrtILi1ELi1ELi4ELi2ELi64ELb1Ei6__halfEEvPKT6_PKbPfiPT5_PiiiibdPKfPKS9_SF_,comdat
	.protected	_ZN4vllm3moe22topkGatingSoftplusSqrtILi1ELi1ELi4ELi2ELi64ELb1Ei6__halfEEvPKT6_PKbPfiPT5_PiiiibdPKfPKS9_SF_ ; -- Begin function _ZN4vllm3moe22topkGatingSoftplusSqrtILi1ELi1ELi4ELi2ELi64ELb1Ei6__halfEEvPKT6_PKbPfiPT5_PiiiibdPKfPKS9_SF_
	.globl	_ZN4vllm3moe22topkGatingSoftplusSqrtILi1ELi1ELi4ELi2ELi64ELb1Ei6__halfEEvPKT6_PKbPfiPT5_PiiiibdPKfPKS9_SF_
	.p2align	8
	.type	_ZN4vllm3moe22topkGatingSoftplusSqrtILi1ELi1ELi4ELi2ELi64ELb1Ei6__halfEEvPKT6_PKbPfiPT5_PiiiibdPKfPKS9_SF_,@function
_ZN4vllm3moe22topkGatingSoftplusSqrtILi1ELi1ELi4ELi2ELi64ELb1Ei6__halfEEvPKT6_PKbPfiPT5_PiiiibdPKfPKS9_SF_: ; @_ZN4vllm3moe22topkGatingSoftplusSqrtILi1ELi1ELi4ELi2ELi64ELb1Ei6__halfEEvPKT6_PKbPfiPT5_PiiiibdPKfPKS9_SF_
; %bb.0:
	s_load_dword s3, s[0:1], 0x18
	v_bfe_u32 v1, v0, 10, 10
	s_lshl_b32 s2, s2, 8
	v_lshlrev_b32_e32 v1, 6, v1
	v_and_b32_e32 v0, 0x3ff, v0
	v_add3_u32 v2, v1, v0, s2
	s_waitcnt lgkmcnt(0)
	v_cmp_gt_i32_e32 vcc, s3, v2
	s_and_saveexec_b64 s[2:3], vcc
	s_cbranch_execz .LBB180_54
; %bb.1:
	s_load_dwordx2 s[2:3], s[0:1], 0x0
	s_load_dword s14, s[0:1], 0x30
	v_ashrrev_i32_e32 v3, 31, v2
	s_load_dwordx4 s[4:7], s[0:1], 0x50
	s_mov_b32 s9, 0x3f317217
	s_waitcnt lgkmcnt(0)
	v_lshl_add_u64 v[0:1], v[2:3], 1, s[2:3]
	global_load_ushort v4, v[0:1], off
	s_mov_b32 s3, 0x800000
	v_mov_b32_e32 v0, s4
	v_mov_b32_e32 v1, s5
	v_lshl_add_u64 v[0:1], v[2:3], 2, v[0:1]
	global_load_dword v0, v[0:1], off
	v_mov_b32_e32 v1, 0x4f800000
	s_mov_b32 s10, 0x7f800000
	v_mov_b32_e32 v6, 0x41b17218
	s_movk_i32 s2, 0x4d00
	s_mov_b32 s11, 0xf800000
	v_mov_b32_e32 v8, 0x260
	s_cmp_gt_i32 s14, 0
	s_mov_b32 s8, 0
	v_mov_b32_e32 v3, 0
	s_cselect_b64 s[4:5], -1, 0
	s_cmp_lt_i32 s14, 1
	v_mul_lo_u32 v2, v2, s14
	s_waitcnt vmcnt(1)
	v_cvt_f32_f16_e32 v5, v4
	v_mul_f32_e32 v7, 0x3fb8aa3b, v5
	v_exp_f32_e32 v7, v7
	s_waitcnt vmcnt(0)
	v_mul_lo_u32 v0, v0, s14
	v_add_f32_e32 v7, 1.0, v7
	v_cmp_gt_f32_e32 vcc, s3, v7
	s_nop 1
	v_cndmask_b32_e32 v1, 1.0, v1, vcc
	v_mul_f32_e32 v1, v7, v1
	v_log_f32_e32 v1, v1
	v_cndmask_b32_e32 v6, 0, v6, vcc
	v_mul_f32_e32 v7, 0x3f317217, v1
	v_fma_f32 v7, v1, s9, -v7
	v_fmamk_f32 v7, v1, 0x3377d1cf, v7
	v_fmac_f32_e32 v7, 0x3f317217, v1
	v_cmp_lt_f32_e64 vcc, |v1|, s10
	s_nop 1
	v_cndmask_b32_e32 v1, v1, v7, vcc
	v_sub_f32_e32 v1, v1, v6
	v_cmp_lt_f16_e32 vcc, s2, v4
	s_nop 1
	v_cndmask_b32_e32 v1, v1, v5, vcc
	v_mul_f32_e32 v4, 0x4f800000, v1
	v_cmp_gt_f32_e32 vcc, s11, v1
	s_nop 1
	v_cndmask_b32_e32 v6, v1, v4, vcc
	v_sqrt_f32_e32 v7, v6
	v_ashrrev_i32_e32 v1, 31, v0
	v_lshl_add_u64 v[4:5], v[0:1], 2, s[6:7]
	v_add_u32_e32 v9, -1, v7
	v_add_u32_e32 v10, 1, v7
	v_fma_f32 v11, -v9, v7, v6
	v_fma_f32 v12, -v10, v7, v6
	v_cmp_ge_f32_e64 s[2:3], 0, v11
	s_nop 1
	v_cndmask_b32_e64 v7, v7, v9, s[2:3]
	v_cmp_lt_f32_e64 s[2:3], 0, v12
	s_nop 1
	v_cndmask_b32_e64 v7, v7, v10, s[2:3]
	v_mul_f32_e32 v9, 0x37800000, v7
	v_cndmask_b32_e32 v7, v7, v9, vcc
	v_cmp_class_f32_e32 vcc, v6, v8
	s_nop 1
	v_cndmask_b32_e32 v10, v7, v6, vcc
	s_cbranch_scc1 .LBB180_27
; %bb.2:
	s_load_dwordx2 s[2:3], s[0:1], 0x20
	s_cmp_lt_u32 s14, 8
	s_cbranch_scc1 .LBB180_21
; %bb.3:
	v_ashrrev_i32_e32 v3, 31, v2
	s_and_b32 s8, s14, 0x7ffffff8
	s_waitcnt lgkmcnt(0)
	v_lshl_add_u64 v[6:7], v[2:3], 2, s[2:3]
	s_mov_b32 s9, 0
	s_mov_b64 s[10:11], 0
	v_mov_b32_e32 v11, 0
	v_mov_b32_e32 v3, 0
	s_branch .LBB180_5
.LBB180_4:                              ;   in Loop: Header=BB180_5 Depth=1
	s_or_b64 exec, exec, s[12:13]
	s_add_i32 s9, s9, 8
	s_add_u32 s10, s10, 32
	s_addc_u32 s11, s11, 0
	s_cmp_eq_u32 s8, s9
	s_cbranch_scc1 .LBB180_22
.LBB180_5:                              ; =>This Inner Loop Header: Depth=1
	v_lshl_add_u64 v[8:9], v[4:5], 0, s[10:11]
	global_load_dword v12, v[8:9], off
	s_waitcnt vmcnt(0)
	v_cmp_eq_u32_e32 vcc, 0, v12
	s_and_saveexec_b64 s[12:13], vcc
	s_cbranch_execz .LBB180_7
; %bb.6:                                ;   in Loop: Header=BB180_5 Depth=1
	v_add_u32_e32 v12, s9, v2
	v_ashrrev_i32_e32 v13, 31, v12
	v_lshl_add_u64 v[12:13], v[12:13], 2, s[2:3]
	v_add_f32_e32 v3, v10, v3
	global_store_dword v[12:13], v11, off
.LBB180_7:                              ;   in Loop: Header=BB180_5 Depth=1
	s_or_b64 exec, exec, s[12:13]
	global_load_dword v12, v[8:9], off offset:4
	s_waitcnt vmcnt(0)
	v_cmp_eq_u32_e32 vcc, 0, v12
	s_and_saveexec_b64 s[12:13], vcc
	s_cbranch_execz .LBB180_9
; %bb.8:                                ;   in Loop: Header=BB180_5 Depth=1
	v_lshl_add_u64 v[12:13], v[6:7], 0, s[10:11]
	v_add_f32_e32 v3, v10, v3
	global_store_dword v[12:13], v11, off offset:4
.LBB180_9:                              ;   in Loop: Header=BB180_5 Depth=1
	s_or_b64 exec, exec, s[12:13]
	global_load_dword v12, v[8:9], off offset:8
	s_waitcnt vmcnt(0)
	v_cmp_eq_u32_e32 vcc, 0, v12
	s_and_saveexec_b64 s[12:13], vcc
	s_cbranch_execz .LBB180_11
; %bb.10:                               ;   in Loop: Header=BB180_5 Depth=1
	v_lshl_add_u64 v[12:13], v[6:7], 0, s[10:11]
	v_add_f32_e32 v3, v10, v3
	global_store_dword v[12:13], v11, off offset:8
.LBB180_11:                             ;   in Loop: Header=BB180_5 Depth=1
	s_or_b64 exec, exec, s[12:13]
	global_load_dword v12, v[8:9], off offset:12
	s_waitcnt vmcnt(0)
	v_cmp_eq_u32_e32 vcc, 0, v12
	s_and_saveexec_b64 s[12:13], vcc
	s_cbranch_execz .LBB180_13
; %bb.12:                               ;   in Loop: Header=BB180_5 Depth=1
	v_lshl_add_u64 v[12:13], v[6:7], 0, s[10:11]
	v_add_f32_e32 v3, v10, v3
	global_store_dword v[12:13], v11, off offset:12
.LBB180_13:                             ;   in Loop: Header=BB180_5 Depth=1
	;; [unrolled: 11-line block ×5, first 2 shown]
	s_or_b64 exec, exec, s[12:13]
	global_load_dword v8, v[8:9], off offset:28
	s_waitcnt vmcnt(0)
	v_cmp_eq_u32_e32 vcc, 0, v8
	s_and_saveexec_b64 s[12:13], vcc
	s_cbranch_execz .LBB180_4
; %bb.20:                               ;   in Loop: Header=BB180_5 Depth=1
	v_lshl_add_u64 v[8:9], v[6:7], 0, s[10:11]
	v_add_f32_e32 v3, v10, v3
	global_store_dword v[8:9], v11, off offset:28
	s_branch .LBB180_4
.LBB180_21:
	v_mov_b32_e32 v3, 0
.LBB180_22:
	s_and_b32 s10, s14, 7
	s_cmp_eq_u32 s10, 0
	s_mov_b32 s9, 0
	s_cbranch_scc1 .LBB180_27
; %bb.23:
	v_add_u32_e32 v6, s8, v2
	s_lshl_b64 s[8:9], s[8:9], 2
	s_add_u32 s8, s6, s8
	s_addc_u32 s9, s7, s9
	v_lshl_add_u64 v[8:9], v[0:1], 2, s[8:9]
	v_mov_b32_e32 v11, 0
	s_branch .LBB180_25
.LBB180_24:                             ;   in Loop: Header=BB180_25 Depth=1
	s_or_b64 exec, exec, s[8:9]
	s_add_i32 s10, s10, -1
	v_add_u32_e32 v6, 1, v6
	s_cmp_lg_u32 s10, 0
	v_lshl_add_u64 v[8:9], v[8:9], 0, 4
	s_cbranch_scc0 .LBB180_27
.LBB180_25:                             ; =>This Inner Loop Header: Depth=1
	global_load_dword v7, v[8:9], off
	s_waitcnt vmcnt(0)
	v_cmp_eq_u32_e32 vcc, 0, v7
	s_and_saveexec_b64 s[8:9], vcc
	s_cbranch_execz .LBB180_24
; %bb.26:                               ;   in Loop: Header=BB180_25 Depth=1
	v_ashrrev_i32_e32 v7, 31, v6
	s_waitcnt lgkmcnt(0)
	v_lshl_add_u64 v[12:13], v[6:7], 2, s[2:3]
	v_add_f32_e32 v3, v10, v3
	global_store_dword v[12:13], v11, off
	s_branch .LBB180_24
.LBB180_27:
	s_load_dword s8, s[0:1], 0x3c
	s_waitcnt lgkmcnt(0)
	s_load_dwordx2 s[2:3], s[0:1], 0x40
	s_bitcmp1_b32 s8, 0
	s_cselect_b64 s[8:9], -1, 0
	s_waitcnt lgkmcnt(0)
	v_cvt_f32_f64_e32 v6, s[2:3]
	s_and_b64 vcc, exec, s[8:9]
	s_cbranch_vccz .LBB180_29
; %bb.28:
	v_cmp_lt_f32_e32 vcc, 0, v3
	s_nop 1
	v_cndmask_b32_e32 v3, 1.0, v3, vcc
	v_div_scale_f32 v7, s[2:3], v3, v3, v6
	v_rcp_f32_e32 v8, v7
	s_nop 0
	v_fma_f32 v9, -v7, v8, 1.0
	v_fmac_f32_e32 v8, v9, v8
	v_div_scale_f32 v9, vcc, v6, v3, v6
	v_mul_f32_e32 v11, v9, v8
	v_fma_f32 v12, -v7, v11, v9
	v_fmac_f32_e32 v11, v12, v8
	v_fma_f32 v7, -v7, v11, v9
	v_div_fmas_f32 v7, v7, v8, v11
	v_div_fixup_f32 v6, v7, v3, v6
.LBB180_29:
	s_andn2_b64 vcc, exec, s[4:5]
	s_cbranch_vccnz .LBB180_54
; %bb.30:
	s_load_dwordx2 s[0:1], s[0:1], 0x10
	v_mul_f32_e32 v10, v10, v6
	s_cmp_lt_u32 s14, 8
	s_mov_b32 s2, 0
	s_cbranch_scc1 .LBB180_49
; %bb.31:
	v_ashrrev_i32_e32 v3, 31, v2
	s_and_b32 s2, s14, 0x7ffffff8
	s_waitcnt lgkmcnt(0)
	v_lshl_add_u64 v[6:7], v[2:3], 2, s[0:1]
	s_mov_b32 s3, 0
	s_mov_b64 s[4:5], 0
	s_branch .LBB180_33
.LBB180_32:                             ;   in Loop: Header=BB180_33 Depth=1
	s_or_b64 exec, exec, s[8:9]
	s_add_i32 s3, s3, 8
	s_add_u32 s4, s4, 32
	s_addc_u32 s5, s5, 0
	s_cmp_lg_u32 s2, s3
	s_cbranch_scc0 .LBB180_49
.LBB180_33:                             ; =>This Inner Loop Header: Depth=1
	v_lshl_add_u64 v[8:9], v[4:5], 0, s[4:5]
	global_load_dword v3, v[8:9], off
	s_waitcnt vmcnt(0)
	v_cmp_eq_u32_e32 vcc, 0, v3
	s_and_saveexec_b64 s[8:9], vcc
	s_cbranch_execz .LBB180_35
; %bb.34:                               ;   in Loop: Header=BB180_33 Depth=1
	v_add_u32_e32 v12, s3, v2
	v_ashrrev_i32_e32 v13, 31, v12
	v_lshl_add_u64 v[12:13], v[12:13], 2, s[0:1]
	global_store_dword v[12:13], v10, off
.LBB180_35:                             ;   in Loop: Header=BB180_33 Depth=1
	s_or_b64 exec, exec, s[8:9]
	global_load_dword v3, v[8:9], off offset:4
	s_waitcnt vmcnt(0)
	v_cmp_eq_u32_e32 vcc, 0, v3
	s_and_saveexec_b64 s[8:9], vcc
	s_cbranch_execz .LBB180_37
; %bb.36:                               ;   in Loop: Header=BB180_33 Depth=1
	v_lshl_add_u64 v[12:13], v[6:7], 0, s[4:5]
	global_store_dword v[12:13], v10, off offset:4
.LBB180_37:                             ;   in Loop: Header=BB180_33 Depth=1
	s_or_b64 exec, exec, s[8:9]
	global_load_dword v3, v[8:9], off offset:8
	s_waitcnt vmcnt(0)
	v_cmp_eq_u32_e32 vcc, 0, v3
	s_and_saveexec_b64 s[8:9], vcc
	s_cbranch_execz .LBB180_39
; %bb.38:                               ;   in Loop: Header=BB180_33 Depth=1
	v_lshl_add_u64 v[12:13], v[6:7], 0, s[4:5]
	global_store_dword v[12:13], v10, off offset:8
.LBB180_39:                             ;   in Loop: Header=BB180_33 Depth=1
	;; [unrolled: 10-line block ×6, first 2 shown]
	s_or_b64 exec, exec, s[8:9]
	global_load_dword v3, v[8:9], off offset:28
	s_waitcnt vmcnt(0)
	v_cmp_eq_u32_e32 vcc, 0, v3
	s_and_saveexec_b64 s[8:9], vcc
	s_cbranch_execz .LBB180_32
; %bb.48:                               ;   in Loop: Header=BB180_33 Depth=1
	v_lshl_add_u64 v[8:9], v[6:7], 0, s[4:5]
	global_store_dword v[8:9], v10, off offset:28
	s_branch .LBB180_32
.LBB180_49:
	s_and_b32 s4, s14, 7
	s_cmp_eq_u32 s4, 0
	s_mov_b32 s3, 0
	s_cbranch_scc1 .LBB180_54
; %bb.50:
	v_add_u32_e32 v2, s2, v2
	s_lshl_b64 s[2:3], s[2:3], 2
	s_add_u32 s2, s6, s2
	s_addc_u32 s3, s7, s3
	v_lshl_add_u64 v[0:1], v[0:1], 2, s[2:3]
	s_branch .LBB180_52
.LBB180_51:                             ;   in Loop: Header=BB180_52 Depth=1
	s_or_b64 exec, exec, s[2:3]
	s_add_i32 s4, s4, -1
	v_add_u32_e32 v2, 1, v2
	s_cmp_lg_u32 s4, 0
	v_lshl_add_u64 v[0:1], v[0:1], 0, 4
	s_cbranch_scc0 .LBB180_54
.LBB180_52:                             ; =>This Inner Loop Header: Depth=1
	global_load_dword v3, v[0:1], off
	s_waitcnt vmcnt(0)
	v_cmp_eq_u32_e32 vcc, 0, v3
	s_and_saveexec_b64 s[2:3], vcc
	s_cbranch_execz .LBB180_51
; %bb.53:                               ;   in Loop: Header=BB180_52 Depth=1
	v_ashrrev_i32_e32 v3, 31, v2
	s_waitcnt lgkmcnt(0)
	v_lshl_add_u64 v[4:5], v[2:3], 2, s[0:1]
	global_store_dword v[4:5], v10, off
	s_branch .LBB180_51
.LBB180_54:
	s_endpgm
	.section	.rodata,"a",@progbits
	.p2align	6, 0x0
	.amdhsa_kernel _ZN4vllm3moe22topkGatingSoftplusSqrtILi1ELi1ELi4ELi2ELi64ELb1Ei6__halfEEvPKT6_PKbPfiPT5_PiiiibdPKfPKS9_SF_
		.amdhsa_group_segment_fixed_size 0
		.amdhsa_private_segment_fixed_size 0
		.amdhsa_kernarg_size 96
		.amdhsa_user_sgpr_count 2
		.amdhsa_user_sgpr_dispatch_ptr 0
		.amdhsa_user_sgpr_queue_ptr 0
		.amdhsa_user_sgpr_kernarg_segment_ptr 1
		.amdhsa_user_sgpr_dispatch_id 0
		.amdhsa_user_sgpr_kernarg_preload_length 0
		.amdhsa_user_sgpr_kernarg_preload_offset 0
		.amdhsa_user_sgpr_private_segment_size 0
		.amdhsa_uses_dynamic_stack 0
		.amdhsa_enable_private_segment 0
		.amdhsa_system_sgpr_workgroup_id_x 1
		.amdhsa_system_sgpr_workgroup_id_y 0
		.amdhsa_system_sgpr_workgroup_id_z 0
		.amdhsa_system_sgpr_workgroup_info 0
		.amdhsa_system_vgpr_workitem_id 1
		.amdhsa_next_free_vgpr 14
		.amdhsa_next_free_sgpr 15
		.amdhsa_accum_offset 16
		.amdhsa_reserve_vcc 1
		.amdhsa_float_round_mode_32 0
		.amdhsa_float_round_mode_16_64 0
		.amdhsa_float_denorm_mode_32 3
		.amdhsa_float_denorm_mode_16_64 3
		.amdhsa_dx10_clamp 1
		.amdhsa_ieee_mode 1
		.amdhsa_fp16_overflow 0
		.amdhsa_tg_split 0
		.amdhsa_exception_fp_ieee_invalid_op 0
		.amdhsa_exception_fp_denorm_src 0
		.amdhsa_exception_fp_ieee_div_zero 0
		.amdhsa_exception_fp_ieee_overflow 0
		.amdhsa_exception_fp_ieee_underflow 0
		.amdhsa_exception_fp_ieee_inexact 0
		.amdhsa_exception_int_div_zero 0
	.end_amdhsa_kernel
	.section	.text._ZN4vllm3moe22topkGatingSoftplusSqrtILi1ELi1ELi4ELi2ELi64ELb1Ei6__halfEEvPKT6_PKbPfiPT5_PiiiibdPKfPKS9_SF_,"axG",@progbits,_ZN4vllm3moe22topkGatingSoftplusSqrtILi1ELi1ELi4ELi2ELi64ELb1Ei6__halfEEvPKT6_PKbPfiPT5_PiiiibdPKfPKS9_SF_,comdat
.Lfunc_end180:
	.size	_ZN4vllm3moe22topkGatingSoftplusSqrtILi1ELi1ELi4ELi2ELi64ELb1Ei6__halfEEvPKT6_PKbPfiPT5_PiiiibdPKfPKS9_SF_, .Lfunc_end180-_ZN4vllm3moe22topkGatingSoftplusSqrtILi1ELi1ELi4ELi2ELi64ELb1Ei6__halfEEvPKT6_PKbPfiPT5_PiiiibdPKfPKS9_SF_
                                        ; -- End function
	.section	.AMDGPU.csdata,"",@progbits
; Kernel info:
; codeLenInByte = 1808
; NumSgprs: 21
; NumVgprs: 14
; NumAgprs: 0
; TotalNumVgprs: 14
; ScratchSize: 0
; MemoryBound: 0
; FloatMode: 240
; IeeeMode: 1
; LDSByteSize: 0 bytes/workgroup (compile time only)
; SGPRBlocks: 2
; VGPRBlocks: 1
; NumSGPRsForWavesPerEU: 21
; NumVGPRsForWavesPerEU: 14
; AccumOffset: 16
; Occupancy: 8
; WaveLimiterHint : 1
; COMPUTE_PGM_RSRC2:SCRATCH_EN: 0
; COMPUTE_PGM_RSRC2:USER_SGPR: 2
; COMPUTE_PGM_RSRC2:TRAP_HANDLER: 0
; COMPUTE_PGM_RSRC2:TGID_X_EN: 1
; COMPUTE_PGM_RSRC2:TGID_Y_EN: 0
; COMPUTE_PGM_RSRC2:TGID_Z_EN: 0
; COMPUTE_PGM_RSRC2:TIDIG_COMP_CNT: 1
; COMPUTE_PGM_RSRC3_GFX90A:ACCUM_OFFSET: 3
; COMPUTE_PGM_RSRC3_GFX90A:TG_SPLIT: 0
	.section	.text._ZN4vllm3moe22topkGatingSoftplusSqrtILi1ELi1ELi4ELi2ELi64ELb0Ei6__halfEEvPKT6_PKbPfiPT5_PiiiibdPKfPKS9_SF_,"axG",@progbits,_ZN4vllm3moe22topkGatingSoftplusSqrtILi1ELi1ELi4ELi2ELi64ELb0Ei6__halfEEvPKT6_PKbPfiPT5_PiiiibdPKfPKS9_SF_,comdat
	.protected	_ZN4vllm3moe22topkGatingSoftplusSqrtILi1ELi1ELi4ELi2ELi64ELb0Ei6__halfEEvPKT6_PKbPfiPT5_PiiiibdPKfPKS9_SF_ ; -- Begin function _ZN4vllm3moe22topkGatingSoftplusSqrtILi1ELi1ELi4ELi2ELi64ELb0Ei6__halfEEvPKT6_PKbPfiPT5_PiiiibdPKfPKS9_SF_
	.globl	_ZN4vllm3moe22topkGatingSoftplusSqrtILi1ELi1ELi4ELi2ELi64ELb0Ei6__halfEEvPKT6_PKbPfiPT5_PiiiibdPKfPKS9_SF_
	.p2align	8
	.type	_ZN4vllm3moe22topkGatingSoftplusSqrtILi1ELi1ELi4ELi2ELi64ELb0Ei6__halfEEvPKT6_PKbPfiPT5_PiiiibdPKfPKS9_SF_,@function
_ZN4vllm3moe22topkGatingSoftplusSqrtILi1ELi1ELi4ELi2ELi64ELb0Ei6__halfEEvPKT6_PKbPfiPT5_PiiiibdPKfPKS9_SF_: ; @_ZN4vllm3moe22topkGatingSoftplusSqrtILi1ELi1ELi4ELi2ELi64ELb0Ei6__halfEEvPKT6_PKbPfiPT5_PiiiibdPKfPKS9_SF_
; %bb.0:
	s_load_dword s24, s[0:1], 0x18
	v_bfe_u32 v1, v0, 10, 10
	s_lshl_b32 s2, s2, 8
	v_lshlrev_b32_e32 v1, 6, v1
	v_and_b32_e32 v0, 0x3ff, v0
	v_add3_u32 v2, v1, v0, s2
	s_waitcnt lgkmcnt(0)
	v_cmp_gt_i32_e32 vcc, s24, v2
	s_and_saveexec_b64 s[2:3], vcc
	s_cbranch_execz .LBB181_24
; %bb.1:
	s_load_dwordx4 s[4:7], s[0:1], 0x0
	s_load_dwordx2 s[16:17], s[0:1], 0x10
	v_ashrrev_i32_e32 v3, 31, v2
	s_waitcnt lgkmcnt(0)
	s_cmp_eq_u64 s[6:7], 0
	s_cbranch_scc1 .LBB181_3
; %bb.2:
	v_lshl_add_u64 v[0:1], s[6:7], 0, v[2:3]
	global_load_ubyte v0, v[0:1], off
	s_waitcnt vmcnt(0)
	v_and_b32_e32 v0, 1, v0
	v_cmp_eq_u32_e32 vcc, 1, v0
	s_xor_b64 s[2:3], vcc, -1
	s_orn2_b64 s[18:19], s[2:3], exec
	s_branch .LBB181_4
.LBB181_3:
	s_mov_b64 s[18:19], -1
.LBB181_4:
	v_mov_b32_e32 v0, s4
	v_mov_b32_e32 v1, s5
	v_lshl_add_u64 v[0:1], v[2:3], 1, v[0:1]
	global_load_ushort v0, v[0:1], off
	s_mov_b32 s3, 0x800000
	v_mov_b32_e32 v3, 0x4f800000
	s_mov_b32 s4, 0x3f317217
	s_mov_b32 s5, 0x7f800000
	v_mov_b32_e32 v5, 0x41b17218
	s_movk_i32 s2, 0x4d00
	s_load_dwordx4 s[8:11], s[0:1], 0x40
	s_waitcnt lgkmcnt(0)
	s_cmp_lg_u64 s[10:11], 0
	s_cselect_b64 s[22:23], -1, 0
	s_cmp_eq_u64 s[10:11], 0
	s_waitcnt vmcnt(0)
	v_cvt_f32_f16_e32 v1, v0
	v_mul_f32_e32 v4, 0x3fb8aa3b, v1
	v_exp_f32_e32 v4, v4
	s_nop 0
	v_add_f32_e32 v4, 1.0, v4
	v_cmp_gt_f32_e32 vcc, s3, v4
	s_mov_b32 s3, 0xf800000
	s_nop 0
	v_cndmask_b32_e32 v3, 1.0, v3, vcc
	v_mul_f32_e32 v3, v4, v3
	v_log_f32_e32 v3, v3
	v_cndmask_b32_e32 v5, 0, v5, vcc
	v_mov_b32_e32 v4, 0x260
	v_mul_f32_e32 v6, 0x3f317217, v3
	v_fma_f32 v6, v3, s4, -v6
	v_fmamk_f32 v6, v3, 0x3377d1cf, v6
	v_fmac_f32_e32 v6, 0x3f317217, v3
	v_cmp_lt_f32_e64 vcc, |v3|, s5
	s_nop 1
	v_cndmask_b32_e32 v3, v3, v6, vcc
	v_sub_f32_e32 v3, v3, v5
	v_cmp_lt_f16_e32 vcc, s2, v0
	s_nop 1
	v_cndmask_b32_e32 v0, v3, v1, vcc
	v_mul_f32_e32 v1, 0x4f800000, v0
	v_cmp_gt_f32_e32 vcc, s3, v0
	s_nop 1
	v_cndmask_b32_e32 v0, v0, v1, vcc
	v_sqrt_f32_e32 v1, v0
	s_nop 0
	v_add_u32_e32 v3, -1, v1
	v_add_u32_e32 v5, 1, v1
	v_fma_f32 v6, -v3, v1, v0
	v_fma_f32 v7, -v5, v1, v0
	v_cmp_ge_f32_e64 s[2:3], 0, v6
	s_nop 1
	v_cndmask_b32_e64 v1, v1, v3, s[2:3]
	v_cmp_lt_f32_e64 s[2:3], 0, v7
	s_nop 1
	v_cndmask_b32_e64 v1, v1, v5, s[2:3]
	v_mul_f32_e32 v3, 0x37800000, v1
	v_cndmask_b32_e32 v1, v1, v3, vcc
	v_cmp_class_f32_e32 vcc, v0, v4
	s_nop 1
	v_cndmask_b32_e32 v1, v1, v0, vcc
	s_cbranch_scc1 .LBB181_6
; %bb.5:
	s_load_dword s2, s[10:11], 0x0
	s_waitcnt lgkmcnt(0)
	v_add_f32_e32 v1, s2, v1
.LBB181_6:
	s_load_dwordx4 s[4:7], s[0:1], 0x30
	s_waitcnt lgkmcnt(0)
	s_bitcmp1_b32 s7, 0
	s_cselect_b64 s[2:3], -1, 0
	s_cmp_gt_i32 s4, 0
	s_cselect_b64 s[20:21], -1, 0
	s_cmp_lt_i32 s4, 1
	v_mul_lo_u32 v0, v2, s4
	s_cbranch_scc1 .LBB181_11
; %bb.7:
	s_cmp_lt_i32 s5, 1
	s_load_dwordx4 s[12:15], s[0:1], 0x20
	s_cselect_b64 s[0:1], -1, 0
	s_cmp_gt_i32 s6, 0
	s_cselect_b64 s[26:27], -1, 0
	s_and_b64 s[0:1], s[0:1], s[26:27]
	s_sub_i32 s5, 0, s5
	v_mov_b32_e32 v3, s5
	s_and_b64 vcc, s[18:19], s[0:1]
	v_cndmask_b32_e32 v4, 1, v3, vcc
	v_cndmask_b32_e64 v3, 0, 1, s[22:23]
	s_mov_b32 s7, 0
	v_mov_b32_e32 v5, 0
	v_cmp_ne_u32_e64 s[0:1], 1, v3
	v_mov_b32_e32 v6, 0xc61c4000
	v_mov_b32_e32 v3, 0
	s_branch .LBB181_9
.LBB181_8:                              ;   in Loop: Header=BB181_9 Depth=1
	v_add_u32_e32 v8, s7, v0
	v_ashrrev_i32_e32 v9, 31, v8
	v_lshlrev_b64 v[8:9], 2, v[8:9]
	s_add_i32 s7, s7, 1
	v_lshl_add_u64 v[10:11], s[16:17], 0, v[8:9]
	s_cmp_ge_i32 s7, s4
	global_store_dword v[10:11], v7, off
	s_waitcnt lgkmcnt(0)
	v_lshl_add_u64 v[10:11], s[12:13], 0, v[8:9]
	v_lshl_add_u64 v[8:9], s[14:15], 0, v[8:9]
	v_add_f32_e32 v7, v3, v7
	s_cselect_b64 vcc, -1, 0
	global_store_dword v[10:11], v4, off
	global_store_dword v[8:9], v2, off
	v_cndmask_b32_e64 v3, v3, v7, s[2:3]
	v_cndmask_b32_e32 v1, v6, v1, vcc
	s_cmp_lg_u32 s4, s7
	v_add_u32_e32 v2, s24, v2
	s_cbranch_scc0 .LBB181_12
.LBB181_9:                              ; =>This Inner Loop Header: Depth=1
	s_and_b64 vcc, exec, s[0:1]
	v_mov_b32_e32 v7, v1
	s_cbranch_vccnz .LBB181_8
; %bb.10:                               ;   in Loop: Header=BB181_9 Depth=1
	global_load_dword v7, v5, s[10:11]
	s_waitcnt vmcnt(0)
	v_sub_f32_e32 v7, v1, v7
	s_branch .LBB181_8
.LBB181_11:
	v_mov_b32_e32 v3, 0
.LBB181_12:
	s_andn2_b64 vcc, exec, s[2:3]
	v_cvt_f32_f64_e32 v2, s[8:9]
	s_cbranch_vccnz .LBB181_14
; %bb.13:
	v_cmp_lt_f32_e32 vcc, 0, v3
	s_nop 1
	v_cndmask_b32_e32 v1, 1.0, v3, vcc
	v_div_scale_f32 v3, s[0:1], v1, v1, v2
	v_rcp_f32_e32 v4, v3
	s_nop 0
	v_fma_f32 v5, -v3, v4, 1.0
	v_fmac_f32_e32 v4, v5, v4
	v_div_scale_f32 v5, vcc, v2, v1, v2
	v_mul_f32_e32 v6, v5, v4
	v_fma_f32 v7, -v3, v6, v5
	v_fmac_f32_e32 v6, v7, v4
	v_fma_f32 v3, -v3, v6, v5
	v_div_fmas_f32 v3, v3, v4, v6
	v_div_fixup_f32 v2, v3, v1, v2
.LBB181_14:
	s_andn2_b64 vcc, exec, s[20:21]
	s_cbranch_vccnz .LBB181_24
; %bb.15:
	s_cmp_gt_u32 s4, 3
	v_ashrrev_i32_e32 v1, 31, v0
	s_cbranch_scc0 .LBB181_19
; %bb.16:
	s_and_b32 s0, s4, 0x7ffffffc
	v_lshl_add_u64 v[4:5], v[0:1], 2, s[16:17]
	v_mov_b32_e32 v3, v2
	v_lshl_add_u64 v[4:5], v[4:5], 0, 8
	s_mov_b32 s1, s0
.LBB181_17:                             ; =>This Inner Loop Header: Depth=1
	global_load_dwordx4 v[6:9], v[4:5], off offset:-8
	s_add_i32 s1, s1, -4
	s_cmp_lg_u32 s1, 0
	s_waitcnt vmcnt(0)
	v_pk_mul_f32 v[6:7], v[2:3], v[6:7]
	v_pk_mul_f32 v[8:9], v[2:3], v[8:9]
	global_store_dwordx4 v[4:5], v[6:9], off offset:-8
	v_lshl_add_u64 v[4:5], v[4:5], 0, 16
	s_cbranch_scc1 .LBB181_17
; %bb.18:
	s_cmp_lg_u32 s0, s4
	s_cselect_b64 s[2:3], -1, 0
	s_branch .LBB181_21
.LBB181_19:
	s_mov_b64 s[2:3], 0
                                        ; implicit-def: $sgpr0
	s_cbranch_execz .LBB181_21
; %bb.20:
	s_mov_b64 s[2:3], -1
	s_mov_b32 s0, 0
.LBB181_21:
	s_andn2_b64 vcc, exec, s[2:3]
	s_cbranch_vccnz .LBB181_24
; %bb.22:
	s_mov_b32 s1, 0
	v_lshl_add_u64 v[0:1], v[0:1], 0, s[0:1]
	s_sub_i32 s2, s4, s0
	v_lshl_add_u64 v[0:1], v[0:1], 2, s[16:17]
.LBB181_23:                             ; =>This Inner Loop Header: Depth=1
	global_load_dword v3, v[0:1], off
	s_add_i32 s2, s2, -1
	s_cmp_lg_u32 s2, 0
	s_waitcnt vmcnt(0)
	v_mul_f32_e32 v3, v2, v3
	global_store_dword v[0:1], v3, off
	v_lshl_add_u64 v[0:1], v[0:1], 0, 4
	s_cbranch_scc1 .LBB181_23
.LBB181_24:
	s_endpgm
	.section	.rodata,"a",@progbits
	.p2align	6, 0x0
	.amdhsa_kernel _ZN4vllm3moe22topkGatingSoftplusSqrtILi1ELi1ELi4ELi2ELi64ELb0Ei6__halfEEvPKT6_PKbPfiPT5_PiiiibdPKfPKS9_SF_
		.amdhsa_group_segment_fixed_size 0
		.amdhsa_private_segment_fixed_size 0
		.amdhsa_kernarg_size 96
		.amdhsa_user_sgpr_count 2
		.amdhsa_user_sgpr_dispatch_ptr 0
		.amdhsa_user_sgpr_queue_ptr 0
		.amdhsa_user_sgpr_kernarg_segment_ptr 1
		.amdhsa_user_sgpr_dispatch_id 0
		.amdhsa_user_sgpr_kernarg_preload_length 0
		.amdhsa_user_sgpr_kernarg_preload_offset 0
		.amdhsa_user_sgpr_private_segment_size 0
		.amdhsa_uses_dynamic_stack 0
		.amdhsa_enable_private_segment 0
		.amdhsa_system_sgpr_workgroup_id_x 1
		.amdhsa_system_sgpr_workgroup_id_y 0
		.amdhsa_system_sgpr_workgroup_id_z 0
		.amdhsa_system_sgpr_workgroup_info 0
		.amdhsa_system_vgpr_workitem_id 1
		.amdhsa_next_free_vgpr 12
		.amdhsa_next_free_sgpr 28
		.amdhsa_accum_offset 12
		.amdhsa_reserve_vcc 1
		.amdhsa_float_round_mode_32 0
		.amdhsa_float_round_mode_16_64 0
		.amdhsa_float_denorm_mode_32 3
		.amdhsa_float_denorm_mode_16_64 3
		.amdhsa_dx10_clamp 1
		.amdhsa_ieee_mode 1
		.amdhsa_fp16_overflow 0
		.amdhsa_tg_split 0
		.amdhsa_exception_fp_ieee_invalid_op 0
		.amdhsa_exception_fp_denorm_src 0
		.amdhsa_exception_fp_ieee_div_zero 0
		.amdhsa_exception_fp_ieee_overflow 0
		.amdhsa_exception_fp_ieee_underflow 0
		.amdhsa_exception_fp_ieee_inexact 0
		.amdhsa_exception_int_div_zero 0
	.end_amdhsa_kernel
	.section	.text._ZN4vllm3moe22topkGatingSoftplusSqrtILi1ELi1ELi4ELi2ELi64ELb0Ei6__halfEEvPKT6_PKbPfiPT5_PiiiibdPKfPKS9_SF_,"axG",@progbits,_ZN4vllm3moe22topkGatingSoftplusSqrtILi1ELi1ELi4ELi2ELi64ELb0Ei6__halfEEvPKT6_PKbPfiPT5_PiiiibdPKfPKS9_SF_,comdat
.Lfunc_end181:
	.size	_ZN4vllm3moe22topkGatingSoftplusSqrtILi1ELi1ELi4ELi2ELi64ELb0Ei6__halfEEvPKT6_PKbPfiPT5_PiiiibdPKfPKS9_SF_, .Lfunc_end181-_ZN4vllm3moe22topkGatingSoftplusSqrtILi1ELi1ELi4ELi2ELi64ELb0Ei6__halfEEvPKT6_PKbPfiPT5_PiiiibdPKfPKS9_SF_
                                        ; -- End function
	.section	.AMDGPU.csdata,"",@progbits
; Kernel info:
; codeLenInByte = 1080
; NumSgprs: 34
; NumVgprs: 12
; NumAgprs: 0
; TotalNumVgprs: 12
; ScratchSize: 0
; MemoryBound: 0
; FloatMode: 240
; IeeeMode: 1
; LDSByteSize: 0 bytes/workgroup (compile time only)
; SGPRBlocks: 4
; VGPRBlocks: 1
; NumSGPRsForWavesPerEU: 34
; NumVGPRsForWavesPerEU: 12
; AccumOffset: 12
; Occupancy: 8
; WaveLimiterHint : 0
; COMPUTE_PGM_RSRC2:SCRATCH_EN: 0
; COMPUTE_PGM_RSRC2:USER_SGPR: 2
; COMPUTE_PGM_RSRC2:TRAP_HANDLER: 0
; COMPUTE_PGM_RSRC2:TGID_X_EN: 1
; COMPUTE_PGM_RSRC2:TGID_Y_EN: 0
; COMPUTE_PGM_RSRC2:TGID_Z_EN: 0
; COMPUTE_PGM_RSRC2:TIDIG_COMP_CNT: 1
; COMPUTE_PGM_RSRC3_GFX90A:ACCUM_OFFSET: 2
; COMPUTE_PGM_RSRC3_GFX90A:TG_SPLIT: 0
	.section	.text._ZN4vllm3moe22topkGatingSoftplusSqrtILi1ELi1ELi4ELi2ELi32ELb1Ei6__halfEEvPKT6_PKbPfiPT5_PiiiibdPKfPKS9_SF_,"axG",@progbits,_ZN4vllm3moe22topkGatingSoftplusSqrtILi1ELi1ELi4ELi2ELi32ELb1Ei6__halfEEvPKT6_PKbPfiPT5_PiiiibdPKfPKS9_SF_,comdat
	.protected	_ZN4vllm3moe22topkGatingSoftplusSqrtILi1ELi1ELi4ELi2ELi32ELb1Ei6__halfEEvPKT6_PKbPfiPT5_PiiiibdPKfPKS9_SF_ ; -- Begin function _ZN4vllm3moe22topkGatingSoftplusSqrtILi1ELi1ELi4ELi2ELi32ELb1Ei6__halfEEvPKT6_PKbPfiPT5_PiiiibdPKfPKS9_SF_
	.globl	_ZN4vllm3moe22topkGatingSoftplusSqrtILi1ELi1ELi4ELi2ELi32ELb1Ei6__halfEEvPKT6_PKbPfiPT5_PiiiibdPKfPKS9_SF_
	.p2align	8
	.type	_ZN4vllm3moe22topkGatingSoftplusSqrtILi1ELi1ELi4ELi2ELi32ELb1Ei6__halfEEvPKT6_PKbPfiPT5_PiiiibdPKfPKS9_SF_,@function
_ZN4vllm3moe22topkGatingSoftplusSqrtILi1ELi1ELi4ELi2ELi32ELb1Ei6__halfEEvPKT6_PKbPfiPT5_PiiiibdPKfPKS9_SF_: ; @_ZN4vllm3moe22topkGatingSoftplusSqrtILi1ELi1ELi4ELi2ELi32ELb1Ei6__halfEEvPKT6_PKbPfiPT5_PiiiibdPKfPKS9_SF_
; %bb.0:
	s_load_dword s3, s[0:1], 0x18
	v_bfe_u32 v1, v0, 10, 10
	s_lshl_b32 s2, s2, 7
	v_lshlrev_b32_e32 v1, 5, v1
	v_and_b32_e32 v0, 0x3ff, v0
	v_add3_u32 v2, v1, v0, s2
	s_waitcnt lgkmcnt(0)
	v_cmp_gt_i32_e32 vcc, s3, v2
	s_and_saveexec_b64 s[2:3], vcc
	s_cbranch_execz .LBB182_54
; %bb.1:
	s_load_dwordx2 s[2:3], s[0:1], 0x0
	s_load_dword s14, s[0:1], 0x30
	v_ashrrev_i32_e32 v3, 31, v2
	s_load_dwordx4 s[4:7], s[0:1], 0x50
	s_mov_b32 s9, 0x3f317217
	s_waitcnt lgkmcnt(0)
	v_lshl_add_u64 v[0:1], v[2:3], 1, s[2:3]
	global_load_ushort v4, v[0:1], off
	s_mov_b32 s3, 0x800000
	v_mov_b32_e32 v0, s4
	v_mov_b32_e32 v1, s5
	v_lshl_add_u64 v[0:1], v[2:3], 2, v[0:1]
	global_load_dword v0, v[0:1], off
	v_mov_b32_e32 v1, 0x4f800000
	s_mov_b32 s10, 0x7f800000
	v_mov_b32_e32 v6, 0x41b17218
	s_movk_i32 s2, 0x4d00
	s_mov_b32 s11, 0xf800000
	v_mov_b32_e32 v8, 0x260
	s_cmp_gt_i32 s14, 0
	s_mov_b32 s8, 0
	v_mov_b32_e32 v3, 0
	s_cselect_b64 s[4:5], -1, 0
	s_cmp_lt_i32 s14, 1
	v_mul_lo_u32 v2, v2, s14
	s_waitcnt vmcnt(1)
	v_cvt_f32_f16_e32 v5, v4
	v_mul_f32_e32 v7, 0x3fb8aa3b, v5
	v_exp_f32_e32 v7, v7
	s_waitcnt vmcnt(0)
	v_mul_lo_u32 v0, v0, s14
	v_add_f32_e32 v7, 1.0, v7
	v_cmp_gt_f32_e32 vcc, s3, v7
	s_nop 1
	v_cndmask_b32_e32 v1, 1.0, v1, vcc
	v_mul_f32_e32 v1, v7, v1
	v_log_f32_e32 v1, v1
	v_cndmask_b32_e32 v6, 0, v6, vcc
	v_mul_f32_e32 v7, 0x3f317217, v1
	v_fma_f32 v7, v1, s9, -v7
	v_fmamk_f32 v7, v1, 0x3377d1cf, v7
	v_fmac_f32_e32 v7, 0x3f317217, v1
	v_cmp_lt_f32_e64 vcc, |v1|, s10
	s_nop 1
	v_cndmask_b32_e32 v1, v1, v7, vcc
	v_sub_f32_e32 v1, v1, v6
	v_cmp_lt_f16_e32 vcc, s2, v4
	s_nop 1
	v_cndmask_b32_e32 v1, v1, v5, vcc
	v_mul_f32_e32 v4, 0x4f800000, v1
	v_cmp_gt_f32_e32 vcc, s11, v1
	s_nop 1
	v_cndmask_b32_e32 v6, v1, v4, vcc
	v_sqrt_f32_e32 v7, v6
	v_ashrrev_i32_e32 v1, 31, v0
	v_lshl_add_u64 v[4:5], v[0:1], 2, s[6:7]
	v_add_u32_e32 v9, -1, v7
	v_add_u32_e32 v10, 1, v7
	v_fma_f32 v11, -v9, v7, v6
	v_fma_f32 v12, -v10, v7, v6
	v_cmp_ge_f32_e64 s[2:3], 0, v11
	s_nop 1
	v_cndmask_b32_e64 v7, v7, v9, s[2:3]
	v_cmp_lt_f32_e64 s[2:3], 0, v12
	s_nop 1
	v_cndmask_b32_e64 v7, v7, v10, s[2:3]
	v_mul_f32_e32 v9, 0x37800000, v7
	v_cndmask_b32_e32 v7, v7, v9, vcc
	v_cmp_class_f32_e32 vcc, v6, v8
	s_nop 1
	v_cndmask_b32_e32 v10, v7, v6, vcc
	s_cbranch_scc1 .LBB182_27
; %bb.2:
	s_load_dwordx2 s[2:3], s[0:1], 0x20
	s_cmp_lt_u32 s14, 8
	s_cbranch_scc1 .LBB182_21
; %bb.3:
	v_ashrrev_i32_e32 v3, 31, v2
	s_and_b32 s8, s14, 0x7ffffff8
	s_waitcnt lgkmcnt(0)
	v_lshl_add_u64 v[6:7], v[2:3], 2, s[2:3]
	s_mov_b32 s9, 0
	s_mov_b64 s[10:11], 0
	v_mov_b32_e32 v11, 0
	v_mov_b32_e32 v3, 0
	s_branch .LBB182_5
.LBB182_4:                              ;   in Loop: Header=BB182_5 Depth=1
	s_or_b64 exec, exec, s[12:13]
	s_add_i32 s9, s9, 8
	s_add_u32 s10, s10, 32
	s_addc_u32 s11, s11, 0
	s_cmp_eq_u32 s8, s9
	s_cbranch_scc1 .LBB182_22
.LBB182_5:                              ; =>This Inner Loop Header: Depth=1
	v_lshl_add_u64 v[8:9], v[4:5], 0, s[10:11]
	global_load_dword v12, v[8:9], off
	s_waitcnt vmcnt(0)
	v_cmp_eq_u32_e32 vcc, 0, v12
	s_and_saveexec_b64 s[12:13], vcc
	s_cbranch_execz .LBB182_7
; %bb.6:                                ;   in Loop: Header=BB182_5 Depth=1
	v_add_u32_e32 v12, s9, v2
	v_ashrrev_i32_e32 v13, 31, v12
	v_lshl_add_u64 v[12:13], v[12:13], 2, s[2:3]
	v_add_f32_e32 v3, v10, v3
	global_store_dword v[12:13], v11, off
.LBB182_7:                              ;   in Loop: Header=BB182_5 Depth=1
	s_or_b64 exec, exec, s[12:13]
	global_load_dword v12, v[8:9], off offset:4
	s_waitcnt vmcnt(0)
	v_cmp_eq_u32_e32 vcc, 0, v12
	s_and_saveexec_b64 s[12:13], vcc
	s_cbranch_execz .LBB182_9
; %bb.8:                                ;   in Loop: Header=BB182_5 Depth=1
	v_lshl_add_u64 v[12:13], v[6:7], 0, s[10:11]
	v_add_f32_e32 v3, v10, v3
	global_store_dword v[12:13], v11, off offset:4
.LBB182_9:                              ;   in Loop: Header=BB182_5 Depth=1
	s_or_b64 exec, exec, s[12:13]
	global_load_dword v12, v[8:9], off offset:8
	s_waitcnt vmcnt(0)
	v_cmp_eq_u32_e32 vcc, 0, v12
	s_and_saveexec_b64 s[12:13], vcc
	s_cbranch_execz .LBB182_11
; %bb.10:                               ;   in Loop: Header=BB182_5 Depth=1
	v_lshl_add_u64 v[12:13], v[6:7], 0, s[10:11]
	v_add_f32_e32 v3, v10, v3
	global_store_dword v[12:13], v11, off offset:8
.LBB182_11:                             ;   in Loop: Header=BB182_5 Depth=1
	s_or_b64 exec, exec, s[12:13]
	global_load_dword v12, v[8:9], off offset:12
	s_waitcnt vmcnt(0)
	v_cmp_eq_u32_e32 vcc, 0, v12
	s_and_saveexec_b64 s[12:13], vcc
	s_cbranch_execz .LBB182_13
; %bb.12:                               ;   in Loop: Header=BB182_5 Depth=1
	v_lshl_add_u64 v[12:13], v[6:7], 0, s[10:11]
	v_add_f32_e32 v3, v10, v3
	global_store_dword v[12:13], v11, off offset:12
.LBB182_13:                             ;   in Loop: Header=BB182_5 Depth=1
	;; [unrolled: 11-line block ×5, first 2 shown]
	s_or_b64 exec, exec, s[12:13]
	global_load_dword v8, v[8:9], off offset:28
	s_waitcnt vmcnt(0)
	v_cmp_eq_u32_e32 vcc, 0, v8
	s_and_saveexec_b64 s[12:13], vcc
	s_cbranch_execz .LBB182_4
; %bb.20:                               ;   in Loop: Header=BB182_5 Depth=1
	v_lshl_add_u64 v[8:9], v[6:7], 0, s[10:11]
	v_add_f32_e32 v3, v10, v3
	global_store_dword v[8:9], v11, off offset:28
	s_branch .LBB182_4
.LBB182_21:
	v_mov_b32_e32 v3, 0
.LBB182_22:
	s_and_b32 s10, s14, 7
	s_cmp_eq_u32 s10, 0
	s_mov_b32 s9, 0
	s_cbranch_scc1 .LBB182_27
; %bb.23:
	v_add_u32_e32 v6, s8, v2
	s_lshl_b64 s[8:9], s[8:9], 2
	s_add_u32 s8, s6, s8
	s_addc_u32 s9, s7, s9
	v_lshl_add_u64 v[8:9], v[0:1], 2, s[8:9]
	v_mov_b32_e32 v11, 0
	s_branch .LBB182_25
.LBB182_24:                             ;   in Loop: Header=BB182_25 Depth=1
	s_or_b64 exec, exec, s[8:9]
	s_add_i32 s10, s10, -1
	v_add_u32_e32 v6, 1, v6
	s_cmp_lg_u32 s10, 0
	v_lshl_add_u64 v[8:9], v[8:9], 0, 4
	s_cbranch_scc0 .LBB182_27
.LBB182_25:                             ; =>This Inner Loop Header: Depth=1
	global_load_dword v7, v[8:9], off
	s_waitcnt vmcnt(0)
	v_cmp_eq_u32_e32 vcc, 0, v7
	s_and_saveexec_b64 s[8:9], vcc
	s_cbranch_execz .LBB182_24
; %bb.26:                               ;   in Loop: Header=BB182_25 Depth=1
	v_ashrrev_i32_e32 v7, 31, v6
	s_waitcnt lgkmcnt(0)
	v_lshl_add_u64 v[12:13], v[6:7], 2, s[2:3]
	v_add_f32_e32 v3, v10, v3
	global_store_dword v[12:13], v11, off
	s_branch .LBB182_24
.LBB182_27:
	s_load_dword s8, s[0:1], 0x3c
	s_waitcnt lgkmcnt(0)
	s_load_dwordx2 s[2:3], s[0:1], 0x40
	s_bitcmp1_b32 s8, 0
	s_cselect_b64 s[8:9], -1, 0
	s_waitcnt lgkmcnt(0)
	v_cvt_f32_f64_e32 v6, s[2:3]
	s_and_b64 vcc, exec, s[8:9]
	s_cbranch_vccz .LBB182_29
; %bb.28:
	v_cmp_lt_f32_e32 vcc, 0, v3
	s_nop 1
	v_cndmask_b32_e32 v3, 1.0, v3, vcc
	v_div_scale_f32 v7, s[2:3], v3, v3, v6
	v_rcp_f32_e32 v8, v7
	s_nop 0
	v_fma_f32 v9, -v7, v8, 1.0
	v_fmac_f32_e32 v8, v9, v8
	v_div_scale_f32 v9, vcc, v6, v3, v6
	v_mul_f32_e32 v11, v9, v8
	v_fma_f32 v12, -v7, v11, v9
	v_fmac_f32_e32 v11, v12, v8
	v_fma_f32 v7, -v7, v11, v9
	v_div_fmas_f32 v7, v7, v8, v11
	v_div_fixup_f32 v6, v7, v3, v6
.LBB182_29:
	s_andn2_b64 vcc, exec, s[4:5]
	s_cbranch_vccnz .LBB182_54
; %bb.30:
	s_load_dwordx2 s[0:1], s[0:1], 0x10
	v_mul_f32_e32 v10, v10, v6
	s_cmp_lt_u32 s14, 8
	s_mov_b32 s2, 0
	s_cbranch_scc1 .LBB182_49
; %bb.31:
	v_ashrrev_i32_e32 v3, 31, v2
	s_and_b32 s2, s14, 0x7ffffff8
	s_waitcnt lgkmcnt(0)
	v_lshl_add_u64 v[6:7], v[2:3], 2, s[0:1]
	s_mov_b32 s3, 0
	s_mov_b64 s[4:5], 0
	s_branch .LBB182_33
.LBB182_32:                             ;   in Loop: Header=BB182_33 Depth=1
	s_or_b64 exec, exec, s[8:9]
	s_add_i32 s3, s3, 8
	s_add_u32 s4, s4, 32
	s_addc_u32 s5, s5, 0
	s_cmp_lg_u32 s2, s3
	s_cbranch_scc0 .LBB182_49
.LBB182_33:                             ; =>This Inner Loop Header: Depth=1
	v_lshl_add_u64 v[8:9], v[4:5], 0, s[4:5]
	global_load_dword v3, v[8:9], off
	s_waitcnt vmcnt(0)
	v_cmp_eq_u32_e32 vcc, 0, v3
	s_and_saveexec_b64 s[8:9], vcc
	s_cbranch_execz .LBB182_35
; %bb.34:                               ;   in Loop: Header=BB182_33 Depth=1
	v_add_u32_e32 v12, s3, v2
	v_ashrrev_i32_e32 v13, 31, v12
	v_lshl_add_u64 v[12:13], v[12:13], 2, s[0:1]
	global_store_dword v[12:13], v10, off
.LBB182_35:                             ;   in Loop: Header=BB182_33 Depth=1
	s_or_b64 exec, exec, s[8:9]
	global_load_dword v3, v[8:9], off offset:4
	s_waitcnt vmcnt(0)
	v_cmp_eq_u32_e32 vcc, 0, v3
	s_and_saveexec_b64 s[8:9], vcc
	s_cbranch_execz .LBB182_37
; %bb.36:                               ;   in Loop: Header=BB182_33 Depth=1
	v_lshl_add_u64 v[12:13], v[6:7], 0, s[4:5]
	global_store_dword v[12:13], v10, off offset:4
.LBB182_37:                             ;   in Loop: Header=BB182_33 Depth=1
	s_or_b64 exec, exec, s[8:9]
	global_load_dword v3, v[8:9], off offset:8
	s_waitcnt vmcnt(0)
	v_cmp_eq_u32_e32 vcc, 0, v3
	s_and_saveexec_b64 s[8:9], vcc
	s_cbranch_execz .LBB182_39
; %bb.38:                               ;   in Loop: Header=BB182_33 Depth=1
	v_lshl_add_u64 v[12:13], v[6:7], 0, s[4:5]
	global_store_dword v[12:13], v10, off offset:8
.LBB182_39:                             ;   in Loop: Header=BB182_33 Depth=1
	;; [unrolled: 10-line block ×6, first 2 shown]
	s_or_b64 exec, exec, s[8:9]
	global_load_dword v3, v[8:9], off offset:28
	s_waitcnt vmcnt(0)
	v_cmp_eq_u32_e32 vcc, 0, v3
	s_and_saveexec_b64 s[8:9], vcc
	s_cbranch_execz .LBB182_32
; %bb.48:                               ;   in Loop: Header=BB182_33 Depth=1
	v_lshl_add_u64 v[8:9], v[6:7], 0, s[4:5]
	global_store_dword v[8:9], v10, off offset:28
	s_branch .LBB182_32
.LBB182_49:
	s_and_b32 s4, s14, 7
	s_cmp_eq_u32 s4, 0
	s_mov_b32 s3, 0
	s_cbranch_scc1 .LBB182_54
; %bb.50:
	v_add_u32_e32 v2, s2, v2
	s_lshl_b64 s[2:3], s[2:3], 2
	s_add_u32 s2, s6, s2
	s_addc_u32 s3, s7, s3
	v_lshl_add_u64 v[0:1], v[0:1], 2, s[2:3]
	s_branch .LBB182_52
.LBB182_51:                             ;   in Loop: Header=BB182_52 Depth=1
	s_or_b64 exec, exec, s[2:3]
	s_add_i32 s4, s4, -1
	v_add_u32_e32 v2, 1, v2
	s_cmp_lg_u32 s4, 0
	v_lshl_add_u64 v[0:1], v[0:1], 0, 4
	s_cbranch_scc0 .LBB182_54
.LBB182_52:                             ; =>This Inner Loop Header: Depth=1
	global_load_dword v3, v[0:1], off
	s_waitcnt vmcnt(0)
	v_cmp_eq_u32_e32 vcc, 0, v3
	s_and_saveexec_b64 s[2:3], vcc
	s_cbranch_execz .LBB182_51
; %bb.53:                               ;   in Loop: Header=BB182_52 Depth=1
	v_ashrrev_i32_e32 v3, 31, v2
	s_waitcnt lgkmcnt(0)
	v_lshl_add_u64 v[4:5], v[2:3], 2, s[0:1]
	global_store_dword v[4:5], v10, off
	s_branch .LBB182_51
.LBB182_54:
	s_endpgm
	.section	.rodata,"a",@progbits
	.p2align	6, 0x0
	.amdhsa_kernel _ZN4vllm3moe22topkGatingSoftplusSqrtILi1ELi1ELi4ELi2ELi32ELb1Ei6__halfEEvPKT6_PKbPfiPT5_PiiiibdPKfPKS9_SF_
		.amdhsa_group_segment_fixed_size 0
		.amdhsa_private_segment_fixed_size 0
		.amdhsa_kernarg_size 96
		.amdhsa_user_sgpr_count 2
		.amdhsa_user_sgpr_dispatch_ptr 0
		.amdhsa_user_sgpr_queue_ptr 0
		.amdhsa_user_sgpr_kernarg_segment_ptr 1
		.amdhsa_user_sgpr_dispatch_id 0
		.amdhsa_user_sgpr_kernarg_preload_length 0
		.amdhsa_user_sgpr_kernarg_preload_offset 0
		.amdhsa_user_sgpr_private_segment_size 0
		.amdhsa_uses_dynamic_stack 0
		.amdhsa_enable_private_segment 0
		.amdhsa_system_sgpr_workgroup_id_x 1
		.amdhsa_system_sgpr_workgroup_id_y 0
		.amdhsa_system_sgpr_workgroup_id_z 0
		.amdhsa_system_sgpr_workgroup_info 0
		.amdhsa_system_vgpr_workitem_id 1
		.amdhsa_next_free_vgpr 14
		.amdhsa_next_free_sgpr 15
		.amdhsa_accum_offset 16
		.amdhsa_reserve_vcc 1
		.amdhsa_float_round_mode_32 0
		.amdhsa_float_round_mode_16_64 0
		.amdhsa_float_denorm_mode_32 3
		.amdhsa_float_denorm_mode_16_64 3
		.amdhsa_dx10_clamp 1
		.amdhsa_ieee_mode 1
		.amdhsa_fp16_overflow 0
		.amdhsa_tg_split 0
		.amdhsa_exception_fp_ieee_invalid_op 0
		.amdhsa_exception_fp_denorm_src 0
		.amdhsa_exception_fp_ieee_div_zero 0
		.amdhsa_exception_fp_ieee_overflow 0
		.amdhsa_exception_fp_ieee_underflow 0
		.amdhsa_exception_fp_ieee_inexact 0
		.amdhsa_exception_int_div_zero 0
	.end_amdhsa_kernel
	.section	.text._ZN4vllm3moe22topkGatingSoftplusSqrtILi1ELi1ELi4ELi2ELi32ELb1Ei6__halfEEvPKT6_PKbPfiPT5_PiiiibdPKfPKS9_SF_,"axG",@progbits,_ZN4vllm3moe22topkGatingSoftplusSqrtILi1ELi1ELi4ELi2ELi32ELb1Ei6__halfEEvPKT6_PKbPfiPT5_PiiiibdPKfPKS9_SF_,comdat
.Lfunc_end182:
	.size	_ZN4vllm3moe22topkGatingSoftplusSqrtILi1ELi1ELi4ELi2ELi32ELb1Ei6__halfEEvPKT6_PKbPfiPT5_PiiiibdPKfPKS9_SF_, .Lfunc_end182-_ZN4vllm3moe22topkGatingSoftplusSqrtILi1ELi1ELi4ELi2ELi32ELb1Ei6__halfEEvPKT6_PKbPfiPT5_PiiiibdPKfPKS9_SF_
                                        ; -- End function
	.section	.AMDGPU.csdata,"",@progbits
; Kernel info:
; codeLenInByte = 1808
; NumSgprs: 21
; NumVgprs: 14
; NumAgprs: 0
; TotalNumVgprs: 14
; ScratchSize: 0
; MemoryBound: 0
; FloatMode: 240
; IeeeMode: 1
; LDSByteSize: 0 bytes/workgroup (compile time only)
; SGPRBlocks: 2
; VGPRBlocks: 1
; NumSGPRsForWavesPerEU: 21
; NumVGPRsForWavesPerEU: 14
; AccumOffset: 16
; Occupancy: 8
; WaveLimiterHint : 1
; COMPUTE_PGM_RSRC2:SCRATCH_EN: 0
; COMPUTE_PGM_RSRC2:USER_SGPR: 2
; COMPUTE_PGM_RSRC2:TRAP_HANDLER: 0
; COMPUTE_PGM_RSRC2:TGID_X_EN: 1
; COMPUTE_PGM_RSRC2:TGID_Y_EN: 0
; COMPUTE_PGM_RSRC2:TGID_Z_EN: 0
; COMPUTE_PGM_RSRC2:TIDIG_COMP_CNT: 1
; COMPUTE_PGM_RSRC3_GFX90A:ACCUM_OFFSET: 3
; COMPUTE_PGM_RSRC3_GFX90A:TG_SPLIT: 0
	.section	.text._ZN4vllm3moe22topkGatingSoftplusSqrtILi1ELi1ELi4ELi2ELi32ELb0Ei6__halfEEvPKT6_PKbPfiPT5_PiiiibdPKfPKS9_SF_,"axG",@progbits,_ZN4vllm3moe22topkGatingSoftplusSqrtILi1ELi1ELi4ELi2ELi32ELb0Ei6__halfEEvPKT6_PKbPfiPT5_PiiiibdPKfPKS9_SF_,comdat
	.protected	_ZN4vllm3moe22topkGatingSoftplusSqrtILi1ELi1ELi4ELi2ELi32ELb0Ei6__halfEEvPKT6_PKbPfiPT5_PiiiibdPKfPKS9_SF_ ; -- Begin function _ZN4vllm3moe22topkGatingSoftplusSqrtILi1ELi1ELi4ELi2ELi32ELb0Ei6__halfEEvPKT6_PKbPfiPT5_PiiiibdPKfPKS9_SF_
	.globl	_ZN4vllm3moe22topkGatingSoftplusSqrtILi1ELi1ELi4ELi2ELi32ELb0Ei6__halfEEvPKT6_PKbPfiPT5_PiiiibdPKfPKS9_SF_
	.p2align	8
	.type	_ZN4vllm3moe22topkGatingSoftplusSqrtILi1ELi1ELi4ELi2ELi32ELb0Ei6__halfEEvPKT6_PKbPfiPT5_PiiiibdPKfPKS9_SF_,@function
_ZN4vllm3moe22topkGatingSoftplusSqrtILi1ELi1ELi4ELi2ELi32ELb0Ei6__halfEEvPKT6_PKbPfiPT5_PiiiibdPKfPKS9_SF_: ; @_ZN4vllm3moe22topkGatingSoftplusSqrtILi1ELi1ELi4ELi2ELi32ELb0Ei6__halfEEvPKT6_PKbPfiPT5_PiiiibdPKfPKS9_SF_
; %bb.0:
	s_load_dword s24, s[0:1], 0x18
	v_bfe_u32 v1, v0, 10, 10
	s_lshl_b32 s2, s2, 7
	v_lshlrev_b32_e32 v1, 5, v1
	v_and_b32_e32 v0, 0x3ff, v0
	v_add3_u32 v2, v1, v0, s2
	s_waitcnt lgkmcnt(0)
	v_cmp_gt_i32_e32 vcc, s24, v2
	s_and_saveexec_b64 s[2:3], vcc
	s_cbranch_execz .LBB183_24
; %bb.1:
	s_load_dwordx4 s[4:7], s[0:1], 0x0
	s_load_dwordx2 s[16:17], s[0:1], 0x10
	v_ashrrev_i32_e32 v3, 31, v2
	s_waitcnt lgkmcnt(0)
	s_cmp_eq_u64 s[6:7], 0
	s_cbranch_scc1 .LBB183_3
; %bb.2:
	v_lshl_add_u64 v[0:1], s[6:7], 0, v[2:3]
	global_load_ubyte v0, v[0:1], off
	s_waitcnt vmcnt(0)
	v_and_b32_e32 v0, 1, v0
	v_cmp_eq_u32_e32 vcc, 1, v0
	s_xor_b64 s[2:3], vcc, -1
	s_orn2_b64 s[18:19], s[2:3], exec
	s_branch .LBB183_4
.LBB183_3:
	s_mov_b64 s[18:19], -1
.LBB183_4:
	v_mov_b32_e32 v0, s4
	v_mov_b32_e32 v1, s5
	v_lshl_add_u64 v[0:1], v[2:3], 1, v[0:1]
	global_load_ushort v0, v[0:1], off
	s_mov_b32 s3, 0x800000
	v_mov_b32_e32 v3, 0x4f800000
	s_mov_b32 s4, 0x3f317217
	s_mov_b32 s5, 0x7f800000
	v_mov_b32_e32 v5, 0x41b17218
	s_movk_i32 s2, 0x4d00
	s_load_dwordx4 s[8:11], s[0:1], 0x40
	s_waitcnt lgkmcnt(0)
	s_cmp_lg_u64 s[10:11], 0
	s_cselect_b64 s[22:23], -1, 0
	s_cmp_eq_u64 s[10:11], 0
	s_waitcnt vmcnt(0)
	v_cvt_f32_f16_e32 v1, v0
	v_mul_f32_e32 v4, 0x3fb8aa3b, v1
	v_exp_f32_e32 v4, v4
	s_nop 0
	v_add_f32_e32 v4, 1.0, v4
	v_cmp_gt_f32_e32 vcc, s3, v4
	s_mov_b32 s3, 0xf800000
	s_nop 0
	v_cndmask_b32_e32 v3, 1.0, v3, vcc
	v_mul_f32_e32 v3, v4, v3
	v_log_f32_e32 v3, v3
	v_cndmask_b32_e32 v5, 0, v5, vcc
	v_mov_b32_e32 v4, 0x260
	v_mul_f32_e32 v6, 0x3f317217, v3
	v_fma_f32 v6, v3, s4, -v6
	v_fmamk_f32 v6, v3, 0x3377d1cf, v6
	v_fmac_f32_e32 v6, 0x3f317217, v3
	v_cmp_lt_f32_e64 vcc, |v3|, s5
	s_nop 1
	v_cndmask_b32_e32 v3, v3, v6, vcc
	v_sub_f32_e32 v3, v3, v5
	v_cmp_lt_f16_e32 vcc, s2, v0
	s_nop 1
	v_cndmask_b32_e32 v0, v3, v1, vcc
	v_mul_f32_e32 v1, 0x4f800000, v0
	v_cmp_gt_f32_e32 vcc, s3, v0
	s_nop 1
	v_cndmask_b32_e32 v0, v0, v1, vcc
	v_sqrt_f32_e32 v1, v0
	s_nop 0
	v_add_u32_e32 v3, -1, v1
	v_add_u32_e32 v5, 1, v1
	v_fma_f32 v6, -v3, v1, v0
	v_fma_f32 v7, -v5, v1, v0
	v_cmp_ge_f32_e64 s[2:3], 0, v6
	s_nop 1
	v_cndmask_b32_e64 v1, v1, v3, s[2:3]
	v_cmp_lt_f32_e64 s[2:3], 0, v7
	s_nop 1
	v_cndmask_b32_e64 v1, v1, v5, s[2:3]
	v_mul_f32_e32 v3, 0x37800000, v1
	v_cndmask_b32_e32 v1, v1, v3, vcc
	v_cmp_class_f32_e32 vcc, v0, v4
	s_nop 1
	v_cndmask_b32_e32 v1, v1, v0, vcc
	s_cbranch_scc1 .LBB183_6
; %bb.5:
	s_load_dword s2, s[10:11], 0x0
	s_waitcnt lgkmcnt(0)
	v_add_f32_e32 v1, s2, v1
.LBB183_6:
	s_load_dwordx4 s[4:7], s[0:1], 0x30
	s_waitcnt lgkmcnt(0)
	s_bitcmp1_b32 s7, 0
	s_cselect_b64 s[2:3], -1, 0
	s_cmp_gt_i32 s4, 0
	s_cselect_b64 s[20:21], -1, 0
	s_cmp_lt_i32 s4, 1
	v_mul_lo_u32 v0, v2, s4
	s_cbranch_scc1 .LBB183_11
; %bb.7:
	s_cmp_lt_i32 s5, 1
	s_load_dwordx4 s[12:15], s[0:1], 0x20
	s_cselect_b64 s[0:1], -1, 0
	s_cmp_gt_i32 s6, 0
	s_cselect_b64 s[26:27], -1, 0
	s_and_b64 s[0:1], s[0:1], s[26:27]
	s_sub_i32 s5, 0, s5
	v_mov_b32_e32 v3, s5
	s_and_b64 vcc, s[18:19], s[0:1]
	v_cndmask_b32_e32 v4, 1, v3, vcc
	v_cndmask_b32_e64 v3, 0, 1, s[22:23]
	s_mov_b32 s7, 0
	v_mov_b32_e32 v5, 0
	v_cmp_ne_u32_e64 s[0:1], 1, v3
	v_mov_b32_e32 v6, 0xc61c4000
	v_mov_b32_e32 v3, 0
	s_branch .LBB183_9
.LBB183_8:                              ;   in Loop: Header=BB183_9 Depth=1
	v_add_u32_e32 v8, s7, v0
	v_ashrrev_i32_e32 v9, 31, v8
	v_lshlrev_b64 v[8:9], 2, v[8:9]
	s_add_i32 s7, s7, 1
	v_lshl_add_u64 v[10:11], s[16:17], 0, v[8:9]
	s_cmp_ge_i32 s7, s4
	global_store_dword v[10:11], v7, off
	s_waitcnt lgkmcnt(0)
	v_lshl_add_u64 v[10:11], s[12:13], 0, v[8:9]
	v_lshl_add_u64 v[8:9], s[14:15], 0, v[8:9]
	v_add_f32_e32 v7, v3, v7
	s_cselect_b64 vcc, -1, 0
	global_store_dword v[10:11], v4, off
	global_store_dword v[8:9], v2, off
	v_cndmask_b32_e64 v3, v3, v7, s[2:3]
	v_cndmask_b32_e32 v1, v6, v1, vcc
	s_cmp_lg_u32 s4, s7
	v_add_u32_e32 v2, s24, v2
	s_cbranch_scc0 .LBB183_12
.LBB183_9:                              ; =>This Inner Loop Header: Depth=1
	s_and_b64 vcc, exec, s[0:1]
	v_mov_b32_e32 v7, v1
	s_cbranch_vccnz .LBB183_8
; %bb.10:                               ;   in Loop: Header=BB183_9 Depth=1
	global_load_dword v7, v5, s[10:11]
	s_waitcnt vmcnt(0)
	v_sub_f32_e32 v7, v1, v7
	s_branch .LBB183_8
.LBB183_11:
	v_mov_b32_e32 v3, 0
.LBB183_12:
	s_andn2_b64 vcc, exec, s[2:3]
	v_cvt_f32_f64_e32 v2, s[8:9]
	s_cbranch_vccnz .LBB183_14
; %bb.13:
	v_cmp_lt_f32_e32 vcc, 0, v3
	s_nop 1
	v_cndmask_b32_e32 v1, 1.0, v3, vcc
	v_div_scale_f32 v3, s[0:1], v1, v1, v2
	v_rcp_f32_e32 v4, v3
	s_nop 0
	v_fma_f32 v5, -v3, v4, 1.0
	v_fmac_f32_e32 v4, v5, v4
	v_div_scale_f32 v5, vcc, v2, v1, v2
	v_mul_f32_e32 v6, v5, v4
	v_fma_f32 v7, -v3, v6, v5
	v_fmac_f32_e32 v6, v7, v4
	v_fma_f32 v3, -v3, v6, v5
	v_div_fmas_f32 v3, v3, v4, v6
	v_div_fixup_f32 v2, v3, v1, v2
.LBB183_14:
	s_andn2_b64 vcc, exec, s[20:21]
	s_cbranch_vccnz .LBB183_24
; %bb.15:
	s_cmp_gt_u32 s4, 3
	v_ashrrev_i32_e32 v1, 31, v0
	s_cbranch_scc0 .LBB183_19
; %bb.16:
	s_and_b32 s0, s4, 0x7ffffffc
	v_lshl_add_u64 v[4:5], v[0:1], 2, s[16:17]
	v_mov_b32_e32 v3, v2
	v_lshl_add_u64 v[4:5], v[4:5], 0, 8
	s_mov_b32 s1, s0
.LBB183_17:                             ; =>This Inner Loop Header: Depth=1
	global_load_dwordx4 v[6:9], v[4:5], off offset:-8
	s_add_i32 s1, s1, -4
	s_cmp_lg_u32 s1, 0
	s_waitcnt vmcnt(0)
	v_pk_mul_f32 v[6:7], v[2:3], v[6:7]
	v_pk_mul_f32 v[8:9], v[2:3], v[8:9]
	global_store_dwordx4 v[4:5], v[6:9], off offset:-8
	v_lshl_add_u64 v[4:5], v[4:5], 0, 16
	s_cbranch_scc1 .LBB183_17
; %bb.18:
	s_cmp_lg_u32 s0, s4
	s_cselect_b64 s[2:3], -1, 0
	s_branch .LBB183_21
.LBB183_19:
	s_mov_b64 s[2:3], 0
                                        ; implicit-def: $sgpr0
	s_cbranch_execz .LBB183_21
; %bb.20:
	s_mov_b64 s[2:3], -1
	s_mov_b32 s0, 0
.LBB183_21:
	s_andn2_b64 vcc, exec, s[2:3]
	s_cbranch_vccnz .LBB183_24
; %bb.22:
	s_mov_b32 s1, 0
	v_lshl_add_u64 v[0:1], v[0:1], 0, s[0:1]
	s_sub_i32 s2, s4, s0
	v_lshl_add_u64 v[0:1], v[0:1], 2, s[16:17]
.LBB183_23:                             ; =>This Inner Loop Header: Depth=1
	global_load_dword v3, v[0:1], off
	s_add_i32 s2, s2, -1
	s_cmp_lg_u32 s2, 0
	s_waitcnt vmcnt(0)
	v_mul_f32_e32 v3, v2, v3
	global_store_dword v[0:1], v3, off
	v_lshl_add_u64 v[0:1], v[0:1], 0, 4
	s_cbranch_scc1 .LBB183_23
.LBB183_24:
	s_endpgm
	.section	.rodata,"a",@progbits
	.p2align	6, 0x0
	.amdhsa_kernel _ZN4vllm3moe22topkGatingSoftplusSqrtILi1ELi1ELi4ELi2ELi32ELb0Ei6__halfEEvPKT6_PKbPfiPT5_PiiiibdPKfPKS9_SF_
		.amdhsa_group_segment_fixed_size 0
		.amdhsa_private_segment_fixed_size 0
		.amdhsa_kernarg_size 96
		.amdhsa_user_sgpr_count 2
		.amdhsa_user_sgpr_dispatch_ptr 0
		.amdhsa_user_sgpr_queue_ptr 0
		.amdhsa_user_sgpr_kernarg_segment_ptr 1
		.amdhsa_user_sgpr_dispatch_id 0
		.amdhsa_user_sgpr_kernarg_preload_length 0
		.amdhsa_user_sgpr_kernarg_preload_offset 0
		.amdhsa_user_sgpr_private_segment_size 0
		.amdhsa_uses_dynamic_stack 0
		.amdhsa_enable_private_segment 0
		.amdhsa_system_sgpr_workgroup_id_x 1
		.amdhsa_system_sgpr_workgroup_id_y 0
		.amdhsa_system_sgpr_workgroup_id_z 0
		.amdhsa_system_sgpr_workgroup_info 0
		.amdhsa_system_vgpr_workitem_id 1
		.amdhsa_next_free_vgpr 12
		.amdhsa_next_free_sgpr 28
		.amdhsa_accum_offset 12
		.amdhsa_reserve_vcc 1
		.amdhsa_float_round_mode_32 0
		.amdhsa_float_round_mode_16_64 0
		.amdhsa_float_denorm_mode_32 3
		.amdhsa_float_denorm_mode_16_64 3
		.amdhsa_dx10_clamp 1
		.amdhsa_ieee_mode 1
		.amdhsa_fp16_overflow 0
		.amdhsa_tg_split 0
		.amdhsa_exception_fp_ieee_invalid_op 0
		.amdhsa_exception_fp_denorm_src 0
		.amdhsa_exception_fp_ieee_div_zero 0
		.amdhsa_exception_fp_ieee_overflow 0
		.amdhsa_exception_fp_ieee_underflow 0
		.amdhsa_exception_fp_ieee_inexact 0
		.amdhsa_exception_int_div_zero 0
	.end_amdhsa_kernel
	.section	.text._ZN4vllm3moe22topkGatingSoftplusSqrtILi1ELi1ELi4ELi2ELi32ELb0Ei6__halfEEvPKT6_PKbPfiPT5_PiiiibdPKfPKS9_SF_,"axG",@progbits,_ZN4vllm3moe22topkGatingSoftplusSqrtILi1ELi1ELi4ELi2ELi32ELb0Ei6__halfEEvPKT6_PKbPfiPT5_PiiiibdPKfPKS9_SF_,comdat
.Lfunc_end183:
	.size	_ZN4vllm3moe22topkGatingSoftplusSqrtILi1ELi1ELi4ELi2ELi32ELb0Ei6__halfEEvPKT6_PKbPfiPT5_PiiiibdPKfPKS9_SF_, .Lfunc_end183-_ZN4vllm3moe22topkGatingSoftplusSqrtILi1ELi1ELi4ELi2ELi32ELb0Ei6__halfEEvPKT6_PKbPfiPT5_PiiiibdPKfPKS9_SF_
                                        ; -- End function
	.section	.AMDGPU.csdata,"",@progbits
; Kernel info:
; codeLenInByte = 1080
; NumSgprs: 34
; NumVgprs: 12
; NumAgprs: 0
; TotalNumVgprs: 12
; ScratchSize: 0
; MemoryBound: 0
; FloatMode: 240
; IeeeMode: 1
; LDSByteSize: 0 bytes/workgroup (compile time only)
; SGPRBlocks: 4
; VGPRBlocks: 1
; NumSGPRsForWavesPerEU: 34
; NumVGPRsForWavesPerEU: 12
; AccumOffset: 12
; Occupancy: 8
; WaveLimiterHint : 0
; COMPUTE_PGM_RSRC2:SCRATCH_EN: 0
; COMPUTE_PGM_RSRC2:USER_SGPR: 2
; COMPUTE_PGM_RSRC2:TRAP_HANDLER: 0
; COMPUTE_PGM_RSRC2:TGID_X_EN: 1
; COMPUTE_PGM_RSRC2:TGID_Y_EN: 0
; COMPUTE_PGM_RSRC2:TGID_Z_EN: 0
; COMPUTE_PGM_RSRC2:TIDIG_COMP_CNT: 1
; COMPUTE_PGM_RSRC3_GFX90A:ACCUM_OFFSET: 2
; COMPUTE_PGM_RSRC3_GFX90A:TG_SPLIT: 0
	.section	.text._ZN4vllm3moe22topkGatingSoftplusSqrtILi2ELi2ELi4ELi4ELi64ELb1Ei6__halfEEvPKT6_PKbPfiPT5_PiiiibdPKfPKS9_SF_,"axG",@progbits,_ZN4vllm3moe22topkGatingSoftplusSqrtILi2ELi2ELi4ELi4ELi64ELb1Ei6__halfEEvPKT6_PKbPfiPT5_PiiiibdPKfPKS9_SF_,comdat
	.protected	_ZN4vllm3moe22topkGatingSoftplusSqrtILi2ELi2ELi4ELi4ELi64ELb1Ei6__halfEEvPKT6_PKbPfiPT5_PiiiibdPKfPKS9_SF_ ; -- Begin function _ZN4vllm3moe22topkGatingSoftplusSqrtILi2ELi2ELi4ELi4ELi64ELb1Ei6__halfEEvPKT6_PKbPfiPT5_PiiiibdPKfPKS9_SF_
	.globl	_ZN4vllm3moe22topkGatingSoftplusSqrtILi2ELi2ELi4ELi4ELi64ELb1Ei6__halfEEvPKT6_PKbPfiPT5_PiiiibdPKfPKS9_SF_
	.p2align	8
	.type	_ZN4vllm3moe22topkGatingSoftplusSqrtILi2ELi2ELi4ELi4ELi64ELb1Ei6__halfEEvPKT6_PKbPfiPT5_PiiiibdPKfPKS9_SF_,@function
_ZN4vllm3moe22topkGatingSoftplusSqrtILi2ELi2ELi4ELi4ELi64ELb1Ei6__halfEEvPKT6_PKbPfiPT5_PiiiibdPKfPKS9_SF_: ; @_ZN4vllm3moe22topkGatingSoftplusSqrtILi2ELi2ELi4ELi4ELi64ELb1Ei6__halfEEvPKT6_PKbPfiPT5_PiiiibdPKfPKS9_SF_
; %bb.0:
	s_load_dword s3, s[0:1], 0x18
	v_bfe_u32 v1, v0, 10, 10
	s_lshl_b32 s2, s2, 8
	v_lshlrev_b32_e32 v1, 6, v1
	v_and_b32_e32 v0, 0x3ff, v0
	v_add3_u32 v4, v1, v0, s2
	s_waitcnt lgkmcnt(0)
	v_cmp_gt_i32_e32 vcc, s3, v4
	s_and_saveexec_b64 s[2:3], vcc
	s_cbranch_execz .LBB184_56
; %bb.1:
	s_load_dwordx2 s[2:3], s[0:1], 0x0
	s_load_dword s16, s[0:1], 0x30
	v_lshlrev_b32_e32 v0, 1, v4
	v_ashrrev_i32_e32 v1, 31, v0
	s_load_dwordx4 s[4:7], s[0:1], 0x50
	s_waitcnt lgkmcnt(0)
	v_lshl_add_u64 v[0:1], v[0:1], 1, s[2:3]
	global_load_dword v6, v[0:1], off
	v_ashrrev_i32_e32 v5, 31, v4
	s_mov_b32 s2, 0x800000
	v_mov_b32_e32 v0, s4
	v_mov_b32_e32 v1, s5
	v_lshl_add_u64 v[0:1], v[4:5], 2, v[0:1]
	global_load_dword v0, v[0:1], off
	v_mov_b32_e32 v5, 0x4f800000
	s_mov_b32 s5, 0x3f317217
	s_mov_b32 s9, 0x7f800000
	v_mov_b32_e32 v7, 0x41b17218
	s_movk_i32 s4, 0x4d00
	s_mov_b32 s12, 0xf800000
	v_mov_b32_e32 v8, 0x260
	s_cmp_gt_i32 s16, 0
	s_mov_b32 s8, 0
	v_mov_b32_e32 v12, 0
	s_cselect_b64 s[10:11], -1, 0
	s_cmp_lt_i32 s16, 1
	v_mul_lo_u32 v4, v4, s16
	s_waitcnt vmcnt(1)
	v_cvt_f32_f16_e32 v9, v6
	v_cvt_f32_f16_sdwa v10, v6 dst_sel:DWORD dst_unused:UNUSED_PAD src0_sel:WORD_1
	v_mul_f32_e32 v1, 0x3fb8aa3b, v9
	v_mul_f32_e32 v3, 0x3fb8aa3b, v10
	v_exp_f32_e32 v2, v1
	v_exp_f32_e32 v3, v3
	s_waitcnt vmcnt(0)
	v_mul_lo_u32 v0, v0, s16
	v_ashrrev_i32_e32 v1, 31, v0
	v_pk_add_f32 v[2:3], v[2:3], 1.0 op_sel_hi:[1,0]
	s_nop 0
	v_cmp_gt_f32_e32 vcc, s2, v3
	v_cmp_gt_f32_e64 s[2:3], s2, v2
	s_nop 0
	v_cndmask_b32_e32 v11, 1.0, v5, vcc
	v_cndmask_b32_e64 v5, 1.0, v5, s[2:3]
	v_mul_f32_e32 v3, v3, v11
	v_mul_f32_e32 v2, v2, v5
	v_log_f32_e32 v3, v3
	v_log_f32_e32 v2, v2
	v_cndmask_b32_e32 v5, 0, v7, vcc
	v_cndmask_b32_e64 v7, 0, v7, s[2:3]
	v_mul_f32_e32 v11, 0x3f317217, v3
	v_mul_f32_e32 v13, 0x3f317217, v2
	v_fma_f32 v11, v3, s5, -v11
	v_fma_f32 v13, v2, s5, -v13
	v_fmac_f32_e32 v11, 0x3377d1cf, v3
	v_fmac_f32_e32 v13, 0x3377d1cf, v2
	;; [unrolled: 1-line block ×3, first 2 shown]
	v_cmp_lt_f32_e64 vcc, |v3|, s9
	v_fmac_f32_e32 v13, 0x3f317217, v2
	s_nop 0
	v_cndmask_b32_e32 v3, v3, v11, vcc
	v_cmp_lt_f32_e64 vcc, |v2|, s9
	v_sub_f32_e32 v3, v3, v5
	s_nop 0
	v_cndmask_b32_e32 v2, v2, v13, vcc
	v_sub_f32_e32 v2, v2, v7
	v_cmp_lt_f16_e32 vcc, s4, v6
	s_nop 1
	v_cndmask_b32_e32 v2, v2, v9, vcc
	v_cmp_gt_f16_sdwa vcc, v6, s4 src0_sel:WORD_1 src1_sel:DWORD
	v_mul_f32_e32 v6, 0x4f800000, v2
	v_cmp_gt_f32_e64 s[2:3], s12, v2
	v_cndmask_b32_e32 v3, v3, v10, vcc
	v_mul_f32_e32 v5, 0x4f800000, v3
	v_cmp_gt_f32_e32 vcc, s12, v3
	v_cndmask_b32_e64 v6, v2, v6, s[2:3]
	v_sqrt_f32_e32 v9, v6
	v_cndmask_b32_e32 v5, v3, v5, vcc
	v_sqrt_f32_e32 v7, v5
	v_lshl_add_u64 v[2:3], v[0:1], 2, s[6:7]
	v_add_u32_e32 v13, -1, v9
	v_fma_f32 v17, -v13, v9, v6
	v_add_u32_e32 v10, -1, v7
	v_fma_f32 v15, -v10, v7, v5
	v_add_u32_e32 v11, 1, v7
	v_cmp_ge_f32_e64 s[4:5], 0, v15
	v_add_u32_e32 v14, 1, v9
	v_fma_f32 v16, -v11, v7, v5
	v_cndmask_b32_e64 v7, v7, v10, s[4:5]
	v_cmp_ge_f32_e64 s[4:5], 0, v17
	v_fma_f32 v18, -v14, v9, v6
	s_nop 0
	v_cndmask_b32_e64 v9, v9, v13, s[4:5]
	v_cmp_lt_f32_e64 s[4:5], 0, v16
	s_nop 1
	v_cndmask_b32_e64 v7, v7, v11, s[4:5]
	v_cmp_lt_f32_e64 s[4:5], 0, v18
	v_mul_f32_e32 v10, 0x37800000, v7
	v_cndmask_b32_e32 v7, v7, v10, vcc
	v_cndmask_b32_e64 v9, v9, v14, s[4:5]
	v_mul_f32_e32 v11, 0x37800000, v9
	v_cmp_class_f32_e32 vcc, v5, v8
	v_cndmask_b32_e64 v9, v9, v11, s[2:3]
	s_nop 0
	v_cndmask_b32_e32 v10, v7, v5, vcc
	v_cmp_class_f32_e32 vcc, v6, v8
	s_nop 1
	v_cndmask_b32_e32 v11, v9, v6, vcc
	s_cbranch_scc1 .LBB184_29
; %bb.2:
	s_load_dwordx2 s[2:3], s[0:1], 0x20
	s_cmp_lt_u32 s16, 4
	s_cbranch_scc1 .LBB184_21
; %bb.3:
	s_mov_b32 s5, 0
	s_and_b32 s8, s16, 0x7ffffffc
	v_ashrrev_i32_e32 v5, 31, v4
	v_mov_b32_e32 v12, 0
	s_mov_b32 s4, s5
	s_branch .LBB184_5
.LBB184_4:                              ;   in Loop: Header=BB184_5 Depth=1
	s_or_b64 exec, exec, s[12:13]
	s_add_i32 s4, s4, 4
	s_cmp_eq_u32 s4, s8
	s_cbranch_scc1 .LBB184_22
.LBB184_5:                              ; =>This Loop Header: Depth=1
                                        ;     Child Loop BB184_7 Depth 2
                                        ;     Child Loop BB184_11 Depth 2
	;; [unrolled: 1-line block ×4, first 2 shown]
	v_lshl_add_u64 v[6:7], s[4:5], 2, v[2:3]
	global_load_dword v13, v[6:7], off
	v_add_u32_e32 v8, s4, v4
	v_ashrrev_i32_e32 v9, 31, v8
	s_mov_b64 s[12:13], 0
	s_waitcnt lgkmcnt(0)
	v_lshl_add_u64 v[8:9], v[8:9], 2, s[2:3]
	s_mov_b32 s9, 0
	s_waitcnt vmcnt(0)
	v_cmp_eq_u32_e32 vcc, 0, v13
	s_nop 1
	v_cndmask_b32_e64 v14, 2, 1, vcc
	v_cmp_eq_u32_e32 vcc, 1, v13
	s_nop 1
	v_cndmask_b32_e32 v15, v11, v10, vcc
	s_branch .LBB184_7
.LBB184_6:                              ;   in Loop: Header=BB184_7 Depth=2
	s_or_b64 exec, exec, s[14:15]
	s_add_i32 s9, s9, 1
	v_cmp_eq_u32_e32 vcc, s9, v14
	s_or_b64 s[12:13], vcc, s[12:13]
	s_andn2_b64 exec, exec, s[12:13]
	s_cbranch_execz .LBB184_9
.LBB184_7:                              ;   Parent Loop BB184_5 Depth=1
                                        ; =>  This Inner Loop Header: Depth=2
	v_cmp_eq_u32_e32 vcc, s9, v13
	s_and_saveexec_b64 s[14:15], vcc
	s_cbranch_execz .LBB184_6
; %bb.8:                                ;   in Loop: Header=BB184_7 Depth=2
	v_add_f32_e32 v12, v12, v15
	global_store_dword v[8:9], v13, off
	s_branch .LBB184_6
.LBB184_9:                              ;   in Loop: Header=BB184_5 Depth=1
	s_or_b64 exec, exec, s[12:13]
	global_load_dword v13, v[6:7], off offset:4
	s_ashr_i32 s13, s4, 31
	s_mov_b32 s12, s4
	v_lshl_add_u64 v[8:9], s[12:13], 0, v[4:5]
	s_mov_b32 s9, 0
	v_lshl_add_u64 v[8:9], v[8:9], 2, s[2:3]
	s_mov_b64 s[12:13], 0
	s_waitcnt vmcnt(0)
	v_cmp_eq_u32_e32 vcc, 0, v13
	s_nop 1
	v_cndmask_b32_e64 v14, 2, 1, vcc
	v_cmp_eq_u32_e32 vcc, 1, v13
	s_nop 1
	v_cndmask_b32_e32 v15, v11, v10, vcc
	s_branch .LBB184_11
.LBB184_10:                             ;   in Loop: Header=BB184_11 Depth=2
	s_or_b64 exec, exec, s[14:15]
	s_add_i32 s9, s9, 1
	v_cmp_eq_u32_e32 vcc, s9, v14
	s_or_b64 s[12:13], vcc, s[12:13]
	s_andn2_b64 exec, exec, s[12:13]
	s_cbranch_execz .LBB184_13
.LBB184_11:                             ;   Parent Loop BB184_5 Depth=1
                                        ; =>  This Inner Loop Header: Depth=2
	v_cmp_eq_u32_e32 vcc, s9, v13
	s_and_saveexec_b64 s[14:15], vcc
	s_cbranch_execz .LBB184_10
; %bb.12:                               ;   in Loop: Header=BB184_11 Depth=2
	v_add_f32_e32 v12, v12, v15
	global_store_dword v[8:9], v13, off offset:4
	s_branch .LBB184_10
.LBB184_13:                             ;   in Loop: Header=BB184_5 Depth=1
	s_or_b64 exec, exec, s[12:13]
	global_load_dword v13, v[6:7], off offset:8
	s_mov_b32 s9, 0
	s_mov_b64 s[12:13], 0
	s_waitcnt vmcnt(0)
	v_cmp_eq_u32_e32 vcc, 0, v13
	s_nop 1
	v_cndmask_b32_e64 v14, 2, 1, vcc
	v_cmp_eq_u32_e32 vcc, 1, v13
	s_nop 1
	v_cndmask_b32_e32 v15, v11, v10, vcc
	s_branch .LBB184_15
.LBB184_14:                             ;   in Loop: Header=BB184_15 Depth=2
	s_or_b64 exec, exec, s[14:15]
	s_add_i32 s9, s9, 1
	v_cmp_eq_u32_e32 vcc, s9, v14
	s_or_b64 s[12:13], vcc, s[12:13]
	s_andn2_b64 exec, exec, s[12:13]
	s_cbranch_execz .LBB184_17
.LBB184_15:                             ;   Parent Loop BB184_5 Depth=1
                                        ; =>  This Inner Loop Header: Depth=2
	v_cmp_eq_u32_e32 vcc, s9, v13
	s_and_saveexec_b64 s[14:15], vcc
	s_cbranch_execz .LBB184_14
; %bb.16:                               ;   in Loop: Header=BB184_15 Depth=2
	v_add_f32_e32 v12, v12, v15
	global_store_dword v[8:9], v13, off offset:8
	s_branch .LBB184_14
.LBB184_17:                             ;   in Loop: Header=BB184_5 Depth=1
	s_or_b64 exec, exec, s[12:13]
	global_load_dword v6, v[6:7], off offset:12
	s_mov_b32 s9, 0
	s_mov_b64 s[12:13], 0
	s_waitcnt vmcnt(0)
	v_cmp_eq_u32_e32 vcc, 0, v6
	s_nop 1
	v_cndmask_b32_e64 v7, 2, 1, vcc
	v_cmp_eq_u32_e32 vcc, 1, v6
	s_nop 1
	v_cndmask_b32_e32 v13, v11, v10, vcc
	s_branch .LBB184_19
.LBB184_18:                             ;   in Loop: Header=BB184_19 Depth=2
	s_or_b64 exec, exec, s[14:15]
	s_add_i32 s9, s9, 1
	v_cmp_eq_u32_e32 vcc, s9, v7
	s_or_b64 s[12:13], vcc, s[12:13]
	s_andn2_b64 exec, exec, s[12:13]
	s_cbranch_execz .LBB184_4
.LBB184_19:                             ;   Parent Loop BB184_5 Depth=1
                                        ; =>  This Inner Loop Header: Depth=2
	v_cmp_eq_u32_e32 vcc, s9, v6
	s_and_saveexec_b64 s[14:15], vcc
	s_cbranch_execz .LBB184_18
; %bb.20:                               ;   in Loop: Header=BB184_19 Depth=2
	v_add_f32_e32 v12, v12, v13
	global_store_dword v[8:9], v6, off offset:12
	s_branch .LBB184_18
.LBB184_21:
	v_mov_b32_e32 v12, 0
.LBB184_22:
	s_and_b32 s14, s16, 3
	s_cmp_eq_u32 s14, 0
	s_mov_b32 s9, 0
	s_cbranch_scc1 .LBB184_29
; %bb.23:
	s_mov_b32 s15, s9
	s_branch .LBB184_25
.LBB184_24:                             ;   in Loop: Header=BB184_25 Depth=1
	s_or_b64 exec, exec, s[4:5]
	s_add_i32 s8, s8, 1
	s_add_i32 s15, s15, 1
	s_cmp_lg_u32 s15, s14
	s_cbranch_scc0 .LBB184_29
.LBB184_25:                             ; =>This Loop Header: Depth=1
                                        ;     Child Loop BB184_27 Depth 2
	v_lshl_add_u64 v[6:7], s[8:9], 2, v[2:3]
	global_load_dword v5, v[6:7], off
	v_add_u32_e32 v6, s8, v4
	v_ashrrev_i32_e32 v7, 31, v6
	s_mov_b32 s17, 0
	s_waitcnt lgkmcnt(0)
	v_lshl_add_u64 v[6:7], v[6:7], 2, s[2:3]
	s_mov_b64 s[4:5], 0
	s_waitcnt vmcnt(0)
	v_cmp_eq_u32_e32 vcc, 0, v5
	s_nop 1
	v_cndmask_b32_e64 v8, 2, 1, vcc
	v_cmp_eq_u32_e32 vcc, 1, v5
	s_nop 1
	v_cndmask_b32_e32 v9, v11, v10, vcc
	s_branch .LBB184_27
.LBB184_26:                             ;   in Loop: Header=BB184_27 Depth=2
	s_or_b64 exec, exec, s[12:13]
	s_add_i32 s17, s17, 1
	v_cmp_eq_u32_e32 vcc, s17, v8
	s_or_b64 s[4:5], vcc, s[4:5]
	s_andn2_b64 exec, exec, s[4:5]
	s_cbranch_execz .LBB184_24
.LBB184_27:                             ;   Parent Loop BB184_25 Depth=1
                                        ; =>  This Inner Loop Header: Depth=2
	v_cmp_eq_u32_e32 vcc, s17, v5
	s_and_saveexec_b64 s[12:13], vcc
	s_cbranch_execz .LBB184_26
; %bb.28:                               ;   in Loop: Header=BB184_27 Depth=2
	v_add_f32_e32 v12, v12, v9
	global_store_dword v[6:7], v5, off
	s_branch .LBB184_26
.LBB184_29:
	s_load_dword s4, s[0:1], 0x3c
	s_waitcnt lgkmcnt(0)
	s_load_dwordx2 s[2:3], s[0:1], 0x40
	s_bitcmp1_b32 s4, 0
	s_cselect_b64 s[4:5], -1, 0
	s_waitcnt lgkmcnt(0)
	v_cvt_f32_f64_e32 v13, s[2:3]
	s_and_b64 vcc, exec, s[4:5]
	s_cbranch_vccz .LBB184_31
; %bb.30:
	v_cmp_lt_f32_e32 vcc, 0, v12
	s_nop 1
	v_cndmask_b32_e32 v5, 1.0, v12, vcc
	v_div_scale_f32 v6, s[2:3], v5, v5, v13
	v_rcp_f32_e32 v7, v6
	s_nop 0
	v_fma_f32 v8, -v6, v7, 1.0
	v_fmac_f32_e32 v7, v8, v7
	v_div_scale_f32 v8, vcc, v13, v5, v13
	v_mul_f32_e32 v9, v8, v7
	v_fma_f32 v12, -v6, v9, v8
	v_fmac_f32_e32 v9, v12, v7
	v_fma_f32 v6, -v6, v9, v8
	v_div_fmas_f32 v6, v6, v7, v9
	v_div_fixup_f32 v13, v6, v5, v13
.LBB184_31:
	s_andn2_b64 vcc, exec, s[10:11]
	s_cbranch_vccnz .LBB184_56
; %bb.32:
	s_load_dwordx2 s[0:1], s[0:1], 0x10
	s_cmp_lt_u32 s16, 8
	s_mov_b32 s2, 0
	s_cbranch_scc1 .LBB184_51
; %bb.33:
	v_ashrrev_i32_e32 v5, 31, v4
	s_and_b32 s2, s16, 0x7ffffff8
	s_waitcnt lgkmcnt(0)
	v_lshl_add_u64 v[6:7], v[4:5], 2, s[0:1]
	s_mov_b32 s3, 0
	s_mov_b64 s[4:5], 0
	s_branch .LBB184_35
.LBB184_34:                             ;   in Loop: Header=BB184_35 Depth=1
	s_or_b64 exec, exec, s[8:9]
	s_add_i32 s3, s3, 8
	s_add_u32 s4, s4, 32
	s_addc_u32 s5, s5, 0
	s_cmp_lg_u32 s2, s3
	s_cbranch_scc0 .LBB184_51
.LBB184_35:                             ; =>This Inner Loop Header: Depth=1
	v_lshl_add_u64 v[8:9], v[2:3], 0, s[4:5]
	global_load_dword v5, v[8:9], off
	s_waitcnt vmcnt(0)
	v_cmp_gt_u32_e32 vcc, 2, v5
	s_and_saveexec_b64 s[8:9], vcc
	s_cbranch_execz .LBB184_37
; %bb.36:                               ;   in Loop: Header=BB184_35 Depth=1
	v_add_u32_e32 v14, s3, v4
	v_cmp_eq_u32_e32 vcc, 1, v5
	v_ashrrev_i32_e32 v15, 31, v14
	v_lshl_add_u64 v[14:15], v[14:15], 2, s[0:1]
	v_cndmask_b32_e32 v5, v11, v10, vcc
	v_mul_f32_e32 v5, v13, v5
	global_store_dword v[14:15], v5, off
.LBB184_37:                             ;   in Loop: Header=BB184_35 Depth=1
	s_or_b64 exec, exec, s[8:9]
	global_load_dword v5, v[8:9], off offset:4
	s_waitcnt vmcnt(0)
	v_cmp_gt_u32_e32 vcc, 2, v5
	s_and_saveexec_b64 s[8:9], vcc
	s_cbranch_execz .LBB184_39
; %bb.38:                               ;   in Loop: Header=BB184_35 Depth=1
	v_cmp_eq_u32_e32 vcc, 1, v5
	v_lshl_add_u64 v[14:15], v[6:7], 0, s[4:5]
	s_nop 0
	v_cndmask_b32_e32 v5, v11, v10, vcc
	v_mul_f32_e32 v5, v13, v5
	global_store_dword v[14:15], v5, off offset:4
.LBB184_39:                             ;   in Loop: Header=BB184_35 Depth=1
	s_or_b64 exec, exec, s[8:9]
	global_load_dword v5, v[8:9], off offset:8
	s_waitcnt vmcnt(0)
	v_cmp_gt_u32_e32 vcc, 2, v5
	s_and_saveexec_b64 s[8:9], vcc
	s_cbranch_execz .LBB184_41
; %bb.40:                               ;   in Loop: Header=BB184_35 Depth=1
	v_cmp_eq_u32_e32 vcc, 1, v5
	v_lshl_add_u64 v[14:15], v[6:7], 0, s[4:5]
	s_nop 0
	v_cndmask_b32_e32 v5, v11, v10, vcc
	v_mul_f32_e32 v5, v13, v5
	global_store_dword v[14:15], v5, off offset:8
.LBB184_41:                             ;   in Loop: Header=BB184_35 Depth=1
	;; [unrolled: 14-line block ×6, first 2 shown]
	s_or_b64 exec, exec, s[8:9]
	global_load_dword v5, v[8:9], off offset:28
	s_waitcnt vmcnt(0)
	v_cmp_gt_u32_e32 vcc, 2, v5
	s_and_saveexec_b64 s[8:9], vcc
	s_cbranch_execz .LBB184_34
; %bb.50:                               ;   in Loop: Header=BB184_35 Depth=1
	v_cmp_eq_u32_e32 vcc, 1, v5
	v_lshl_add_u64 v[8:9], v[6:7], 0, s[4:5]
	s_nop 0
	v_cndmask_b32_e32 v5, v11, v10, vcc
	v_mul_f32_e32 v5, v13, v5
	global_store_dword v[8:9], v5, off offset:28
	s_branch .LBB184_34
.LBB184_51:
	s_and_b32 s4, s16, 7
	s_cmp_eq_u32 s4, 0
	s_mov_b32 s3, 0
	s_cbranch_scc1 .LBB184_56
; %bb.52:
	v_add_u32_e32 v2, s2, v4
	s_lshl_b64 s[2:3], s[2:3], 2
	s_add_u32 s2, s6, s2
	s_addc_u32 s3, s7, s3
	v_lshl_add_u64 v[0:1], v[0:1], 2, s[2:3]
	s_branch .LBB184_54
.LBB184_53:                             ;   in Loop: Header=BB184_54 Depth=1
	s_or_b64 exec, exec, s[2:3]
	s_add_i32 s4, s4, -1
	v_add_u32_e32 v2, 1, v2
	s_cmp_lg_u32 s4, 0
	v_lshl_add_u64 v[0:1], v[0:1], 0, 4
	s_cbranch_scc0 .LBB184_56
.LBB184_54:                             ; =>This Inner Loop Header: Depth=1
	global_load_dword v3, v[0:1], off
	s_waitcnt vmcnt(0)
	v_cmp_gt_u32_e32 vcc, 2, v3
	s_and_saveexec_b64 s[2:3], vcc
	s_cbranch_execz .LBB184_53
; %bb.55:                               ;   in Loop: Header=BB184_54 Depth=1
	v_cmp_eq_u32_e32 vcc, 1, v3
	s_nop 1
	v_cndmask_b32_e32 v3, v11, v10, vcc
	v_mul_f32_e32 v6, v13, v3
	v_ashrrev_i32_e32 v3, 31, v2
	s_waitcnt lgkmcnt(0)
	v_lshl_add_u64 v[4:5], v[2:3], 2, s[0:1]
	global_store_dword v[4:5], v6, off
	s_branch .LBB184_53
.LBB184_56:
	s_endpgm
	.section	.rodata,"a",@progbits
	.p2align	6, 0x0
	.amdhsa_kernel _ZN4vllm3moe22topkGatingSoftplusSqrtILi2ELi2ELi4ELi4ELi64ELb1Ei6__halfEEvPKT6_PKbPfiPT5_PiiiibdPKfPKS9_SF_
		.amdhsa_group_segment_fixed_size 0
		.amdhsa_private_segment_fixed_size 0
		.amdhsa_kernarg_size 96
		.amdhsa_user_sgpr_count 2
		.amdhsa_user_sgpr_dispatch_ptr 0
		.amdhsa_user_sgpr_queue_ptr 0
		.amdhsa_user_sgpr_kernarg_segment_ptr 1
		.amdhsa_user_sgpr_dispatch_id 0
		.amdhsa_user_sgpr_kernarg_preload_length 0
		.amdhsa_user_sgpr_kernarg_preload_offset 0
		.amdhsa_user_sgpr_private_segment_size 0
		.amdhsa_uses_dynamic_stack 0
		.amdhsa_enable_private_segment 0
		.amdhsa_system_sgpr_workgroup_id_x 1
		.amdhsa_system_sgpr_workgroup_id_y 0
		.amdhsa_system_sgpr_workgroup_id_z 0
		.amdhsa_system_sgpr_workgroup_info 0
		.amdhsa_system_vgpr_workitem_id 1
		.amdhsa_next_free_vgpr 19
		.amdhsa_next_free_sgpr 18
		.amdhsa_accum_offset 20
		.amdhsa_reserve_vcc 1
		.amdhsa_float_round_mode_32 0
		.amdhsa_float_round_mode_16_64 0
		.amdhsa_float_denorm_mode_32 3
		.amdhsa_float_denorm_mode_16_64 3
		.amdhsa_dx10_clamp 1
		.amdhsa_ieee_mode 1
		.amdhsa_fp16_overflow 0
		.amdhsa_tg_split 0
		.amdhsa_exception_fp_ieee_invalid_op 0
		.amdhsa_exception_fp_denorm_src 0
		.amdhsa_exception_fp_ieee_div_zero 0
		.amdhsa_exception_fp_ieee_overflow 0
		.amdhsa_exception_fp_ieee_underflow 0
		.amdhsa_exception_fp_ieee_inexact 0
		.amdhsa_exception_int_div_zero 0
	.end_amdhsa_kernel
	.section	.text._ZN4vllm3moe22topkGatingSoftplusSqrtILi2ELi2ELi4ELi4ELi64ELb1Ei6__halfEEvPKT6_PKbPfiPT5_PiiiibdPKfPKS9_SF_,"axG",@progbits,_ZN4vllm3moe22topkGatingSoftplusSqrtILi2ELi2ELi4ELi4ELi64ELb1Ei6__halfEEvPKT6_PKbPfiPT5_PiiiibdPKfPKS9_SF_,comdat
.Lfunc_end184:
	.size	_ZN4vllm3moe22topkGatingSoftplusSqrtILi2ELi2ELi4ELi4ELi64ELb1Ei6__halfEEvPKT6_PKbPfiPT5_PiiiibdPKfPKS9_SF_, .Lfunc_end184-_ZN4vllm3moe22topkGatingSoftplusSqrtILi2ELi2ELi4ELi4ELi64ELb1Ei6__halfEEvPKT6_PKbPfiPT5_PiiiibdPKfPKS9_SF_
                                        ; -- End function
	.section	.AMDGPU.csdata,"",@progbits
; Kernel info:
; codeLenInByte = 2284
; NumSgprs: 24
; NumVgprs: 19
; NumAgprs: 0
; TotalNumVgprs: 19
; ScratchSize: 0
; MemoryBound: 0
; FloatMode: 240
; IeeeMode: 1
; LDSByteSize: 0 bytes/workgroup (compile time only)
; SGPRBlocks: 2
; VGPRBlocks: 2
; NumSGPRsForWavesPerEU: 24
; NumVGPRsForWavesPerEU: 19
; AccumOffset: 20
; Occupancy: 8
; WaveLimiterHint : 1
; COMPUTE_PGM_RSRC2:SCRATCH_EN: 0
; COMPUTE_PGM_RSRC2:USER_SGPR: 2
; COMPUTE_PGM_RSRC2:TRAP_HANDLER: 0
; COMPUTE_PGM_RSRC2:TGID_X_EN: 1
; COMPUTE_PGM_RSRC2:TGID_Y_EN: 0
; COMPUTE_PGM_RSRC2:TGID_Z_EN: 0
; COMPUTE_PGM_RSRC2:TIDIG_COMP_CNT: 1
; COMPUTE_PGM_RSRC3_GFX90A:ACCUM_OFFSET: 4
; COMPUTE_PGM_RSRC3_GFX90A:TG_SPLIT: 0
	.section	.text._ZN4vllm3moe22topkGatingSoftplusSqrtILi2ELi2ELi4ELi4ELi64ELb0Ei6__halfEEvPKT6_PKbPfiPT5_PiiiibdPKfPKS9_SF_,"axG",@progbits,_ZN4vllm3moe22topkGatingSoftplusSqrtILi2ELi2ELi4ELi4ELi64ELb0Ei6__halfEEvPKT6_PKbPfiPT5_PiiiibdPKfPKS9_SF_,comdat
	.protected	_ZN4vllm3moe22topkGatingSoftplusSqrtILi2ELi2ELi4ELi4ELi64ELb0Ei6__halfEEvPKT6_PKbPfiPT5_PiiiibdPKfPKS9_SF_ ; -- Begin function _ZN4vllm3moe22topkGatingSoftplusSqrtILi2ELi2ELi4ELi4ELi64ELb0Ei6__halfEEvPKT6_PKbPfiPT5_PiiiibdPKfPKS9_SF_
	.globl	_ZN4vllm3moe22topkGatingSoftplusSqrtILi2ELi2ELi4ELi4ELi64ELb0Ei6__halfEEvPKT6_PKbPfiPT5_PiiiibdPKfPKS9_SF_
	.p2align	8
	.type	_ZN4vllm3moe22topkGatingSoftplusSqrtILi2ELi2ELi4ELi4ELi64ELb0Ei6__halfEEvPKT6_PKbPfiPT5_PiiiibdPKfPKS9_SF_,@function
_ZN4vllm3moe22topkGatingSoftplusSqrtILi2ELi2ELi4ELi4ELi64ELb0Ei6__halfEEvPKT6_PKbPfiPT5_PiiiibdPKfPKS9_SF_: ; @_ZN4vllm3moe22topkGatingSoftplusSqrtILi2ELi2ELi4ELi4ELi64ELb0Ei6__halfEEvPKT6_PKbPfiPT5_PiiiibdPKfPKS9_SF_
; %bb.0:
	s_load_dword s24, s[0:1], 0x18
	v_bfe_u32 v1, v0, 10, 10
	s_lshl_b32 s2, s2, 8
	v_lshlrev_b32_e32 v1, 6, v1
	v_and_b32_e32 v0, 0x3ff, v0
	v_add3_u32 v0, v1, v0, s2
	s_waitcnt lgkmcnt(0)
	v_cmp_gt_i32_e32 vcc, s24, v0
	s_and_saveexec_b64 s[2:3], vcc
	s_cbranch_execz .LBB185_28
; %bb.1:
	s_load_dwordx4 s[4:7], s[0:1], 0x0
	s_load_dwordx2 s[16:17], s[0:1], 0x10
	s_waitcnt lgkmcnt(0)
	s_cmp_eq_u64 s[6:7], 0
	s_cbranch_scc1 .LBB185_3
; %bb.2:
	v_ashrrev_i32_e32 v1, 31, v0
	v_lshl_add_u64 v[2:3], s[6:7], 0, v[0:1]
	global_load_ubyte v1, v[2:3], off
	s_waitcnt vmcnt(0)
	v_and_b32_e32 v1, 1, v1
	v_cmp_eq_u32_e32 vcc, 1, v1
	s_xor_b64 s[2:3], vcc, -1
	s_orn2_b64 s[18:19], s[2:3], exec
	s_branch .LBB185_4
.LBB185_3:
	s_mov_b64 s[18:19], -1
.LBB185_4:
	v_lshlrev_b32_e32 v4, 1, v0
	v_mov_b32_e32 v2, s4
	v_mov_b32_e32 v3, s5
	v_ashrrev_i32_e32 v5, 31, v4
	v_lshl_add_u64 v[2:3], v[4:5], 1, v[2:3]
	global_load_dword v1, v[2:3], off
	s_mov_b32 s13, 0x800000
	v_mov_b32_e32 v3, 0x4f800000
	s_mov_b32 s7, 0x3f317217
	s_mov_b32 s12, 0x7f800000
	v_mov_b32_e32 v5, 0x41b17218
	s_movk_i32 s6, 0x4d00
	s_mov_b32 s14, 0xf800000
	s_load_dwordx4 s[8:11], s[0:1], 0x40
	s_waitcnt lgkmcnt(0)
	s_cmp_lg_u64 s[10:11], 0
	s_cselect_b64 s[20:21], -1, 0
	s_and_b64 s[2:3], exec, s[20:21]
	s_waitcnt vmcnt(0)
	v_cvt_f32_f16_e32 v4, v1
	v_mul_f32_e32 v2, 0x3fb8aa3b, v4
	v_exp_f32_e32 v2, v2
	s_nop 0
	v_add_f32_e32 v2, 1.0, v2
	v_cmp_gt_f32_e32 vcc, s13, v2
	s_nop 1
	v_cndmask_b32_e32 v6, 1.0, v3, vcc
	v_mul_f32_e32 v2, v2, v6
	v_log_f32_e32 v6, v2
	v_cndmask_b32_e32 v7, 0, v5, vcc
	v_mov_b32_e32 v2, 0x260
	v_mul_f32_e32 v8, 0x3f317217, v6
	v_fma_f32 v8, v6, s7, -v8
	v_fmac_f32_e32 v8, 0x3377d1cf, v6
	v_fmac_f32_e32 v8, 0x3f317217, v6
	v_cmp_lt_f32_e64 vcc, |v6|, s12
	s_nop 1
	v_cndmask_b32_e32 v6, v6, v8, vcc
	v_sub_f32_e32 v6, v6, v7
	v_cmp_lt_f16_e32 vcc, s6, v1
	s_nop 1
	v_cndmask_b32_e32 v4, v6, v4, vcc
	v_mul_f32_e32 v6, 0x4f800000, v4
	v_cmp_gt_f32_e32 vcc, s14, v4
	s_nop 1
	v_cndmask_b32_e32 v4, v4, v6, vcc
	v_sqrt_f32_e32 v6, v4
	s_nop 0
	v_add_u32_e32 v7, -1, v6
	v_add_u32_e32 v8, 1, v6
	v_fma_f32 v9, -v7, v6, v4
	v_fma_f32 v10, -v8, v6, v4
	v_cmp_ge_f32_e64 s[4:5], 0, v9
	s_nop 1
	v_cndmask_b32_e64 v6, v6, v7, s[4:5]
	v_cmp_lt_f32_e64 s[4:5], 0, v10
	s_nop 1
	v_cndmask_b32_e64 v6, v6, v8, s[4:5]
	v_mul_f32_e32 v7, 0x37800000, v6
	v_cndmask_b32_e32 v6, v6, v7, vcc
	v_cmp_class_f32_e32 vcc, v4, v2
	s_nop 1
	v_cndmask_b32_e32 v4, v6, v4, vcc
	s_mov_b64 vcc, s[2:3]
	s_cbranch_vccz .LBB185_6
; %bb.5:
	s_load_dword s2, s[10:11], 0x0
	s_waitcnt lgkmcnt(0)
	v_add_f32_e32 v4, s2, v4
.LBB185_6:
	v_cvt_f32_f16_sdwa v6, v1 dst_sel:DWORD dst_unused:UNUSED_PAD src0_sel:WORD_1
	v_mul_f32_e32 v7, 0x3fb8aa3b, v6
	v_exp_f32_e32 v7, v7
	s_nop 0
	v_add_f32_e32 v7, 1.0, v7
	v_cmp_gt_f32_e32 vcc, s13, v7
	s_nop 1
	v_cndmask_b32_e32 v3, 1.0, v3, vcc
	v_mul_f32_e32 v3, v7, v3
	v_log_f32_e32 v3, v3
	v_cndmask_b32_e32 v5, 0, v5, vcc
	v_mul_f32_e32 v7, 0x3f317217, v3
	v_fma_f32 v7, v3, s7, -v7
	v_fmac_f32_e32 v7, 0x3377d1cf, v3
	v_fmac_f32_e32 v7, 0x3f317217, v3
	v_cmp_lt_f32_e64 vcc, |v3|, s12
	s_nop 1
	v_cndmask_b32_e32 v3, v3, v7, vcc
	v_sub_f32_e32 v3, v3, v5
	v_cmp_gt_f16_sdwa vcc, v1, s6 src0_sel:WORD_1 src1_sel:DWORD
	s_nop 1
	v_cndmask_b32_e32 v1, v3, v6, vcc
	v_mul_f32_e32 v3, 0x4f800000, v1
	v_cmp_gt_f32_e64 s[2:3], s14, v1
	s_andn2_b64 vcc, exec, s[20:21]
	s_nop 0
	v_cndmask_b32_e64 v1, v1, v3, s[2:3]
	v_sqrt_f32_e32 v3, v1
	s_nop 0
	v_add_u32_e32 v5, -1, v3
	v_add_u32_e32 v6, 1, v3
	v_fma_f32 v7, -v5, v3, v1
	v_fma_f32 v8, -v6, v3, v1
	v_cmp_ge_f32_e64 s[4:5], 0, v7
	s_nop 1
	v_cndmask_b32_e64 v3, v3, v5, s[4:5]
	v_cmp_lt_f32_e64 s[4:5], 0, v8
	s_nop 1
	v_cndmask_b32_e64 v3, v3, v6, s[4:5]
	v_mul_f32_e32 v5, 0x37800000, v3
	v_cndmask_b32_e64 v3, v3, v5, s[2:3]
	v_cmp_class_f32_e64 s[2:3], v1, v2
	s_nop 1
	v_cndmask_b32_e64 v1, v3, v1, s[2:3]
	s_cbranch_vccnz .LBB185_8
; %bb.7:
	s_load_dword s2, s[10:11], 0x4
	s_waitcnt lgkmcnt(0)
	v_add_f32_e32 v1, s2, v1
.LBB185_8:
	s_load_dwordx4 s[4:7], s[0:1], 0x30
	s_mov_b32 s25, 0
	s_waitcnt lgkmcnt(0)
	s_bitcmp1_b32 s7, 0
	s_cselect_b64 s[2:3], -1, 0
	s_cmp_gt_i32 s4, 0
	s_cselect_b64 s[22:23], -1, 0
	s_and_b64 vcc, exec, s[22:23]
	v_mul_lo_u32 v2, v0, s4
	s_cbranch_vccz .LBB185_15
; %bb.9:
	s_load_dwordx4 s[12:15], s[0:1], 0x20
	v_mov_b32_e32 v3, 0
	v_mov_b32_e32 v5, 0xc61c4000
	s_branch .LBB185_11
.LBB185_10:                             ;   in Loop: Header=BB185_11 Depth=1
	v_add_u32_e32 v8, s25, v2
	v_ashrrev_i32_e32 v9, 31, v8
	v_cmp_le_i32_e32 vcc, s5, v6
	v_cmp_gt_i32_e64 s[0:1], s6, v6
	v_lshlrev_b64 v[8:9], 2, v[8:9]
	s_and_b64 s[0:1], vcc, s[0:1]
	v_lshl_add_u64 v[10:11], s[16:17], 0, v[8:9]
	global_store_dword v[10:11], v7, off
	v_subrev_u32_e32 v10, s5, v6
	s_and_b64 vcc, s[18:19], s[0:1]
	v_cndmask_b32_e32 v12, 2, v10, vcc
	v_add_f32_e32 v7, v3, v7
	s_add_i32 s25, s25, 1
	v_cmp_ne_u32_e32 vcc, 0, v6
	v_cndmask_b32_e64 v3, v3, v7, s[2:3]
	s_cmp_lt_i32 s25, s4
	v_cndmask_b32_e32 v7, v5, v4, vcc
	v_cmp_ne_u32_e32 vcc, 1, v6
	s_waitcnt lgkmcnt(0)
	v_lshl_add_u64 v[10:11], s[12:13], 0, v[8:9]
	v_lshl_add_u64 v[8:9], s[14:15], 0, v[8:9]
	v_cndmask_b32_e32 v6, v5, v1, vcc
	s_cselect_b64 vcc, -1, 0
	global_store_dword v[10:11], v12, off
	global_store_dword v[8:9], v0, off
	v_cndmask_b32_e32 v1, v1, v6, vcc
	v_cndmask_b32_e32 v4, v4, v7, vcc
	s_cmp_lg_u32 s4, s25
	v_add_u32_e32 v0, s24, v0
	s_cbranch_scc0 .LBB185_16
.LBB185_11:                             ; =>This Inner Loop Header: Depth=1
	v_cmp_gt_f32_e32 vcc, v1, v4
	s_and_b64 s[0:1], exec, s[20:21]
	s_nop 0
	v_cndmask_b32_e32 v8, v4, v1, vcc
	v_cndmask_b32_e64 v6, 0, 1, vcc
	s_mov_b64 vcc, s[0:1]
	s_cbranch_vccz .LBB185_13
; %bb.12:                               ;   in Loop: Header=BB185_11 Depth=1
	v_lshlrev_b32_e32 v7, 2, v6
	global_load_dword v7, v7, s[10:11]
	s_waitcnt vmcnt(0)
	v_sub_f32_e32 v7, v8, v7
	s_cbranch_execnz .LBB185_10
	s_branch .LBB185_14
.LBB185_13:                             ;   in Loop: Header=BB185_11 Depth=1
                                        ; implicit-def: $vgpr7
.LBB185_14:                             ;   in Loop: Header=BB185_11 Depth=1
	v_mov_b32_e32 v7, v8
	s_branch .LBB185_10
.LBB185_15:
	v_mov_b32_e32 v3, 0
.LBB185_16:
	s_andn2_b64 vcc, exec, s[2:3]
	v_cvt_f32_f64_e32 v0, s[8:9]
	s_cbranch_vccnz .LBB185_18
; %bb.17:
	v_cmp_lt_f32_e32 vcc, 0, v3
	s_nop 1
	v_cndmask_b32_e32 v1, 1.0, v3, vcc
	v_div_scale_f32 v3, s[0:1], v1, v1, v0
	v_rcp_f32_e32 v4, v3
	s_nop 0
	v_fma_f32 v5, -v3, v4, 1.0
	v_fmac_f32_e32 v4, v5, v4
	v_div_scale_f32 v5, vcc, v0, v1, v0
	v_mul_f32_e32 v6, v5, v4
	v_fma_f32 v7, -v3, v6, v5
	v_fmac_f32_e32 v6, v7, v4
	v_fma_f32 v3, -v3, v6, v5
	v_div_fmas_f32 v3, v3, v4, v6
	v_div_fixup_f32 v0, v3, v1, v0
.LBB185_18:
	s_andn2_b64 vcc, exec, s[22:23]
	s_cbranch_vccnz .LBB185_28
; %bb.19:
	s_cmp_gt_u32 s4, 3
	v_ashrrev_i32_e32 v3, 31, v2
	s_cbranch_scc0 .LBB185_23
; %bb.20:
	s_and_b32 s0, s4, 0x7ffffffc
	v_lshl_add_u64 v[4:5], v[2:3], 2, s[16:17]
	v_mov_b32_e32 v1, v0
	v_lshl_add_u64 v[4:5], v[4:5], 0, 8
	s_mov_b32 s1, s0
.LBB185_21:                             ; =>This Inner Loop Header: Depth=1
	global_load_dwordx4 v[6:9], v[4:5], off offset:-8
	s_add_i32 s1, s1, -4
	s_cmp_lg_u32 s1, 0
	s_waitcnt vmcnt(0)
	v_pk_mul_f32 v[6:7], v[0:1], v[6:7]
	v_pk_mul_f32 v[8:9], v[0:1], v[8:9]
	global_store_dwordx4 v[4:5], v[6:9], off offset:-8
	v_lshl_add_u64 v[4:5], v[4:5], 0, 16
	s_cbranch_scc1 .LBB185_21
; %bb.22:
	s_cmp_lg_u32 s0, s4
	s_cselect_b64 s[2:3], -1, 0
	s_branch .LBB185_25
.LBB185_23:
	s_mov_b64 s[2:3], 0
                                        ; implicit-def: $sgpr0
	s_cbranch_execz .LBB185_25
; %bb.24:
	s_mov_b64 s[2:3], -1
	s_mov_b32 s0, 0
.LBB185_25:
	s_andn2_b64 vcc, exec, s[2:3]
	s_cbranch_vccnz .LBB185_28
; %bb.26:
	s_mov_b32 s1, 0
	v_lshl_add_u64 v[2:3], v[2:3], 0, s[0:1]
	s_sub_i32 s2, s4, s0
	v_lshl_add_u64 v[2:3], v[2:3], 2, s[16:17]
.LBB185_27:                             ; =>This Inner Loop Header: Depth=1
	global_load_dword v1, v[2:3], off
	s_add_i32 s2, s2, -1
	s_cmp_lg_u32 s2, 0
	s_waitcnt vmcnt(0)
	v_mul_f32_e32 v1, v0, v1
	global_store_dword v[2:3], v1, off
	v_lshl_add_u64 v[2:3], v[2:3], 0, 4
	s_cbranch_scc1 .LBB185_27
.LBB185_28:
	s_endpgm
	.section	.rodata,"a",@progbits
	.p2align	6, 0x0
	.amdhsa_kernel _ZN4vllm3moe22topkGatingSoftplusSqrtILi2ELi2ELi4ELi4ELi64ELb0Ei6__halfEEvPKT6_PKbPfiPT5_PiiiibdPKfPKS9_SF_
		.amdhsa_group_segment_fixed_size 0
		.amdhsa_private_segment_fixed_size 0
		.amdhsa_kernarg_size 96
		.amdhsa_user_sgpr_count 2
		.amdhsa_user_sgpr_dispatch_ptr 0
		.amdhsa_user_sgpr_queue_ptr 0
		.amdhsa_user_sgpr_kernarg_segment_ptr 1
		.amdhsa_user_sgpr_dispatch_id 0
		.amdhsa_user_sgpr_kernarg_preload_length 0
		.amdhsa_user_sgpr_kernarg_preload_offset 0
		.amdhsa_user_sgpr_private_segment_size 0
		.amdhsa_uses_dynamic_stack 0
		.amdhsa_enable_private_segment 0
		.amdhsa_system_sgpr_workgroup_id_x 1
		.amdhsa_system_sgpr_workgroup_id_y 0
		.amdhsa_system_sgpr_workgroup_id_z 0
		.amdhsa_system_sgpr_workgroup_info 0
		.amdhsa_system_vgpr_workitem_id 1
		.amdhsa_next_free_vgpr 13
		.amdhsa_next_free_sgpr 26
		.amdhsa_accum_offset 16
		.amdhsa_reserve_vcc 1
		.amdhsa_float_round_mode_32 0
		.amdhsa_float_round_mode_16_64 0
		.amdhsa_float_denorm_mode_32 3
		.amdhsa_float_denorm_mode_16_64 3
		.amdhsa_dx10_clamp 1
		.amdhsa_ieee_mode 1
		.amdhsa_fp16_overflow 0
		.amdhsa_tg_split 0
		.amdhsa_exception_fp_ieee_invalid_op 0
		.amdhsa_exception_fp_denorm_src 0
		.amdhsa_exception_fp_ieee_div_zero 0
		.amdhsa_exception_fp_ieee_overflow 0
		.amdhsa_exception_fp_ieee_underflow 0
		.amdhsa_exception_fp_ieee_inexact 0
		.amdhsa_exception_int_div_zero 0
	.end_amdhsa_kernel
	.section	.text._ZN4vllm3moe22topkGatingSoftplusSqrtILi2ELi2ELi4ELi4ELi64ELb0Ei6__halfEEvPKT6_PKbPfiPT5_PiiiibdPKfPKS9_SF_,"axG",@progbits,_ZN4vllm3moe22topkGatingSoftplusSqrtILi2ELi2ELi4ELi4ELi64ELb0Ei6__halfEEvPKT6_PKbPfiPT5_PiiiibdPKfPKS9_SF_,comdat
.Lfunc_end185:
	.size	_ZN4vllm3moe22topkGatingSoftplusSqrtILi2ELi2ELi4ELi4ELi64ELb0Ei6__halfEEvPKT6_PKbPfiPT5_PiiiibdPKfPKS9_SF_, .Lfunc_end185-_ZN4vllm3moe22topkGatingSoftplusSqrtILi2ELi2ELi4ELi4ELi64ELb0Ei6__halfEEvPKT6_PKbPfiPT5_PiiiibdPKfPKS9_SF_
                                        ; -- End function
	.section	.AMDGPU.csdata,"",@progbits
; Kernel info:
; codeLenInByte = 1400
; NumSgprs: 32
; NumVgprs: 13
; NumAgprs: 0
; TotalNumVgprs: 13
; ScratchSize: 0
; MemoryBound: 0
; FloatMode: 240
; IeeeMode: 1
; LDSByteSize: 0 bytes/workgroup (compile time only)
; SGPRBlocks: 3
; VGPRBlocks: 1
; NumSGPRsForWavesPerEU: 32
; NumVGPRsForWavesPerEU: 13
; AccumOffset: 16
; Occupancy: 8
; WaveLimiterHint : 0
; COMPUTE_PGM_RSRC2:SCRATCH_EN: 0
; COMPUTE_PGM_RSRC2:USER_SGPR: 2
; COMPUTE_PGM_RSRC2:TRAP_HANDLER: 0
; COMPUTE_PGM_RSRC2:TGID_X_EN: 1
; COMPUTE_PGM_RSRC2:TGID_Y_EN: 0
; COMPUTE_PGM_RSRC2:TGID_Z_EN: 0
; COMPUTE_PGM_RSRC2:TIDIG_COMP_CNT: 1
; COMPUTE_PGM_RSRC3_GFX90A:ACCUM_OFFSET: 3
; COMPUTE_PGM_RSRC3_GFX90A:TG_SPLIT: 0
	.section	.text._ZN4vllm3moe22topkGatingSoftplusSqrtILi2ELi2ELi4ELi4ELi32ELb1Ei6__halfEEvPKT6_PKbPfiPT5_PiiiibdPKfPKS9_SF_,"axG",@progbits,_ZN4vllm3moe22topkGatingSoftplusSqrtILi2ELi2ELi4ELi4ELi32ELb1Ei6__halfEEvPKT6_PKbPfiPT5_PiiiibdPKfPKS9_SF_,comdat
	.protected	_ZN4vllm3moe22topkGatingSoftplusSqrtILi2ELi2ELi4ELi4ELi32ELb1Ei6__halfEEvPKT6_PKbPfiPT5_PiiiibdPKfPKS9_SF_ ; -- Begin function _ZN4vllm3moe22topkGatingSoftplusSqrtILi2ELi2ELi4ELi4ELi32ELb1Ei6__halfEEvPKT6_PKbPfiPT5_PiiiibdPKfPKS9_SF_
	.globl	_ZN4vllm3moe22topkGatingSoftplusSqrtILi2ELi2ELi4ELi4ELi32ELb1Ei6__halfEEvPKT6_PKbPfiPT5_PiiiibdPKfPKS9_SF_
	.p2align	8
	.type	_ZN4vllm3moe22topkGatingSoftplusSqrtILi2ELi2ELi4ELi4ELi32ELb1Ei6__halfEEvPKT6_PKbPfiPT5_PiiiibdPKfPKS9_SF_,@function
_ZN4vllm3moe22topkGatingSoftplusSqrtILi2ELi2ELi4ELi4ELi32ELb1Ei6__halfEEvPKT6_PKbPfiPT5_PiiiibdPKfPKS9_SF_: ; @_ZN4vllm3moe22topkGatingSoftplusSqrtILi2ELi2ELi4ELi4ELi32ELb1Ei6__halfEEvPKT6_PKbPfiPT5_PiiiibdPKfPKS9_SF_
; %bb.0:
	s_load_dword s3, s[0:1], 0x18
	v_bfe_u32 v1, v0, 10, 10
	s_lshl_b32 s2, s2, 7
	v_lshlrev_b32_e32 v1, 5, v1
	v_and_b32_e32 v0, 0x3ff, v0
	v_add3_u32 v4, v1, v0, s2
	s_waitcnt lgkmcnt(0)
	v_cmp_gt_i32_e32 vcc, s3, v4
	s_and_saveexec_b64 s[2:3], vcc
	s_cbranch_execz .LBB186_56
; %bb.1:
	s_load_dwordx2 s[2:3], s[0:1], 0x0
	s_load_dword s16, s[0:1], 0x30
	v_lshlrev_b32_e32 v0, 1, v4
	v_ashrrev_i32_e32 v1, 31, v0
	s_load_dwordx4 s[4:7], s[0:1], 0x50
	s_waitcnt lgkmcnt(0)
	v_lshl_add_u64 v[0:1], v[0:1], 1, s[2:3]
	global_load_dword v6, v[0:1], off
	v_ashrrev_i32_e32 v5, 31, v4
	s_mov_b32 s2, 0x800000
	v_mov_b32_e32 v0, s4
	v_mov_b32_e32 v1, s5
	v_lshl_add_u64 v[0:1], v[4:5], 2, v[0:1]
	global_load_dword v0, v[0:1], off
	v_mov_b32_e32 v5, 0x4f800000
	s_mov_b32 s5, 0x3f317217
	s_mov_b32 s9, 0x7f800000
	v_mov_b32_e32 v7, 0x41b17218
	s_movk_i32 s4, 0x4d00
	s_mov_b32 s12, 0xf800000
	v_mov_b32_e32 v8, 0x260
	s_cmp_gt_i32 s16, 0
	s_mov_b32 s8, 0
	v_mov_b32_e32 v12, 0
	s_cselect_b64 s[10:11], -1, 0
	s_cmp_lt_i32 s16, 1
	v_mul_lo_u32 v4, v4, s16
	s_waitcnt vmcnt(1)
	v_cvt_f32_f16_e32 v9, v6
	v_cvt_f32_f16_sdwa v10, v6 dst_sel:DWORD dst_unused:UNUSED_PAD src0_sel:WORD_1
	v_mul_f32_e32 v1, 0x3fb8aa3b, v9
	v_mul_f32_e32 v3, 0x3fb8aa3b, v10
	v_exp_f32_e32 v2, v1
	v_exp_f32_e32 v3, v3
	s_waitcnt vmcnt(0)
	v_mul_lo_u32 v0, v0, s16
	v_ashrrev_i32_e32 v1, 31, v0
	v_pk_add_f32 v[2:3], v[2:3], 1.0 op_sel_hi:[1,0]
	s_nop 0
	v_cmp_gt_f32_e32 vcc, s2, v3
	v_cmp_gt_f32_e64 s[2:3], s2, v2
	s_nop 0
	v_cndmask_b32_e32 v11, 1.0, v5, vcc
	v_cndmask_b32_e64 v5, 1.0, v5, s[2:3]
	v_mul_f32_e32 v3, v3, v11
	v_mul_f32_e32 v2, v2, v5
	v_log_f32_e32 v3, v3
	v_log_f32_e32 v2, v2
	v_cndmask_b32_e32 v5, 0, v7, vcc
	v_cndmask_b32_e64 v7, 0, v7, s[2:3]
	v_mul_f32_e32 v11, 0x3f317217, v3
	v_mul_f32_e32 v13, 0x3f317217, v2
	v_fma_f32 v11, v3, s5, -v11
	v_fma_f32 v13, v2, s5, -v13
	v_fmac_f32_e32 v11, 0x3377d1cf, v3
	v_fmac_f32_e32 v13, 0x3377d1cf, v2
	;; [unrolled: 1-line block ×3, first 2 shown]
	v_cmp_lt_f32_e64 vcc, |v3|, s9
	v_fmac_f32_e32 v13, 0x3f317217, v2
	s_nop 0
	v_cndmask_b32_e32 v3, v3, v11, vcc
	v_cmp_lt_f32_e64 vcc, |v2|, s9
	v_sub_f32_e32 v3, v3, v5
	s_nop 0
	v_cndmask_b32_e32 v2, v2, v13, vcc
	v_sub_f32_e32 v2, v2, v7
	v_cmp_lt_f16_e32 vcc, s4, v6
	s_nop 1
	v_cndmask_b32_e32 v2, v2, v9, vcc
	v_cmp_gt_f16_sdwa vcc, v6, s4 src0_sel:WORD_1 src1_sel:DWORD
	v_mul_f32_e32 v6, 0x4f800000, v2
	v_cmp_gt_f32_e64 s[2:3], s12, v2
	v_cndmask_b32_e32 v3, v3, v10, vcc
	v_mul_f32_e32 v5, 0x4f800000, v3
	v_cmp_gt_f32_e32 vcc, s12, v3
	v_cndmask_b32_e64 v6, v2, v6, s[2:3]
	v_sqrt_f32_e32 v9, v6
	v_cndmask_b32_e32 v5, v3, v5, vcc
	v_sqrt_f32_e32 v7, v5
	v_lshl_add_u64 v[2:3], v[0:1], 2, s[6:7]
	v_add_u32_e32 v13, -1, v9
	v_fma_f32 v17, -v13, v9, v6
	v_add_u32_e32 v10, -1, v7
	v_fma_f32 v15, -v10, v7, v5
	v_add_u32_e32 v11, 1, v7
	v_cmp_ge_f32_e64 s[4:5], 0, v15
	v_add_u32_e32 v14, 1, v9
	v_fma_f32 v16, -v11, v7, v5
	v_cndmask_b32_e64 v7, v7, v10, s[4:5]
	v_cmp_ge_f32_e64 s[4:5], 0, v17
	v_fma_f32 v18, -v14, v9, v6
	s_nop 0
	v_cndmask_b32_e64 v9, v9, v13, s[4:5]
	v_cmp_lt_f32_e64 s[4:5], 0, v16
	s_nop 1
	v_cndmask_b32_e64 v7, v7, v11, s[4:5]
	v_cmp_lt_f32_e64 s[4:5], 0, v18
	v_mul_f32_e32 v10, 0x37800000, v7
	v_cndmask_b32_e32 v7, v7, v10, vcc
	v_cndmask_b32_e64 v9, v9, v14, s[4:5]
	v_mul_f32_e32 v11, 0x37800000, v9
	v_cmp_class_f32_e32 vcc, v5, v8
	v_cndmask_b32_e64 v9, v9, v11, s[2:3]
	s_nop 0
	v_cndmask_b32_e32 v10, v7, v5, vcc
	v_cmp_class_f32_e32 vcc, v6, v8
	s_nop 1
	v_cndmask_b32_e32 v11, v9, v6, vcc
	s_cbranch_scc1 .LBB186_29
; %bb.2:
	s_load_dwordx2 s[2:3], s[0:1], 0x20
	s_cmp_lt_u32 s16, 4
	s_cbranch_scc1 .LBB186_21
; %bb.3:
	s_mov_b32 s5, 0
	s_and_b32 s8, s16, 0x7ffffffc
	v_ashrrev_i32_e32 v5, 31, v4
	v_mov_b32_e32 v12, 0
	s_mov_b32 s4, s5
	s_branch .LBB186_5
.LBB186_4:                              ;   in Loop: Header=BB186_5 Depth=1
	s_or_b64 exec, exec, s[12:13]
	s_add_i32 s4, s4, 4
	s_cmp_eq_u32 s4, s8
	s_cbranch_scc1 .LBB186_22
.LBB186_5:                              ; =>This Loop Header: Depth=1
                                        ;     Child Loop BB186_7 Depth 2
                                        ;     Child Loop BB186_11 Depth 2
	;; [unrolled: 1-line block ×4, first 2 shown]
	v_lshl_add_u64 v[6:7], s[4:5], 2, v[2:3]
	global_load_dword v13, v[6:7], off
	v_add_u32_e32 v8, s4, v4
	v_ashrrev_i32_e32 v9, 31, v8
	s_mov_b64 s[12:13], 0
	s_waitcnt lgkmcnt(0)
	v_lshl_add_u64 v[8:9], v[8:9], 2, s[2:3]
	s_mov_b32 s9, 0
	s_waitcnt vmcnt(0)
	v_cmp_eq_u32_e32 vcc, 0, v13
	s_nop 1
	v_cndmask_b32_e64 v14, 2, 1, vcc
	v_cmp_eq_u32_e32 vcc, 1, v13
	s_nop 1
	v_cndmask_b32_e32 v15, v11, v10, vcc
	s_branch .LBB186_7
.LBB186_6:                              ;   in Loop: Header=BB186_7 Depth=2
	s_or_b64 exec, exec, s[14:15]
	s_add_i32 s9, s9, 1
	v_cmp_eq_u32_e32 vcc, s9, v14
	s_or_b64 s[12:13], vcc, s[12:13]
	s_andn2_b64 exec, exec, s[12:13]
	s_cbranch_execz .LBB186_9
.LBB186_7:                              ;   Parent Loop BB186_5 Depth=1
                                        ; =>  This Inner Loop Header: Depth=2
	v_cmp_eq_u32_e32 vcc, s9, v13
	s_and_saveexec_b64 s[14:15], vcc
	s_cbranch_execz .LBB186_6
; %bb.8:                                ;   in Loop: Header=BB186_7 Depth=2
	v_add_f32_e32 v12, v12, v15
	global_store_dword v[8:9], v13, off
	s_branch .LBB186_6
.LBB186_9:                              ;   in Loop: Header=BB186_5 Depth=1
	s_or_b64 exec, exec, s[12:13]
	global_load_dword v13, v[6:7], off offset:4
	s_ashr_i32 s13, s4, 31
	s_mov_b32 s12, s4
	v_lshl_add_u64 v[8:9], s[12:13], 0, v[4:5]
	s_mov_b32 s9, 0
	v_lshl_add_u64 v[8:9], v[8:9], 2, s[2:3]
	s_mov_b64 s[12:13], 0
	s_waitcnt vmcnt(0)
	v_cmp_eq_u32_e32 vcc, 0, v13
	s_nop 1
	v_cndmask_b32_e64 v14, 2, 1, vcc
	v_cmp_eq_u32_e32 vcc, 1, v13
	s_nop 1
	v_cndmask_b32_e32 v15, v11, v10, vcc
	s_branch .LBB186_11
.LBB186_10:                             ;   in Loop: Header=BB186_11 Depth=2
	s_or_b64 exec, exec, s[14:15]
	s_add_i32 s9, s9, 1
	v_cmp_eq_u32_e32 vcc, s9, v14
	s_or_b64 s[12:13], vcc, s[12:13]
	s_andn2_b64 exec, exec, s[12:13]
	s_cbranch_execz .LBB186_13
.LBB186_11:                             ;   Parent Loop BB186_5 Depth=1
                                        ; =>  This Inner Loop Header: Depth=2
	v_cmp_eq_u32_e32 vcc, s9, v13
	s_and_saveexec_b64 s[14:15], vcc
	s_cbranch_execz .LBB186_10
; %bb.12:                               ;   in Loop: Header=BB186_11 Depth=2
	v_add_f32_e32 v12, v12, v15
	global_store_dword v[8:9], v13, off offset:4
	s_branch .LBB186_10
.LBB186_13:                             ;   in Loop: Header=BB186_5 Depth=1
	s_or_b64 exec, exec, s[12:13]
	global_load_dword v13, v[6:7], off offset:8
	s_mov_b32 s9, 0
	s_mov_b64 s[12:13], 0
	s_waitcnt vmcnt(0)
	v_cmp_eq_u32_e32 vcc, 0, v13
	s_nop 1
	v_cndmask_b32_e64 v14, 2, 1, vcc
	v_cmp_eq_u32_e32 vcc, 1, v13
	s_nop 1
	v_cndmask_b32_e32 v15, v11, v10, vcc
	s_branch .LBB186_15
.LBB186_14:                             ;   in Loop: Header=BB186_15 Depth=2
	s_or_b64 exec, exec, s[14:15]
	s_add_i32 s9, s9, 1
	v_cmp_eq_u32_e32 vcc, s9, v14
	s_or_b64 s[12:13], vcc, s[12:13]
	s_andn2_b64 exec, exec, s[12:13]
	s_cbranch_execz .LBB186_17
.LBB186_15:                             ;   Parent Loop BB186_5 Depth=1
                                        ; =>  This Inner Loop Header: Depth=2
	v_cmp_eq_u32_e32 vcc, s9, v13
	s_and_saveexec_b64 s[14:15], vcc
	s_cbranch_execz .LBB186_14
; %bb.16:                               ;   in Loop: Header=BB186_15 Depth=2
	v_add_f32_e32 v12, v12, v15
	global_store_dword v[8:9], v13, off offset:8
	s_branch .LBB186_14
.LBB186_17:                             ;   in Loop: Header=BB186_5 Depth=1
	s_or_b64 exec, exec, s[12:13]
	global_load_dword v6, v[6:7], off offset:12
	s_mov_b32 s9, 0
	s_mov_b64 s[12:13], 0
	s_waitcnt vmcnt(0)
	v_cmp_eq_u32_e32 vcc, 0, v6
	s_nop 1
	v_cndmask_b32_e64 v7, 2, 1, vcc
	v_cmp_eq_u32_e32 vcc, 1, v6
	s_nop 1
	v_cndmask_b32_e32 v13, v11, v10, vcc
	s_branch .LBB186_19
.LBB186_18:                             ;   in Loop: Header=BB186_19 Depth=2
	s_or_b64 exec, exec, s[14:15]
	s_add_i32 s9, s9, 1
	v_cmp_eq_u32_e32 vcc, s9, v7
	s_or_b64 s[12:13], vcc, s[12:13]
	s_andn2_b64 exec, exec, s[12:13]
	s_cbranch_execz .LBB186_4
.LBB186_19:                             ;   Parent Loop BB186_5 Depth=1
                                        ; =>  This Inner Loop Header: Depth=2
	v_cmp_eq_u32_e32 vcc, s9, v6
	s_and_saveexec_b64 s[14:15], vcc
	s_cbranch_execz .LBB186_18
; %bb.20:                               ;   in Loop: Header=BB186_19 Depth=2
	v_add_f32_e32 v12, v12, v13
	global_store_dword v[8:9], v6, off offset:12
	s_branch .LBB186_18
.LBB186_21:
	v_mov_b32_e32 v12, 0
.LBB186_22:
	s_and_b32 s14, s16, 3
	s_cmp_eq_u32 s14, 0
	s_mov_b32 s9, 0
	s_cbranch_scc1 .LBB186_29
; %bb.23:
	s_mov_b32 s15, s9
	s_branch .LBB186_25
.LBB186_24:                             ;   in Loop: Header=BB186_25 Depth=1
	s_or_b64 exec, exec, s[4:5]
	s_add_i32 s8, s8, 1
	s_add_i32 s15, s15, 1
	s_cmp_lg_u32 s15, s14
	s_cbranch_scc0 .LBB186_29
.LBB186_25:                             ; =>This Loop Header: Depth=1
                                        ;     Child Loop BB186_27 Depth 2
	v_lshl_add_u64 v[6:7], s[8:9], 2, v[2:3]
	global_load_dword v5, v[6:7], off
	v_add_u32_e32 v6, s8, v4
	v_ashrrev_i32_e32 v7, 31, v6
	s_mov_b32 s17, 0
	s_waitcnt lgkmcnt(0)
	v_lshl_add_u64 v[6:7], v[6:7], 2, s[2:3]
	s_mov_b64 s[4:5], 0
	s_waitcnt vmcnt(0)
	v_cmp_eq_u32_e32 vcc, 0, v5
	s_nop 1
	v_cndmask_b32_e64 v8, 2, 1, vcc
	v_cmp_eq_u32_e32 vcc, 1, v5
	s_nop 1
	v_cndmask_b32_e32 v9, v11, v10, vcc
	s_branch .LBB186_27
.LBB186_26:                             ;   in Loop: Header=BB186_27 Depth=2
	s_or_b64 exec, exec, s[12:13]
	s_add_i32 s17, s17, 1
	v_cmp_eq_u32_e32 vcc, s17, v8
	s_or_b64 s[4:5], vcc, s[4:5]
	s_andn2_b64 exec, exec, s[4:5]
	s_cbranch_execz .LBB186_24
.LBB186_27:                             ;   Parent Loop BB186_25 Depth=1
                                        ; =>  This Inner Loop Header: Depth=2
	v_cmp_eq_u32_e32 vcc, s17, v5
	s_and_saveexec_b64 s[12:13], vcc
	s_cbranch_execz .LBB186_26
; %bb.28:                               ;   in Loop: Header=BB186_27 Depth=2
	v_add_f32_e32 v12, v12, v9
	global_store_dword v[6:7], v5, off
	s_branch .LBB186_26
.LBB186_29:
	s_load_dword s4, s[0:1], 0x3c
	s_waitcnt lgkmcnt(0)
	s_load_dwordx2 s[2:3], s[0:1], 0x40
	s_bitcmp1_b32 s4, 0
	s_cselect_b64 s[4:5], -1, 0
	s_waitcnt lgkmcnt(0)
	v_cvt_f32_f64_e32 v13, s[2:3]
	s_and_b64 vcc, exec, s[4:5]
	s_cbranch_vccz .LBB186_31
; %bb.30:
	v_cmp_lt_f32_e32 vcc, 0, v12
	s_nop 1
	v_cndmask_b32_e32 v5, 1.0, v12, vcc
	v_div_scale_f32 v6, s[2:3], v5, v5, v13
	v_rcp_f32_e32 v7, v6
	s_nop 0
	v_fma_f32 v8, -v6, v7, 1.0
	v_fmac_f32_e32 v7, v8, v7
	v_div_scale_f32 v8, vcc, v13, v5, v13
	v_mul_f32_e32 v9, v8, v7
	v_fma_f32 v12, -v6, v9, v8
	v_fmac_f32_e32 v9, v12, v7
	v_fma_f32 v6, -v6, v9, v8
	v_div_fmas_f32 v6, v6, v7, v9
	v_div_fixup_f32 v13, v6, v5, v13
.LBB186_31:
	s_andn2_b64 vcc, exec, s[10:11]
	s_cbranch_vccnz .LBB186_56
; %bb.32:
	s_load_dwordx2 s[0:1], s[0:1], 0x10
	s_cmp_lt_u32 s16, 8
	s_mov_b32 s2, 0
	s_cbranch_scc1 .LBB186_51
; %bb.33:
	v_ashrrev_i32_e32 v5, 31, v4
	s_and_b32 s2, s16, 0x7ffffff8
	s_waitcnt lgkmcnt(0)
	v_lshl_add_u64 v[6:7], v[4:5], 2, s[0:1]
	s_mov_b32 s3, 0
	s_mov_b64 s[4:5], 0
	s_branch .LBB186_35
.LBB186_34:                             ;   in Loop: Header=BB186_35 Depth=1
	s_or_b64 exec, exec, s[8:9]
	s_add_i32 s3, s3, 8
	s_add_u32 s4, s4, 32
	s_addc_u32 s5, s5, 0
	s_cmp_lg_u32 s2, s3
	s_cbranch_scc0 .LBB186_51
.LBB186_35:                             ; =>This Inner Loop Header: Depth=1
	v_lshl_add_u64 v[8:9], v[2:3], 0, s[4:5]
	global_load_dword v5, v[8:9], off
	s_waitcnt vmcnt(0)
	v_cmp_gt_u32_e32 vcc, 2, v5
	s_and_saveexec_b64 s[8:9], vcc
	s_cbranch_execz .LBB186_37
; %bb.36:                               ;   in Loop: Header=BB186_35 Depth=1
	v_add_u32_e32 v14, s3, v4
	v_cmp_eq_u32_e32 vcc, 1, v5
	v_ashrrev_i32_e32 v15, 31, v14
	v_lshl_add_u64 v[14:15], v[14:15], 2, s[0:1]
	v_cndmask_b32_e32 v5, v11, v10, vcc
	v_mul_f32_e32 v5, v13, v5
	global_store_dword v[14:15], v5, off
.LBB186_37:                             ;   in Loop: Header=BB186_35 Depth=1
	s_or_b64 exec, exec, s[8:9]
	global_load_dword v5, v[8:9], off offset:4
	s_waitcnt vmcnt(0)
	v_cmp_gt_u32_e32 vcc, 2, v5
	s_and_saveexec_b64 s[8:9], vcc
	s_cbranch_execz .LBB186_39
; %bb.38:                               ;   in Loop: Header=BB186_35 Depth=1
	v_cmp_eq_u32_e32 vcc, 1, v5
	v_lshl_add_u64 v[14:15], v[6:7], 0, s[4:5]
	s_nop 0
	v_cndmask_b32_e32 v5, v11, v10, vcc
	v_mul_f32_e32 v5, v13, v5
	global_store_dword v[14:15], v5, off offset:4
.LBB186_39:                             ;   in Loop: Header=BB186_35 Depth=1
	s_or_b64 exec, exec, s[8:9]
	global_load_dword v5, v[8:9], off offset:8
	s_waitcnt vmcnt(0)
	v_cmp_gt_u32_e32 vcc, 2, v5
	s_and_saveexec_b64 s[8:9], vcc
	s_cbranch_execz .LBB186_41
; %bb.40:                               ;   in Loop: Header=BB186_35 Depth=1
	v_cmp_eq_u32_e32 vcc, 1, v5
	v_lshl_add_u64 v[14:15], v[6:7], 0, s[4:5]
	s_nop 0
	v_cndmask_b32_e32 v5, v11, v10, vcc
	v_mul_f32_e32 v5, v13, v5
	global_store_dword v[14:15], v5, off offset:8
.LBB186_41:                             ;   in Loop: Header=BB186_35 Depth=1
	;; [unrolled: 14-line block ×6, first 2 shown]
	s_or_b64 exec, exec, s[8:9]
	global_load_dword v5, v[8:9], off offset:28
	s_waitcnt vmcnt(0)
	v_cmp_gt_u32_e32 vcc, 2, v5
	s_and_saveexec_b64 s[8:9], vcc
	s_cbranch_execz .LBB186_34
; %bb.50:                               ;   in Loop: Header=BB186_35 Depth=1
	v_cmp_eq_u32_e32 vcc, 1, v5
	v_lshl_add_u64 v[8:9], v[6:7], 0, s[4:5]
	s_nop 0
	v_cndmask_b32_e32 v5, v11, v10, vcc
	v_mul_f32_e32 v5, v13, v5
	global_store_dword v[8:9], v5, off offset:28
	s_branch .LBB186_34
.LBB186_51:
	s_and_b32 s4, s16, 7
	s_cmp_eq_u32 s4, 0
	s_mov_b32 s3, 0
	s_cbranch_scc1 .LBB186_56
; %bb.52:
	v_add_u32_e32 v2, s2, v4
	s_lshl_b64 s[2:3], s[2:3], 2
	s_add_u32 s2, s6, s2
	s_addc_u32 s3, s7, s3
	v_lshl_add_u64 v[0:1], v[0:1], 2, s[2:3]
	s_branch .LBB186_54
.LBB186_53:                             ;   in Loop: Header=BB186_54 Depth=1
	s_or_b64 exec, exec, s[2:3]
	s_add_i32 s4, s4, -1
	v_add_u32_e32 v2, 1, v2
	s_cmp_lg_u32 s4, 0
	v_lshl_add_u64 v[0:1], v[0:1], 0, 4
	s_cbranch_scc0 .LBB186_56
.LBB186_54:                             ; =>This Inner Loop Header: Depth=1
	global_load_dword v3, v[0:1], off
	s_waitcnt vmcnt(0)
	v_cmp_gt_u32_e32 vcc, 2, v3
	s_and_saveexec_b64 s[2:3], vcc
	s_cbranch_execz .LBB186_53
; %bb.55:                               ;   in Loop: Header=BB186_54 Depth=1
	v_cmp_eq_u32_e32 vcc, 1, v3
	s_nop 1
	v_cndmask_b32_e32 v3, v11, v10, vcc
	v_mul_f32_e32 v6, v13, v3
	v_ashrrev_i32_e32 v3, 31, v2
	s_waitcnt lgkmcnt(0)
	v_lshl_add_u64 v[4:5], v[2:3], 2, s[0:1]
	global_store_dword v[4:5], v6, off
	s_branch .LBB186_53
.LBB186_56:
	s_endpgm
	.section	.rodata,"a",@progbits
	.p2align	6, 0x0
	.amdhsa_kernel _ZN4vllm3moe22topkGatingSoftplusSqrtILi2ELi2ELi4ELi4ELi32ELb1Ei6__halfEEvPKT6_PKbPfiPT5_PiiiibdPKfPKS9_SF_
		.amdhsa_group_segment_fixed_size 0
		.amdhsa_private_segment_fixed_size 0
		.amdhsa_kernarg_size 96
		.amdhsa_user_sgpr_count 2
		.amdhsa_user_sgpr_dispatch_ptr 0
		.amdhsa_user_sgpr_queue_ptr 0
		.amdhsa_user_sgpr_kernarg_segment_ptr 1
		.amdhsa_user_sgpr_dispatch_id 0
		.amdhsa_user_sgpr_kernarg_preload_length 0
		.amdhsa_user_sgpr_kernarg_preload_offset 0
		.amdhsa_user_sgpr_private_segment_size 0
		.amdhsa_uses_dynamic_stack 0
		.amdhsa_enable_private_segment 0
		.amdhsa_system_sgpr_workgroup_id_x 1
		.amdhsa_system_sgpr_workgroup_id_y 0
		.amdhsa_system_sgpr_workgroup_id_z 0
		.amdhsa_system_sgpr_workgroup_info 0
		.amdhsa_system_vgpr_workitem_id 1
		.amdhsa_next_free_vgpr 19
		.amdhsa_next_free_sgpr 18
		.amdhsa_accum_offset 20
		.amdhsa_reserve_vcc 1
		.amdhsa_float_round_mode_32 0
		.amdhsa_float_round_mode_16_64 0
		.amdhsa_float_denorm_mode_32 3
		.amdhsa_float_denorm_mode_16_64 3
		.amdhsa_dx10_clamp 1
		.amdhsa_ieee_mode 1
		.amdhsa_fp16_overflow 0
		.amdhsa_tg_split 0
		.amdhsa_exception_fp_ieee_invalid_op 0
		.amdhsa_exception_fp_denorm_src 0
		.amdhsa_exception_fp_ieee_div_zero 0
		.amdhsa_exception_fp_ieee_overflow 0
		.amdhsa_exception_fp_ieee_underflow 0
		.amdhsa_exception_fp_ieee_inexact 0
		.amdhsa_exception_int_div_zero 0
	.end_amdhsa_kernel
	.section	.text._ZN4vllm3moe22topkGatingSoftplusSqrtILi2ELi2ELi4ELi4ELi32ELb1Ei6__halfEEvPKT6_PKbPfiPT5_PiiiibdPKfPKS9_SF_,"axG",@progbits,_ZN4vllm3moe22topkGatingSoftplusSqrtILi2ELi2ELi4ELi4ELi32ELb1Ei6__halfEEvPKT6_PKbPfiPT5_PiiiibdPKfPKS9_SF_,comdat
.Lfunc_end186:
	.size	_ZN4vllm3moe22topkGatingSoftplusSqrtILi2ELi2ELi4ELi4ELi32ELb1Ei6__halfEEvPKT6_PKbPfiPT5_PiiiibdPKfPKS9_SF_, .Lfunc_end186-_ZN4vllm3moe22topkGatingSoftplusSqrtILi2ELi2ELi4ELi4ELi32ELb1Ei6__halfEEvPKT6_PKbPfiPT5_PiiiibdPKfPKS9_SF_
                                        ; -- End function
	.section	.AMDGPU.csdata,"",@progbits
; Kernel info:
; codeLenInByte = 2284
; NumSgprs: 24
; NumVgprs: 19
; NumAgprs: 0
; TotalNumVgprs: 19
; ScratchSize: 0
; MemoryBound: 0
; FloatMode: 240
; IeeeMode: 1
; LDSByteSize: 0 bytes/workgroup (compile time only)
; SGPRBlocks: 2
; VGPRBlocks: 2
; NumSGPRsForWavesPerEU: 24
; NumVGPRsForWavesPerEU: 19
; AccumOffset: 20
; Occupancy: 8
; WaveLimiterHint : 1
; COMPUTE_PGM_RSRC2:SCRATCH_EN: 0
; COMPUTE_PGM_RSRC2:USER_SGPR: 2
; COMPUTE_PGM_RSRC2:TRAP_HANDLER: 0
; COMPUTE_PGM_RSRC2:TGID_X_EN: 1
; COMPUTE_PGM_RSRC2:TGID_Y_EN: 0
; COMPUTE_PGM_RSRC2:TGID_Z_EN: 0
; COMPUTE_PGM_RSRC2:TIDIG_COMP_CNT: 1
; COMPUTE_PGM_RSRC3_GFX90A:ACCUM_OFFSET: 4
; COMPUTE_PGM_RSRC3_GFX90A:TG_SPLIT: 0
	.section	.text._ZN4vllm3moe22topkGatingSoftplusSqrtILi2ELi2ELi4ELi4ELi32ELb0Ei6__halfEEvPKT6_PKbPfiPT5_PiiiibdPKfPKS9_SF_,"axG",@progbits,_ZN4vllm3moe22topkGatingSoftplusSqrtILi2ELi2ELi4ELi4ELi32ELb0Ei6__halfEEvPKT6_PKbPfiPT5_PiiiibdPKfPKS9_SF_,comdat
	.protected	_ZN4vllm3moe22topkGatingSoftplusSqrtILi2ELi2ELi4ELi4ELi32ELb0Ei6__halfEEvPKT6_PKbPfiPT5_PiiiibdPKfPKS9_SF_ ; -- Begin function _ZN4vllm3moe22topkGatingSoftplusSqrtILi2ELi2ELi4ELi4ELi32ELb0Ei6__halfEEvPKT6_PKbPfiPT5_PiiiibdPKfPKS9_SF_
	.globl	_ZN4vllm3moe22topkGatingSoftplusSqrtILi2ELi2ELi4ELi4ELi32ELb0Ei6__halfEEvPKT6_PKbPfiPT5_PiiiibdPKfPKS9_SF_
	.p2align	8
	.type	_ZN4vllm3moe22topkGatingSoftplusSqrtILi2ELi2ELi4ELi4ELi32ELb0Ei6__halfEEvPKT6_PKbPfiPT5_PiiiibdPKfPKS9_SF_,@function
_ZN4vllm3moe22topkGatingSoftplusSqrtILi2ELi2ELi4ELi4ELi32ELb0Ei6__halfEEvPKT6_PKbPfiPT5_PiiiibdPKfPKS9_SF_: ; @_ZN4vllm3moe22topkGatingSoftplusSqrtILi2ELi2ELi4ELi4ELi32ELb0Ei6__halfEEvPKT6_PKbPfiPT5_PiiiibdPKfPKS9_SF_
; %bb.0:
	s_load_dword s24, s[0:1], 0x18
	v_bfe_u32 v1, v0, 10, 10
	s_lshl_b32 s2, s2, 7
	v_lshlrev_b32_e32 v1, 5, v1
	v_and_b32_e32 v0, 0x3ff, v0
	v_add3_u32 v0, v1, v0, s2
	s_waitcnt lgkmcnt(0)
	v_cmp_gt_i32_e32 vcc, s24, v0
	s_and_saveexec_b64 s[2:3], vcc
	s_cbranch_execz .LBB187_28
; %bb.1:
	s_load_dwordx4 s[4:7], s[0:1], 0x0
	s_load_dwordx2 s[16:17], s[0:1], 0x10
	s_waitcnt lgkmcnt(0)
	s_cmp_eq_u64 s[6:7], 0
	s_cbranch_scc1 .LBB187_3
; %bb.2:
	v_ashrrev_i32_e32 v1, 31, v0
	v_lshl_add_u64 v[2:3], s[6:7], 0, v[0:1]
	global_load_ubyte v1, v[2:3], off
	s_waitcnt vmcnt(0)
	v_and_b32_e32 v1, 1, v1
	v_cmp_eq_u32_e32 vcc, 1, v1
	s_xor_b64 s[2:3], vcc, -1
	s_orn2_b64 s[18:19], s[2:3], exec
	s_branch .LBB187_4
.LBB187_3:
	s_mov_b64 s[18:19], -1
.LBB187_4:
	v_lshlrev_b32_e32 v4, 1, v0
	v_mov_b32_e32 v2, s4
	v_mov_b32_e32 v3, s5
	v_ashrrev_i32_e32 v5, 31, v4
	v_lshl_add_u64 v[2:3], v[4:5], 1, v[2:3]
	global_load_dword v1, v[2:3], off
	s_mov_b32 s13, 0x800000
	v_mov_b32_e32 v3, 0x4f800000
	s_mov_b32 s7, 0x3f317217
	s_mov_b32 s12, 0x7f800000
	v_mov_b32_e32 v5, 0x41b17218
	s_movk_i32 s6, 0x4d00
	s_mov_b32 s14, 0xf800000
	s_load_dwordx4 s[8:11], s[0:1], 0x40
	s_waitcnt lgkmcnt(0)
	s_cmp_lg_u64 s[10:11], 0
	s_cselect_b64 s[20:21], -1, 0
	s_and_b64 s[2:3], exec, s[20:21]
	s_waitcnt vmcnt(0)
	v_cvt_f32_f16_e32 v4, v1
	v_mul_f32_e32 v2, 0x3fb8aa3b, v4
	v_exp_f32_e32 v2, v2
	s_nop 0
	v_add_f32_e32 v2, 1.0, v2
	v_cmp_gt_f32_e32 vcc, s13, v2
	s_nop 1
	v_cndmask_b32_e32 v6, 1.0, v3, vcc
	v_mul_f32_e32 v2, v2, v6
	v_log_f32_e32 v6, v2
	v_cndmask_b32_e32 v7, 0, v5, vcc
	v_mov_b32_e32 v2, 0x260
	v_mul_f32_e32 v8, 0x3f317217, v6
	v_fma_f32 v8, v6, s7, -v8
	v_fmac_f32_e32 v8, 0x3377d1cf, v6
	v_fmac_f32_e32 v8, 0x3f317217, v6
	v_cmp_lt_f32_e64 vcc, |v6|, s12
	s_nop 1
	v_cndmask_b32_e32 v6, v6, v8, vcc
	v_sub_f32_e32 v6, v6, v7
	v_cmp_lt_f16_e32 vcc, s6, v1
	s_nop 1
	v_cndmask_b32_e32 v4, v6, v4, vcc
	v_mul_f32_e32 v6, 0x4f800000, v4
	v_cmp_gt_f32_e32 vcc, s14, v4
	s_nop 1
	v_cndmask_b32_e32 v4, v4, v6, vcc
	v_sqrt_f32_e32 v6, v4
	s_nop 0
	v_add_u32_e32 v7, -1, v6
	v_add_u32_e32 v8, 1, v6
	v_fma_f32 v9, -v7, v6, v4
	v_fma_f32 v10, -v8, v6, v4
	v_cmp_ge_f32_e64 s[4:5], 0, v9
	s_nop 1
	v_cndmask_b32_e64 v6, v6, v7, s[4:5]
	v_cmp_lt_f32_e64 s[4:5], 0, v10
	s_nop 1
	v_cndmask_b32_e64 v6, v6, v8, s[4:5]
	v_mul_f32_e32 v7, 0x37800000, v6
	v_cndmask_b32_e32 v6, v6, v7, vcc
	v_cmp_class_f32_e32 vcc, v4, v2
	s_nop 1
	v_cndmask_b32_e32 v4, v6, v4, vcc
	s_mov_b64 vcc, s[2:3]
	s_cbranch_vccz .LBB187_6
; %bb.5:
	s_load_dword s2, s[10:11], 0x0
	s_waitcnt lgkmcnt(0)
	v_add_f32_e32 v4, s2, v4
.LBB187_6:
	v_cvt_f32_f16_sdwa v6, v1 dst_sel:DWORD dst_unused:UNUSED_PAD src0_sel:WORD_1
	v_mul_f32_e32 v7, 0x3fb8aa3b, v6
	v_exp_f32_e32 v7, v7
	s_nop 0
	v_add_f32_e32 v7, 1.0, v7
	v_cmp_gt_f32_e32 vcc, s13, v7
	s_nop 1
	v_cndmask_b32_e32 v3, 1.0, v3, vcc
	v_mul_f32_e32 v3, v7, v3
	v_log_f32_e32 v3, v3
	v_cndmask_b32_e32 v5, 0, v5, vcc
	v_mul_f32_e32 v7, 0x3f317217, v3
	v_fma_f32 v7, v3, s7, -v7
	v_fmac_f32_e32 v7, 0x3377d1cf, v3
	v_fmac_f32_e32 v7, 0x3f317217, v3
	v_cmp_lt_f32_e64 vcc, |v3|, s12
	s_nop 1
	v_cndmask_b32_e32 v3, v3, v7, vcc
	v_sub_f32_e32 v3, v3, v5
	v_cmp_gt_f16_sdwa vcc, v1, s6 src0_sel:WORD_1 src1_sel:DWORD
	s_nop 1
	v_cndmask_b32_e32 v1, v3, v6, vcc
	v_mul_f32_e32 v3, 0x4f800000, v1
	v_cmp_gt_f32_e64 s[2:3], s14, v1
	s_andn2_b64 vcc, exec, s[20:21]
	s_nop 0
	v_cndmask_b32_e64 v1, v1, v3, s[2:3]
	v_sqrt_f32_e32 v3, v1
	s_nop 0
	v_add_u32_e32 v5, -1, v3
	v_add_u32_e32 v6, 1, v3
	v_fma_f32 v7, -v5, v3, v1
	v_fma_f32 v8, -v6, v3, v1
	v_cmp_ge_f32_e64 s[4:5], 0, v7
	s_nop 1
	v_cndmask_b32_e64 v3, v3, v5, s[4:5]
	v_cmp_lt_f32_e64 s[4:5], 0, v8
	s_nop 1
	v_cndmask_b32_e64 v3, v3, v6, s[4:5]
	v_mul_f32_e32 v5, 0x37800000, v3
	v_cndmask_b32_e64 v3, v3, v5, s[2:3]
	v_cmp_class_f32_e64 s[2:3], v1, v2
	s_nop 1
	v_cndmask_b32_e64 v1, v3, v1, s[2:3]
	s_cbranch_vccnz .LBB187_8
; %bb.7:
	s_load_dword s2, s[10:11], 0x4
	s_waitcnt lgkmcnt(0)
	v_add_f32_e32 v1, s2, v1
.LBB187_8:
	s_load_dwordx4 s[4:7], s[0:1], 0x30
	s_mov_b32 s25, 0
	s_waitcnt lgkmcnt(0)
	s_bitcmp1_b32 s7, 0
	s_cselect_b64 s[2:3], -1, 0
	s_cmp_gt_i32 s4, 0
	s_cselect_b64 s[22:23], -1, 0
	s_and_b64 vcc, exec, s[22:23]
	v_mul_lo_u32 v2, v0, s4
	s_cbranch_vccz .LBB187_15
; %bb.9:
	s_load_dwordx4 s[12:15], s[0:1], 0x20
	v_mov_b32_e32 v3, 0
	v_mov_b32_e32 v5, 0xc61c4000
	s_branch .LBB187_11
.LBB187_10:                             ;   in Loop: Header=BB187_11 Depth=1
	v_add_u32_e32 v8, s25, v2
	v_ashrrev_i32_e32 v9, 31, v8
	v_cmp_le_i32_e32 vcc, s5, v6
	v_cmp_gt_i32_e64 s[0:1], s6, v6
	v_lshlrev_b64 v[8:9], 2, v[8:9]
	s_and_b64 s[0:1], vcc, s[0:1]
	v_lshl_add_u64 v[10:11], s[16:17], 0, v[8:9]
	global_store_dword v[10:11], v7, off
	v_subrev_u32_e32 v10, s5, v6
	s_and_b64 vcc, s[18:19], s[0:1]
	v_cndmask_b32_e32 v12, 2, v10, vcc
	v_add_f32_e32 v7, v3, v7
	s_add_i32 s25, s25, 1
	v_cmp_ne_u32_e32 vcc, 0, v6
	v_cndmask_b32_e64 v3, v3, v7, s[2:3]
	s_cmp_lt_i32 s25, s4
	v_cndmask_b32_e32 v7, v5, v4, vcc
	v_cmp_ne_u32_e32 vcc, 1, v6
	s_waitcnt lgkmcnt(0)
	v_lshl_add_u64 v[10:11], s[12:13], 0, v[8:9]
	v_lshl_add_u64 v[8:9], s[14:15], 0, v[8:9]
	v_cndmask_b32_e32 v6, v5, v1, vcc
	s_cselect_b64 vcc, -1, 0
	global_store_dword v[10:11], v12, off
	global_store_dword v[8:9], v0, off
	v_cndmask_b32_e32 v1, v1, v6, vcc
	v_cndmask_b32_e32 v4, v4, v7, vcc
	s_cmp_lg_u32 s4, s25
	v_add_u32_e32 v0, s24, v0
	s_cbranch_scc0 .LBB187_16
.LBB187_11:                             ; =>This Inner Loop Header: Depth=1
	v_cmp_gt_f32_e32 vcc, v1, v4
	s_and_b64 s[0:1], exec, s[20:21]
	s_nop 0
	v_cndmask_b32_e32 v8, v4, v1, vcc
	v_cndmask_b32_e64 v6, 0, 1, vcc
	s_mov_b64 vcc, s[0:1]
	s_cbranch_vccz .LBB187_13
; %bb.12:                               ;   in Loop: Header=BB187_11 Depth=1
	v_lshlrev_b32_e32 v7, 2, v6
	global_load_dword v7, v7, s[10:11]
	s_waitcnt vmcnt(0)
	v_sub_f32_e32 v7, v8, v7
	s_cbranch_execnz .LBB187_10
	s_branch .LBB187_14
.LBB187_13:                             ;   in Loop: Header=BB187_11 Depth=1
                                        ; implicit-def: $vgpr7
.LBB187_14:                             ;   in Loop: Header=BB187_11 Depth=1
	v_mov_b32_e32 v7, v8
	s_branch .LBB187_10
.LBB187_15:
	v_mov_b32_e32 v3, 0
.LBB187_16:
	s_andn2_b64 vcc, exec, s[2:3]
	v_cvt_f32_f64_e32 v0, s[8:9]
	s_cbranch_vccnz .LBB187_18
; %bb.17:
	v_cmp_lt_f32_e32 vcc, 0, v3
	s_nop 1
	v_cndmask_b32_e32 v1, 1.0, v3, vcc
	v_div_scale_f32 v3, s[0:1], v1, v1, v0
	v_rcp_f32_e32 v4, v3
	s_nop 0
	v_fma_f32 v5, -v3, v4, 1.0
	v_fmac_f32_e32 v4, v5, v4
	v_div_scale_f32 v5, vcc, v0, v1, v0
	v_mul_f32_e32 v6, v5, v4
	v_fma_f32 v7, -v3, v6, v5
	v_fmac_f32_e32 v6, v7, v4
	v_fma_f32 v3, -v3, v6, v5
	v_div_fmas_f32 v3, v3, v4, v6
	v_div_fixup_f32 v0, v3, v1, v0
.LBB187_18:
	s_andn2_b64 vcc, exec, s[22:23]
	s_cbranch_vccnz .LBB187_28
; %bb.19:
	s_cmp_gt_u32 s4, 3
	v_ashrrev_i32_e32 v3, 31, v2
	s_cbranch_scc0 .LBB187_23
; %bb.20:
	s_and_b32 s0, s4, 0x7ffffffc
	v_lshl_add_u64 v[4:5], v[2:3], 2, s[16:17]
	v_mov_b32_e32 v1, v0
	v_lshl_add_u64 v[4:5], v[4:5], 0, 8
	s_mov_b32 s1, s0
.LBB187_21:                             ; =>This Inner Loop Header: Depth=1
	global_load_dwordx4 v[6:9], v[4:5], off offset:-8
	s_add_i32 s1, s1, -4
	s_cmp_lg_u32 s1, 0
	s_waitcnt vmcnt(0)
	v_pk_mul_f32 v[6:7], v[0:1], v[6:7]
	v_pk_mul_f32 v[8:9], v[0:1], v[8:9]
	global_store_dwordx4 v[4:5], v[6:9], off offset:-8
	v_lshl_add_u64 v[4:5], v[4:5], 0, 16
	s_cbranch_scc1 .LBB187_21
; %bb.22:
	s_cmp_lg_u32 s0, s4
	s_cselect_b64 s[2:3], -1, 0
	s_branch .LBB187_25
.LBB187_23:
	s_mov_b64 s[2:3], 0
                                        ; implicit-def: $sgpr0
	s_cbranch_execz .LBB187_25
; %bb.24:
	s_mov_b64 s[2:3], -1
	s_mov_b32 s0, 0
.LBB187_25:
	s_andn2_b64 vcc, exec, s[2:3]
	s_cbranch_vccnz .LBB187_28
; %bb.26:
	s_mov_b32 s1, 0
	v_lshl_add_u64 v[2:3], v[2:3], 0, s[0:1]
	s_sub_i32 s2, s4, s0
	v_lshl_add_u64 v[2:3], v[2:3], 2, s[16:17]
.LBB187_27:                             ; =>This Inner Loop Header: Depth=1
	global_load_dword v1, v[2:3], off
	s_add_i32 s2, s2, -1
	s_cmp_lg_u32 s2, 0
	s_waitcnt vmcnt(0)
	v_mul_f32_e32 v1, v0, v1
	global_store_dword v[2:3], v1, off
	v_lshl_add_u64 v[2:3], v[2:3], 0, 4
	s_cbranch_scc1 .LBB187_27
.LBB187_28:
	s_endpgm
	.section	.rodata,"a",@progbits
	.p2align	6, 0x0
	.amdhsa_kernel _ZN4vllm3moe22topkGatingSoftplusSqrtILi2ELi2ELi4ELi4ELi32ELb0Ei6__halfEEvPKT6_PKbPfiPT5_PiiiibdPKfPKS9_SF_
		.amdhsa_group_segment_fixed_size 0
		.amdhsa_private_segment_fixed_size 0
		.amdhsa_kernarg_size 96
		.amdhsa_user_sgpr_count 2
		.amdhsa_user_sgpr_dispatch_ptr 0
		.amdhsa_user_sgpr_queue_ptr 0
		.amdhsa_user_sgpr_kernarg_segment_ptr 1
		.amdhsa_user_sgpr_dispatch_id 0
		.amdhsa_user_sgpr_kernarg_preload_length 0
		.amdhsa_user_sgpr_kernarg_preload_offset 0
		.amdhsa_user_sgpr_private_segment_size 0
		.amdhsa_uses_dynamic_stack 0
		.amdhsa_enable_private_segment 0
		.amdhsa_system_sgpr_workgroup_id_x 1
		.amdhsa_system_sgpr_workgroup_id_y 0
		.amdhsa_system_sgpr_workgroup_id_z 0
		.amdhsa_system_sgpr_workgroup_info 0
		.amdhsa_system_vgpr_workitem_id 1
		.amdhsa_next_free_vgpr 13
		.amdhsa_next_free_sgpr 26
		.amdhsa_accum_offset 16
		.amdhsa_reserve_vcc 1
		.amdhsa_float_round_mode_32 0
		.amdhsa_float_round_mode_16_64 0
		.amdhsa_float_denorm_mode_32 3
		.amdhsa_float_denorm_mode_16_64 3
		.amdhsa_dx10_clamp 1
		.amdhsa_ieee_mode 1
		.amdhsa_fp16_overflow 0
		.amdhsa_tg_split 0
		.amdhsa_exception_fp_ieee_invalid_op 0
		.amdhsa_exception_fp_denorm_src 0
		.amdhsa_exception_fp_ieee_div_zero 0
		.amdhsa_exception_fp_ieee_overflow 0
		.amdhsa_exception_fp_ieee_underflow 0
		.amdhsa_exception_fp_ieee_inexact 0
		.amdhsa_exception_int_div_zero 0
	.end_amdhsa_kernel
	.section	.text._ZN4vllm3moe22topkGatingSoftplusSqrtILi2ELi2ELi4ELi4ELi32ELb0Ei6__halfEEvPKT6_PKbPfiPT5_PiiiibdPKfPKS9_SF_,"axG",@progbits,_ZN4vllm3moe22topkGatingSoftplusSqrtILi2ELi2ELi4ELi4ELi32ELb0Ei6__halfEEvPKT6_PKbPfiPT5_PiiiibdPKfPKS9_SF_,comdat
.Lfunc_end187:
	.size	_ZN4vllm3moe22topkGatingSoftplusSqrtILi2ELi2ELi4ELi4ELi32ELb0Ei6__halfEEvPKT6_PKbPfiPT5_PiiiibdPKfPKS9_SF_, .Lfunc_end187-_ZN4vllm3moe22topkGatingSoftplusSqrtILi2ELi2ELi4ELi4ELi32ELb0Ei6__halfEEvPKT6_PKbPfiPT5_PiiiibdPKfPKS9_SF_
                                        ; -- End function
	.section	.AMDGPU.csdata,"",@progbits
; Kernel info:
; codeLenInByte = 1400
; NumSgprs: 32
; NumVgprs: 13
; NumAgprs: 0
; TotalNumVgprs: 13
; ScratchSize: 0
; MemoryBound: 0
; FloatMode: 240
; IeeeMode: 1
; LDSByteSize: 0 bytes/workgroup (compile time only)
; SGPRBlocks: 3
; VGPRBlocks: 1
; NumSGPRsForWavesPerEU: 32
; NumVGPRsForWavesPerEU: 13
; AccumOffset: 16
; Occupancy: 8
; WaveLimiterHint : 0
; COMPUTE_PGM_RSRC2:SCRATCH_EN: 0
; COMPUTE_PGM_RSRC2:USER_SGPR: 2
; COMPUTE_PGM_RSRC2:TRAP_HANDLER: 0
; COMPUTE_PGM_RSRC2:TGID_X_EN: 1
; COMPUTE_PGM_RSRC2:TGID_Y_EN: 0
; COMPUTE_PGM_RSRC2:TGID_Z_EN: 0
; COMPUTE_PGM_RSRC2:TIDIG_COMP_CNT: 1
; COMPUTE_PGM_RSRC3_GFX90A:ACCUM_OFFSET: 3
; COMPUTE_PGM_RSRC3_GFX90A:TG_SPLIT: 0
	.section	.text._ZN4vllm3moe22topkGatingSoftplusSqrtILi4ELi4ELi4ELi8ELi64ELb1Ei6__halfEEvPKT6_PKbPfiPT5_PiiiibdPKfPKS9_SF_,"axG",@progbits,_ZN4vllm3moe22topkGatingSoftplusSqrtILi4ELi4ELi4ELi8ELi64ELb1Ei6__halfEEvPKT6_PKbPfiPT5_PiiiibdPKfPKS9_SF_,comdat
	.protected	_ZN4vllm3moe22topkGatingSoftplusSqrtILi4ELi4ELi4ELi8ELi64ELb1Ei6__halfEEvPKT6_PKbPfiPT5_PiiiibdPKfPKS9_SF_ ; -- Begin function _ZN4vllm3moe22topkGatingSoftplusSqrtILi4ELi4ELi4ELi8ELi64ELb1Ei6__halfEEvPKT6_PKbPfiPT5_PiiiibdPKfPKS9_SF_
	.globl	_ZN4vllm3moe22topkGatingSoftplusSqrtILi4ELi4ELi4ELi8ELi64ELb1Ei6__halfEEvPKT6_PKbPfiPT5_PiiiibdPKfPKS9_SF_
	.p2align	8
	.type	_ZN4vllm3moe22topkGatingSoftplusSqrtILi4ELi4ELi4ELi8ELi64ELb1Ei6__halfEEvPKT6_PKbPfiPT5_PiiiibdPKfPKS9_SF_,@function
_ZN4vllm3moe22topkGatingSoftplusSqrtILi4ELi4ELi4ELi8ELi64ELb1Ei6__halfEEvPKT6_PKbPfiPT5_PiiiibdPKfPKS9_SF_: ; @_ZN4vllm3moe22topkGatingSoftplusSqrtILi4ELi4ELi4ELi8ELi64ELb1Ei6__halfEEvPKT6_PKbPfiPT5_PiiiibdPKfPKS9_SF_
; %bb.0:
	s_load_dword s3, s[0:1], 0x18
	v_bfe_u32 v1, v0, 10, 10
	s_lshl_b32 s2, s2, 8
	v_lshlrev_b32_e32 v1, 6, v1
	v_and_b32_e32 v0, 0x3ff, v0
	v_add3_u32 v2, v1, v0, s2
	s_waitcnt lgkmcnt(0)
	v_cmp_gt_i32_e32 vcc, s3, v2
	s_and_saveexec_b64 s[2:3], vcc
	s_cbranch_execz .LBB188_56
; %bb.1:
	s_load_dwordx2 s[2:3], s[0:1], 0x0
	s_load_dword s16, s[0:1], 0x30
	v_lshlrev_b32_e32 v0, 2, v2
	v_ashrrev_i32_e32 v1, 31, v0
	s_load_dwordx4 s[8:11], s[0:1], 0x50
	s_waitcnt lgkmcnt(0)
	v_lshl_add_u64 v[0:1], v[0:1], 1, s[2:3]
	global_load_dwordx2 v[4:5], v[0:1], off
	v_ashrrev_i32_e32 v3, 31, v2
	s_mov_b32 s6, 0x800000
	v_mov_b32_e32 v0, s8
	v_mov_b32_e32 v1, s9
	v_lshl_add_u64 v[0:1], v[2:3], 2, v[0:1]
	global_load_dword v0, v[0:1], off
	v_mov_b32_e32 v3, 0x4f800000
	v_mov_b32_e32 v10, 0x41b17218
	s_mov_b32 s12, 0x3f317217
	s_mov_b32 s13, 0x7f800000
	s_movk_i32 s9, 0x4d00
	s_mov_b32 s14, 0xf800000
	v_mov_b32_e32 v13, 0x260
	s_cmp_gt_i32 s16, 0
	s_mov_b32 s8, 0
	v_mov_b32_e32 v14, 0
	v_mul_lo_u32 v2, v2, s16
	s_waitcnt vmcnt(1)
	v_cvt_f32_f16_e32 v11, v4
	v_cvt_f32_f16_sdwa v12, v4 dst_sel:DWORD dst_unused:UNUSED_PAD src0_sel:WORD_1
	v_cvt_f32_f16_e32 v15, v5
	v_cvt_f32_f16_sdwa v16, v5 dst_sel:DWORD dst_unused:UNUSED_PAD src0_sel:WORD_1
	v_mul_f32_e32 v1, 0x3fb8aa3b, v11
	v_mul_f32_e32 v7, 0x3fb8aa3b, v12
	v_exp_f32_e32 v6, v1
	v_exp_f32_e32 v7, v7
	v_mul_f32_e32 v8, 0x3fb8aa3b, v15
	v_mul_f32_e32 v9, 0x3fb8aa3b, v16
	v_exp_f32_e32 v8, v8
	v_exp_f32_e32 v9, v9
	v_pk_add_f32 v[6:7], v[6:7], 1.0 op_sel_hi:[1,0]
	s_waitcnt vmcnt(0)
	v_mul_lo_u32 v0, v0, s16
	v_cmp_gt_f32_e32 vcc, s6, v7
	v_pk_add_f32 v[8:9], v[8:9], 1.0 op_sel_hi:[1,0]
	v_cmp_gt_f32_e64 s[2:3], s6, v6
	v_cndmask_b32_e32 v17, 1.0, v3, vcc
	v_cmp_gt_f32_e64 s[4:5], s6, v9
	v_cndmask_b32_e64 v18, 1.0, v3, s[2:3]
	v_mul_f32_e32 v7, v7, v17
	v_cndmask_b32_e64 v19, 1.0, v3, s[4:5]
	v_cmp_gt_f32_e64 s[6:7], s6, v8
	v_mul_f32_e32 v6, v6, v18
	v_log_f32_e32 v7, v7
	v_cndmask_b32_e64 v3, 1.0, v3, s[6:7]
	v_mul_f32_e32 v9, v9, v19
	v_log_f32_e32 v6, v6
	v_mul_f32_e32 v3, v8, v3
	v_log_f32_e32 v9, v9
	v_log_f32_e32 v3, v3
	v_cndmask_b32_e32 v17, 0, v10, vcc
	v_cndmask_b32_e64 v18, 0, v10, s[2:3]
	v_cndmask_b32_e64 v19, 0, v10, s[4:5]
	;; [unrolled: 1-line block ×3, first 2 shown]
	v_mul_f32_e32 v10, 0x3f317217, v7
	v_mul_f32_e32 v20, 0x3f317217, v6
	v_fma_f32 v10, v7, s12, -v10
	v_mul_f32_e32 v21, 0x3f317217, v9
	v_fma_f32 v20, v6, s12, -v20
	v_fmac_f32_e32 v10, 0x3377d1cf, v7
	v_mul_f32_e32 v22, 0x3f317217, v3
	v_fma_f32 v21, v9, s12, -v21
	v_fmac_f32_e32 v20, 0x3377d1cf, v6
	v_fmac_f32_e32 v10, 0x3f317217, v7
	v_cmp_lt_f32_e64 vcc, |v7|, s13
	v_fma_f32 v22, v3, s12, -v22
	v_fmac_f32_e32 v21, 0x3377d1cf, v9
	v_fmac_f32_e32 v20, 0x3f317217, v6
	v_cndmask_b32_e32 v7, v7, v10, vcc
	v_cmp_lt_f32_e64 vcc, |v6|, s13
	v_fmac_f32_e32 v22, 0x3377d1cf, v3
	v_fmac_f32_e32 v21, 0x3f317217, v9
	v_cndmask_b32_e32 v6, v6, v20, vcc
	v_cmp_lt_f32_e64 vcc, |v9|, s13
	v_fmac_f32_e32 v22, 0x3f317217, v3
	v_sub_f32_e32 v6, v6, v18
	v_cndmask_b32_e32 v9, v9, v21, vcc
	v_cmp_lt_f32_e64 vcc, |v3|, s13
	v_sub_f32_e32 v7, v7, v17
	v_sub_f32_e32 v9, v9, v19
	v_cndmask_b32_e32 v3, v3, v22, vcc
	v_cmp_lt_f16_e32 vcc, s9, v4
	v_sub_f32_e32 v3, v3, v8
	v_ashrrev_i32_e32 v1, 31, v0
	v_cndmask_b32_e32 v6, v6, v11, vcc
	v_cmp_gt_f16_sdwa vcc, v4, s9 src0_sel:WORD_1 src1_sel:DWORD
	v_mul_f32_e32 v10, 0x4f800000, v6
	v_cmp_gt_f32_e64 s[2:3], s14, v6
	v_cndmask_b32_e32 v4, v7, v12, vcc
	v_mul_f32_e32 v7, 0x4f800000, v4
	v_cmp_gt_f32_e32 vcc, s14, v4
	v_cndmask_b32_e64 v6, v6, v10, s[2:3]
	v_sqrt_f32_e32 v10, v6
	v_cndmask_b32_e32 v4, v4, v7, vcc
	v_sqrt_f32_e32 v7, v4
	v_add_u32_e32 v17, -1, v10
	v_fma_f32 v21, -v17, v10, v6
	v_add_u32_e32 v11, -1, v7
	v_fma_f32 v19, -v11, v7, v4
	v_add_u32_e32 v12, 1, v7
	v_cmp_ge_f32_e64 s[4:5], 0, v19
	v_add_u32_e32 v18, 1, v10
	v_fma_f32 v20, -v12, v7, v4
	v_cndmask_b32_e64 v7, v7, v11, s[4:5]
	v_cmp_ge_f32_e64 s[4:5], 0, v21
	v_fma_f32 v22, -v18, v10, v6
	s_nop 0
	v_cndmask_b32_e64 v10, v10, v17, s[4:5]
	v_cmp_lt_f32_e64 s[4:5], 0, v20
	s_nop 1
	v_cndmask_b32_e64 v7, v7, v12, s[4:5]
	v_cmp_lt_f32_e64 s[4:5], 0, v22
	v_mul_f32_e32 v11, 0x37800000, v7
	v_cndmask_b32_e32 v7, v7, v11, vcc
	v_cndmask_b32_e64 v10, v10, v18, s[4:5]
	v_mul_f32_e32 v12, 0x37800000, v10
	v_cmp_class_f32_e32 vcc, v4, v13
	v_cndmask_b32_e64 v11, v10, v12, s[2:3]
	v_cmp_lt_f16_e64 s[2:3], s9, v5
	v_cndmask_b32_e32 v10, v7, v4, vcc
	v_cmp_class_f32_e32 vcc, v6, v13
	v_cndmask_b32_e64 v3, v3, v15, s[2:3]
	s_nop 0
	v_cndmask_b32_e32 v11, v11, v6, vcc
	v_cmp_gt_f16_sdwa vcc, v5, s9 src0_sel:WORD_1 src1_sel:DWORD
	s_nop 1
	v_cndmask_b32_e32 v4, v9, v16, vcc
	v_mul_f32_e32 v6, 0x4f800000, v4
	v_cmp_gt_f32_e32 vcc, s14, v4
	s_nop 1
	v_cndmask_b32_e32 v4, v4, v6, vcc
	v_sqrt_f32_e32 v6, v4
	s_nop 0
	v_add_u32_e32 v5, -1, v6
	v_fma_f32 v7, -v5, v6, v4
	v_cmp_ge_f32_e64 s[2:3], 0, v7
	v_add_u32_e32 v7, 1, v6
	s_nop 0
	v_cndmask_b32_e64 v5, v6, v5, s[2:3]
	v_fma_f32 v6, -v7, v6, v4
	v_cmp_lt_f32_e64 s[2:3], 0, v6
	s_nop 1
	v_cndmask_b32_e64 v5, v5, v7, s[2:3]
	v_mul_f32_e32 v7, 0x4f800000, v3
	v_cmp_gt_f32_e64 s[2:3], s14, v3
	v_mul_f32_e32 v6, 0x37800000, v5
	v_cndmask_b32_e32 v5, v5, v6, vcc
	v_cndmask_b32_e64 v3, v3, v7, s[2:3]
	v_sqrt_f32_e32 v7, v3
	v_cmp_class_f32_e32 vcc, v4, v13
	s_nop 1
	v_cndmask_b32_e32 v12, v5, v4, vcc
	v_add_u32_e32 v4, -1, v7
	v_fma_f32 v5, -v4, v7, v3
	v_cmp_ge_f32_e32 vcc, 0, v5
	v_add_u32_e32 v5, 1, v7
	v_fma_f32 v6, -v5, v7, v3
	v_cndmask_b32_e32 v4, v7, v4, vcc
	v_cmp_lt_f32_e32 vcc, 0, v6
	s_nop 1
	v_cndmask_b32_e32 v4, v4, v5, vcc
	v_mul_f32_e32 v5, 0x37800000, v4
	v_cndmask_b32_e64 v4, v4, v5, s[2:3]
	v_cmp_class_f32_e32 vcc, v3, v13
	s_cselect_b64 s[2:3], -1, 0
	s_cmp_lt_i32 s16, 1
	v_cndmask_b32_e32 v13, v4, v3, vcc
	v_lshl_add_u64 v[4:5], v[0:1], 2, s[10:11]
	s_cbranch_scc1 .LBB188_29
; %bb.2:
	s_load_dwordx2 s[4:5], s[0:1], 0x20
	s_cmp_lt_u32 s16, 4
	s_cbranch_scc1 .LBB188_21
; %bb.3:
	s_mov_b32 s7, 0
	s_and_b32 s8, s16, 0x7ffffffc
	v_ashrrev_i32_e32 v3, 31, v2
	v_mov_b32_e32 v14, 0
	s_mov_b32 s6, s7
	s_branch .LBB188_5
.LBB188_4:                              ;   in Loop: Header=BB188_5 Depth=1
	s_or_b64 exec, exec, s[12:13]
	s_add_i32 s6, s6, 4
	s_cmp_eq_u32 s6, s8
	s_cbranch_scc1 .LBB188_22
.LBB188_5:                              ; =>This Loop Header: Depth=1
                                        ;     Child Loop BB188_7 Depth 2
                                        ;     Child Loop BB188_11 Depth 2
	;; [unrolled: 1-line block ×4, first 2 shown]
	v_lshl_add_u64 v[6:7], s[6:7], 2, v[4:5]
	global_load_dword v15, v[6:7], off
	v_add_u32_e32 v8, s6, v2
	v_ashrrev_i32_e32 v9, 31, v8
	s_mov_b64 s[12:13], 0
	s_waitcnt lgkmcnt(0)
	v_lshl_add_u64 v[8:9], v[8:9], 2, s[4:5]
	s_mov_b32 s9, 0
	s_waitcnt vmcnt(0)
	v_cmp_eq_u32_e32 vcc, 1, v15
	s_nop 1
	v_cndmask_b32_e32 v17, v11, v10, vcc
	v_cmp_eq_u32_e32 vcc, 2, v15
	v_min_u32_e32 v16, 3, v15
	v_add_u32_e32 v16, 1, v16
	v_cndmask_b32_e32 v17, v17, v13, vcc
	v_cmp_eq_u32_e32 vcc, 3, v15
	s_nop 1
	v_cndmask_b32_e32 v17, v17, v12, vcc
	s_branch .LBB188_7
.LBB188_6:                              ;   in Loop: Header=BB188_7 Depth=2
	s_or_b64 exec, exec, s[14:15]
	s_add_i32 s9, s9, 1
	v_cmp_eq_u32_e32 vcc, s9, v16
	s_or_b64 s[12:13], vcc, s[12:13]
	s_andn2_b64 exec, exec, s[12:13]
	s_cbranch_execz .LBB188_9
.LBB188_7:                              ;   Parent Loop BB188_5 Depth=1
                                        ; =>  This Inner Loop Header: Depth=2
	v_cmp_eq_u32_e32 vcc, s9, v15
	s_and_saveexec_b64 s[14:15], vcc
	s_cbranch_execz .LBB188_6
; %bb.8:                                ;   in Loop: Header=BB188_7 Depth=2
	v_add_f32_e32 v14, v14, v17
	global_store_dword v[8:9], v15, off
	s_branch .LBB188_6
.LBB188_9:                              ;   in Loop: Header=BB188_5 Depth=1
	s_or_b64 exec, exec, s[12:13]
	global_load_dword v15, v[6:7], off offset:4
	s_ashr_i32 s13, s6, 31
	s_mov_b32 s12, s6
	v_lshl_add_u64 v[8:9], s[12:13], 0, v[2:3]
	s_mov_b32 s9, 0
	v_lshl_add_u64 v[8:9], v[8:9], 2, s[4:5]
	s_mov_b64 s[12:13], 0
	s_waitcnt vmcnt(0)
	v_cmp_eq_u32_e32 vcc, 1, v15
	s_nop 1
	v_cndmask_b32_e32 v17, v11, v10, vcc
	v_cmp_eq_u32_e32 vcc, 2, v15
	v_min_u32_e32 v16, 3, v15
	v_add_u32_e32 v16, 1, v16
	v_cndmask_b32_e32 v17, v17, v13, vcc
	v_cmp_eq_u32_e32 vcc, 3, v15
	s_nop 1
	v_cndmask_b32_e32 v17, v17, v12, vcc
	s_branch .LBB188_11
.LBB188_10:                             ;   in Loop: Header=BB188_11 Depth=2
	s_or_b64 exec, exec, s[14:15]
	s_add_i32 s9, s9, 1
	v_cmp_eq_u32_e32 vcc, s9, v16
	s_or_b64 s[12:13], vcc, s[12:13]
	s_andn2_b64 exec, exec, s[12:13]
	s_cbranch_execz .LBB188_13
.LBB188_11:                             ;   Parent Loop BB188_5 Depth=1
                                        ; =>  This Inner Loop Header: Depth=2
	v_cmp_eq_u32_e32 vcc, s9, v15
	s_and_saveexec_b64 s[14:15], vcc
	s_cbranch_execz .LBB188_10
; %bb.12:                               ;   in Loop: Header=BB188_11 Depth=2
	v_add_f32_e32 v14, v14, v17
	global_store_dword v[8:9], v15, off offset:4
	s_branch .LBB188_10
.LBB188_13:                             ;   in Loop: Header=BB188_5 Depth=1
	s_or_b64 exec, exec, s[12:13]
	global_load_dword v15, v[6:7], off offset:8
	s_mov_b32 s9, 0
	s_mov_b64 s[12:13], 0
	s_waitcnt vmcnt(0)
	v_cmp_eq_u32_e32 vcc, 1, v15
	s_nop 1
	v_cndmask_b32_e32 v17, v11, v10, vcc
	v_cmp_eq_u32_e32 vcc, 2, v15
	v_min_u32_e32 v16, 3, v15
	v_add_u32_e32 v16, 1, v16
	v_cndmask_b32_e32 v17, v17, v13, vcc
	v_cmp_eq_u32_e32 vcc, 3, v15
	s_nop 1
	v_cndmask_b32_e32 v17, v17, v12, vcc
	s_branch .LBB188_15
.LBB188_14:                             ;   in Loop: Header=BB188_15 Depth=2
	s_or_b64 exec, exec, s[14:15]
	s_add_i32 s9, s9, 1
	v_cmp_eq_u32_e32 vcc, s9, v16
	s_or_b64 s[12:13], vcc, s[12:13]
	s_andn2_b64 exec, exec, s[12:13]
	s_cbranch_execz .LBB188_17
.LBB188_15:                             ;   Parent Loop BB188_5 Depth=1
                                        ; =>  This Inner Loop Header: Depth=2
	v_cmp_eq_u32_e32 vcc, s9, v15
	s_and_saveexec_b64 s[14:15], vcc
	s_cbranch_execz .LBB188_14
; %bb.16:                               ;   in Loop: Header=BB188_15 Depth=2
	v_add_f32_e32 v14, v14, v17
	global_store_dword v[8:9], v15, off offset:8
	s_branch .LBB188_14
.LBB188_17:                             ;   in Loop: Header=BB188_5 Depth=1
	s_or_b64 exec, exec, s[12:13]
	global_load_dword v6, v[6:7], off offset:12
	s_mov_b32 s9, 0
	s_mov_b64 s[12:13], 0
	s_waitcnt vmcnt(0)
	v_cmp_eq_u32_e32 vcc, 1, v6
	s_nop 1
	v_cndmask_b32_e32 v15, v11, v10, vcc
	v_cmp_eq_u32_e32 vcc, 2, v6
	v_min_u32_e32 v7, 3, v6
	v_add_u32_e32 v7, 1, v7
	v_cndmask_b32_e32 v15, v15, v13, vcc
	v_cmp_eq_u32_e32 vcc, 3, v6
	s_nop 1
	v_cndmask_b32_e32 v15, v15, v12, vcc
	s_branch .LBB188_19
.LBB188_18:                             ;   in Loop: Header=BB188_19 Depth=2
	s_or_b64 exec, exec, s[14:15]
	s_add_i32 s9, s9, 1
	v_cmp_eq_u32_e32 vcc, s9, v7
	s_or_b64 s[12:13], vcc, s[12:13]
	s_andn2_b64 exec, exec, s[12:13]
	s_cbranch_execz .LBB188_4
.LBB188_19:                             ;   Parent Loop BB188_5 Depth=1
                                        ; =>  This Inner Loop Header: Depth=2
	v_cmp_eq_u32_e32 vcc, s9, v6
	s_and_saveexec_b64 s[14:15], vcc
	s_cbranch_execz .LBB188_18
; %bb.20:                               ;   in Loop: Header=BB188_19 Depth=2
	v_add_f32_e32 v14, v14, v15
	global_store_dword v[8:9], v6, off offset:12
	s_branch .LBB188_18
.LBB188_21:
	v_mov_b32_e32 v14, 0
.LBB188_22:
	s_and_b32 s14, s16, 3
	s_cmp_eq_u32 s14, 0
	s_mov_b32 s9, 0
	s_cbranch_scc1 .LBB188_29
; %bb.23:
	s_mov_b32 s15, s9
	s_branch .LBB188_25
.LBB188_24:                             ;   in Loop: Header=BB188_25 Depth=1
	s_or_b64 exec, exec, s[6:7]
	s_add_i32 s8, s8, 1
	s_add_i32 s15, s15, 1
	s_cmp_lg_u32 s15, s14
	s_cbranch_scc0 .LBB188_29
.LBB188_25:                             ; =>This Loop Header: Depth=1
                                        ;     Child Loop BB188_27 Depth 2
	v_lshl_add_u64 v[6:7], s[8:9], 2, v[4:5]
	global_load_dword v3, v[6:7], off
	v_add_u32_e32 v6, s8, v2
	v_ashrrev_i32_e32 v7, 31, v6
	s_mov_b32 s17, 0
	s_waitcnt lgkmcnt(0)
	v_lshl_add_u64 v[6:7], v[6:7], 2, s[4:5]
	s_mov_b64 s[6:7], 0
	s_waitcnt vmcnt(0)
	v_cmp_eq_u32_e32 vcc, 1, v3
	s_nop 1
	v_cndmask_b32_e32 v9, v11, v10, vcc
	v_cmp_eq_u32_e32 vcc, 2, v3
	v_min_u32_e32 v8, 3, v3
	v_add_u32_e32 v8, 1, v8
	v_cndmask_b32_e32 v9, v9, v13, vcc
	v_cmp_eq_u32_e32 vcc, 3, v3
	s_nop 1
	v_cndmask_b32_e32 v9, v9, v12, vcc
	s_branch .LBB188_27
.LBB188_26:                             ;   in Loop: Header=BB188_27 Depth=2
	s_or_b64 exec, exec, s[12:13]
	s_add_i32 s17, s17, 1
	v_cmp_eq_u32_e32 vcc, s17, v8
	s_or_b64 s[6:7], vcc, s[6:7]
	s_andn2_b64 exec, exec, s[6:7]
	s_cbranch_execz .LBB188_24
.LBB188_27:                             ;   Parent Loop BB188_25 Depth=1
                                        ; =>  This Inner Loop Header: Depth=2
	v_cmp_eq_u32_e32 vcc, s17, v3
	s_and_saveexec_b64 s[12:13], vcc
	s_cbranch_execz .LBB188_26
; %bb.28:                               ;   in Loop: Header=BB188_27 Depth=2
	v_add_f32_e32 v14, v14, v9
	global_store_dword v[6:7], v3, off
	s_branch .LBB188_26
.LBB188_29:
	s_load_dword s6, s[0:1], 0x3c
	s_waitcnt lgkmcnt(0)
	s_load_dwordx2 s[4:5], s[0:1], 0x40
	s_bitcmp1_b32 s6, 0
	s_cselect_b64 s[6:7], -1, 0
	s_waitcnt lgkmcnt(0)
	v_cvt_f32_f64_e32 v15, s[4:5]
	s_and_b64 vcc, exec, s[6:7]
	s_cbranch_vccz .LBB188_31
; %bb.30:
	v_cmp_lt_f32_e32 vcc, 0, v14
	s_nop 1
	v_cndmask_b32_e32 v3, 1.0, v14, vcc
	v_div_scale_f32 v6, s[4:5], v3, v3, v15
	v_rcp_f32_e32 v7, v6
	s_nop 0
	v_fma_f32 v8, -v6, v7, 1.0
	v_fmac_f32_e32 v7, v8, v7
	v_div_scale_f32 v8, vcc, v15, v3, v15
	v_mul_f32_e32 v9, v8, v7
	v_fma_f32 v14, -v6, v9, v8
	v_fmac_f32_e32 v9, v14, v7
	v_fma_f32 v6, -v6, v9, v8
	v_div_fmas_f32 v6, v6, v7, v9
	v_div_fixup_f32 v15, v6, v3, v15
.LBB188_31:
	s_andn2_b64 vcc, exec, s[2:3]
	s_cbranch_vccnz .LBB188_56
; %bb.32:
	s_load_dwordx2 s[0:1], s[0:1], 0x10
	s_cmp_lt_u32 s16, 8
	s_mov_b32 s2, 0
	s_cbranch_scc1 .LBB188_51
; %bb.33:
	v_ashrrev_i32_e32 v3, 31, v2
	s_and_b32 s2, s16, 0x7ffffff8
	s_waitcnt lgkmcnt(0)
	v_lshl_add_u64 v[6:7], v[2:3], 2, s[0:1]
	s_mov_b32 s3, 0
	s_mov_b64 s[4:5], 0
	s_branch .LBB188_35
.LBB188_34:                             ;   in Loop: Header=BB188_35 Depth=1
	s_or_b64 exec, exec, s[6:7]
	s_add_i32 s3, s3, 8
	s_add_u32 s4, s4, 32
	s_addc_u32 s5, s5, 0
	s_cmp_eq_u32 s2, s3
	s_cbranch_scc1 .LBB188_51
.LBB188_35:                             ; =>This Inner Loop Header: Depth=1
	v_lshl_add_u64 v[8:9], v[4:5], 0, s[4:5]
	global_load_dword v3, v[8:9], off
	s_waitcnt vmcnt(0)
	v_cmp_gt_u32_e32 vcc, 4, v3
	s_and_saveexec_b64 s[6:7], vcc
	s_cbranch_execz .LBB188_37
; %bb.36:                               ;   in Loop: Header=BB188_35 Depth=1
	v_cmp_eq_u32_e32 vcc, 1, v3
	v_add_u32_e32 v16, s3, v2
	v_ashrrev_i32_e32 v17, 31, v16
	v_cndmask_b32_e32 v14, v11, v10, vcc
	v_cmp_eq_u32_e32 vcc, 2, v3
	v_lshl_add_u64 v[16:17], v[16:17], 2, s[0:1]
	s_nop 0
	v_cndmask_b32_e32 v14, v14, v13, vcc
	v_cmp_eq_u32_e32 vcc, 3, v3
	s_nop 1
	v_cndmask_b32_e32 v3, v14, v12, vcc
	v_mul_f32_e32 v3, v15, v3
	global_store_dword v[16:17], v3, off
.LBB188_37:                             ;   in Loop: Header=BB188_35 Depth=1
	s_or_b64 exec, exec, s[6:7]
	global_load_dword v3, v[8:9], off offset:4
	s_waitcnt vmcnt(0)
	v_cmp_gt_u32_e32 vcc, 4, v3
	s_and_saveexec_b64 s[6:7], vcc
	s_cbranch_execz .LBB188_39
; %bb.38:                               ;   in Loop: Header=BB188_35 Depth=1
	v_cmp_eq_u32_e32 vcc, 1, v3
	v_lshl_add_u64 v[16:17], v[6:7], 0, s[4:5]
	s_nop 0
	v_cndmask_b32_e32 v14, v11, v10, vcc
	v_cmp_eq_u32_e32 vcc, 2, v3
	s_nop 1
	v_cndmask_b32_e32 v14, v14, v13, vcc
	v_cmp_eq_u32_e32 vcc, 3, v3
	s_nop 1
	v_cndmask_b32_e32 v3, v14, v12, vcc
	v_mul_f32_e32 v3, v15, v3
	global_store_dword v[16:17], v3, off offset:4
.LBB188_39:                             ;   in Loop: Header=BB188_35 Depth=1
	s_or_b64 exec, exec, s[6:7]
	global_load_dword v3, v[8:9], off offset:8
	s_waitcnt vmcnt(0)
	v_cmp_gt_u32_e32 vcc, 4, v3
	s_and_saveexec_b64 s[6:7], vcc
	s_cbranch_execz .LBB188_41
; %bb.40:                               ;   in Loop: Header=BB188_35 Depth=1
	v_cmp_eq_u32_e32 vcc, 1, v3
	v_lshl_add_u64 v[16:17], v[6:7], 0, s[4:5]
	s_nop 0
	v_cndmask_b32_e32 v14, v11, v10, vcc
	v_cmp_eq_u32_e32 vcc, 2, v3
	s_nop 1
	v_cndmask_b32_e32 v14, v14, v13, vcc
	v_cmp_eq_u32_e32 vcc, 3, v3
	s_nop 1
	v_cndmask_b32_e32 v3, v14, v12, vcc
	v_mul_f32_e32 v3, v15, v3
	global_store_dword v[16:17], v3, off offset:8
.LBB188_41:                             ;   in Loop: Header=BB188_35 Depth=1
	;; [unrolled: 20-line block ×6, first 2 shown]
	s_or_b64 exec, exec, s[6:7]
	global_load_dword v3, v[8:9], off offset:28
	s_waitcnt vmcnt(0)
	v_cmp_gt_u32_e32 vcc, 4, v3
	s_and_saveexec_b64 s[6:7], vcc
	s_cbranch_execz .LBB188_34
; %bb.50:                               ;   in Loop: Header=BB188_35 Depth=1
	v_cmp_eq_u32_e32 vcc, 1, v3
	s_nop 1
	v_cndmask_b32_e32 v8, v11, v10, vcc
	v_cmp_eq_u32_e32 vcc, 2, v3
	s_nop 1
	v_cndmask_b32_e32 v8, v8, v13, vcc
	;; [unrolled: 3-line block ×3, first 2 shown]
	v_mul_f32_e32 v3, v15, v3
	v_lshl_add_u64 v[8:9], v[6:7], 0, s[4:5]
	global_store_dword v[8:9], v3, off offset:28
	s_branch .LBB188_34
.LBB188_51:
	s_and_b32 s4, s16, 7
	s_cmp_eq_u32 s4, 0
	s_mov_b32 s3, 0
	s_cbranch_scc1 .LBB188_56
; %bb.52:
	v_add_u32_e32 v2, s2, v2
	s_lshl_b64 s[2:3], s[2:3], 2
	s_add_u32 s2, s10, s2
	s_addc_u32 s3, s11, s3
	v_lshl_add_u64 v[0:1], v[0:1], 2, s[2:3]
	s_branch .LBB188_54
.LBB188_53:                             ;   in Loop: Header=BB188_54 Depth=1
	s_or_b64 exec, exec, s[2:3]
	s_add_i32 s4, s4, -1
	v_add_u32_e32 v2, 1, v2
	s_cmp_eq_u32 s4, 0
	v_lshl_add_u64 v[0:1], v[0:1], 0, 4
	s_cbranch_scc1 .LBB188_56
.LBB188_54:                             ; =>This Inner Loop Header: Depth=1
	global_load_dword v3, v[0:1], off
	s_waitcnt vmcnt(0)
	v_cmp_gt_u32_e32 vcc, 4, v3
	s_and_saveexec_b64 s[2:3], vcc
	s_cbranch_execz .LBB188_53
; %bb.55:                               ;   in Loop: Header=BB188_54 Depth=1
	v_cmp_eq_u32_e32 vcc, 1, v3
	s_nop 1
	v_cndmask_b32_e32 v4, v11, v10, vcc
	v_cmp_eq_u32_e32 vcc, 2, v3
	s_nop 1
	v_cndmask_b32_e32 v4, v4, v13, vcc
	;; [unrolled: 3-line block ×3, first 2 shown]
	v_mul_f32_e32 v6, v15, v3
	v_ashrrev_i32_e32 v3, 31, v2
	s_waitcnt lgkmcnt(0)
	v_lshl_add_u64 v[4:5], v[2:3], 2, s[0:1]
	global_store_dword v[4:5], v6, off
	s_branch .LBB188_53
.LBB188_56:
	s_endpgm
	.section	.rodata,"a",@progbits
	.p2align	6, 0x0
	.amdhsa_kernel _ZN4vllm3moe22topkGatingSoftplusSqrtILi4ELi4ELi4ELi8ELi64ELb1Ei6__halfEEvPKT6_PKbPfiPT5_PiiiibdPKfPKS9_SF_
		.amdhsa_group_segment_fixed_size 0
		.amdhsa_private_segment_fixed_size 0
		.amdhsa_kernarg_size 96
		.amdhsa_user_sgpr_count 2
		.amdhsa_user_sgpr_dispatch_ptr 0
		.amdhsa_user_sgpr_queue_ptr 0
		.amdhsa_user_sgpr_kernarg_segment_ptr 1
		.amdhsa_user_sgpr_dispatch_id 0
		.amdhsa_user_sgpr_kernarg_preload_length 0
		.amdhsa_user_sgpr_kernarg_preload_offset 0
		.amdhsa_user_sgpr_private_segment_size 0
		.amdhsa_uses_dynamic_stack 0
		.amdhsa_enable_private_segment 0
		.amdhsa_system_sgpr_workgroup_id_x 1
		.amdhsa_system_sgpr_workgroup_id_y 0
		.amdhsa_system_sgpr_workgroup_id_z 0
		.amdhsa_system_sgpr_workgroup_info 0
		.amdhsa_system_vgpr_workitem_id 1
		.amdhsa_next_free_vgpr 23
		.amdhsa_next_free_sgpr 18
		.amdhsa_accum_offset 24
		.amdhsa_reserve_vcc 1
		.amdhsa_float_round_mode_32 0
		.amdhsa_float_round_mode_16_64 0
		.amdhsa_float_denorm_mode_32 3
		.amdhsa_float_denorm_mode_16_64 3
		.amdhsa_dx10_clamp 1
		.amdhsa_ieee_mode 1
		.amdhsa_fp16_overflow 0
		.amdhsa_tg_split 0
		.amdhsa_exception_fp_ieee_invalid_op 0
		.amdhsa_exception_fp_denorm_src 0
		.amdhsa_exception_fp_ieee_div_zero 0
		.amdhsa_exception_fp_ieee_overflow 0
		.amdhsa_exception_fp_ieee_underflow 0
		.amdhsa_exception_fp_ieee_inexact 0
		.amdhsa_exception_int_div_zero 0
	.end_amdhsa_kernel
	.section	.text._ZN4vllm3moe22topkGatingSoftplusSqrtILi4ELi4ELi4ELi8ELi64ELb1Ei6__halfEEvPKT6_PKbPfiPT5_PiiiibdPKfPKS9_SF_,"axG",@progbits,_ZN4vllm3moe22topkGatingSoftplusSqrtILi4ELi4ELi4ELi8ELi64ELb1Ei6__halfEEvPKT6_PKbPfiPT5_PiiiibdPKfPKS9_SF_,comdat
.Lfunc_end188:
	.size	_ZN4vllm3moe22topkGatingSoftplusSqrtILi4ELi4ELi4ELi8ELi64ELb1Ei6__halfEEvPKT6_PKbPfiPT5_PiiiibdPKfPKS9_SF_, .Lfunc_end188-_ZN4vllm3moe22topkGatingSoftplusSqrtILi4ELi4ELi4ELi8ELi64ELb1Ei6__halfEEvPKT6_PKbPfiPT5_PiiiibdPKfPKS9_SF_
                                        ; -- End function
	.section	.AMDGPU.csdata,"",@progbits
; Kernel info:
; codeLenInByte = 2984
; NumSgprs: 24
; NumVgprs: 23
; NumAgprs: 0
; TotalNumVgprs: 23
; ScratchSize: 0
; MemoryBound: 0
; FloatMode: 240
; IeeeMode: 1
; LDSByteSize: 0 bytes/workgroup (compile time only)
; SGPRBlocks: 2
; VGPRBlocks: 2
; NumSGPRsForWavesPerEU: 24
; NumVGPRsForWavesPerEU: 23
; AccumOffset: 24
; Occupancy: 8
; WaveLimiterHint : 1
; COMPUTE_PGM_RSRC2:SCRATCH_EN: 0
; COMPUTE_PGM_RSRC2:USER_SGPR: 2
; COMPUTE_PGM_RSRC2:TRAP_HANDLER: 0
; COMPUTE_PGM_RSRC2:TGID_X_EN: 1
; COMPUTE_PGM_RSRC2:TGID_Y_EN: 0
; COMPUTE_PGM_RSRC2:TGID_Z_EN: 0
; COMPUTE_PGM_RSRC2:TIDIG_COMP_CNT: 1
; COMPUTE_PGM_RSRC3_GFX90A:ACCUM_OFFSET: 5
; COMPUTE_PGM_RSRC3_GFX90A:TG_SPLIT: 0
	.section	.text._ZN4vllm3moe22topkGatingSoftplusSqrtILi4ELi4ELi4ELi8ELi64ELb0Ei6__halfEEvPKT6_PKbPfiPT5_PiiiibdPKfPKS9_SF_,"axG",@progbits,_ZN4vllm3moe22topkGatingSoftplusSqrtILi4ELi4ELi4ELi8ELi64ELb0Ei6__halfEEvPKT6_PKbPfiPT5_PiiiibdPKfPKS9_SF_,comdat
	.protected	_ZN4vllm3moe22topkGatingSoftplusSqrtILi4ELi4ELi4ELi8ELi64ELb0Ei6__halfEEvPKT6_PKbPfiPT5_PiiiibdPKfPKS9_SF_ ; -- Begin function _ZN4vllm3moe22topkGatingSoftplusSqrtILi4ELi4ELi4ELi8ELi64ELb0Ei6__halfEEvPKT6_PKbPfiPT5_PiiiibdPKfPKS9_SF_
	.globl	_ZN4vllm3moe22topkGatingSoftplusSqrtILi4ELi4ELi4ELi8ELi64ELb0Ei6__halfEEvPKT6_PKbPfiPT5_PiiiibdPKfPKS9_SF_
	.p2align	8
	.type	_ZN4vllm3moe22topkGatingSoftplusSqrtILi4ELi4ELi4ELi8ELi64ELb0Ei6__halfEEvPKT6_PKbPfiPT5_PiiiibdPKfPKS9_SF_,@function
_ZN4vllm3moe22topkGatingSoftplusSqrtILi4ELi4ELi4ELi8ELi64ELb0Ei6__halfEEvPKT6_PKbPfiPT5_PiiiibdPKfPKS9_SF_: ; @_ZN4vllm3moe22topkGatingSoftplusSqrtILi4ELi4ELi4ELi8ELi64ELb0Ei6__halfEEvPKT6_PKbPfiPT5_PiiiibdPKfPKS9_SF_
; %bb.0:
	s_load_dword s24, s[0:1], 0x18
	v_bfe_u32 v1, v0, 10, 10
	s_lshl_b32 s2, s2, 8
	v_lshlrev_b32_e32 v1, 6, v1
	v_and_b32_e32 v0, 0x3ff, v0
	v_add3_u32 v4, v1, v0, s2
	s_waitcnt lgkmcnt(0)
	v_cmp_gt_i32_e32 vcc, s24, v4
	s_and_saveexec_b64 s[2:3], vcc
	s_cbranch_execz .LBB189_32
; %bb.1:
	s_load_dwordx4 s[4:7], s[0:1], 0x0
	s_load_dwordx2 s[20:21], s[0:1], 0x10
	s_waitcnt lgkmcnt(0)
	s_cmp_eq_u64 s[6:7], 0
	s_cbranch_scc1 .LBB189_3
; %bb.2:
	v_ashrrev_i32_e32 v5, 31, v4
	v_lshl_add_u64 v[0:1], s[6:7], 0, v[4:5]
	global_load_ubyte v0, v[0:1], off
	s_waitcnt vmcnt(0)
	v_and_b32_e32 v0, 1, v0
	v_cmp_eq_u32_e32 vcc, 1, v0
	s_xor_b64 s[2:3], vcc, -1
	s_orn2_b64 s[22:23], s[2:3], exec
	s_branch .LBB189_4
.LBB189_3:
	s_mov_b64 s[22:23], -1
.LBB189_4:
	v_lshlrev_b32_e32 v2, 2, v4
	v_mov_b32_e32 v0, s4
	v_mov_b32_e32 v1, s5
	v_ashrrev_i32_e32 v3, 31, v2
	v_lshl_add_u64 v[0:1], v[2:3], 1, v[0:1]
	global_load_dwordx2 v[2:3], v[0:1], off
	s_mov_b32 s15, 0x800000
	v_mov_b32_e32 v5, 0x4f800000
	s_mov_b32 s13, 0x3f317217
	s_mov_b32 s14, 0x7f800000
	v_mov_b32_e32 v6, 0x41b17218
	s_movk_i32 s12, 0x4d00
	s_mov_b32 s16, 0xf800000
	s_load_dwordx4 s[8:11], s[0:1], 0x40
	s_waitcnt lgkmcnt(0)
	s_cmp_lg_u64 s[10:11], 0
	s_cselect_b64 s[6:7], -1, 0
	s_and_b64 s[2:3], exec, s[6:7]
	s_waitcnt vmcnt(0)
	v_cvt_f32_f16_e32 v0, v2
	v_mul_f32_e32 v1, 0x3fb8aa3b, v0
	v_exp_f32_e32 v1, v1
	s_nop 0
	v_add_f32_e32 v1, 1.0, v1
	v_cmp_gt_f32_e32 vcc, s15, v1
	s_nop 1
	v_cndmask_b32_e32 v7, 1.0, v5, vcc
	v_mul_f32_e32 v1, v1, v7
	v_log_f32_e32 v7, v1
	v_cndmask_b32_e32 v8, 0, v6, vcc
	v_mov_b32_e32 v1, 0x260
	v_mul_f32_e32 v9, 0x3f317217, v7
	v_fma_f32 v9, v7, s13, -v9
	v_fmac_f32_e32 v9, 0x3377d1cf, v7
	v_fmac_f32_e32 v9, 0x3f317217, v7
	v_cmp_lt_f32_e64 vcc, |v7|, s14
	s_nop 1
	v_cndmask_b32_e32 v7, v7, v9, vcc
	v_sub_f32_e32 v7, v7, v8
	v_cmp_lt_f16_e32 vcc, s12, v2
	s_nop 1
	v_cndmask_b32_e32 v0, v7, v0, vcc
	v_mul_f32_e32 v7, 0x4f800000, v0
	v_cmp_gt_f32_e32 vcc, s16, v0
	s_nop 1
	v_cndmask_b32_e32 v0, v0, v7, vcc
	v_sqrt_f32_e32 v7, v0
	s_nop 0
	v_add_u32_e32 v8, -1, v7
	v_add_u32_e32 v9, 1, v7
	v_fma_f32 v10, -v8, v7, v0
	v_fma_f32 v11, -v9, v7, v0
	v_cmp_ge_f32_e64 s[4:5], 0, v10
	s_nop 1
	v_cndmask_b32_e64 v7, v7, v8, s[4:5]
	v_cmp_lt_f32_e64 s[4:5], 0, v11
	s_nop 1
	v_cndmask_b32_e64 v7, v7, v9, s[4:5]
	v_mul_f32_e32 v8, 0x37800000, v7
	v_cndmask_b32_e32 v7, v7, v8, vcc
	v_cmp_class_f32_e32 vcc, v0, v1
	s_nop 1
	v_cndmask_b32_e32 v0, v7, v0, vcc
	s_mov_b64 vcc, s[2:3]
	s_cbranch_vccz .LBB189_6
; %bb.5:
	s_load_dword s2, s[10:11], 0x0
	s_waitcnt lgkmcnt(0)
	v_add_f32_e32 v0, s2, v0
.LBB189_6:
	v_cvt_f32_f16_sdwa v7, v2 dst_sel:DWORD dst_unused:UNUSED_PAD src0_sel:WORD_1
	v_mul_f32_e32 v8, 0x3fb8aa3b, v7
	v_exp_f32_e32 v8, v8
	s_nop 0
	v_add_f32_e32 v8, 1.0, v8
	v_cmp_gt_f32_e32 vcc, s15, v8
	s_nop 1
	v_cndmask_b32_e32 v5, 1.0, v5, vcc
	v_mul_f32_e32 v5, v8, v5
	v_log_f32_e32 v5, v5
	v_cndmask_b32_e32 v6, 0, v6, vcc
	v_mul_f32_e32 v8, 0x3f317217, v5
	v_fma_f32 v8, v5, s13, -v8
	v_fmac_f32_e32 v8, 0x3377d1cf, v5
	v_fmac_f32_e32 v8, 0x3f317217, v5
	v_cmp_lt_f32_e64 vcc, |v5|, s14
	s_nop 1
	v_cndmask_b32_e32 v5, v5, v8, vcc
	v_sub_f32_e32 v5, v5, v6
	v_cmp_gt_f16_sdwa vcc, v2, s12 src0_sel:WORD_1 src1_sel:DWORD
	v_cndmask_b32_e64 v6, 0, 1, s[6:7]
	v_cmp_ne_u32_e64 s[2:3], 1, v6
	v_cndmask_b32_e32 v2, v5, v7, vcc
	v_mul_f32_e32 v5, 0x4f800000, v2
	v_cmp_gt_f32_e64 s[4:5], s16, v2
	s_andn2_b64 vcc, exec, s[6:7]
	s_nop 0
	v_cndmask_b32_e64 v2, v2, v5, s[4:5]
	v_sqrt_f32_e32 v5, v2
	s_nop 0
	v_add_u32_e32 v6, -1, v5
	v_add_u32_e32 v7, 1, v5
	v_fma_f32 v8, -v6, v5, v2
	v_fma_f32 v9, -v7, v5, v2
	v_cmp_ge_f32_e64 s[6:7], 0, v8
	s_nop 1
	v_cndmask_b32_e64 v5, v5, v6, s[6:7]
	v_cmp_lt_f32_e64 s[6:7], 0, v9
	s_nop 1
	v_cndmask_b32_e64 v5, v5, v7, s[6:7]
	v_mul_f32_e32 v6, 0x37800000, v5
	v_cndmask_b32_e64 v5, v5, v6, s[4:5]
	v_cmp_class_f32_e64 s[4:5], v2, v1
	s_nop 1
	v_cndmask_b32_e64 v1, v5, v2, s[4:5]
	s_cbranch_vccnz .LBB189_8
; %bb.7:
	s_load_dword s4, s[10:11], 0x4
	s_waitcnt lgkmcnt(0)
	v_add_f32_e32 v1, s4, v1
.LBB189_8:
	v_cvt_f32_f16_e32 v2, v3
	s_mov_b32 s12, 0x800000
	v_mov_b32_e32 v6, 0x4f800000
	s_mov_b32 s7, 0x3f317217
	v_mul_f32_e32 v5, 0x3fb8aa3b, v2
	v_exp_f32_e32 v5, v5
	s_mov_b32 s13, 0x7f800000
	s_movk_i32 s6, 0x4d00
	s_mov_b32 s14, 0xf800000
	v_add_f32_e32 v5, 1.0, v5
	v_cmp_gt_f32_e32 vcc, s12, v5
	s_nop 1
	v_cndmask_b32_e32 v7, 1.0, v6, vcc
	v_mul_f32_e32 v5, v5, v7
	v_log_f32_e32 v5, v5
	v_mov_b32_e32 v7, 0x41b17218
	v_cndmask_b32_e32 v8, 0, v7, vcc
	v_mul_f32_e32 v9, 0x3f317217, v5
	v_fma_f32 v9, v5, s7, -v9
	v_fmac_f32_e32 v9, 0x3377d1cf, v5
	v_fmac_f32_e32 v9, 0x3f317217, v5
	v_cmp_lt_f32_e64 vcc, |v5|, s13
	s_nop 1
	v_cndmask_b32_e32 v5, v5, v9, vcc
	v_sub_f32_e32 v5, v5, v8
	v_cmp_lt_f16_e32 vcc, s6, v3
	s_nop 1
	v_cndmask_b32_e32 v2, v5, v2, vcc
	v_mul_f32_e32 v5, 0x4f800000, v2
	v_cmp_gt_f32_e32 vcc, s14, v2
	s_nop 1
	v_cndmask_b32_e32 v2, v2, v5, vcc
	v_sqrt_f32_e32 v5, v2
	s_nop 0
	v_add_u32_e32 v8, -1, v5
	v_fma_f32 v9, -v8, v5, v2
	v_cmp_ge_f32_e64 s[4:5], 0, v9
	v_add_u32_e32 v9, 1, v5
	s_nop 0
	v_cndmask_b32_e64 v8, v5, v8, s[4:5]
	v_fma_f32 v5, -v9, v5, v2
	v_cmp_lt_f32_e64 s[4:5], 0, v5
	s_nop 1
	v_cndmask_b32_e64 v5, v8, v9, s[4:5]
	v_mul_f32_e32 v8, 0x37800000, v5
	v_cndmask_b32_e32 v8, v5, v8, vcc
	v_mov_b32_e32 v5, 0x260
	v_cmp_class_f32_e64 s[4:5], v2, v5
	s_and_b64 vcc, exec, s[2:3]
	s_nop 0
	v_cndmask_b32_e64 v2, v8, v2, s[4:5]
	s_cbranch_vccnz .LBB189_10
; %bb.9:
	s_load_dword s4, s[10:11], 0x8
	s_waitcnt lgkmcnt(0)
	v_add_f32_e32 v2, s4, v2
.LBB189_10:
	v_cvt_f32_f16_sdwa v8, v3 dst_sel:DWORD dst_unused:UNUSED_PAD src0_sel:WORD_1
	v_mul_f32_e32 v9, 0x3fb8aa3b, v8
	v_exp_f32_e32 v9, v9
	s_nop 0
	v_add_f32_e32 v9, 1.0, v9
	v_cmp_gt_f32_e32 vcc, s12, v9
	s_nop 1
	v_cndmask_b32_e32 v6, 1.0, v6, vcc
	v_mul_f32_e32 v6, v9, v6
	v_log_f32_e32 v6, v6
	v_cndmask_b32_e32 v7, 0, v7, vcc
	v_mul_f32_e32 v9, 0x3f317217, v6
	v_fma_f32 v9, v6, s7, -v9
	v_fmac_f32_e32 v9, 0x3377d1cf, v6
	v_fmac_f32_e32 v9, 0x3f317217, v6
	v_cmp_lt_f32_e64 vcc, |v6|, s13
	s_nop 1
	v_cndmask_b32_e32 v6, v6, v9, vcc
	v_sub_f32_e32 v6, v6, v7
	v_cmp_gt_f16_sdwa vcc, v3, s6 src0_sel:WORD_1 src1_sel:DWORD
	s_nop 1
	v_cndmask_b32_e32 v3, v6, v8, vcc
	v_mul_f32_e32 v6, 0x4f800000, v3
	v_cmp_gt_f32_e64 s[4:5], s14, v3
	s_and_b64 vcc, exec, s[2:3]
	s_nop 0
	v_cndmask_b32_e64 v3, v3, v6, s[4:5]
	v_sqrt_f32_e32 v6, v3
	s_nop 0
	v_add_u32_e32 v7, -1, v6
	v_add_u32_e32 v8, 1, v6
	v_fma_f32 v9, -v7, v6, v3
	v_fma_f32 v10, -v8, v6, v3
	v_cmp_ge_f32_e64 s[6:7], 0, v9
	s_nop 1
	v_cndmask_b32_e64 v6, v6, v7, s[6:7]
	v_cmp_lt_f32_e64 s[6:7], 0, v10
	s_nop 1
	v_cndmask_b32_e64 v6, v6, v8, s[6:7]
	v_mul_f32_e32 v7, 0x37800000, v6
	v_cndmask_b32_e64 v6, v6, v7, s[4:5]
	v_cmp_class_f32_e64 s[4:5], v3, v5
	s_nop 1
	v_cndmask_b32_e64 v3, v6, v3, s[4:5]
	s_cbranch_vccnz .LBB189_12
; %bb.11:
	s_load_dword s4, s[10:11], 0xc
	s_waitcnt lgkmcnt(0)
	v_add_f32_e32 v3, s4, v3
.LBB189_12:
	s_load_dwordx4 s[12:15], s[0:1], 0x30
	s_mov_b32 s25, 0
	s_waitcnt lgkmcnt(0)
	s_bitcmp1_b32 s15, 0
	s_cselect_b64 s[4:5], -1, 0
	s_cmp_gt_i32 s12, 0
	s_cselect_b64 s[6:7], -1, 0
	s_and_b64 vcc, exec, s[6:7]
	v_mul_lo_u32 v6, v4, s12
	s_cbranch_vccz .LBB189_19
; %bb.13:
	s_load_dwordx4 s[16:19], s[0:1], 0x20
	v_mov_b32_e32 v5, 0
	v_mov_b32_e32 v7, 0xc61c4000
	s_branch .LBB189_15
.LBB189_14:                             ;   in Loop: Header=BB189_15 Depth=1
	v_add_f32_e32 v8, v5, v8
	v_cndmask_b32_e64 v5, v5, v8, s[4:5]
	s_cmp_lg_u32 s12, s25
	v_add_u32_e32 v4, s24, v4
	s_cbranch_scc0 .LBB189_20
.LBB189_15:                             ; =>This Inner Loop Header: Depth=1
	v_cmp_gt_f32_e32 vcc, v1, v0
	s_nop 1
	v_cndmask_b32_e32 v9, v0, v1, vcc
	v_cndmask_b32_e64 v8, 0, 1, vcc
	v_cmp_gt_f32_e32 vcc, v2, v9
	s_nop 1
	v_cndmask_b32_e32 v10, v9, v2, vcc
	v_cndmask_b32_e64 v8, v8, 2, vcc
	v_cmp_gt_f32_e64 s[0:1], v3, v10
	s_and_b64 vcc, exec, s[2:3]
	s_nop 0
	v_cndmask_b32_e64 v9, v8, 3, s[0:1]
	v_cndmask_b32_e64 v8, v10, v3, s[0:1]
	s_cbranch_vccnz .LBB189_17
; %bb.16:                               ;   in Loop: Header=BB189_15 Depth=1
	v_lshlrev_b32_e32 v10, 2, v9
	global_load_dword v10, v10, s[10:11]
	s_waitcnt vmcnt(0)
	v_sub_f32_e32 v8, v8, v10
.LBB189_17:                             ;   in Loop: Header=BB189_15 Depth=1
	v_add_u32_e32 v10, s25, v6
	v_ashrrev_i32_e32 v11, 31, v10
	v_cmp_le_i32_e32 vcc, s13, v9
	v_cmp_gt_i32_e64 s[0:1], s14, v9
	v_lshlrev_b64 v[10:11], 2, v[10:11]
	s_and_b64 s[0:1], vcc, s[0:1]
	v_lshl_add_u64 v[12:13], s[20:21], 0, v[10:11]
	global_store_dword v[12:13], v8, off
	v_subrev_u32_e32 v12, s13, v9
	s_and_b64 vcc, s[22:23], s[0:1]
	s_add_i32 s25, s25, 1
	v_cndmask_b32_e32 v14, 4, v12, vcc
	s_waitcnt lgkmcnt(0)
	v_lshl_add_u64 v[12:13], s[16:17], 0, v[10:11]
	v_lshl_add_u64 v[10:11], s[18:19], 0, v[10:11]
	s_cmp_ge_i32 s25, s12
	global_store_dword v[12:13], v14, off
	global_store_dword v[10:11], v4, off
	s_cbranch_scc1 .LBB189_14
; %bb.18:                               ;   in Loop: Header=BB189_15 Depth=1
	v_cmp_ne_u32_e32 vcc, 3, v9
	s_nop 1
	v_cndmask_b32_e32 v3, v7, v3, vcc
	v_cmp_ne_u32_e32 vcc, 2, v9
	s_nop 1
	v_cndmask_b32_e32 v2, v7, v2, vcc
	;; [unrolled: 3-line block ×4, first 2 shown]
	s_branch .LBB189_14
.LBB189_19:
	v_mov_b32_e32 v5, 0
.LBB189_20:
	s_andn2_b64 vcc, exec, s[4:5]
	v_cvt_f32_f64_e32 v0, s[8:9]
	s_cbranch_vccnz .LBB189_22
; %bb.21:
	v_cmp_lt_f32_e32 vcc, 0, v5
	s_nop 1
	v_cndmask_b32_e32 v1, 1.0, v5, vcc
	v_div_scale_f32 v2, s[0:1], v1, v1, v0
	v_rcp_f32_e32 v3, v2
	s_nop 0
	v_fma_f32 v4, -v2, v3, 1.0
	v_fmac_f32_e32 v3, v4, v3
	v_div_scale_f32 v4, vcc, v0, v1, v0
	v_mul_f32_e32 v5, v4, v3
	v_fma_f32 v7, -v2, v5, v4
	v_fmac_f32_e32 v5, v7, v3
	v_fma_f32 v2, -v2, v5, v4
	v_div_fmas_f32 v2, v2, v3, v5
	v_div_fixup_f32 v0, v2, v1, v0
.LBB189_22:
	s_andn2_b64 vcc, exec, s[6:7]
	s_cbranch_vccnz .LBB189_32
; %bb.23:
	s_cmp_gt_u32 s12, 3
	v_ashrrev_i32_e32 v7, 31, v6
	s_cbranch_scc0 .LBB189_27
; %bb.24:
	s_and_b32 s0, s12, 0x7ffffffc
	v_lshl_add_u64 v[2:3], v[6:7], 2, s[20:21]
	v_mov_b32_e32 v1, v0
	v_lshl_add_u64 v[2:3], v[2:3], 0, 8
	s_mov_b32 s1, s0
.LBB189_25:                             ; =>This Inner Loop Header: Depth=1
	global_load_dwordx4 v[8:11], v[2:3], off offset:-8
	s_add_i32 s1, s1, -4
	s_cmp_lg_u32 s1, 0
	s_waitcnt vmcnt(0)
	v_pk_mul_f32 v[8:9], v[0:1], v[8:9]
	v_pk_mul_f32 v[10:11], v[0:1], v[10:11]
	global_store_dwordx4 v[2:3], v[8:11], off offset:-8
	v_lshl_add_u64 v[2:3], v[2:3], 0, 16
	s_cbranch_scc1 .LBB189_25
; %bb.26:
	s_cmp_lg_u32 s0, s12
	s_cselect_b64 s[2:3], -1, 0
	s_branch .LBB189_29
.LBB189_27:
	s_mov_b64 s[2:3], 0
                                        ; implicit-def: $sgpr0
	s_cbranch_execz .LBB189_29
; %bb.28:
	s_mov_b64 s[2:3], -1
	s_mov_b32 s0, 0
.LBB189_29:
	s_andn2_b64 vcc, exec, s[2:3]
	s_cbranch_vccnz .LBB189_32
; %bb.30:
	s_mov_b32 s1, 0
	v_lshl_add_u64 v[2:3], v[6:7], 0, s[0:1]
	s_sub_i32 s2, s12, s0
	v_lshl_add_u64 v[2:3], v[2:3], 2, s[20:21]
.LBB189_31:                             ; =>This Inner Loop Header: Depth=1
	global_load_dword v1, v[2:3], off
	s_add_i32 s2, s2, -1
	s_cmp_lg_u32 s2, 0
	s_waitcnt vmcnt(0)
	v_mul_f32_e32 v1, v0, v1
	global_store_dword v[2:3], v1, off
	v_lshl_add_u64 v[2:3], v[2:3], 0, 4
	s_cbranch_scc1 .LBB189_31
.LBB189_32:
	s_endpgm
	.section	.rodata,"a",@progbits
	.p2align	6, 0x0
	.amdhsa_kernel _ZN4vllm3moe22topkGatingSoftplusSqrtILi4ELi4ELi4ELi8ELi64ELb0Ei6__halfEEvPKT6_PKbPfiPT5_PiiiibdPKfPKS9_SF_
		.amdhsa_group_segment_fixed_size 0
		.amdhsa_private_segment_fixed_size 0
		.amdhsa_kernarg_size 96
		.amdhsa_user_sgpr_count 2
		.amdhsa_user_sgpr_dispatch_ptr 0
		.amdhsa_user_sgpr_queue_ptr 0
		.amdhsa_user_sgpr_kernarg_segment_ptr 1
		.amdhsa_user_sgpr_dispatch_id 0
		.amdhsa_user_sgpr_kernarg_preload_length 0
		.amdhsa_user_sgpr_kernarg_preload_offset 0
		.amdhsa_user_sgpr_private_segment_size 0
		.amdhsa_uses_dynamic_stack 0
		.amdhsa_enable_private_segment 0
		.amdhsa_system_sgpr_workgroup_id_x 1
		.amdhsa_system_sgpr_workgroup_id_y 0
		.amdhsa_system_sgpr_workgroup_id_z 0
		.amdhsa_system_sgpr_workgroup_info 0
		.amdhsa_system_vgpr_workitem_id 1
		.amdhsa_next_free_vgpr 15
		.amdhsa_next_free_sgpr 26
		.amdhsa_accum_offset 16
		.amdhsa_reserve_vcc 1
		.amdhsa_float_round_mode_32 0
		.amdhsa_float_round_mode_16_64 0
		.amdhsa_float_denorm_mode_32 3
		.amdhsa_float_denorm_mode_16_64 3
		.amdhsa_dx10_clamp 1
		.amdhsa_ieee_mode 1
		.amdhsa_fp16_overflow 0
		.amdhsa_tg_split 0
		.amdhsa_exception_fp_ieee_invalid_op 0
		.amdhsa_exception_fp_denorm_src 0
		.amdhsa_exception_fp_ieee_div_zero 0
		.amdhsa_exception_fp_ieee_overflow 0
		.amdhsa_exception_fp_ieee_underflow 0
		.amdhsa_exception_fp_ieee_inexact 0
		.amdhsa_exception_int_div_zero 0
	.end_amdhsa_kernel
	.section	.text._ZN4vllm3moe22topkGatingSoftplusSqrtILi4ELi4ELi4ELi8ELi64ELb0Ei6__halfEEvPKT6_PKbPfiPT5_PiiiibdPKfPKS9_SF_,"axG",@progbits,_ZN4vllm3moe22topkGatingSoftplusSqrtILi4ELi4ELi4ELi8ELi64ELb0Ei6__halfEEvPKT6_PKbPfiPT5_PiiiibdPKfPKS9_SF_,comdat
.Lfunc_end189:
	.size	_ZN4vllm3moe22topkGatingSoftplusSqrtILi4ELi4ELi4ELi8ELi64ELb0Ei6__halfEEvPKT6_PKbPfiPT5_PiiiibdPKfPKS9_SF_, .Lfunc_end189-_ZN4vllm3moe22topkGatingSoftplusSqrtILi4ELi4ELi4ELi8ELi64ELb0Ei6__halfEEvPKT6_PKbPfiPT5_PiiiibdPKfPKS9_SF_
                                        ; -- End function
	.section	.AMDGPU.csdata,"",@progbits
; Kernel info:
; codeLenInByte = 2064
; NumSgprs: 32
; NumVgprs: 15
; NumAgprs: 0
; TotalNumVgprs: 15
; ScratchSize: 0
; MemoryBound: 0
; FloatMode: 240
; IeeeMode: 1
; LDSByteSize: 0 bytes/workgroup (compile time only)
; SGPRBlocks: 3
; VGPRBlocks: 1
; NumSGPRsForWavesPerEU: 32
; NumVGPRsForWavesPerEU: 15
; AccumOffset: 16
; Occupancy: 8
; WaveLimiterHint : 0
; COMPUTE_PGM_RSRC2:SCRATCH_EN: 0
; COMPUTE_PGM_RSRC2:USER_SGPR: 2
; COMPUTE_PGM_RSRC2:TRAP_HANDLER: 0
; COMPUTE_PGM_RSRC2:TGID_X_EN: 1
; COMPUTE_PGM_RSRC2:TGID_Y_EN: 0
; COMPUTE_PGM_RSRC2:TGID_Z_EN: 0
; COMPUTE_PGM_RSRC2:TIDIG_COMP_CNT: 1
; COMPUTE_PGM_RSRC3_GFX90A:ACCUM_OFFSET: 3
; COMPUTE_PGM_RSRC3_GFX90A:TG_SPLIT: 0
	.section	.text._ZN4vllm3moe22topkGatingSoftplusSqrtILi4ELi4ELi4ELi8ELi32ELb1Ei6__halfEEvPKT6_PKbPfiPT5_PiiiibdPKfPKS9_SF_,"axG",@progbits,_ZN4vllm3moe22topkGatingSoftplusSqrtILi4ELi4ELi4ELi8ELi32ELb1Ei6__halfEEvPKT6_PKbPfiPT5_PiiiibdPKfPKS9_SF_,comdat
	.protected	_ZN4vllm3moe22topkGatingSoftplusSqrtILi4ELi4ELi4ELi8ELi32ELb1Ei6__halfEEvPKT6_PKbPfiPT5_PiiiibdPKfPKS9_SF_ ; -- Begin function _ZN4vllm3moe22topkGatingSoftplusSqrtILi4ELi4ELi4ELi8ELi32ELb1Ei6__halfEEvPKT6_PKbPfiPT5_PiiiibdPKfPKS9_SF_
	.globl	_ZN4vllm3moe22topkGatingSoftplusSqrtILi4ELi4ELi4ELi8ELi32ELb1Ei6__halfEEvPKT6_PKbPfiPT5_PiiiibdPKfPKS9_SF_
	.p2align	8
	.type	_ZN4vllm3moe22topkGatingSoftplusSqrtILi4ELi4ELi4ELi8ELi32ELb1Ei6__halfEEvPKT6_PKbPfiPT5_PiiiibdPKfPKS9_SF_,@function
_ZN4vllm3moe22topkGatingSoftplusSqrtILi4ELi4ELi4ELi8ELi32ELb1Ei6__halfEEvPKT6_PKbPfiPT5_PiiiibdPKfPKS9_SF_: ; @_ZN4vllm3moe22topkGatingSoftplusSqrtILi4ELi4ELi4ELi8ELi32ELb1Ei6__halfEEvPKT6_PKbPfiPT5_PiiiibdPKfPKS9_SF_
; %bb.0:
	s_load_dword s3, s[0:1], 0x18
	v_bfe_u32 v1, v0, 10, 10
	s_lshl_b32 s2, s2, 7
	v_lshlrev_b32_e32 v1, 5, v1
	v_and_b32_e32 v0, 0x3ff, v0
	v_add3_u32 v2, v1, v0, s2
	s_waitcnt lgkmcnt(0)
	v_cmp_gt_i32_e32 vcc, s3, v2
	s_and_saveexec_b64 s[2:3], vcc
	s_cbranch_execz .LBB190_56
; %bb.1:
	s_load_dwordx2 s[2:3], s[0:1], 0x0
	s_load_dword s16, s[0:1], 0x30
	v_lshlrev_b32_e32 v0, 2, v2
	v_ashrrev_i32_e32 v1, 31, v0
	s_load_dwordx4 s[8:11], s[0:1], 0x50
	s_waitcnt lgkmcnt(0)
	v_lshl_add_u64 v[0:1], v[0:1], 1, s[2:3]
	global_load_dwordx2 v[4:5], v[0:1], off
	v_ashrrev_i32_e32 v3, 31, v2
	s_mov_b32 s6, 0x800000
	v_mov_b32_e32 v0, s8
	v_mov_b32_e32 v1, s9
	v_lshl_add_u64 v[0:1], v[2:3], 2, v[0:1]
	global_load_dword v0, v[0:1], off
	v_mov_b32_e32 v3, 0x4f800000
	v_mov_b32_e32 v10, 0x41b17218
	s_mov_b32 s12, 0x3f317217
	s_mov_b32 s13, 0x7f800000
	s_movk_i32 s9, 0x4d00
	s_mov_b32 s14, 0xf800000
	v_mov_b32_e32 v13, 0x260
	s_cmp_gt_i32 s16, 0
	s_mov_b32 s8, 0
	v_mov_b32_e32 v14, 0
	v_mul_lo_u32 v2, v2, s16
	s_waitcnt vmcnt(1)
	v_cvt_f32_f16_e32 v11, v4
	v_cvt_f32_f16_sdwa v12, v4 dst_sel:DWORD dst_unused:UNUSED_PAD src0_sel:WORD_1
	v_cvt_f32_f16_e32 v15, v5
	v_cvt_f32_f16_sdwa v16, v5 dst_sel:DWORD dst_unused:UNUSED_PAD src0_sel:WORD_1
	v_mul_f32_e32 v1, 0x3fb8aa3b, v11
	v_mul_f32_e32 v7, 0x3fb8aa3b, v12
	v_exp_f32_e32 v6, v1
	v_exp_f32_e32 v7, v7
	v_mul_f32_e32 v8, 0x3fb8aa3b, v15
	v_mul_f32_e32 v9, 0x3fb8aa3b, v16
	v_exp_f32_e32 v8, v8
	v_exp_f32_e32 v9, v9
	v_pk_add_f32 v[6:7], v[6:7], 1.0 op_sel_hi:[1,0]
	s_waitcnt vmcnt(0)
	v_mul_lo_u32 v0, v0, s16
	v_cmp_gt_f32_e32 vcc, s6, v7
	v_pk_add_f32 v[8:9], v[8:9], 1.0 op_sel_hi:[1,0]
	v_cmp_gt_f32_e64 s[2:3], s6, v6
	v_cndmask_b32_e32 v17, 1.0, v3, vcc
	v_cmp_gt_f32_e64 s[4:5], s6, v9
	v_cndmask_b32_e64 v18, 1.0, v3, s[2:3]
	v_mul_f32_e32 v7, v7, v17
	v_cndmask_b32_e64 v19, 1.0, v3, s[4:5]
	v_cmp_gt_f32_e64 s[6:7], s6, v8
	v_mul_f32_e32 v6, v6, v18
	v_log_f32_e32 v7, v7
	v_cndmask_b32_e64 v3, 1.0, v3, s[6:7]
	v_mul_f32_e32 v9, v9, v19
	v_log_f32_e32 v6, v6
	v_mul_f32_e32 v3, v8, v3
	v_log_f32_e32 v9, v9
	v_log_f32_e32 v3, v3
	v_cndmask_b32_e32 v17, 0, v10, vcc
	v_cndmask_b32_e64 v18, 0, v10, s[2:3]
	v_cndmask_b32_e64 v19, 0, v10, s[4:5]
	;; [unrolled: 1-line block ×3, first 2 shown]
	v_mul_f32_e32 v10, 0x3f317217, v7
	v_mul_f32_e32 v20, 0x3f317217, v6
	v_fma_f32 v10, v7, s12, -v10
	v_mul_f32_e32 v21, 0x3f317217, v9
	v_fma_f32 v20, v6, s12, -v20
	v_fmac_f32_e32 v10, 0x3377d1cf, v7
	v_mul_f32_e32 v22, 0x3f317217, v3
	v_fma_f32 v21, v9, s12, -v21
	v_fmac_f32_e32 v20, 0x3377d1cf, v6
	v_fmac_f32_e32 v10, 0x3f317217, v7
	v_cmp_lt_f32_e64 vcc, |v7|, s13
	v_fma_f32 v22, v3, s12, -v22
	v_fmac_f32_e32 v21, 0x3377d1cf, v9
	v_fmac_f32_e32 v20, 0x3f317217, v6
	v_cndmask_b32_e32 v7, v7, v10, vcc
	v_cmp_lt_f32_e64 vcc, |v6|, s13
	v_fmac_f32_e32 v22, 0x3377d1cf, v3
	v_fmac_f32_e32 v21, 0x3f317217, v9
	v_cndmask_b32_e32 v6, v6, v20, vcc
	v_cmp_lt_f32_e64 vcc, |v9|, s13
	v_fmac_f32_e32 v22, 0x3f317217, v3
	v_sub_f32_e32 v6, v6, v18
	v_cndmask_b32_e32 v9, v9, v21, vcc
	v_cmp_lt_f32_e64 vcc, |v3|, s13
	v_sub_f32_e32 v7, v7, v17
	v_sub_f32_e32 v9, v9, v19
	v_cndmask_b32_e32 v3, v3, v22, vcc
	v_cmp_lt_f16_e32 vcc, s9, v4
	v_sub_f32_e32 v3, v3, v8
	v_ashrrev_i32_e32 v1, 31, v0
	v_cndmask_b32_e32 v6, v6, v11, vcc
	v_cmp_gt_f16_sdwa vcc, v4, s9 src0_sel:WORD_1 src1_sel:DWORD
	v_mul_f32_e32 v10, 0x4f800000, v6
	v_cmp_gt_f32_e64 s[2:3], s14, v6
	v_cndmask_b32_e32 v4, v7, v12, vcc
	v_mul_f32_e32 v7, 0x4f800000, v4
	v_cmp_gt_f32_e32 vcc, s14, v4
	v_cndmask_b32_e64 v6, v6, v10, s[2:3]
	v_sqrt_f32_e32 v10, v6
	v_cndmask_b32_e32 v4, v4, v7, vcc
	v_sqrt_f32_e32 v7, v4
	v_add_u32_e32 v17, -1, v10
	v_fma_f32 v21, -v17, v10, v6
	v_add_u32_e32 v11, -1, v7
	v_fma_f32 v19, -v11, v7, v4
	v_add_u32_e32 v12, 1, v7
	v_cmp_ge_f32_e64 s[4:5], 0, v19
	v_add_u32_e32 v18, 1, v10
	v_fma_f32 v20, -v12, v7, v4
	v_cndmask_b32_e64 v7, v7, v11, s[4:5]
	v_cmp_ge_f32_e64 s[4:5], 0, v21
	v_fma_f32 v22, -v18, v10, v6
	s_nop 0
	v_cndmask_b32_e64 v10, v10, v17, s[4:5]
	v_cmp_lt_f32_e64 s[4:5], 0, v20
	s_nop 1
	v_cndmask_b32_e64 v7, v7, v12, s[4:5]
	v_cmp_lt_f32_e64 s[4:5], 0, v22
	v_mul_f32_e32 v11, 0x37800000, v7
	v_cndmask_b32_e32 v7, v7, v11, vcc
	v_cndmask_b32_e64 v10, v10, v18, s[4:5]
	v_mul_f32_e32 v12, 0x37800000, v10
	v_cmp_class_f32_e32 vcc, v4, v13
	v_cndmask_b32_e64 v11, v10, v12, s[2:3]
	v_cmp_lt_f16_e64 s[2:3], s9, v5
	v_cndmask_b32_e32 v10, v7, v4, vcc
	v_cmp_class_f32_e32 vcc, v6, v13
	v_cndmask_b32_e64 v3, v3, v15, s[2:3]
	s_nop 0
	v_cndmask_b32_e32 v11, v11, v6, vcc
	v_cmp_gt_f16_sdwa vcc, v5, s9 src0_sel:WORD_1 src1_sel:DWORD
	s_nop 1
	v_cndmask_b32_e32 v4, v9, v16, vcc
	v_mul_f32_e32 v6, 0x4f800000, v4
	v_cmp_gt_f32_e32 vcc, s14, v4
	s_nop 1
	v_cndmask_b32_e32 v4, v4, v6, vcc
	v_sqrt_f32_e32 v6, v4
	s_nop 0
	v_add_u32_e32 v5, -1, v6
	v_fma_f32 v7, -v5, v6, v4
	v_cmp_ge_f32_e64 s[2:3], 0, v7
	v_add_u32_e32 v7, 1, v6
	s_nop 0
	v_cndmask_b32_e64 v5, v6, v5, s[2:3]
	v_fma_f32 v6, -v7, v6, v4
	v_cmp_lt_f32_e64 s[2:3], 0, v6
	s_nop 1
	v_cndmask_b32_e64 v5, v5, v7, s[2:3]
	v_mul_f32_e32 v7, 0x4f800000, v3
	v_cmp_gt_f32_e64 s[2:3], s14, v3
	v_mul_f32_e32 v6, 0x37800000, v5
	v_cndmask_b32_e32 v5, v5, v6, vcc
	v_cndmask_b32_e64 v3, v3, v7, s[2:3]
	v_sqrt_f32_e32 v7, v3
	v_cmp_class_f32_e32 vcc, v4, v13
	s_nop 1
	v_cndmask_b32_e32 v12, v5, v4, vcc
	v_add_u32_e32 v4, -1, v7
	v_fma_f32 v5, -v4, v7, v3
	v_cmp_ge_f32_e32 vcc, 0, v5
	v_add_u32_e32 v5, 1, v7
	v_fma_f32 v6, -v5, v7, v3
	v_cndmask_b32_e32 v4, v7, v4, vcc
	v_cmp_lt_f32_e32 vcc, 0, v6
	s_nop 1
	v_cndmask_b32_e32 v4, v4, v5, vcc
	v_mul_f32_e32 v5, 0x37800000, v4
	v_cndmask_b32_e64 v4, v4, v5, s[2:3]
	v_cmp_class_f32_e32 vcc, v3, v13
	s_cselect_b64 s[2:3], -1, 0
	s_cmp_lt_i32 s16, 1
	v_cndmask_b32_e32 v13, v4, v3, vcc
	v_lshl_add_u64 v[4:5], v[0:1], 2, s[10:11]
	s_cbranch_scc1 .LBB190_29
; %bb.2:
	s_load_dwordx2 s[4:5], s[0:1], 0x20
	s_cmp_lt_u32 s16, 4
	s_cbranch_scc1 .LBB190_21
; %bb.3:
	s_mov_b32 s7, 0
	s_and_b32 s8, s16, 0x7ffffffc
	v_ashrrev_i32_e32 v3, 31, v2
	v_mov_b32_e32 v14, 0
	s_mov_b32 s6, s7
	s_branch .LBB190_5
.LBB190_4:                              ;   in Loop: Header=BB190_5 Depth=1
	s_or_b64 exec, exec, s[12:13]
	s_add_i32 s6, s6, 4
	s_cmp_eq_u32 s6, s8
	s_cbranch_scc1 .LBB190_22
.LBB190_5:                              ; =>This Loop Header: Depth=1
                                        ;     Child Loop BB190_7 Depth 2
                                        ;     Child Loop BB190_11 Depth 2
	;; [unrolled: 1-line block ×4, first 2 shown]
	v_lshl_add_u64 v[6:7], s[6:7], 2, v[4:5]
	global_load_dword v15, v[6:7], off
	v_add_u32_e32 v8, s6, v2
	v_ashrrev_i32_e32 v9, 31, v8
	s_mov_b64 s[12:13], 0
	s_waitcnt lgkmcnt(0)
	v_lshl_add_u64 v[8:9], v[8:9], 2, s[4:5]
	s_mov_b32 s9, 0
	s_waitcnt vmcnt(0)
	v_cmp_eq_u32_e32 vcc, 1, v15
	s_nop 1
	v_cndmask_b32_e32 v17, v11, v10, vcc
	v_cmp_eq_u32_e32 vcc, 2, v15
	v_min_u32_e32 v16, 3, v15
	v_add_u32_e32 v16, 1, v16
	v_cndmask_b32_e32 v17, v17, v13, vcc
	v_cmp_eq_u32_e32 vcc, 3, v15
	s_nop 1
	v_cndmask_b32_e32 v17, v17, v12, vcc
	s_branch .LBB190_7
.LBB190_6:                              ;   in Loop: Header=BB190_7 Depth=2
	s_or_b64 exec, exec, s[14:15]
	s_add_i32 s9, s9, 1
	v_cmp_eq_u32_e32 vcc, s9, v16
	s_or_b64 s[12:13], vcc, s[12:13]
	s_andn2_b64 exec, exec, s[12:13]
	s_cbranch_execz .LBB190_9
.LBB190_7:                              ;   Parent Loop BB190_5 Depth=1
                                        ; =>  This Inner Loop Header: Depth=2
	v_cmp_eq_u32_e32 vcc, s9, v15
	s_and_saveexec_b64 s[14:15], vcc
	s_cbranch_execz .LBB190_6
; %bb.8:                                ;   in Loop: Header=BB190_7 Depth=2
	v_add_f32_e32 v14, v14, v17
	global_store_dword v[8:9], v15, off
	s_branch .LBB190_6
.LBB190_9:                              ;   in Loop: Header=BB190_5 Depth=1
	s_or_b64 exec, exec, s[12:13]
	global_load_dword v15, v[6:7], off offset:4
	s_ashr_i32 s13, s6, 31
	s_mov_b32 s12, s6
	v_lshl_add_u64 v[8:9], s[12:13], 0, v[2:3]
	s_mov_b32 s9, 0
	v_lshl_add_u64 v[8:9], v[8:9], 2, s[4:5]
	s_mov_b64 s[12:13], 0
	s_waitcnt vmcnt(0)
	v_cmp_eq_u32_e32 vcc, 1, v15
	s_nop 1
	v_cndmask_b32_e32 v17, v11, v10, vcc
	v_cmp_eq_u32_e32 vcc, 2, v15
	v_min_u32_e32 v16, 3, v15
	v_add_u32_e32 v16, 1, v16
	v_cndmask_b32_e32 v17, v17, v13, vcc
	v_cmp_eq_u32_e32 vcc, 3, v15
	s_nop 1
	v_cndmask_b32_e32 v17, v17, v12, vcc
	s_branch .LBB190_11
.LBB190_10:                             ;   in Loop: Header=BB190_11 Depth=2
	s_or_b64 exec, exec, s[14:15]
	s_add_i32 s9, s9, 1
	v_cmp_eq_u32_e32 vcc, s9, v16
	s_or_b64 s[12:13], vcc, s[12:13]
	s_andn2_b64 exec, exec, s[12:13]
	s_cbranch_execz .LBB190_13
.LBB190_11:                             ;   Parent Loop BB190_5 Depth=1
                                        ; =>  This Inner Loop Header: Depth=2
	v_cmp_eq_u32_e32 vcc, s9, v15
	s_and_saveexec_b64 s[14:15], vcc
	s_cbranch_execz .LBB190_10
; %bb.12:                               ;   in Loop: Header=BB190_11 Depth=2
	v_add_f32_e32 v14, v14, v17
	global_store_dword v[8:9], v15, off offset:4
	s_branch .LBB190_10
.LBB190_13:                             ;   in Loop: Header=BB190_5 Depth=1
	s_or_b64 exec, exec, s[12:13]
	global_load_dword v15, v[6:7], off offset:8
	s_mov_b32 s9, 0
	s_mov_b64 s[12:13], 0
	s_waitcnt vmcnt(0)
	v_cmp_eq_u32_e32 vcc, 1, v15
	s_nop 1
	v_cndmask_b32_e32 v17, v11, v10, vcc
	v_cmp_eq_u32_e32 vcc, 2, v15
	v_min_u32_e32 v16, 3, v15
	v_add_u32_e32 v16, 1, v16
	v_cndmask_b32_e32 v17, v17, v13, vcc
	v_cmp_eq_u32_e32 vcc, 3, v15
	s_nop 1
	v_cndmask_b32_e32 v17, v17, v12, vcc
	s_branch .LBB190_15
.LBB190_14:                             ;   in Loop: Header=BB190_15 Depth=2
	s_or_b64 exec, exec, s[14:15]
	s_add_i32 s9, s9, 1
	v_cmp_eq_u32_e32 vcc, s9, v16
	s_or_b64 s[12:13], vcc, s[12:13]
	s_andn2_b64 exec, exec, s[12:13]
	s_cbranch_execz .LBB190_17
.LBB190_15:                             ;   Parent Loop BB190_5 Depth=1
                                        ; =>  This Inner Loop Header: Depth=2
	v_cmp_eq_u32_e32 vcc, s9, v15
	s_and_saveexec_b64 s[14:15], vcc
	s_cbranch_execz .LBB190_14
; %bb.16:                               ;   in Loop: Header=BB190_15 Depth=2
	v_add_f32_e32 v14, v14, v17
	global_store_dword v[8:9], v15, off offset:8
	s_branch .LBB190_14
.LBB190_17:                             ;   in Loop: Header=BB190_5 Depth=1
	s_or_b64 exec, exec, s[12:13]
	global_load_dword v6, v[6:7], off offset:12
	s_mov_b32 s9, 0
	s_mov_b64 s[12:13], 0
	s_waitcnt vmcnt(0)
	v_cmp_eq_u32_e32 vcc, 1, v6
	s_nop 1
	v_cndmask_b32_e32 v15, v11, v10, vcc
	v_cmp_eq_u32_e32 vcc, 2, v6
	v_min_u32_e32 v7, 3, v6
	v_add_u32_e32 v7, 1, v7
	v_cndmask_b32_e32 v15, v15, v13, vcc
	v_cmp_eq_u32_e32 vcc, 3, v6
	s_nop 1
	v_cndmask_b32_e32 v15, v15, v12, vcc
	s_branch .LBB190_19
.LBB190_18:                             ;   in Loop: Header=BB190_19 Depth=2
	s_or_b64 exec, exec, s[14:15]
	s_add_i32 s9, s9, 1
	v_cmp_eq_u32_e32 vcc, s9, v7
	s_or_b64 s[12:13], vcc, s[12:13]
	s_andn2_b64 exec, exec, s[12:13]
	s_cbranch_execz .LBB190_4
.LBB190_19:                             ;   Parent Loop BB190_5 Depth=1
                                        ; =>  This Inner Loop Header: Depth=2
	v_cmp_eq_u32_e32 vcc, s9, v6
	s_and_saveexec_b64 s[14:15], vcc
	s_cbranch_execz .LBB190_18
; %bb.20:                               ;   in Loop: Header=BB190_19 Depth=2
	v_add_f32_e32 v14, v14, v15
	global_store_dword v[8:9], v6, off offset:12
	s_branch .LBB190_18
.LBB190_21:
	v_mov_b32_e32 v14, 0
.LBB190_22:
	s_and_b32 s14, s16, 3
	s_cmp_eq_u32 s14, 0
	s_mov_b32 s9, 0
	s_cbranch_scc1 .LBB190_29
; %bb.23:
	s_mov_b32 s15, s9
	s_branch .LBB190_25
.LBB190_24:                             ;   in Loop: Header=BB190_25 Depth=1
	s_or_b64 exec, exec, s[6:7]
	s_add_i32 s8, s8, 1
	s_add_i32 s15, s15, 1
	s_cmp_lg_u32 s15, s14
	s_cbranch_scc0 .LBB190_29
.LBB190_25:                             ; =>This Loop Header: Depth=1
                                        ;     Child Loop BB190_27 Depth 2
	v_lshl_add_u64 v[6:7], s[8:9], 2, v[4:5]
	global_load_dword v3, v[6:7], off
	v_add_u32_e32 v6, s8, v2
	v_ashrrev_i32_e32 v7, 31, v6
	s_mov_b32 s17, 0
	s_waitcnt lgkmcnt(0)
	v_lshl_add_u64 v[6:7], v[6:7], 2, s[4:5]
	s_mov_b64 s[6:7], 0
	s_waitcnt vmcnt(0)
	v_cmp_eq_u32_e32 vcc, 1, v3
	s_nop 1
	v_cndmask_b32_e32 v9, v11, v10, vcc
	v_cmp_eq_u32_e32 vcc, 2, v3
	v_min_u32_e32 v8, 3, v3
	v_add_u32_e32 v8, 1, v8
	v_cndmask_b32_e32 v9, v9, v13, vcc
	v_cmp_eq_u32_e32 vcc, 3, v3
	s_nop 1
	v_cndmask_b32_e32 v9, v9, v12, vcc
	s_branch .LBB190_27
.LBB190_26:                             ;   in Loop: Header=BB190_27 Depth=2
	s_or_b64 exec, exec, s[12:13]
	s_add_i32 s17, s17, 1
	v_cmp_eq_u32_e32 vcc, s17, v8
	s_or_b64 s[6:7], vcc, s[6:7]
	s_andn2_b64 exec, exec, s[6:7]
	s_cbranch_execz .LBB190_24
.LBB190_27:                             ;   Parent Loop BB190_25 Depth=1
                                        ; =>  This Inner Loop Header: Depth=2
	v_cmp_eq_u32_e32 vcc, s17, v3
	s_and_saveexec_b64 s[12:13], vcc
	s_cbranch_execz .LBB190_26
; %bb.28:                               ;   in Loop: Header=BB190_27 Depth=2
	v_add_f32_e32 v14, v14, v9
	global_store_dword v[6:7], v3, off
	s_branch .LBB190_26
.LBB190_29:
	s_load_dword s6, s[0:1], 0x3c
	s_waitcnt lgkmcnt(0)
	s_load_dwordx2 s[4:5], s[0:1], 0x40
	s_bitcmp1_b32 s6, 0
	s_cselect_b64 s[6:7], -1, 0
	s_waitcnt lgkmcnt(0)
	v_cvt_f32_f64_e32 v15, s[4:5]
	s_and_b64 vcc, exec, s[6:7]
	s_cbranch_vccz .LBB190_31
; %bb.30:
	v_cmp_lt_f32_e32 vcc, 0, v14
	s_nop 1
	v_cndmask_b32_e32 v3, 1.0, v14, vcc
	v_div_scale_f32 v6, s[4:5], v3, v3, v15
	v_rcp_f32_e32 v7, v6
	s_nop 0
	v_fma_f32 v8, -v6, v7, 1.0
	v_fmac_f32_e32 v7, v8, v7
	v_div_scale_f32 v8, vcc, v15, v3, v15
	v_mul_f32_e32 v9, v8, v7
	v_fma_f32 v14, -v6, v9, v8
	v_fmac_f32_e32 v9, v14, v7
	v_fma_f32 v6, -v6, v9, v8
	v_div_fmas_f32 v6, v6, v7, v9
	v_div_fixup_f32 v15, v6, v3, v15
.LBB190_31:
	s_andn2_b64 vcc, exec, s[2:3]
	s_cbranch_vccnz .LBB190_56
; %bb.32:
	s_load_dwordx2 s[0:1], s[0:1], 0x10
	s_cmp_lt_u32 s16, 8
	s_mov_b32 s2, 0
	s_cbranch_scc1 .LBB190_51
; %bb.33:
	v_ashrrev_i32_e32 v3, 31, v2
	s_and_b32 s2, s16, 0x7ffffff8
	s_waitcnt lgkmcnt(0)
	v_lshl_add_u64 v[6:7], v[2:3], 2, s[0:1]
	s_mov_b32 s3, 0
	s_mov_b64 s[4:5], 0
	s_branch .LBB190_35
.LBB190_34:                             ;   in Loop: Header=BB190_35 Depth=1
	s_or_b64 exec, exec, s[6:7]
	s_add_i32 s3, s3, 8
	s_add_u32 s4, s4, 32
	s_addc_u32 s5, s5, 0
	s_cmp_eq_u32 s2, s3
	s_cbranch_scc1 .LBB190_51
.LBB190_35:                             ; =>This Inner Loop Header: Depth=1
	v_lshl_add_u64 v[8:9], v[4:5], 0, s[4:5]
	global_load_dword v3, v[8:9], off
	s_waitcnt vmcnt(0)
	v_cmp_gt_u32_e32 vcc, 4, v3
	s_and_saveexec_b64 s[6:7], vcc
	s_cbranch_execz .LBB190_37
; %bb.36:                               ;   in Loop: Header=BB190_35 Depth=1
	v_cmp_eq_u32_e32 vcc, 1, v3
	v_add_u32_e32 v16, s3, v2
	v_ashrrev_i32_e32 v17, 31, v16
	v_cndmask_b32_e32 v14, v11, v10, vcc
	v_cmp_eq_u32_e32 vcc, 2, v3
	v_lshl_add_u64 v[16:17], v[16:17], 2, s[0:1]
	s_nop 0
	v_cndmask_b32_e32 v14, v14, v13, vcc
	v_cmp_eq_u32_e32 vcc, 3, v3
	s_nop 1
	v_cndmask_b32_e32 v3, v14, v12, vcc
	v_mul_f32_e32 v3, v15, v3
	global_store_dword v[16:17], v3, off
.LBB190_37:                             ;   in Loop: Header=BB190_35 Depth=1
	s_or_b64 exec, exec, s[6:7]
	global_load_dword v3, v[8:9], off offset:4
	s_waitcnt vmcnt(0)
	v_cmp_gt_u32_e32 vcc, 4, v3
	s_and_saveexec_b64 s[6:7], vcc
	s_cbranch_execz .LBB190_39
; %bb.38:                               ;   in Loop: Header=BB190_35 Depth=1
	v_cmp_eq_u32_e32 vcc, 1, v3
	v_lshl_add_u64 v[16:17], v[6:7], 0, s[4:5]
	s_nop 0
	v_cndmask_b32_e32 v14, v11, v10, vcc
	v_cmp_eq_u32_e32 vcc, 2, v3
	s_nop 1
	v_cndmask_b32_e32 v14, v14, v13, vcc
	v_cmp_eq_u32_e32 vcc, 3, v3
	s_nop 1
	v_cndmask_b32_e32 v3, v14, v12, vcc
	v_mul_f32_e32 v3, v15, v3
	global_store_dword v[16:17], v3, off offset:4
.LBB190_39:                             ;   in Loop: Header=BB190_35 Depth=1
	s_or_b64 exec, exec, s[6:7]
	global_load_dword v3, v[8:9], off offset:8
	s_waitcnt vmcnt(0)
	v_cmp_gt_u32_e32 vcc, 4, v3
	s_and_saveexec_b64 s[6:7], vcc
	s_cbranch_execz .LBB190_41
; %bb.40:                               ;   in Loop: Header=BB190_35 Depth=1
	v_cmp_eq_u32_e32 vcc, 1, v3
	v_lshl_add_u64 v[16:17], v[6:7], 0, s[4:5]
	s_nop 0
	v_cndmask_b32_e32 v14, v11, v10, vcc
	v_cmp_eq_u32_e32 vcc, 2, v3
	s_nop 1
	v_cndmask_b32_e32 v14, v14, v13, vcc
	v_cmp_eq_u32_e32 vcc, 3, v3
	s_nop 1
	v_cndmask_b32_e32 v3, v14, v12, vcc
	v_mul_f32_e32 v3, v15, v3
	global_store_dword v[16:17], v3, off offset:8
.LBB190_41:                             ;   in Loop: Header=BB190_35 Depth=1
	;; [unrolled: 20-line block ×6, first 2 shown]
	s_or_b64 exec, exec, s[6:7]
	global_load_dword v3, v[8:9], off offset:28
	s_waitcnt vmcnt(0)
	v_cmp_gt_u32_e32 vcc, 4, v3
	s_and_saveexec_b64 s[6:7], vcc
	s_cbranch_execz .LBB190_34
; %bb.50:                               ;   in Loop: Header=BB190_35 Depth=1
	v_cmp_eq_u32_e32 vcc, 1, v3
	s_nop 1
	v_cndmask_b32_e32 v8, v11, v10, vcc
	v_cmp_eq_u32_e32 vcc, 2, v3
	s_nop 1
	v_cndmask_b32_e32 v8, v8, v13, vcc
	;; [unrolled: 3-line block ×3, first 2 shown]
	v_mul_f32_e32 v3, v15, v3
	v_lshl_add_u64 v[8:9], v[6:7], 0, s[4:5]
	global_store_dword v[8:9], v3, off offset:28
	s_branch .LBB190_34
.LBB190_51:
	s_and_b32 s4, s16, 7
	s_cmp_eq_u32 s4, 0
	s_mov_b32 s3, 0
	s_cbranch_scc1 .LBB190_56
; %bb.52:
	v_add_u32_e32 v2, s2, v2
	s_lshl_b64 s[2:3], s[2:3], 2
	s_add_u32 s2, s10, s2
	s_addc_u32 s3, s11, s3
	v_lshl_add_u64 v[0:1], v[0:1], 2, s[2:3]
	s_branch .LBB190_54
.LBB190_53:                             ;   in Loop: Header=BB190_54 Depth=1
	s_or_b64 exec, exec, s[2:3]
	s_add_i32 s4, s4, -1
	v_add_u32_e32 v2, 1, v2
	s_cmp_eq_u32 s4, 0
	v_lshl_add_u64 v[0:1], v[0:1], 0, 4
	s_cbranch_scc1 .LBB190_56
.LBB190_54:                             ; =>This Inner Loop Header: Depth=1
	global_load_dword v3, v[0:1], off
	s_waitcnt vmcnt(0)
	v_cmp_gt_u32_e32 vcc, 4, v3
	s_and_saveexec_b64 s[2:3], vcc
	s_cbranch_execz .LBB190_53
; %bb.55:                               ;   in Loop: Header=BB190_54 Depth=1
	v_cmp_eq_u32_e32 vcc, 1, v3
	s_nop 1
	v_cndmask_b32_e32 v4, v11, v10, vcc
	v_cmp_eq_u32_e32 vcc, 2, v3
	s_nop 1
	v_cndmask_b32_e32 v4, v4, v13, vcc
	;; [unrolled: 3-line block ×3, first 2 shown]
	v_mul_f32_e32 v6, v15, v3
	v_ashrrev_i32_e32 v3, 31, v2
	s_waitcnt lgkmcnt(0)
	v_lshl_add_u64 v[4:5], v[2:3], 2, s[0:1]
	global_store_dword v[4:5], v6, off
	s_branch .LBB190_53
.LBB190_56:
	s_endpgm
	.section	.rodata,"a",@progbits
	.p2align	6, 0x0
	.amdhsa_kernel _ZN4vllm3moe22topkGatingSoftplusSqrtILi4ELi4ELi4ELi8ELi32ELb1Ei6__halfEEvPKT6_PKbPfiPT5_PiiiibdPKfPKS9_SF_
		.amdhsa_group_segment_fixed_size 0
		.amdhsa_private_segment_fixed_size 0
		.amdhsa_kernarg_size 96
		.amdhsa_user_sgpr_count 2
		.amdhsa_user_sgpr_dispatch_ptr 0
		.amdhsa_user_sgpr_queue_ptr 0
		.amdhsa_user_sgpr_kernarg_segment_ptr 1
		.amdhsa_user_sgpr_dispatch_id 0
		.amdhsa_user_sgpr_kernarg_preload_length 0
		.amdhsa_user_sgpr_kernarg_preload_offset 0
		.amdhsa_user_sgpr_private_segment_size 0
		.amdhsa_uses_dynamic_stack 0
		.amdhsa_enable_private_segment 0
		.amdhsa_system_sgpr_workgroup_id_x 1
		.amdhsa_system_sgpr_workgroup_id_y 0
		.amdhsa_system_sgpr_workgroup_id_z 0
		.amdhsa_system_sgpr_workgroup_info 0
		.amdhsa_system_vgpr_workitem_id 1
		.amdhsa_next_free_vgpr 23
		.amdhsa_next_free_sgpr 18
		.amdhsa_accum_offset 24
		.amdhsa_reserve_vcc 1
		.amdhsa_float_round_mode_32 0
		.amdhsa_float_round_mode_16_64 0
		.amdhsa_float_denorm_mode_32 3
		.amdhsa_float_denorm_mode_16_64 3
		.amdhsa_dx10_clamp 1
		.amdhsa_ieee_mode 1
		.amdhsa_fp16_overflow 0
		.amdhsa_tg_split 0
		.amdhsa_exception_fp_ieee_invalid_op 0
		.amdhsa_exception_fp_denorm_src 0
		.amdhsa_exception_fp_ieee_div_zero 0
		.amdhsa_exception_fp_ieee_overflow 0
		.amdhsa_exception_fp_ieee_underflow 0
		.amdhsa_exception_fp_ieee_inexact 0
		.amdhsa_exception_int_div_zero 0
	.end_amdhsa_kernel
	.section	.text._ZN4vllm3moe22topkGatingSoftplusSqrtILi4ELi4ELi4ELi8ELi32ELb1Ei6__halfEEvPKT6_PKbPfiPT5_PiiiibdPKfPKS9_SF_,"axG",@progbits,_ZN4vllm3moe22topkGatingSoftplusSqrtILi4ELi4ELi4ELi8ELi32ELb1Ei6__halfEEvPKT6_PKbPfiPT5_PiiiibdPKfPKS9_SF_,comdat
.Lfunc_end190:
	.size	_ZN4vllm3moe22topkGatingSoftplusSqrtILi4ELi4ELi4ELi8ELi32ELb1Ei6__halfEEvPKT6_PKbPfiPT5_PiiiibdPKfPKS9_SF_, .Lfunc_end190-_ZN4vllm3moe22topkGatingSoftplusSqrtILi4ELi4ELi4ELi8ELi32ELb1Ei6__halfEEvPKT6_PKbPfiPT5_PiiiibdPKfPKS9_SF_
                                        ; -- End function
	.section	.AMDGPU.csdata,"",@progbits
; Kernel info:
; codeLenInByte = 2984
; NumSgprs: 24
; NumVgprs: 23
; NumAgprs: 0
; TotalNumVgprs: 23
; ScratchSize: 0
; MemoryBound: 0
; FloatMode: 240
; IeeeMode: 1
; LDSByteSize: 0 bytes/workgroup (compile time only)
; SGPRBlocks: 2
; VGPRBlocks: 2
; NumSGPRsForWavesPerEU: 24
; NumVGPRsForWavesPerEU: 23
; AccumOffset: 24
; Occupancy: 8
; WaveLimiterHint : 1
; COMPUTE_PGM_RSRC2:SCRATCH_EN: 0
; COMPUTE_PGM_RSRC2:USER_SGPR: 2
; COMPUTE_PGM_RSRC2:TRAP_HANDLER: 0
; COMPUTE_PGM_RSRC2:TGID_X_EN: 1
; COMPUTE_PGM_RSRC2:TGID_Y_EN: 0
; COMPUTE_PGM_RSRC2:TGID_Z_EN: 0
; COMPUTE_PGM_RSRC2:TIDIG_COMP_CNT: 1
; COMPUTE_PGM_RSRC3_GFX90A:ACCUM_OFFSET: 5
; COMPUTE_PGM_RSRC3_GFX90A:TG_SPLIT: 0
	.section	.text._ZN4vllm3moe22topkGatingSoftplusSqrtILi4ELi4ELi4ELi8ELi32ELb0Ei6__halfEEvPKT6_PKbPfiPT5_PiiiibdPKfPKS9_SF_,"axG",@progbits,_ZN4vllm3moe22topkGatingSoftplusSqrtILi4ELi4ELi4ELi8ELi32ELb0Ei6__halfEEvPKT6_PKbPfiPT5_PiiiibdPKfPKS9_SF_,comdat
	.protected	_ZN4vllm3moe22topkGatingSoftplusSqrtILi4ELi4ELi4ELi8ELi32ELb0Ei6__halfEEvPKT6_PKbPfiPT5_PiiiibdPKfPKS9_SF_ ; -- Begin function _ZN4vllm3moe22topkGatingSoftplusSqrtILi4ELi4ELi4ELi8ELi32ELb0Ei6__halfEEvPKT6_PKbPfiPT5_PiiiibdPKfPKS9_SF_
	.globl	_ZN4vllm3moe22topkGatingSoftplusSqrtILi4ELi4ELi4ELi8ELi32ELb0Ei6__halfEEvPKT6_PKbPfiPT5_PiiiibdPKfPKS9_SF_
	.p2align	8
	.type	_ZN4vllm3moe22topkGatingSoftplusSqrtILi4ELi4ELi4ELi8ELi32ELb0Ei6__halfEEvPKT6_PKbPfiPT5_PiiiibdPKfPKS9_SF_,@function
_ZN4vllm3moe22topkGatingSoftplusSqrtILi4ELi4ELi4ELi8ELi32ELb0Ei6__halfEEvPKT6_PKbPfiPT5_PiiiibdPKfPKS9_SF_: ; @_ZN4vllm3moe22topkGatingSoftplusSqrtILi4ELi4ELi4ELi8ELi32ELb0Ei6__halfEEvPKT6_PKbPfiPT5_PiiiibdPKfPKS9_SF_
; %bb.0:
	s_load_dword s24, s[0:1], 0x18
	v_bfe_u32 v1, v0, 10, 10
	s_lshl_b32 s2, s2, 7
	v_lshlrev_b32_e32 v1, 5, v1
	v_and_b32_e32 v0, 0x3ff, v0
	v_add3_u32 v4, v1, v0, s2
	s_waitcnt lgkmcnt(0)
	v_cmp_gt_i32_e32 vcc, s24, v4
	s_and_saveexec_b64 s[2:3], vcc
	s_cbranch_execz .LBB191_32
; %bb.1:
	s_load_dwordx4 s[4:7], s[0:1], 0x0
	s_load_dwordx2 s[20:21], s[0:1], 0x10
	s_waitcnt lgkmcnt(0)
	s_cmp_eq_u64 s[6:7], 0
	s_cbranch_scc1 .LBB191_3
; %bb.2:
	v_ashrrev_i32_e32 v5, 31, v4
	v_lshl_add_u64 v[0:1], s[6:7], 0, v[4:5]
	global_load_ubyte v0, v[0:1], off
	s_waitcnt vmcnt(0)
	v_and_b32_e32 v0, 1, v0
	v_cmp_eq_u32_e32 vcc, 1, v0
	s_xor_b64 s[2:3], vcc, -1
	s_orn2_b64 s[22:23], s[2:3], exec
	s_branch .LBB191_4
.LBB191_3:
	s_mov_b64 s[22:23], -1
.LBB191_4:
	v_lshlrev_b32_e32 v2, 2, v4
	v_mov_b32_e32 v0, s4
	v_mov_b32_e32 v1, s5
	v_ashrrev_i32_e32 v3, 31, v2
	v_lshl_add_u64 v[0:1], v[2:3], 1, v[0:1]
	global_load_dwordx2 v[2:3], v[0:1], off
	s_mov_b32 s15, 0x800000
	v_mov_b32_e32 v5, 0x4f800000
	s_mov_b32 s13, 0x3f317217
	s_mov_b32 s14, 0x7f800000
	v_mov_b32_e32 v6, 0x41b17218
	s_movk_i32 s12, 0x4d00
	s_mov_b32 s16, 0xf800000
	s_load_dwordx4 s[8:11], s[0:1], 0x40
	s_waitcnt lgkmcnt(0)
	s_cmp_lg_u64 s[10:11], 0
	s_cselect_b64 s[6:7], -1, 0
	s_and_b64 s[2:3], exec, s[6:7]
	s_waitcnt vmcnt(0)
	v_cvt_f32_f16_e32 v0, v2
	v_mul_f32_e32 v1, 0x3fb8aa3b, v0
	v_exp_f32_e32 v1, v1
	s_nop 0
	v_add_f32_e32 v1, 1.0, v1
	v_cmp_gt_f32_e32 vcc, s15, v1
	s_nop 1
	v_cndmask_b32_e32 v7, 1.0, v5, vcc
	v_mul_f32_e32 v1, v1, v7
	v_log_f32_e32 v7, v1
	v_cndmask_b32_e32 v8, 0, v6, vcc
	v_mov_b32_e32 v1, 0x260
	v_mul_f32_e32 v9, 0x3f317217, v7
	v_fma_f32 v9, v7, s13, -v9
	v_fmac_f32_e32 v9, 0x3377d1cf, v7
	v_fmac_f32_e32 v9, 0x3f317217, v7
	v_cmp_lt_f32_e64 vcc, |v7|, s14
	s_nop 1
	v_cndmask_b32_e32 v7, v7, v9, vcc
	v_sub_f32_e32 v7, v7, v8
	v_cmp_lt_f16_e32 vcc, s12, v2
	s_nop 1
	v_cndmask_b32_e32 v0, v7, v0, vcc
	v_mul_f32_e32 v7, 0x4f800000, v0
	v_cmp_gt_f32_e32 vcc, s16, v0
	s_nop 1
	v_cndmask_b32_e32 v0, v0, v7, vcc
	v_sqrt_f32_e32 v7, v0
	s_nop 0
	v_add_u32_e32 v8, -1, v7
	v_add_u32_e32 v9, 1, v7
	v_fma_f32 v10, -v8, v7, v0
	v_fma_f32 v11, -v9, v7, v0
	v_cmp_ge_f32_e64 s[4:5], 0, v10
	s_nop 1
	v_cndmask_b32_e64 v7, v7, v8, s[4:5]
	v_cmp_lt_f32_e64 s[4:5], 0, v11
	s_nop 1
	v_cndmask_b32_e64 v7, v7, v9, s[4:5]
	v_mul_f32_e32 v8, 0x37800000, v7
	v_cndmask_b32_e32 v7, v7, v8, vcc
	v_cmp_class_f32_e32 vcc, v0, v1
	s_nop 1
	v_cndmask_b32_e32 v0, v7, v0, vcc
	s_mov_b64 vcc, s[2:3]
	s_cbranch_vccz .LBB191_6
; %bb.5:
	s_load_dword s2, s[10:11], 0x0
	s_waitcnt lgkmcnt(0)
	v_add_f32_e32 v0, s2, v0
.LBB191_6:
	v_cvt_f32_f16_sdwa v7, v2 dst_sel:DWORD dst_unused:UNUSED_PAD src0_sel:WORD_1
	v_mul_f32_e32 v8, 0x3fb8aa3b, v7
	v_exp_f32_e32 v8, v8
	s_nop 0
	v_add_f32_e32 v8, 1.0, v8
	v_cmp_gt_f32_e32 vcc, s15, v8
	s_nop 1
	v_cndmask_b32_e32 v5, 1.0, v5, vcc
	v_mul_f32_e32 v5, v8, v5
	v_log_f32_e32 v5, v5
	v_cndmask_b32_e32 v6, 0, v6, vcc
	v_mul_f32_e32 v8, 0x3f317217, v5
	v_fma_f32 v8, v5, s13, -v8
	v_fmac_f32_e32 v8, 0x3377d1cf, v5
	v_fmac_f32_e32 v8, 0x3f317217, v5
	v_cmp_lt_f32_e64 vcc, |v5|, s14
	s_nop 1
	v_cndmask_b32_e32 v5, v5, v8, vcc
	v_sub_f32_e32 v5, v5, v6
	v_cmp_gt_f16_sdwa vcc, v2, s12 src0_sel:WORD_1 src1_sel:DWORD
	v_cndmask_b32_e64 v6, 0, 1, s[6:7]
	v_cmp_ne_u32_e64 s[2:3], 1, v6
	v_cndmask_b32_e32 v2, v5, v7, vcc
	v_mul_f32_e32 v5, 0x4f800000, v2
	v_cmp_gt_f32_e64 s[4:5], s16, v2
	s_andn2_b64 vcc, exec, s[6:7]
	s_nop 0
	v_cndmask_b32_e64 v2, v2, v5, s[4:5]
	v_sqrt_f32_e32 v5, v2
	s_nop 0
	v_add_u32_e32 v6, -1, v5
	v_add_u32_e32 v7, 1, v5
	v_fma_f32 v8, -v6, v5, v2
	v_fma_f32 v9, -v7, v5, v2
	v_cmp_ge_f32_e64 s[6:7], 0, v8
	s_nop 1
	v_cndmask_b32_e64 v5, v5, v6, s[6:7]
	v_cmp_lt_f32_e64 s[6:7], 0, v9
	s_nop 1
	v_cndmask_b32_e64 v5, v5, v7, s[6:7]
	v_mul_f32_e32 v6, 0x37800000, v5
	v_cndmask_b32_e64 v5, v5, v6, s[4:5]
	v_cmp_class_f32_e64 s[4:5], v2, v1
	s_nop 1
	v_cndmask_b32_e64 v1, v5, v2, s[4:5]
	s_cbranch_vccnz .LBB191_8
; %bb.7:
	s_load_dword s4, s[10:11], 0x4
	s_waitcnt lgkmcnt(0)
	v_add_f32_e32 v1, s4, v1
.LBB191_8:
	v_cvt_f32_f16_e32 v2, v3
	s_mov_b32 s12, 0x800000
	v_mov_b32_e32 v6, 0x4f800000
	s_mov_b32 s7, 0x3f317217
	v_mul_f32_e32 v5, 0x3fb8aa3b, v2
	v_exp_f32_e32 v5, v5
	s_mov_b32 s13, 0x7f800000
	s_movk_i32 s6, 0x4d00
	s_mov_b32 s14, 0xf800000
	v_add_f32_e32 v5, 1.0, v5
	v_cmp_gt_f32_e32 vcc, s12, v5
	s_nop 1
	v_cndmask_b32_e32 v7, 1.0, v6, vcc
	v_mul_f32_e32 v5, v5, v7
	v_log_f32_e32 v5, v5
	v_mov_b32_e32 v7, 0x41b17218
	v_cndmask_b32_e32 v8, 0, v7, vcc
	v_mul_f32_e32 v9, 0x3f317217, v5
	v_fma_f32 v9, v5, s7, -v9
	v_fmac_f32_e32 v9, 0x3377d1cf, v5
	v_fmac_f32_e32 v9, 0x3f317217, v5
	v_cmp_lt_f32_e64 vcc, |v5|, s13
	s_nop 1
	v_cndmask_b32_e32 v5, v5, v9, vcc
	v_sub_f32_e32 v5, v5, v8
	v_cmp_lt_f16_e32 vcc, s6, v3
	s_nop 1
	v_cndmask_b32_e32 v2, v5, v2, vcc
	v_mul_f32_e32 v5, 0x4f800000, v2
	v_cmp_gt_f32_e32 vcc, s14, v2
	s_nop 1
	v_cndmask_b32_e32 v2, v2, v5, vcc
	v_sqrt_f32_e32 v5, v2
	s_nop 0
	v_add_u32_e32 v8, -1, v5
	v_fma_f32 v9, -v8, v5, v2
	v_cmp_ge_f32_e64 s[4:5], 0, v9
	v_add_u32_e32 v9, 1, v5
	s_nop 0
	v_cndmask_b32_e64 v8, v5, v8, s[4:5]
	v_fma_f32 v5, -v9, v5, v2
	v_cmp_lt_f32_e64 s[4:5], 0, v5
	s_nop 1
	v_cndmask_b32_e64 v5, v8, v9, s[4:5]
	v_mul_f32_e32 v8, 0x37800000, v5
	v_cndmask_b32_e32 v8, v5, v8, vcc
	v_mov_b32_e32 v5, 0x260
	v_cmp_class_f32_e64 s[4:5], v2, v5
	s_and_b64 vcc, exec, s[2:3]
	s_nop 0
	v_cndmask_b32_e64 v2, v8, v2, s[4:5]
	s_cbranch_vccnz .LBB191_10
; %bb.9:
	s_load_dword s4, s[10:11], 0x8
	s_waitcnt lgkmcnt(0)
	v_add_f32_e32 v2, s4, v2
.LBB191_10:
	v_cvt_f32_f16_sdwa v8, v3 dst_sel:DWORD dst_unused:UNUSED_PAD src0_sel:WORD_1
	v_mul_f32_e32 v9, 0x3fb8aa3b, v8
	v_exp_f32_e32 v9, v9
	s_nop 0
	v_add_f32_e32 v9, 1.0, v9
	v_cmp_gt_f32_e32 vcc, s12, v9
	s_nop 1
	v_cndmask_b32_e32 v6, 1.0, v6, vcc
	v_mul_f32_e32 v6, v9, v6
	v_log_f32_e32 v6, v6
	v_cndmask_b32_e32 v7, 0, v7, vcc
	v_mul_f32_e32 v9, 0x3f317217, v6
	v_fma_f32 v9, v6, s7, -v9
	v_fmac_f32_e32 v9, 0x3377d1cf, v6
	v_fmac_f32_e32 v9, 0x3f317217, v6
	v_cmp_lt_f32_e64 vcc, |v6|, s13
	s_nop 1
	v_cndmask_b32_e32 v6, v6, v9, vcc
	v_sub_f32_e32 v6, v6, v7
	v_cmp_gt_f16_sdwa vcc, v3, s6 src0_sel:WORD_1 src1_sel:DWORD
	s_nop 1
	v_cndmask_b32_e32 v3, v6, v8, vcc
	v_mul_f32_e32 v6, 0x4f800000, v3
	v_cmp_gt_f32_e64 s[4:5], s14, v3
	s_and_b64 vcc, exec, s[2:3]
	s_nop 0
	v_cndmask_b32_e64 v3, v3, v6, s[4:5]
	v_sqrt_f32_e32 v6, v3
	s_nop 0
	v_add_u32_e32 v7, -1, v6
	v_add_u32_e32 v8, 1, v6
	v_fma_f32 v9, -v7, v6, v3
	v_fma_f32 v10, -v8, v6, v3
	v_cmp_ge_f32_e64 s[6:7], 0, v9
	s_nop 1
	v_cndmask_b32_e64 v6, v6, v7, s[6:7]
	v_cmp_lt_f32_e64 s[6:7], 0, v10
	s_nop 1
	v_cndmask_b32_e64 v6, v6, v8, s[6:7]
	v_mul_f32_e32 v7, 0x37800000, v6
	v_cndmask_b32_e64 v6, v6, v7, s[4:5]
	v_cmp_class_f32_e64 s[4:5], v3, v5
	s_nop 1
	v_cndmask_b32_e64 v3, v6, v3, s[4:5]
	s_cbranch_vccnz .LBB191_12
; %bb.11:
	s_load_dword s4, s[10:11], 0xc
	s_waitcnt lgkmcnt(0)
	v_add_f32_e32 v3, s4, v3
.LBB191_12:
	s_load_dwordx4 s[12:15], s[0:1], 0x30
	s_mov_b32 s25, 0
	s_waitcnt lgkmcnt(0)
	s_bitcmp1_b32 s15, 0
	s_cselect_b64 s[4:5], -1, 0
	s_cmp_gt_i32 s12, 0
	s_cselect_b64 s[6:7], -1, 0
	s_and_b64 vcc, exec, s[6:7]
	v_mul_lo_u32 v6, v4, s12
	s_cbranch_vccz .LBB191_19
; %bb.13:
	s_load_dwordx4 s[16:19], s[0:1], 0x20
	v_mov_b32_e32 v5, 0
	v_mov_b32_e32 v7, 0xc61c4000
	s_branch .LBB191_15
.LBB191_14:                             ;   in Loop: Header=BB191_15 Depth=1
	v_add_f32_e32 v8, v5, v8
	v_cndmask_b32_e64 v5, v5, v8, s[4:5]
	s_cmp_lg_u32 s12, s25
	v_add_u32_e32 v4, s24, v4
	s_cbranch_scc0 .LBB191_20
.LBB191_15:                             ; =>This Inner Loop Header: Depth=1
	v_cmp_gt_f32_e32 vcc, v1, v0
	s_nop 1
	v_cndmask_b32_e32 v9, v0, v1, vcc
	v_cndmask_b32_e64 v8, 0, 1, vcc
	v_cmp_gt_f32_e32 vcc, v2, v9
	s_nop 1
	v_cndmask_b32_e32 v10, v9, v2, vcc
	v_cndmask_b32_e64 v8, v8, 2, vcc
	v_cmp_gt_f32_e64 s[0:1], v3, v10
	s_and_b64 vcc, exec, s[2:3]
	s_nop 0
	v_cndmask_b32_e64 v9, v8, 3, s[0:1]
	v_cndmask_b32_e64 v8, v10, v3, s[0:1]
	s_cbranch_vccnz .LBB191_17
; %bb.16:                               ;   in Loop: Header=BB191_15 Depth=1
	v_lshlrev_b32_e32 v10, 2, v9
	global_load_dword v10, v10, s[10:11]
	s_waitcnt vmcnt(0)
	v_sub_f32_e32 v8, v8, v10
.LBB191_17:                             ;   in Loop: Header=BB191_15 Depth=1
	v_add_u32_e32 v10, s25, v6
	v_ashrrev_i32_e32 v11, 31, v10
	v_cmp_le_i32_e32 vcc, s13, v9
	v_cmp_gt_i32_e64 s[0:1], s14, v9
	v_lshlrev_b64 v[10:11], 2, v[10:11]
	s_and_b64 s[0:1], vcc, s[0:1]
	v_lshl_add_u64 v[12:13], s[20:21], 0, v[10:11]
	global_store_dword v[12:13], v8, off
	v_subrev_u32_e32 v12, s13, v9
	s_and_b64 vcc, s[22:23], s[0:1]
	s_add_i32 s25, s25, 1
	v_cndmask_b32_e32 v14, 4, v12, vcc
	s_waitcnt lgkmcnt(0)
	v_lshl_add_u64 v[12:13], s[16:17], 0, v[10:11]
	v_lshl_add_u64 v[10:11], s[18:19], 0, v[10:11]
	s_cmp_ge_i32 s25, s12
	global_store_dword v[12:13], v14, off
	global_store_dword v[10:11], v4, off
	s_cbranch_scc1 .LBB191_14
; %bb.18:                               ;   in Loop: Header=BB191_15 Depth=1
	v_cmp_ne_u32_e32 vcc, 3, v9
	s_nop 1
	v_cndmask_b32_e32 v3, v7, v3, vcc
	v_cmp_ne_u32_e32 vcc, 2, v9
	s_nop 1
	v_cndmask_b32_e32 v2, v7, v2, vcc
	;; [unrolled: 3-line block ×4, first 2 shown]
	s_branch .LBB191_14
.LBB191_19:
	v_mov_b32_e32 v5, 0
.LBB191_20:
	s_andn2_b64 vcc, exec, s[4:5]
	v_cvt_f32_f64_e32 v0, s[8:9]
	s_cbranch_vccnz .LBB191_22
; %bb.21:
	v_cmp_lt_f32_e32 vcc, 0, v5
	s_nop 1
	v_cndmask_b32_e32 v1, 1.0, v5, vcc
	v_div_scale_f32 v2, s[0:1], v1, v1, v0
	v_rcp_f32_e32 v3, v2
	s_nop 0
	v_fma_f32 v4, -v2, v3, 1.0
	v_fmac_f32_e32 v3, v4, v3
	v_div_scale_f32 v4, vcc, v0, v1, v0
	v_mul_f32_e32 v5, v4, v3
	v_fma_f32 v7, -v2, v5, v4
	v_fmac_f32_e32 v5, v7, v3
	v_fma_f32 v2, -v2, v5, v4
	v_div_fmas_f32 v2, v2, v3, v5
	v_div_fixup_f32 v0, v2, v1, v0
.LBB191_22:
	s_andn2_b64 vcc, exec, s[6:7]
	s_cbranch_vccnz .LBB191_32
; %bb.23:
	s_cmp_gt_u32 s12, 3
	v_ashrrev_i32_e32 v7, 31, v6
	s_cbranch_scc0 .LBB191_27
; %bb.24:
	s_and_b32 s0, s12, 0x7ffffffc
	v_lshl_add_u64 v[2:3], v[6:7], 2, s[20:21]
	v_mov_b32_e32 v1, v0
	v_lshl_add_u64 v[2:3], v[2:3], 0, 8
	s_mov_b32 s1, s0
.LBB191_25:                             ; =>This Inner Loop Header: Depth=1
	global_load_dwordx4 v[8:11], v[2:3], off offset:-8
	s_add_i32 s1, s1, -4
	s_cmp_lg_u32 s1, 0
	s_waitcnt vmcnt(0)
	v_pk_mul_f32 v[8:9], v[0:1], v[8:9]
	v_pk_mul_f32 v[10:11], v[0:1], v[10:11]
	global_store_dwordx4 v[2:3], v[8:11], off offset:-8
	v_lshl_add_u64 v[2:3], v[2:3], 0, 16
	s_cbranch_scc1 .LBB191_25
; %bb.26:
	s_cmp_lg_u32 s0, s12
	s_cselect_b64 s[2:3], -1, 0
	s_branch .LBB191_29
.LBB191_27:
	s_mov_b64 s[2:3], 0
                                        ; implicit-def: $sgpr0
	s_cbranch_execz .LBB191_29
; %bb.28:
	s_mov_b64 s[2:3], -1
	s_mov_b32 s0, 0
.LBB191_29:
	s_andn2_b64 vcc, exec, s[2:3]
	s_cbranch_vccnz .LBB191_32
; %bb.30:
	s_mov_b32 s1, 0
	v_lshl_add_u64 v[2:3], v[6:7], 0, s[0:1]
	s_sub_i32 s2, s12, s0
	v_lshl_add_u64 v[2:3], v[2:3], 2, s[20:21]
.LBB191_31:                             ; =>This Inner Loop Header: Depth=1
	global_load_dword v1, v[2:3], off
	s_add_i32 s2, s2, -1
	s_cmp_lg_u32 s2, 0
	s_waitcnt vmcnt(0)
	v_mul_f32_e32 v1, v0, v1
	global_store_dword v[2:3], v1, off
	v_lshl_add_u64 v[2:3], v[2:3], 0, 4
	s_cbranch_scc1 .LBB191_31
.LBB191_32:
	s_endpgm
	.section	.rodata,"a",@progbits
	.p2align	6, 0x0
	.amdhsa_kernel _ZN4vllm3moe22topkGatingSoftplusSqrtILi4ELi4ELi4ELi8ELi32ELb0Ei6__halfEEvPKT6_PKbPfiPT5_PiiiibdPKfPKS9_SF_
		.amdhsa_group_segment_fixed_size 0
		.amdhsa_private_segment_fixed_size 0
		.amdhsa_kernarg_size 96
		.amdhsa_user_sgpr_count 2
		.amdhsa_user_sgpr_dispatch_ptr 0
		.amdhsa_user_sgpr_queue_ptr 0
		.amdhsa_user_sgpr_kernarg_segment_ptr 1
		.amdhsa_user_sgpr_dispatch_id 0
		.amdhsa_user_sgpr_kernarg_preload_length 0
		.amdhsa_user_sgpr_kernarg_preload_offset 0
		.amdhsa_user_sgpr_private_segment_size 0
		.amdhsa_uses_dynamic_stack 0
		.amdhsa_enable_private_segment 0
		.amdhsa_system_sgpr_workgroup_id_x 1
		.amdhsa_system_sgpr_workgroup_id_y 0
		.amdhsa_system_sgpr_workgroup_id_z 0
		.amdhsa_system_sgpr_workgroup_info 0
		.amdhsa_system_vgpr_workitem_id 1
		.amdhsa_next_free_vgpr 15
		.amdhsa_next_free_sgpr 26
		.amdhsa_accum_offset 16
		.amdhsa_reserve_vcc 1
		.amdhsa_float_round_mode_32 0
		.amdhsa_float_round_mode_16_64 0
		.amdhsa_float_denorm_mode_32 3
		.amdhsa_float_denorm_mode_16_64 3
		.amdhsa_dx10_clamp 1
		.amdhsa_ieee_mode 1
		.amdhsa_fp16_overflow 0
		.amdhsa_tg_split 0
		.amdhsa_exception_fp_ieee_invalid_op 0
		.amdhsa_exception_fp_denorm_src 0
		.amdhsa_exception_fp_ieee_div_zero 0
		.amdhsa_exception_fp_ieee_overflow 0
		.amdhsa_exception_fp_ieee_underflow 0
		.amdhsa_exception_fp_ieee_inexact 0
		.amdhsa_exception_int_div_zero 0
	.end_amdhsa_kernel
	.section	.text._ZN4vllm3moe22topkGatingSoftplusSqrtILi4ELi4ELi4ELi8ELi32ELb0Ei6__halfEEvPKT6_PKbPfiPT5_PiiiibdPKfPKS9_SF_,"axG",@progbits,_ZN4vllm3moe22topkGatingSoftplusSqrtILi4ELi4ELi4ELi8ELi32ELb0Ei6__halfEEvPKT6_PKbPfiPT5_PiiiibdPKfPKS9_SF_,comdat
.Lfunc_end191:
	.size	_ZN4vllm3moe22topkGatingSoftplusSqrtILi4ELi4ELi4ELi8ELi32ELb0Ei6__halfEEvPKT6_PKbPfiPT5_PiiiibdPKfPKS9_SF_, .Lfunc_end191-_ZN4vllm3moe22topkGatingSoftplusSqrtILi4ELi4ELi4ELi8ELi32ELb0Ei6__halfEEvPKT6_PKbPfiPT5_PiiiibdPKfPKS9_SF_
                                        ; -- End function
	.section	.AMDGPU.csdata,"",@progbits
; Kernel info:
; codeLenInByte = 2064
; NumSgprs: 32
; NumVgprs: 15
; NumAgprs: 0
; TotalNumVgprs: 15
; ScratchSize: 0
; MemoryBound: 0
; FloatMode: 240
; IeeeMode: 1
; LDSByteSize: 0 bytes/workgroup (compile time only)
; SGPRBlocks: 3
; VGPRBlocks: 1
; NumSGPRsForWavesPerEU: 32
; NumVGPRsForWavesPerEU: 15
; AccumOffset: 16
; Occupancy: 8
; WaveLimiterHint : 0
; COMPUTE_PGM_RSRC2:SCRATCH_EN: 0
; COMPUTE_PGM_RSRC2:USER_SGPR: 2
; COMPUTE_PGM_RSRC2:TRAP_HANDLER: 0
; COMPUTE_PGM_RSRC2:TGID_X_EN: 1
; COMPUTE_PGM_RSRC2:TGID_Y_EN: 0
; COMPUTE_PGM_RSRC2:TGID_Z_EN: 0
; COMPUTE_PGM_RSRC2:TIDIG_COMP_CNT: 1
; COMPUTE_PGM_RSRC3_GFX90A:ACCUM_OFFSET: 3
; COMPUTE_PGM_RSRC3_GFX90A:TG_SPLIT: 0
	.section	.text._ZN4vllm3moe22topkGatingSoftplusSqrtILi8ELi8ELi4ELi16ELi64ELb1Ei6__halfEEvPKT6_PKbPfiPT5_PiiiibdPKfPKS9_SF_,"axG",@progbits,_ZN4vllm3moe22topkGatingSoftplusSqrtILi8ELi8ELi4ELi16ELi64ELb1Ei6__halfEEvPKT6_PKbPfiPT5_PiiiibdPKfPKS9_SF_,comdat
	.protected	_ZN4vllm3moe22topkGatingSoftplusSqrtILi8ELi8ELi4ELi16ELi64ELb1Ei6__halfEEvPKT6_PKbPfiPT5_PiiiibdPKfPKS9_SF_ ; -- Begin function _ZN4vllm3moe22topkGatingSoftplusSqrtILi8ELi8ELi4ELi16ELi64ELb1Ei6__halfEEvPKT6_PKbPfiPT5_PiiiibdPKfPKS9_SF_
	.globl	_ZN4vllm3moe22topkGatingSoftplusSqrtILi8ELi8ELi4ELi16ELi64ELb1Ei6__halfEEvPKT6_PKbPfiPT5_PiiiibdPKfPKS9_SF_
	.p2align	8
	.type	_ZN4vllm3moe22topkGatingSoftplusSqrtILi8ELi8ELi4ELi16ELi64ELb1Ei6__halfEEvPKT6_PKbPfiPT5_PiiiibdPKfPKS9_SF_,@function
_ZN4vllm3moe22topkGatingSoftplusSqrtILi8ELi8ELi4ELi16ELi64ELb1Ei6__halfEEvPKT6_PKbPfiPT5_PiiiibdPKfPKS9_SF_: ; @_ZN4vllm3moe22topkGatingSoftplusSqrtILi8ELi8ELi4ELi16ELi64ELb1Ei6__halfEEvPKT6_PKbPfiPT5_PiiiibdPKfPKS9_SF_
; %bb.0:
	s_load_dword s3, s[0:1], 0x18
	v_bfe_u32 v1, v0, 10, 10
	s_lshl_b32 s2, s2, 8
	v_lshlrev_b32_e32 v1, 6, v1
	v_and_b32_e32 v0, 0x3ff, v0
	v_add3_u32 v6, v1, v0, s2
	s_waitcnt lgkmcnt(0)
	v_cmp_gt_i32_e32 vcc, s3, v6
	s_and_saveexec_b64 s[2:3], vcc
	s_cbranch_execz .LBB192_56
; %bb.1:
	s_load_dwordx2 s[2:3], s[0:1], 0x0
	s_load_dword s16, s[0:1], 0x30
	v_lshlrev_b32_e32 v0, 3, v6
	v_ashrrev_i32_e32 v1, 31, v0
	s_load_dwordx4 s[8:11], s[0:1], 0x50
	s_waitcnt lgkmcnt(0)
	v_lshl_add_u64 v[0:1], v[0:1], 1, s[2:3]
	global_load_dwordx4 v[0:3], v[0:1], off
	v_ashrrev_i32_e32 v7, 31, v6
	s_mov_b32 s15, 0x800000
	v_mov_b32_e32 v4, s8
	v_mov_b32_e32 v5, s9
	v_lshl_add_u64 v[4:5], v[6:7], 2, v[4:5]
	global_load_dword v4, v[4:5], off
	v_mov_b32_e32 v7, 0x4f800000
	s_mov_b32 s13, 0x3f317217
	s_mov_b32 s14, 0x7f800000
	v_mov_b32_e32 v17, 0x41b17218
	s_movk_i32 s9, 0x4d00
	s_mov_b32 s12, 0xf800000
	v_mov_b32_e32 v18, 0x260
	s_cmp_gt_i32 s16, 0
	s_mov_b32 s8, 0
	v_mov_b32_e32 v16, 0
	s_waitcnt vmcnt(1)
	v_cvt_f32_f16_e32 v12, v0
	v_cvt_f32_f16_sdwa v13, v0 dst_sel:DWORD dst_unused:UNUSED_PAD src0_sel:WORD_1
	v_cvt_f32_f16_e32 v14, v1
	v_cvt_f32_f16_sdwa v15, v1 dst_sel:DWORD dst_unused:UNUSED_PAD src0_sel:WORD_1
	v_mul_f32_e32 v5, 0x3fb8aa3b, v12
	v_mul_f32_e32 v9, 0x3fb8aa3b, v13
	v_exp_f32_e32 v8, v5
	v_exp_f32_e32 v9, v9
	v_mul_f32_e32 v10, 0x3fb8aa3b, v14
	v_mul_f32_e32 v11, 0x3fb8aa3b, v15
	v_exp_f32_e32 v10, v10
	v_exp_f32_e32 v11, v11
	v_pk_add_f32 v[8:9], v[8:9], 1.0 op_sel_hi:[1,0]
	s_waitcnt vmcnt(0)
	v_mul_lo_u32 v4, v4, s16
	v_cmp_gt_f32_e32 vcc, s15, v9
	v_pk_add_f32 v[10:11], v[10:11], 1.0 op_sel_hi:[1,0]
	v_cmp_gt_f32_e64 s[2:3], s15, v8
	v_cndmask_b32_e32 v19, 1.0, v7, vcc
	v_cmp_gt_f32_e64 s[4:5], s15, v11
	v_cndmask_b32_e64 v20, 1.0, v7, s[2:3]
	v_mul_f32_e32 v9, v9, v19
	v_cndmask_b32_e64 v21, 1.0, v7, s[4:5]
	v_cmp_gt_f32_e64 s[6:7], s15, v10
	v_mul_f32_e32 v8, v8, v20
	v_log_f32_e32 v9, v9
	v_cndmask_b32_e64 v22, 1.0, v7, s[6:7]
	v_mul_f32_e32 v11, v11, v21
	v_log_f32_e32 v8, v8
	v_mul_f32_e32 v10, v10, v22
	v_log_f32_e32 v11, v11
	v_log_f32_e32 v10, v10
	v_mul_f32_e32 v23, 0x3f317217, v9
	v_mul_f32_e32 v24, 0x3f317217, v8
	v_fma_f32 v23, v9, s13, -v23
	v_mul_f32_e32 v25, 0x3f317217, v11
	v_fma_f32 v24, v8, s13, -v24
	v_fmac_f32_e32 v23, 0x3377d1cf, v9
	v_cndmask_b32_e32 v19, 0, v17, vcc
	v_mul_f32_e32 v26, 0x3f317217, v10
	v_fma_f32 v25, v11, s13, -v25
	v_fmac_f32_e32 v24, 0x3377d1cf, v8
	v_fmac_f32_e32 v23, 0x3f317217, v9
	v_cmp_lt_f32_e64 vcc, |v9|, s14
	v_fma_f32 v26, v10, s13, -v26
	v_fmac_f32_e32 v25, 0x3377d1cf, v11
	v_fmac_f32_e32 v24, 0x3f317217, v8
	v_cndmask_b32_e32 v9, v9, v23, vcc
	v_cmp_lt_f32_e64 vcc, |v8|, s14
	v_fmac_f32_e32 v26, 0x3377d1cf, v10
	v_fmac_f32_e32 v25, 0x3f317217, v11
	v_cndmask_b32_e32 v8, v8, v24, vcc
	v_cmp_lt_f32_e64 vcc, |v11|, s14
	v_cndmask_b32_e64 v20, 0, v17, s[2:3]
	v_fmac_f32_e32 v26, 0x3f317217, v10
	v_cndmask_b32_e32 v11, v11, v25, vcc
	v_cmp_lt_f32_e64 vcc, |v10|, s14
	v_sub_f32_e32 v8, v8, v20
	v_sub_f32_e32 v9, v9, v19
	v_cndmask_b32_e32 v23, v10, v26, vcc
	v_cmp_lt_f16_e32 vcc, s9, v0
	v_cndmask_b32_e64 v21, 0, v17, s[4:5]
	v_cndmask_b32_e64 v22, 0, v17, s[6:7]
	v_cndmask_b32_e32 v8, v8, v12, vcc
	v_cmp_gt_f16_sdwa vcc, v0, s9 src0_sel:WORD_1 src1_sel:DWORD
	v_mul_f32_e32 v10, 0x4f800000, v8
	v_cmp_gt_f32_e64 s[2:3], s12, v8
	v_cndmask_b32_e32 v0, v9, v13, vcc
	v_mul_f32_e32 v9, 0x4f800000, v0
	v_cmp_gt_f32_e32 vcc, s12, v0
	v_cndmask_b32_e64 v8, v8, v10, s[2:3]
	v_sqrt_f32_e32 v10, v8
	v_cndmask_b32_e32 v0, v0, v9, vcc
	v_sqrt_f32_e32 v9, v0
	v_sub_f32_e32 v12, v11, v21
	v_add_u32_e32 v19, -1, v10
	v_fma_f32 v25, -v19, v10, v8
	v_add_u32_e32 v11, -1, v9
	v_fma_f32 v21, -v11, v9, v0
	v_add_u32_e32 v13, 1, v9
	v_cmp_ge_f32_e64 s[4:5], 0, v21
	v_add_u32_e32 v20, 1, v10
	v_fma_f32 v24, -v13, v9, v0
	v_cndmask_b32_e64 v9, v9, v11, s[4:5]
	v_cmp_ge_f32_e64 s[4:5], 0, v25
	v_fma_f32 v26, -v20, v10, v8
	v_ashrrev_i32_e32 v5, 31, v4
	v_cndmask_b32_e64 v10, v10, v19, s[4:5]
	v_cmp_lt_f32_e64 s[4:5], 0, v24
	s_nop 1
	v_cndmask_b32_e64 v9, v9, v13, s[4:5]
	v_cmp_lt_f32_e64 s[4:5], 0, v26
	v_mul_f32_e32 v11, 0x37800000, v9
	v_cndmask_b32_e32 v9, v9, v11, vcc
	v_cndmask_b32_e64 v10, v10, v20, s[4:5]
	v_mul_f32_e32 v13, 0x37800000, v10
	v_cmp_class_f32_e32 vcc, v0, v18
	v_cndmask_b32_e64 v11, v10, v13, s[2:3]
	v_cmp_lt_f16_e64 s[2:3], s9, v1
	v_cndmask_b32_e32 v10, v9, v0, vcc
	v_cmp_class_f32_e32 vcc, v8, v18
	v_sub_f32_e32 v9, v23, v22
	s_nop 0
	v_cndmask_b32_e32 v11, v11, v8, vcc
	v_cmp_gt_f16_sdwa vcc, v1, s9 src0_sel:WORD_1 src1_sel:DWORD
	v_cndmask_b32_e64 v1, v9, v14, s[2:3]
	s_nop 0
	v_cndmask_b32_e32 v0, v12, v15, vcc
	v_mul_f32_e32 v8, 0x4f800000, v0
	v_cmp_gt_f32_e32 vcc, s12, v0
	v_cvt_f32_f16_sdwa v15, v2 dst_sel:DWORD dst_unused:UNUSED_PAD src0_sel:WORD_1
	s_nop 0
	v_cndmask_b32_e32 v0, v0, v8, vcc
	v_sqrt_f32_e32 v8, v0
	s_nop 0
	v_add_u32_e32 v9, -1, v8
	v_fma_f32 v12, -v9, v8, v0
	v_cmp_ge_f32_e64 s[2:3], 0, v12
	v_add_u32_e32 v12, 1, v8
	s_nop 0
	v_cndmask_b32_e64 v9, v8, v9, s[2:3]
	v_fma_f32 v8, -v12, v8, v0
	v_cmp_lt_f32_e64 s[2:3], 0, v8
	s_nop 1
	v_cndmask_b32_e64 v8, v9, v12, s[2:3]
	v_mul_f32_e32 v12, 0x4f800000, v1
	v_cmp_gt_f32_e64 s[2:3], s12, v1
	v_mul_f32_e32 v9, 0x37800000, v8
	v_cndmask_b32_e32 v8, v8, v9, vcc
	v_cndmask_b32_e64 v13, v1, v12, s[2:3]
	v_sqrt_f32_e32 v1, v13
	v_cmp_class_f32_e32 vcc, v0, v18
	v_cvt_f32_f16_e32 v9, v2
	v_add_u32_e32 v14, 1, v1
	v_cndmask_b32_e32 v12, v8, v0, vcc
	v_add_u32_e32 v0, -1, v1
	v_fma_f32 v8, -v0, v1, v13
	v_cmp_ge_f32_e32 vcc, 0, v8
	v_fma_f32 v19, -v14, v1, v13
	s_nop 0
	v_cndmask_b32_e32 v8, v1, v0, vcc
	v_mul_f32_e32 v0, 0x3fb8aa3b, v9
	v_mul_f32_e32 v1, 0x3fb8aa3b, v15
	v_exp_f32_e32 v0, v0
	v_exp_f32_e32 v1, v1
	v_cmp_lt_f32_e32 vcc, 0, v19
	v_pk_add_f32 v[0:1], v[0:1], 1.0 op_sel_hi:[1,0]
	s_nop 0
	v_cndmask_b32_e32 v8, v8, v14, vcc
	v_cmp_gt_f32_e32 vcc, s15, v1
	v_mul_f32_e32 v14, 0x37800000, v8
	v_cndmask_b32_e64 v8, v8, v14, s[2:3]
	v_cndmask_b32_e32 v19, 1.0, v7, vcc
	v_mul_f32_e32 v1, v1, v19
	v_log_f32_e32 v1, v1
	v_cmp_class_f32_e64 s[2:3], v13, v18
	v_cvt_f32_f16_sdwa v19, v3 dst_sel:DWORD dst_unused:UNUSED_PAD src0_sel:WORD_1
	v_cmp_lt_f32_e64 s[4:5], |v1|, s14
	v_cndmask_b32_e64 v13, v8, v13, s[2:3]
	v_cmp_gt_f32_e64 s[2:3], s15, v0
	v_mul_f32_e32 v8, 0x3f317217, v1
	v_fma_f32 v8, v1, s13, -v8
	v_cndmask_b32_e64 v14, 1.0, v7, s[2:3]
	v_mul_f32_e32 v0, v0, v14
	v_log_f32_e32 v0, v0
	v_fmac_f32_e32 v8, 0x3377d1cf, v1
	v_fmac_f32_e32 v8, 0x3f317217, v1
	v_cndmask_b32_e64 v1, v1, v8, s[4:5]
	v_cndmask_b32_e32 v8, 0, v17, vcc
	v_sub_f32_e32 v1, v1, v8
	v_mul_f32_e32 v8, 0x3f317217, v0
	v_fma_f32 v8, v0, s13, -v8
	v_fmac_f32_e32 v8, 0x3377d1cf, v0
	v_fmac_f32_e32 v8, 0x3f317217, v0
	v_cmp_lt_f32_e64 vcc, |v0|, s14
	s_nop 1
	v_cndmask_b32_e32 v0, v0, v8, vcc
	v_cmp_gt_f16_sdwa vcc, v2, s9 src0_sel:WORD_1 src1_sel:DWORD
	v_cndmask_b32_e64 v8, 0, v17, s[2:3]
	v_cmp_lt_f16_e64 s[2:3], s9, v2
	v_cndmask_b32_e32 v1, v1, v15, vcc
	v_mul_f32_e32 v14, 0x4f800000, v1
	v_cmp_gt_f32_e32 vcc, s12, v1
	v_sub_f32_e32 v0, v0, v8
	v_cndmask_b32_e64 v0, v0, v9, s[2:3]
	v_cndmask_b32_e32 v1, v1, v14, vcc
	v_sqrt_f32_e32 v14, v1
	s_nop 0
	v_add_u32_e32 v2, -1, v14
	v_fma_f32 v8, -v2, v14, v1
	v_cmp_ge_f32_e64 s[2:3], 0, v8
	v_add_u32_e32 v8, 1, v14
	v_fma_f32 v9, -v8, v14, v1
	v_cndmask_b32_e64 v2, v14, v2, s[2:3]
	v_cmp_lt_f32_e64 s[2:3], 0, v9
	v_mul_f32_e32 v9, 0x4f800000, v0
	s_nop 0
	v_cndmask_b32_e64 v2, v2, v8, s[2:3]
	v_cmp_gt_f32_e64 s[2:3], s12, v0
	v_mul_f32_e32 v8, 0x37800000, v2
	v_cndmask_b32_e32 v2, v2, v8, vcc
	v_cndmask_b32_e64 v9, v0, v9, s[2:3]
	v_sqrt_f32_e32 v0, v9
	v_cmp_class_f32_e32 vcc, v1, v18
	v_cvt_f32_f16_e32 v8, v3
	v_add_u32_e32 v15, 1, v0
	v_cndmask_b32_e32 v14, v2, v1, vcc
	v_add_u32_e32 v1, -1, v0
	v_fma_f32 v2, -v1, v0, v9
	v_cmp_ge_f32_e32 vcc, 0, v2
	v_fma_f32 v20, -v15, v0, v9
	s_nop 0
	v_cndmask_b32_e32 v2, v0, v1, vcc
	v_mul_f32_e32 v0, 0x3fb8aa3b, v8
	v_mul_f32_e32 v1, 0x3fb8aa3b, v19
	v_exp_f32_e32 v0, v0
	v_exp_f32_e32 v1, v1
	v_cmp_lt_f32_e32 vcc, 0, v20
	v_pk_add_f32 v[0:1], v[0:1], 1.0 op_sel_hi:[1,0]
	s_nop 0
	v_cndmask_b32_e32 v2, v2, v15, vcc
	v_cmp_gt_f32_e32 vcc, s15, v1
	v_mul_f32_e32 v15, 0x37800000, v2
	v_cndmask_b32_e64 v2, v2, v15, s[2:3]
	v_cndmask_b32_e32 v20, 1.0, v7, vcc
	v_mul_f32_e32 v1, v1, v20
	v_log_f32_e32 v1, v1
	v_cmp_class_f32_e64 s[2:3], v9, v18
	v_cmp_lt_f32_e64 s[4:5], |v1|, s14
	s_nop 0
	v_cndmask_b32_e64 v15, v2, v9, s[2:3]
	v_cmp_gt_f32_e64 s[2:3], s15, v0
	v_mul_f32_e32 v2, 0x3f317217, v1
	v_fma_f32 v2, v1, s13, -v2
	v_cndmask_b32_e64 v7, 1.0, v7, s[2:3]
	v_mul_f32_e32 v0, v0, v7
	v_log_f32_e32 v0, v0
	v_fmac_f32_e32 v2, 0x3377d1cf, v1
	v_fmac_f32_e32 v2, 0x3f317217, v1
	v_cndmask_b32_e64 v1, v1, v2, s[4:5]
	v_cndmask_b32_e32 v2, 0, v17, vcc
	v_sub_f32_e32 v1, v1, v2
	v_mul_f32_e32 v2, 0x3f317217, v0
	v_fma_f32 v2, v0, s13, -v2
	v_fmac_f32_e32 v2, 0x3377d1cf, v0
	v_fmac_f32_e32 v2, 0x3f317217, v0
	v_cmp_lt_f32_e64 vcc, |v0|, s14
	s_nop 1
	v_cndmask_b32_e32 v0, v0, v2, vcc
	v_cmp_gt_f16_sdwa vcc, v3, s9 src0_sel:WORD_1 src1_sel:DWORD
	v_cndmask_b32_e64 v2, 0, v17, s[2:3]
	v_sub_f32_e32 v0, v0, v2
	v_cndmask_b32_e32 v1, v1, v19, vcc
	v_mul_f32_e32 v7, 0x4f800000, v1
	v_cmp_gt_f32_e32 vcc, s12, v1
	v_cmp_lt_f16_e64 s[2:3], s9, v3
	s_nop 0
	v_cndmask_b32_e32 v1, v1, v7, vcc
	v_sqrt_f32_e32 v7, v1
	v_cndmask_b32_e64 v0, v0, v8, s[2:3]
	v_add_u32_e32 v2, -1, v7
	v_fma_f32 v3, -v2, v7, v1
	v_cmp_ge_f32_e64 s[2:3], 0, v3
	v_add_u32_e32 v3, 1, v7
	s_nop 0
	v_cndmask_b32_e64 v2, v7, v2, s[2:3]
	v_fma_f32 v7, -v3, v7, v1
	v_cmp_lt_f32_e64 s[2:3], 0, v7
	v_mul_f32_e32 v7, 0x4f800000, v0
	s_nop 0
	v_cndmask_b32_e64 v2, v2, v3, s[2:3]
	v_cmp_gt_f32_e64 s[2:3], s12, v0
	v_mul_f32_e32 v3, 0x37800000, v2
	v_cndmask_b32_e32 v2, v2, v3, vcc
	v_cndmask_b32_e64 v0, v0, v7, s[2:3]
	v_sqrt_f32_e32 v7, v0
	v_cmp_class_f32_e32 vcc, v1, v18
	s_nop 1
	v_cndmask_b32_e32 v17, v2, v1, vcc
	v_add_u32_e32 v1, -1, v7
	v_fma_f32 v2, -v1, v7, v0
	v_cmp_ge_f32_e32 vcc, 0, v2
	v_add_u32_e32 v2, 1, v7
	v_fma_f32 v3, -v2, v7, v0
	v_cndmask_b32_e32 v1, v7, v1, vcc
	v_cmp_lt_f32_e32 vcc, 0, v3
	s_nop 1
	v_cndmask_b32_e32 v1, v1, v2, vcc
	v_mul_f32_e32 v2, 0x37800000, v1
	v_cndmask_b32_e64 v1, v1, v2, s[2:3]
	v_cmp_class_f32_e32 vcc, v0, v18
	v_lshl_add_u64 v[2:3], v[4:5], 2, s[10:11]
	s_cselect_b64 s[2:3], -1, 0
	v_cndmask_b32_e32 v18, v1, v0, vcc
	s_cmp_lt_i32 s16, 1
	v_mul_lo_u32 v0, v6, s16
	s_cbranch_scc1 .LBB192_29
; %bb.2:
	s_load_dwordx2 s[4:5], s[0:1], 0x20
	s_cmp_lt_u32 s16, 4
	s_cbranch_scc1 .LBB192_21
; %bb.3:
	s_mov_b32 s7, 0
	s_and_b32 s8, s16, 0x7ffffffc
	v_ashrrev_i32_e32 v1, 31, v0
	v_mov_b32_e32 v16, 0
	s_mov_b32 s6, s7
	s_branch .LBB192_5
.LBB192_4:                              ;   in Loop: Header=BB192_5 Depth=1
	s_or_b64 exec, exec, s[12:13]
	s_add_i32 s6, s6, 4
	s_cmp_eq_u32 s6, s8
	s_cbranch_scc1 .LBB192_22
.LBB192_5:                              ; =>This Loop Header: Depth=1
                                        ;     Child Loop BB192_7 Depth 2
                                        ;     Child Loop BB192_11 Depth 2
	;; [unrolled: 1-line block ×4, first 2 shown]
	v_lshl_add_u64 v[6:7], s[6:7], 2, v[2:3]
	global_load_dword v19, v[6:7], off
	v_add_u32_e32 v8, s6, v0
	v_ashrrev_i32_e32 v9, 31, v8
	s_mov_b64 s[12:13], 0
	s_waitcnt lgkmcnt(0)
	v_lshl_add_u64 v[8:9], v[8:9], 2, s[4:5]
	s_mov_b32 s9, 0
	s_waitcnt vmcnt(0)
	v_cmp_eq_u32_e32 vcc, 1, v19
	s_nop 1
	v_cndmask_b32_e32 v21, v11, v10, vcc
	v_cmp_eq_u32_e32 vcc, 2, v19
	v_min_u32_e32 v20, 7, v19
	v_add_u32_e32 v20, 1, v20
	v_cndmask_b32_e32 v21, v21, v13, vcc
	v_cmp_eq_u32_e32 vcc, 3, v19
	s_nop 1
	v_cndmask_b32_e32 v21, v21, v12, vcc
	v_cmp_eq_u32_e32 vcc, 4, v19
	s_nop 1
	;; [unrolled: 3-line block ×5, first 2 shown]
	v_cndmask_b32_e32 v21, v21, v17, vcc
	s_branch .LBB192_7
.LBB192_6:                              ;   in Loop: Header=BB192_7 Depth=2
	s_or_b64 exec, exec, s[14:15]
	s_add_i32 s9, s9, 1
	v_cmp_eq_u32_e32 vcc, s9, v20
	s_or_b64 s[12:13], vcc, s[12:13]
	s_andn2_b64 exec, exec, s[12:13]
	s_cbranch_execz .LBB192_9
.LBB192_7:                              ;   Parent Loop BB192_5 Depth=1
                                        ; =>  This Inner Loop Header: Depth=2
	v_cmp_eq_u32_e32 vcc, s9, v19
	s_and_saveexec_b64 s[14:15], vcc
	s_cbranch_execz .LBB192_6
; %bb.8:                                ;   in Loop: Header=BB192_7 Depth=2
	v_add_f32_e32 v16, v16, v21
	global_store_dword v[8:9], v19, off
	s_branch .LBB192_6
.LBB192_9:                              ;   in Loop: Header=BB192_5 Depth=1
	s_or_b64 exec, exec, s[12:13]
	global_load_dword v19, v[6:7], off offset:4
	s_ashr_i32 s13, s6, 31
	s_mov_b32 s12, s6
	v_lshl_add_u64 v[8:9], s[12:13], 0, v[0:1]
	s_mov_b32 s9, 0
	v_lshl_add_u64 v[8:9], v[8:9], 2, s[4:5]
	s_mov_b64 s[12:13], 0
	s_waitcnt vmcnt(0)
	v_cmp_eq_u32_e32 vcc, 1, v19
	s_nop 1
	v_cndmask_b32_e32 v21, v11, v10, vcc
	v_cmp_eq_u32_e32 vcc, 2, v19
	v_min_u32_e32 v20, 7, v19
	v_add_u32_e32 v20, 1, v20
	v_cndmask_b32_e32 v21, v21, v13, vcc
	v_cmp_eq_u32_e32 vcc, 3, v19
	s_nop 1
	v_cndmask_b32_e32 v21, v21, v12, vcc
	v_cmp_eq_u32_e32 vcc, 4, v19
	s_nop 1
	;; [unrolled: 3-line block ×5, first 2 shown]
	v_cndmask_b32_e32 v21, v21, v17, vcc
	s_branch .LBB192_11
.LBB192_10:                             ;   in Loop: Header=BB192_11 Depth=2
	s_or_b64 exec, exec, s[14:15]
	s_add_i32 s9, s9, 1
	v_cmp_eq_u32_e32 vcc, s9, v20
	s_or_b64 s[12:13], vcc, s[12:13]
	s_andn2_b64 exec, exec, s[12:13]
	s_cbranch_execz .LBB192_13
.LBB192_11:                             ;   Parent Loop BB192_5 Depth=1
                                        ; =>  This Inner Loop Header: Depth=2
	v_cmp_eq_u32_e32 vcc, s9, v19
	s_and_saveexec_b64 s[14:15], vcc
	s_cbranch_execz .LBB192_10
; %bb.12:                               ;   in Loop: Header=BB192_11 Depth=2
	v_add_f32_e32 v16, v16, v21
	global_store_dword v[8:9], v19, off offset:4
	s_branch .LBB192_10
.LBB192_13:                             ;   in Loop: Header=BB192_5 Depth=1
	s_or_b64 exec, exec, s[12:13]
	global_load_dword v19, v[6:7], off offset:8
	s_mov_b32 s9, 0
	s_mov_b64 s[12:13], 0
	s_waitcnt vmcnt(0)
	v_cmp_eq_u32_e32 vcc, 1, v19
	s_nop 1
	v_cndmask_b32_e32 v21, v11, v10, vcc
	v_cmp_eq_u32_e32 vcc, 2, v19
	v_min_u32_e32 v20, 7, v19
	v_add_u32_e32 v20, 1, v20
	v_cndmask_b32_e32 v21, v21, v13, vcc
	v_cmp_eq_u32_e32 vcc, 3, v19
	s_nop 1
	v_cndmask_b32_e32 v21, v21, v12, vcc
	v_cmp_eq_u32_e32 vcc, 4, v19
	s_nop 1
	;; [unrolled: 3-line block ×5, first 2 shown]
	v_cndmask_b32_e32 v21, v21, v17, vcc
	s_branch .LBB192_15
.LBB192_14:                             ;   in Loop: Header=BB192_15 Depth=2
	s_or_b64 exec, exec, s[14:15]
	s_add_i32 s9, s9, 1
	v_cmp_eq_u32_e32 vcc, s9, v20
	s_or_b64 s[12:13], vcc, s[12:13]
	s_andn2_b64 exec, exec, s[12:13]
	s_cbranch_execz .LBB192_17
.LBB192_15:                             ;   Parent Loop BB192_5 Depth=1
                                        ; =>  This Inner Loop Header: Depth=2
	v_cmp_eq_u32_e32 vcc, s9, v19
	s_and_saveexec_b64 s[14:15], vcc
	s_cbranch_execz .LBB192_14
; %bb.16:                               ;   in Loop: Header=BB192_15 Depth=2
	v_add_f32_e32 v16, v16, v21
	global_store_dword v[8:9], v19, off offset:8
	s_branch .LBB192_14
.LBB192_17:                             ;   in Loop: Header=BB192_5 Depth=1
	s_or_b64 exec, exec, s[12:13]
	global_load_dword v6, v[6:7], off offset:12
	s_mov_b32 s9, 0
	s_mov_b64 s[12:13], 0
	s_waitcnt vmcnt(0)
	v_cmp_eq_u32_e32 vcc, 1, v6
	s_nop 1
	v_cndmask_b32_e32 v19, v11, v10, vcc
	v_cmp_eq_u32_e32 vcc, 2, v6
	v_min_u32_e32 v7, 7, v6
	v_add_u32_e32 v7, 1, v7
	v_cndmask_b32_e32 v19, v19, v13, vcc
	v_cmp_eq_u32_e32 vcc, 3, v6
	s_nop 1
	v_cndmask_b32_e32 v19, v19, v12, vcc
	v_cmp_eq_u32_e32 vcc, 4, v6
	s_nop 1
	;; [unrolled: 3-line block ×5, first 2 shown]
	v_cndmask_b32_e32 v19, v19, v17, vcc
	s_branch .LBB192_19
.LBB192_18:                             ;   in Loop: Header=BB192_19 Depth=2
	s_or_b64 exec, exec, s[14:15]
	s_add_i32 s9, s9, 1
	v_cmp_eq_u32_e32 vcc, s9, v7
	s_or_b64 s[12:13], vcc, s[12:13]
	s_andn2_b64 exec, exec, s[12:13]
	s_cbranch_execz .LBB192_4
.LBB192_19:                             ;   Parent Loop BB192_5 Depth=1
                                        ; =>  This Inner Loop Header: Depth=2
	v_cmp_eq_u32_e32 vcc, s9, v6
	s_and_saveexec_b64 s[14:15], vcc
	s_cbranch_execz .LBB192_18
; %bb.20:                               ;   in Loop: Header=BB192_19 Depth=2
	v_add_f32_e32 v16, v16, v19
	global_store_dword v[8:9], v6, off offset:12
	s_branch .LBB192_18
.LBB192_21:
	v_mov_b32_e32 v16, 0
.LBB192_22:
	s_and_b32 s14, s16, 3
	s_cmp_eq_u32 s14, 0
	s_mov_b32 s9, 0
	s_cbranch_scc1 .LBB192_29
; %bb.23:
	s_mov_b32 s15, s9
	s_branch .LBB192_25
.LBB192_24:                             ;   in Loop: Header=BB192_25 Depth=1
	s_or_b64 exec, exec, s[6:7]
	s_add_i32 s8, s8, 1
	s_add_i32 s15, s15, 1
	s_cmp_lg_u32 s15, s14
	s_cbranch_scc0 .LBB192_29
.LBB192_25:                             ; =>This Loop Header: Depth=1
                                        ;     Child Loop BB192_27 Depth 2
	v_lshl_add_u64 v[6:7], s[8:9], 2, v[2:3]
	global_load_dword v1, v[6:7], off
	v_add_u32_e32 v6, s8, v0
	v_ashrrev_i32_e32 v7, 31, v6
	s_mov_b32 s17, 0
	s_waitcnt lgkmcnt(0)
	v_lshl_add_u64 v[6:7], v[6:7], 2, s[4:5]
	s_mov_b64 s[6:7], 0
	s_waitcnt vmcnt(0)
	v_cmp_eq_u32_e32 vcc, 1, v1
	s_nop 1
	v_cndmask_b32_e32 v9, v11, v10, vcc
	v_cmp_eq_u32_e32 vcc, 2, v1
	v_min_u32_e32 v8, 7, v1
	v_add_u32_e32 v8, 1, v8
	v_cndmask_b32_e32 v9, v9, v13, vcc
	v_cmp_eq_u32_e32 vcc, 3, v1
	s_nop 1
	v_cndmask_b32_e32 v9, v9, v12, vcc
	v_cmp_eq_u32_e32 vcc, 4, v1
	s_nop 1
	;; [unrolled: 3-line block ×5, first 2 shown]
	v_cndmask_b32_e32 v9, v9, v17, vcc
	s_branch .LBB192_27
.LBB192_26:                             ;   in Loop: Header=BB192_27 Depth=2
	s_or_b64 exec, exec, s[12:13]
	s_add_i32 s17, s17, 1
	v_cmp_eq_u32_e32 vcc, s17, v8
	s_or_b64 s[6:7], vcc, s[6:7]
	s_andn2_b64 exec, exec, s[6:7]
	s_cbranch_execz .LBB192_24
.LBB192_27:                             ;   Parent Loop BB192_25 Depth=1
                                        ; =>  This Inner Loop Header: Depth=2
	v_cmp_eq_u32_e32 vcc, s17, v1
	s_and_saveexec_b64 s[12:13], vcc
	s_cbranch_execz .LBB192_26
; %bb.28:                               ;   in Loop: Header=BB192_27 Depth=2
	v_add_f32_e32 v16, v16, v9
	global_store_dword v[6:7], v1, off
	s_branch .LBB192_26
.LBB192_29:
	s_load_dword s6, s[0:1], 0x3c
	s_waitcnt lgkmcnt(0)
	s_load_dwordx2 s[4:5], s[0:1], 0x40
	s_bitcmp1_b32 s6, 0
	s_cselect_b64 s[6:7], -1, 0
	s_waitcnt lgkmcnt(0)
	v_cvt_f32_f64_e32 v19, s[4:5]
	s_and_b64 vcc, exec, s[6:7]
	s_cbranch_vccz .LBB192_31
; %bb.30:
	v_cmp_lt_f32_e32 vcc, 0, v16
	s_nop 1
	v_cndmask_b32_e32 v1, 1.0, v16, vcc
	v_div_scale_f32 v6, s[4:5], v1, v1, v19
	v_rcp_f32_e32 v7, v6
	s_nop 0
	v_fma_f32 v8, -v6, v7, 1.0
	v_fmac_f32_e32 v7, v8, v7
	v_div_scale_f32 v8, vcc, v19, v1, v19
	v_mul_f32_e32 v9, v8, v7
	v_fma_f32 v16, -v6, v9, v8
	v_fmac_f32_e32 v9, v16, v7
	v_fma_f32 v6, -v6, v9, v8
	v_div_fmas_f32 v6, v6, v7, v9
	v_div_fixup_f32 v19, v6, v1, v19
.LBB192_31:
	s_andn2_b64 vcc, exec, s[2:3]
	s_cbranch_vccnz .LBB192_56
; %bb.32:
	s_load_dwordx2 s[0:1], s[0:1], 0x10
	s_cmp_lt_u32 s16, 8
	s_mov_b32 s2, 0
	s_cbranch_scc1 .LBB192_51
; %bb.33:
	v_ashrrev_i32_e32 v1, 31, v0
	s_and_b32 s2, s16, 0x7ffffff8
	s_waitcnt lgkmcnt(0)
	v_lshl_add_u64 v[6:7], v[0:1], 2, s[0:1]
	s_mov_b32 s3, 0
	s_mov_b64 s[4:5], 0
	s_branch .LBB192_35
.LBB192_34:                             ;   in Loop: Header=BB192_35 Depth=1
	s_or_b64 exec, exec, s[6:7]
	s_add_i32 s3, s3, 8
	s_add_u32 s4, s4, 32
	s_addc_u32 s5, s5, 0
	s_cmp_eq_u32 s2, s3
	s_cbranch_scc1 .LBB192_51
.LBB192_35:                             ; =>This Inner Loop Header: Depth=1
	v_lshl_add_u64 v[8:9], v[2:3], 0, s[4:5]
	global_load_dword v1, v[8:9], off
	s_waitcnt vmcnt(0)
	v_cmp_gt_u32_e32 vcc, 8, v1
	s_and_saveexec_b64 s[6:7], vcc
	s_cbranch_execz .LBB192_37
; %bb.36:                               ;   in Loop: Header=BB192_35 Depth=1
	v_cmp_eq_u32_e32 vcc, 1, v1
	v_add_u32_e32 v20, s3, v0
	v_ashrrev_i32_e32 v21, 31, v20
	v_cndmask_b32_e32 v16, v11, v10, vcc
	v_cmp_eq_u32_e32 vcc, 2, v1
	v_lshl_add_u64 v[20:21], v[20:21], 2, s[0:1]
	s_nop 0
	v_cndmask_b32_e32 v16, v16, v13, vcc
	v_cmp_eq_u32_e32 vcc, 3, v1
	s_nop 1
	v_cndmask_b32_e32 v16, v16, v12, vcc
	v_cmp_eq_u32_e32 vcc, 4, v1
	;; [unrolled: 3-line block ×5, first 2 shown]
	s_nop 1
	v_cndmask_b32_e32 v1, v16, v17, vcc
	v_mul_f32_e32 v1, v19, v1
	global_store_dword v[20:21], v1, off
.LBB192_37:                             ;   in Loop: Header=BB192_35 Depth=1
	s_or_b64 exec, exec, s[6:7]
	global_load_dword v1, v[8:9], off offset:4
	s_waitcnt vmcnt(0)
	v_cmp_gt_u32_e32 vcc, 8, v1
	s_and_saveexec_b64 s[6:7], vcc
	s_cbranch_execz .LBB192_39
; %bb.38:                               ;   in Loop: Header=BB192_35 Depth=1
	v_cmp_eq_u32_e32 vcc, 1, v1
	v_lshl_add_u64 v[20:21], v[6:7], 0, s[4:5]
	s_nop 0
	v_cndmask_b32_e32 v16, v11, v10, vcc
	v_cmp_eq_u32_e32 vcc, 2, v1
	s_nop 1
	v_cndmask_b32_e32 v16, v16, v13, vcc
	v_cmp_eq_u32_e32 vcc, 3, v1
	s_nop 1
	v_cndmask_b32_e32 v16, v16, v12, vcc
	v_cmp_eq_u32_e32 vcc, 4, v1
	s_nop 1
	v_cndmask_b32_e32 v16, v16, v15, vcc
	v_cmp_eq_u32_e32 vcc, 5, v1
	s_nop 1
	v_cndmask_b32_e32 v16, v16, v14, vcc
	v_cmp_eq_u32_e32 vcc, 6, v1
	s_nop 1
	v_cndmask_b32_e32 v16, v16, v18, vcc
	v_cmp_eq_u32_e32 vcc, 7, v1
	s_nop 1
	v_cndmask_b32_e32 v1, v16, v17, vcc
	v_mul_f32_e32 v1, v19, v1
	global_store_dword v[20:21], v1, off offset:4
.LBB192_39:                             ;   in Loop: Header=BB192_35 Depth=1
	s_or_b64 exec, exec, s[6:7]
	global_load_dword v1, v[8:9], off offset:8
	s_waitcnt vmcnt(0)
	v_cmp_gt_u32_e32 vcc, 8, v1
	s_and_saveexec_b64 s[6:7], vcc
	s_cbranch_execz .LBB192_41
; %bb.40:                               ;   in Loop: Header=BB192_35 Depth=1
	v_cmp_eq_u32_e32 vcc, 1, v1
	v_lshl_add_u64 v[20:21], v[6:7], 0, s[4:5]
	s_nop 0
	v_cndmask_b32_e32 v16, v11, v10, vcc
	v_cmp_eq_u32_e32 vcc, 2, v1
	s_nop 1
	v_cndmask_b32_e32 v16, v16, v13, vcc
	v_cmp_eq_u32_e32 vcc, 3, v1
	s_nop 1
	v_cndmask_b32_e32 v16, v16, v12, vcc
	v_cmp_eq_u32_e32 vcc, 4, v1
	s_nop 1
	v_cndmask_b32_e32 v16, v16, v15, vcc
	v_cmp_eq_u32_e32 vcc, 5, v1
	s_nop 1
	v_cndmask_b32_e32 v16, v16, v14, vcc
	v_cmp_eq_u32_e32 vcc, 6, v1
	s_nop 1
	v_cndmask_b32_e32 v16, v16, v18, vcc
	v_cmp_eq_u32_e32 vcc, 7, v1
	s_nop 1
	v_cndmask_b32_e32 v1, v16, v17, vcc
	v_mul_f32_e32 v1, v19, v1
	global_store_dword v[20:21], v1, off offset:8
.LBB192_41:                             ;   in Loop: Header=BB192_35 Depth=1
	;; [unrolled: 32-line block ×6, first 2 shown]
	s_or_b64 exec, exec, s[6:7]
	global_load_dword v1, v[8:9], off offset:28
	s_waitcnt vmcnt(0)
	v_cmp_gt_u32_e32 vcc, 8, v1
	s_and_saveexec_b64 s[6:7], vcc
	s_cbranch_execz .LBB192_34
; %bb.50:                               ;   in Loop: Header=BB192_35 Depth=1
	v_cmp_eq_u32_e32 vcc, 1, v1
	s_nop 1
	v_cndmask_b32_e32 v8, v11, v10, vcc
	v_cmp_eq_u32_e32 vcc, 2, v1
	s_nop 1
	v_cndmask_b32_e32 v8, v8, v13, vcc
	;; [unrolled: 3-line block ×7, first 2 shown]
	v_mul_f32_e32 v1, v19, v1
	v_lshl_add_u64 v[8:9], v[6:7], 0, s[4:5]
	global_store_dword v[8:9], v1, off offset:28
	s_branch .LBB192_34
.LBB192_51:
	s_and_b32 s4, s16, 7
	s_cmp_eq_u32 s4, 0
	s_mov_b32 s3, 0
	s_cbranch_scc1 .LBB192_56
; %bb.52:
	v_add_u32_e32 v0, s2, v0
	s_lshl_b64 s[2:3], s[2:3], 2
	s_add_u32 s2, s10, s2
	s_addc_u32 s3, s11, s3
	v_lshl_add_u64 v[2:3], v[4:5], 2, s[2:3]
	s_branch .LBB192_54
.LBB192_53:                             ;   in Loop: Header=BB192_54 Depth=1
	s_or_b64 exec, exec, s[2:3]
	s_add_i32 s4, s4, -1
	v_add_u32_e32 v0, 1, v0
	s_cmp_eq_u32 s4, 0
	v_lshl_add_u64 v[2:3], v[2:3], 0, 4
	s_cbranch_scc1 .LBB192_56
.LBB192_54:                             ; =>This Inner Loop Header: Depth=1
	global_load_dword v1, v[2:3], off
	s_waitcnt vmcnt(0)
	v_cmp_gt_u32_e32 vcc, 8, v1
	s_and_saveexec_b64 s[2:3], vcc
	s_cbranch_execz .LBB192_53
; %bb.55:                               ;   in Loop: Header=BB192_54 Depth=1
	v_cmp_eq_u32_e32 vcc, 1, v1
	s_nop 1
	v_cndmask_b32_e32 v4, v11, v10, vcc
	v_cmp_eq_u32_e32 vcc, 2, v1
	s_nop 1
	v_cndmask_b32_e32 v4, v4, v13, vcc
	v_cmp_eq_u32_e32 vcc, 3, v1
	s_nop 1
	v_cndmask_b32_e32 v4, v4, v12, vcc
	v_cmp_eq_u32_e32 vcc, 4, v1
	s_nop 1
	v_cndmask_b32_e32 v4, v4, v15, vcc
	v_cmp_eq_u32_e32 vcc, 5, v1
	s_nop 1
	v_cndmask_b32_e32 v4, v4, v14, vcc
	v_cmp_eq_u32_e32 vcc, 6, v1
	s_nop 1
	v_cndmask_b32_e32 v4, v4, v18, vcc
	v_cmp_eq_u32_e32 vcc, 7, v1
	s_nop 1
	v_cndmask_b32_e32 v1, v4, v17, vcc
	v_mul_f32_e32 v6, v19, v1
	v_ashrrev_i32_e32 v1, 31, v0
	s_waitcnt lgkmcnt(0)
	v_lshl_add_u64 v[4:5], v[0:1], 2, s[0:1]
	global_store_dword v[4:5], v6, off
	s_branch .LBB192_53
.LBB192_56:
	s_endpgm
	.section	.rodata,"a",@progbits
	.p2align	6, 0x0
	.amdhsa_kernel _ZN4vllm3moe22topkGatingSoftplusSqrtILi8ELi8ELi4ELi16ELi64ELb1Ei6__halfEEvPKT6_PKbPfiPT5_PiiiibdPKfPKS9_SF_
		.amdhsa_group_segment_fixed_size 0
		.amdhsa_private_segment_fixed_size 0
		.amdhsa_kernarg_size 96
		.amdhsa_user_sgpr_count 2
		.amdhsa_user_sgpr_dispatch_ptr 0
		.amdhsa_user_sgpr_queue_ptr 0
		.amdhsa_user_sgpr_kernarg_segment_ptr 1
		.amdhsa_user_sgpr_dispatch_id 0
		.amdhsa_user_sgpr_kernarg_preload_length 0
		.amdhsa_user_sgpr_kernarg_preload_offset 0
		.amdhsa_user_sgpr_private_segment_size 0
		.amdhsa_uses_dynamic_stack 0
		.amdhsa_enable_private_segment 0
		.amdhsa_system_sgpr_workgroup_id_x 1
		.amdhsa_system_sgpr_workgroup_id_y 0
		.amdhsa_system_sgpr_workgroup_id_z 0
		.amdhsa_system_sgpr_workgroup_info 0
		.amdhsa_system_vgpr_workitem_id 1
		.amdhsa_next_free_vgpr 27
		.amdhsa_next_free_sgpr 18
		.amdhsa_accum_offset 28
		.amdhsa_reserve_vcc 1
		.amdhsa_float_round_mode_32 0
		.amdhsa_float_round_mode_16_64 0
		.amdhsa_float_denorm_mode_32 3
		.amdhsa_float_denorm_mode_16_64 3
		.amdhsa_dx10_clamp 1
		.amdhsa_ieee_mode 1
		.amdhsa_fp16_overflow 0
		.amdhsa_tg_split 0
		.amdhsa_exception_fp_ieee_invalid_op 0
		.amdhsa_exception_fp_denorm_src 0
		.amdhsa_exception_fp_ieee_div_zero 0
		.amdhsa_exception_fp_ieee_overflow 0
		.amdhsa_exception_fp_ieee_underflow 0
		.amdhsa_exception_fp_ieee_inexact 0
		.amdhsa_exception_int_div_zero 0
	.end_amdhsa_kernel
	.section	.text._ZN4vllm3moe22topkGatingSoftplusSqrtILi8ELi8ELi4ELi16ELi64ELb1Ei6__halfEEvPKT6_PKbPfiPT5_PiiiibdPKfPKS9_SF_,"axG",@progbits,_ZN4vllm3moe22topkGatingSoftplusSqrtILi8ELi8ELi4ELi16ELi64ELb1Ei6__halfEEvPKT6_PKbPfiPT5_PiiiibdPKfPKS9_SF_,comdat
.Lfunc_end192:
	.size	_ZN4vllm3moe22topkGatingSoftplusSqrtILi8ELi8ELi4ELi16ELi64ELb1Ei6__halfEEvPKT6_PKbPfiPT5_PiiiibdPKfPKS9_SF_, .Lfunc_end192-_ZN4vllm3moe22topkGatingSoftplusSqrtILi8ELi8ELi4ELi16ELi64ELb1Ei6__halfEEvPKT6_PKbPfiPT5_PiiiibdPKfPKS9_SF_
                                        ; -- End function
	.section	.AMDGPU.csdata,"",@progbits
; Kernel info:
; codeLenInByte = 4540
; NumSgprs: 24
; NumVgprs: 27
; NumAgprs: 0
; TotalNumVgprs: 27
; ScratchSize: 0
; MemoryBound: 0
; FloatMode: 240
; IeeeMode: 1
; LDSByteSize: 0 bytes/workgroup (compile time only)
; SGPRBlocks: 2
; VGPRBlocks: 3
; NumSGPRsForWavesPerEU: 24
; NumVGPRsForWavesPerEU: 27
; AccumOffset: 28
; Occupancy: 8
; WaveLimiterHint : 1
; COMPUTE_PGM_RSRC2:SCRATCH_EN: 0
; COMPUTE_PGM_RSRC2:USER_SGPR: 2
; COMPUTE_PGM_RSRC2:TRAP_HANDLER: 0
; COMPUTE_PGM_RSRC2:TGID_X_EN: 1
; COMPUTE_PGM_RSRC2:TGID_Y_EN: 0
; COMPUTE_PGM_RSRC2:TGID_Z_EN: 0
; COMPUTE_PGM_RSRC2:TIDIG_COMP_CNT: 1
; COMPUTE_PGM_RSRC3_GFX90A:ACCUM_OFFSET: 6
; COMPUTE_PGM_RSRC3_GFX90A:TG_SPLIT: 0
	.section	.text._ZN4vllm3moe22topkGatingSoftplusSqrtILi8ELi8ELi4ELi16ELi64ELb0Ei6__halfEEvPKT6_PKbPfiPT5_PiiiibdPKfPKS9_SF_,"axG",@progbits,_ZN4vllm3moe22topkGatingSoftplusSqrtILi8ELi8ELi4ELi16ELi64ELb0Ei6__halfEEvPKT6_PKbPfiPT5_PiiiibdPKfPKS9_SF_,comdat
	.protected	_ZN4vllm3moe22topkGatingSoftplusSqrtILi8ELi8ELi4ELi16ELi64ELb0Ei6__halfEEvPKT6_PKbPfiPT5_PiiiibdPKfPKS9_SF_ ; -- Begin function _ZN4vllm3moe22topkGatingSoftplusSqrtILi8ELi8ELi4ELi16ELi64ELb0Ei6__halfEEvPKT6_PKbPfiPT5_PiiiibdPKfPKS9_SF_
	.globl	_ZN4vllm3moe22topkGatingSoftplusSqrtILi8ELi8ELi4ELi16ELi64ELb0Ei6__halfEEvPKT6_PKbPfiPT5_PiiiibdPKfPKS9_SF_
	.p2align	8
	.type	_ZN4vllm3moe22topkGatingSoftplusSqrtILi8ELi8ELi4ELi16ELi64ELb0Ei6__halfEEvPKT6_PKbPfiPT5_PiiiibdPKfPKS9_SF_,@function
_ZN4vllm3moe22topkGatingSoftplusSqrtILi8ELi8ELi4ELi16ELi64ELb0Ei6__halfEEvPKT6_PKbPfiPT5_PiiiibdPKfPKS9_SF_: ; @_ZN4vllm3moe22topkGatingSoftplusSqrtILi8ELi8ELi4ELi16ELi64ELb0Ei6__halfEEvPKT6_PKbPfiPT5_PiiiibdPKfPKS9_SF_
; %bb.0:
	s_load_dword s24, s[0:1], 0x18
	v_bfe_u32 v1, v0, 10, 10
	s_lshl_b32 s2, s2, 8
	v_lshlrev_b32_e32 v1, 6, v1
	v_and_b32_e32 v0, 0x3ff, v0
	v_add3_u32 v8, v1, v0, s2
	s_waitcnt lgkmcnt(0)
	v_cmp_gt_i32_e32 vcc, s24, v8
	s_and_saveexec_b64 s[2:3], vcc
	s_cbranch_execz .LBB193_40
; %bb.1:
	s_load_dwordx4 s[4:7], s[0:1], 0x0
	s_load_dwordx2 s[20:21], s[0:1], 0x10
	s_waitcnt lgkmcnt(0)
	s_cmp_eq_u64 s[6:7], 0
	s_cbranch_scc1 .LBB193_3
; %bb.2:
	v_ashrrev_i32_e32 v9, 31, v8
	v_lshl_add_u64 v[0:1], s[6:7], 0, v[8:9]
	global_load_ubyte v0, v[0:1], off
	s_waitcnt vmcnt(0)
	v_and_b32_e32 v0, 1, v0
	v_cmp_eq_u32_e32 vcc, 1, v0
	s_xor_b64 s[2:3], vcc, -1
	s_orn2_b64 s[22:23], s[2:3], exec
	s_branch .LBB193_4
.LBB193_3:
	s_mov_b64 s[22:23], -1
.LBB193_4:
	v_lshlrev_b32_e32 v2, 3, v8
	v_mov_b32_e32 v0, s4
	v_mov_b32_e32 v1, s5
	v_ashrrev_i32_e32 v3, 31, v2
	v_lshl_add_u64 v[0:1], v[2:3], 1, v[0:1]
	global_load_dwordx4 v[4:7], v[0:1], off
	s_mov_b32 s15, 0x800000
	v_mov_b32_e32 v2, 0x4f800000
	s_mov_b32 s13, 0x3f317217
	s_mov_b32 s14, 0x7f800000
	v_mov_b32_e32 v3, 0x41b17218
	s_movk_i32 s12, 0x4d00
	s_mov_b32 s16, 0xf800000
	s_load_dwordx4 s[8:11], s[0:1], 0x40
	s_waitcnt lgkmcnt(0)
	s_cmp_lg_u64 s[10:11], 0
	s_cselect_b64 s[6:7], -1, 0
	s_and_b64 s[2:3], exec, s[6:7]
	s_waitcnt vmcnt(0)
	v_cvt_f32_f16_e32 v0, v4
	v_mul_f32_e32 v1, 0x3fb8aa3b, v0
	v_exp_f32_e32 v1, v1
	s_nop 0
	v_add_f32_e32 v1, 1.0, v1
	v_cmp_gt_f32_e32 vcc, s15, v1
	s_nop 1
	v_cndmask_b32_e32 v9, 1.0, v2, vcc
	v_mul_f32_e32 v1, v1, v9
	v_log_f32_e32 v9, v1
	v_cndmask_b32_e32 v10, 0, v3, vcc
	v_mov_b32_e32 v1, 0x260
	v_mul_f32_e32 v11, 0x3f317217, v9
	v_fma_f32 v11, v9, s13, -v11
	v_fmac_f32_e32 v11, 0x3377d1cf, v9
	v_fmac_f32_e32 v11, 0x3f317217, v9
	v_cmp_lt_f32_e64 vcc, |v9|, s14
	s_nop 1
	v_cndmask_b32_e32 v9, v9, v11, vcc
	v_sub_f32_e32 v9, v9, v10
	v_cmp_lt_f16_e32 vcc, s12, v4
	s_nop 1
	v_cndmask_b32_e32 v0, v9, v0, vcc
	v_mul_f32_e32 v9, 0x4f800000, v0
	v_cmp_gt_f32_e32 vcc, s16, v0
	s_nop 1
	v_cndmask_b32_e32 v0, v0, v9, vcc
	v_sqrt_f32_e32 v9, v0
	s_nop 0
	v_add_u32_e32 v10, -1, v9
	v_add_u32_e32 v11, 1, v9
	v_fma_f32 v12, -v10, v9, v0
	v_fma_f32 v13, -v11, v9, v0
	v_cmp_ge_f32_e64 s[4:5], 0, v12
	s_nop 1
	v_cndmask_b32_e64 v9, v9, v10, s[4:5]
	v_cmp_lt_f32_e64 s[4:5], 0, v13
	s_nop 1
	v_cndmask_b32_e64 v9, v9, v11, s[4:5]
	v_mul_f32_e32 v10, 0x37800000, v9
	v_cndmask_b32_e32 v9, v9, v10, vcc
	v_cmp_class_f32_e32 vcc, v0, v1
	s_nop 1
	v_cndmask_b32_e32 v0, v9, v0, vcc
	s_mov_b64 vcc, s[2:3]
	s_cbranch_vccz .LBB193_6
; %bb.5:
	s_load_dword s2, s[10:11], 0x0
	s_waitcnt lgkmcnt(0)
	v_add_f32_e32 v0, s2, v0
.LBB193_6:
	v_cvt_f32_f16_sdwa v9, v4 dst_sel:DWORD dst_unused:UNUSED_PAD src0_sel:WORD_1
	v_mul_f32_e32 v10, 0x3fb8aa3b, v9
	v_exp_f32_e32 v10, v10
	s_nop 0
	v_add_f32_e32 v10, 1.0, v10
	v_cmp_gt_f32_e32 vcc, s15, v10
	s_nop 1
	v_cndmask_b32_e32 v2, 1.0, v2, vcc
	v_mul_f32_e32 v2, v10, v2
	v_log_f32_e32 v2, v2
	v_cndmask_b32_e32 v3, 0, v3, vcc
	v_mul_f32_e32 v10, 0x3f317217, v2
	v_fma_f32 v10, v2, s13, -v10
	v_fmac_f32_e32 v10, 0x3377d1cf, v2
	v_fmac_f32_e32 v10, 0x3f317217, v2
	v_cmp_lt_f32_e64 vcc, |v2|, s14
	s_nop 1
	v_cndmask_b32_e32 v2, v2, v10, vcc
	v_sub_f32_e32 v2, v2, v3
	v_cmp_gt_f16_sdwa vcc, v4, s12 src0_sel:WORD_1 src1_sel:DWORD
	v_cndmask_b32_e64 v4, 0, 1, s[6:7]
	v_cmp_ne_u32_e64 s[2:3], 1, v4
	v_cndmask_b32_e32 v2, v2, v9, vcc
	v_mul_f32_e32 v3, 0x4f800000, v2
	v_cmp_gt_f32_e64 s[4:5], s16, v2
	s_andn2_b64 vcc, exec, s[6:7]
	s_nop 0
	v_cndmask_b32_e64 v2, v2, v3, s[4:5]
	v_sqrt_f32_e32 v3, v2
	s_nop 0
	v_add_u32_e32 v4, -1, v3
	v_add_u32_e32 v9, 1, v3
	v_fma_f32 v10, -v4, v3, v2
	v_fma_f32 v11, -v9, v3, v2
	v_cmp_ge_f32_e64 s[6:7], 0, v10
	s_nop 1
	v_cndmask_b32_e64 v3, v3, v4, s[6:7]
	v_cmp_lt_f32_e64 s[6:7], 0, v11
	s_nop 1
	v_cndmask_b32_e64 v3, v3, v9, s[6:7]
	v_mul_f32_e32 v4, 0x37800000, v3
	v_cndmask_b32_e64 v3, v3, v4, s[4:5]
	v_cmp_class_f32_e64 s[4:5], v2, v1
	s_nop 1
	v_cndmask_b32_e64 v1, v3, v2, s[4:5]
	s_cbranch_vccnz .LBB193_8
; %bb.7:
	s_load_dword s4, s[10:11], 0x4
	s_waitcnt lgkmcnt(0)
	v_add_f32_e32 v1, s4, v1
.LBB193_8:
	v_cvt_f32_f16_e32 v2, v5
	s_mov_b32 s12, 0x800000
	v_mov_b32_e32 v4, 0x4f800000
	s_mov_b32 s7, 0x3f317217
	v_mul_f32_e32 v3, 0x3fb8aa3b, v2
	v_exp_f32_e32 v3, v3
	s_mov_b32 s13, 0x7f800000
	s_movk_i32 s6, 0x4d00
	s_mov_b32 s14, 0xf800000
	v_add_f32_e32 v3, 1.0, v3
	v_cmp_gt_f32_e32 vcc, s12, v3
	s_nop 1
	v_cndmask_b32_e32 v9, 1.0, v4, vcc
	v_mul_f32_e32 v3, v3, v9
	v_log_f32_e32 v3, v3
	v_mov_b32_e32 v9, 0x41b17218
	v_cndmask_b32_e32 v10, 0, v9, vcc
	v_mul_f32_e32 v11, 0x3f317217, v3
	v_fma_f32 v11, v3, s7, -v11
	v_fmac_f32_e32 v11, 0x3377d1cf, v3
	v_fmac_f32_e32 v11, 0x3f317217, v3
	v_cmp_lt_f32_e64 vcc, |v3|, s13
	s_nop 1
	v_cndmask_b32_e32 v3, v3, v11, vcc
	v_sub_f32_e32 v3, v3, v10
	v_cmp_lt_f16_e32 vcc, s6, v5
	s_nop 1
	v_cndmask_b32_e32 v2, v3, v2, vcc
	v_mul_f32_e32 v3, 0x4f800000, v2
	v_cmp_gt_f32_e32 vcc, s14, v2
	s_nop 1
	v_cndmask_b32_e32 v2, v2, v3, vcc
	v_sqrt_f32_e32 v3, v2
	s_nop 0
	v_add_u32_e32 v10, -1, v3
	v_fma_f32 v11, -v10, v3, v2
	v_cmp_ge_f32_e64 s[4:5], 0, v11
	v_add_u32_e32 v11, 1, v3
	s_nop 0
	v_cndmask_b32_e64 v10, v3, v10, s[4:5]
	v_fma_f32 v3, -v11, v3, v2
	v_cmp_lt_f32_e64 s[4:5], 0, v3
	s_nop 1
	v_cndmask_b32_e64 v3, v10, v11, s[4:5]
	v_mul_f32_e32 v10, 0x37800000, v3
	v_cndmask_b32_e32 v10, v3, v10, vcc
	v_mov_b32_e32 v3, 0x260
	v_cmp_class_f32_e64 s[4:5], v2, v3
	s_and_b64 vcc, exec, s[2:3]
	s_nop 0
	v_cndmask_b32_e64 v2, v10, v2, s[4:5]
	s_cbranch_vccnz .LBB193_10
; %bb.9:
	s_load_dword s4, s[10:11], 0x8
	s_waitcnt lgkmcnt(0)
	v_add_f32_e32 v2, s4, v2
.LBB193_10:
	v_cvt_f32_f16_sdwa v10, v5 dst_sel:DWORD dst_unused:UNUSED_PAD src0_sel:WORD_1
	v_mul_f32_e32 v11, 0x3fb8aa3b, v10
	v_exp_f32_e32 v11, v11
	s_nop 0
	v_add_f32_e32 v11, 1.0, v11
	v_cmp_gt_f32_e32 vcc, s12, v11
	s_nop 1
	v_cndmask_b32_e32 v4, 1.0, v4, vcc
	v_mul_f32_e32 v4, v11, v4
	v_log_f32_e32 v4, v4
	v_cndmask_b32_e32 v9, 0, v9, vcc
	v_mul_f32_e32 v11, 0x3f317217, v4
	v_fma_f32 v11, v4, s7, -v11
	v_fmac_f32_e32 v11, 0x3377d1cf, v4
	v_fmac_f32_e32 v11, 0x3f317217, v4
	v_cmp_lt_f32_e64 vcc, |v4|, s13
	s_nop 1
	v_cndmask_b32_e32 v4, v4, v11, vcc
	v_sub_f32_e32 v4, v4, v9
	v_cmp_gt_f16_sdwa vcc, v5, s6 src0_sel:WORD_1 src1_sel:DWORD
	s_nop 1
	v_cndmask_b32_e32 v4, v4, v10, vcc
	v_mul_f32_e32 v5, 0x4f800000, v4
	v_cmp_gt_f32_e64 s[4:5], s14, v4
	s_and_b64 vcc, exec, s[2:3]
	s_nop 0
	v_cndmask_b32_e64 v4, v4, v5, s[4:5]
	v_sqrt_f32_e32 v5, v4
	s_nop 0
	v_add_u32_e32 v9, -1, v5
	v_add_u32_e32 v10, 1, v5
	v_fma_f32 v11, -v9, v5, v4
	v_fma_f32 v12, -v10, v5, v4
	v_cmp_ge_f32_e64 s[6:7], 0, v11
	s_nop 1
	v_cndmask_b32_e64 v5, v5, v9, s[6:7]
	v_cmp_lt_f32_e64 s[6:7], 0, v12
	s_nop 1
	v_cndmask_b32_e64 v5, v5, v10, s[6:7]
	v_mul_f32_e32 v9, 0x37800000, v5
	v_cndmask_b32_e64 v5, v5, v9, s[4:5]
	v_cmp_class_f32_e64 s[4:5], v4, v3
	s_nop 1
	v_cndmask_b32_e64 v3, v5, v4, s[4:5]
	s_cbranch_vccnz .LBB193_12
; %bb.11:
	s_load_dword s4, s[10:11], 0xc
	s_waitcnt lgkmcnt(0)
	v_add_f32_e32 v3, s4, v3
.LBB193_12:
	v_cvt_f32_f16_e32 v4, v6
	v_mov_b32_e32 v9, 0x4f800000
	s_mov_b32 s7, 0x3f317217
	s_movk_i32 s6, 0x4d00
	v_mul_f32_e32 v5, 0x3fb8aa3b, v4
	v_exp_f32_e32 v5, v5
	s_nop 0
	v_add_f32_e32 v5, 1.0, v5
	v_cmp_gt_f32_e32 vcc, s12, v5
	s_nop 1
	v_cndmask_b32_e32 v10, 1.0, v9, vcc
	v_mul_f32_e32 v5, v5, v10
	v_log_f32_e32 v5, v5
	v_mov_b32_e32 v10, 0x41b17218
	v_cndmask_b32_e32 v11, 0, v10, vcc
	v_mul_f32_e32 v12, 0x3f317217, v5
	v_fma_f32 v12, v5, s7, -v12
	v_fmac_f32_e32 v12, 0x3377d1cf, v5
	v_fmac_f32_e32 v12, 0x3f317217, v5
	v_cmp_lt_f32_e64 vcc, |v5|, s13
	s_nop 1
	v_cndmask_b32_e32 v5, v5, v12, vcc
	v_sub_f32_e32 v5, v5, v11
	v_cmp_lt_f16_e32 vcc, s6, v6
	s_nop 1
	v_cndmask_b32_e32 v4, v5, v4, vcc
	v_mul_f32_e32 v5, 0x4f800000, v4
	v_cmp_gt_f32_e32 vcc, s14, v4
	s_nop 1
	v_cndmask_b32_e32 v4, v4, v5, vcc
	v_sqrt_f32_e32 v5, v4
	s_nop 0
	v_add_u32_e32 v11, -1, v5
	v_fma_f32 v12, -v11, v5, v4
	v_cmp_ge_f32_e64 s[4:5], 0, v12
	v_add_u32_e32 v12, 1, v5
	s_nop 0
	v_cndmask_b32_e64 v11, v5, v11, s[4:5]
	v_fma_f32 v5, -v12, v5, v4
	v_cmp_lt_f32_e64 s[4:5], 0, v5
	s_nop 1
	v_cndmask_b32_e64 v5, v11, v12, s[4:5]
	v_mul_f32_e32 v11, 0x37800000, v5
	v_cndmask_b32_e32 v11, v5, v11, vcc
	v_mov_b32_e32 v5, 0x260
	v_cmp_class_f32_e64 s[4:5], v4, v5
	s_and_b64 vcc, exec, s[2:3]
	s_nop 0
	v_cndmask_b32_e64 v4, v11, v4, s[4:5]
	s_cbranch_vccnz .LBB193_14
; %bb.13:
	s_load_dword s4, s[10:11], 0x10
	s_waitcnt lgkmcnt(0)
	v_add_f32_e32 v4, s4, v4
.LBB193_14:
	v_cvt_f32_f16_sdwa v11, v6 dst_sel:DWORD dst_unused:UNUSED_PAD src0_sel:WORD_1
	v_mul_f32_e32 v12, 0x3fb8aa3b, v11
	v_exp_f32_e32 v12, v12
	s_nop 0
	v_add_f32_e32 v12, 1.0, v12
	v_cmp_gt_f32_e32 vcc, s12, v12
	s_nop 1
	v_cndmask_b32_e32 v9, 1.0, v9, vcc
	v_mul_f32_e32 v9, v12, v9
	v_log_f32_e32 v9, v9
	v_cndmask_b32_e32 v10, 0, v10, vcc
	v_mul_f32_e32 v12, 0x3f317217, v9
	v_fma_f32 v12, v9, s7, -v12
	v_fmac_f32_e32 v12, 0x3377d1cf, v9
	v_fmac_f32_e32 v12, 0x3f317217, v9
	v_cmp_lt_f32_e64 vcc, |v9|, s13
	s_nop 1
	v_cndmask_b32_e32 v9, v9, v12, vcc
	v_sub_f32_e32 v9, v9, v10
	v_cmp_gt_f16_sdwa vcc, v6, s6 src0_sel:WORD_1 src1_sel:DWORD
	s_nop 1
	v_cndmask_b32_e32 v6, v9, v11, vcc
	v_mul_f32_e32 v9, 0x4f800000, v6
	v_cmp_gt_f32_e64 s[4:5], s14, v6
	s_and_b64 vcc, exec, s[2:3]
	s_nop 0
	v_cndmask_b32_e64 v6, v6, v9, s[4:5]
	v_sqrt_f32_e32 v9, v6
	s_nop 0
	v_add_u32_e32 v10, -1, v9
	v_add_u32_e32 v11, 1, v9
	v_fma_f32 v12, -v10, v9, v6
	v_fma_f32 v13, -v11, v9, v6
	v_cmp_ge_f32_e64 s[6:7], 0, v12
	s_nop 1
	v_cndmask_b32_e64 v9, v9, v10, s[6:7]
	v_cmp_lt_f32_e64 s[6:7], 0, v13
	s_nop 1
	v_cndmask_b32_e64 v9, v9, v11, s[6:7]
	v_mul_f32_e32 v10, 0x37800000, v9
	v_cndmask_b32_e64 v9, v9, v10, s[4:5]
	v_cmp_class_f32_e64 s[4:5], v6, v5
	s_nop 1
	v_cndmask_b32_e64 v5, v9, v6, s[4:5]
	s_cbranch_vccnz .LBB193_16
; %bb.15:
	s_load_dword s4, s[10:11], 0x14
	s_waitcnt lgkmcnt(0)
	v_add_f32_e32 v5, s4, v5
.LBB193_16:
	v_cvt_f32_f16_e32 v6, v7
	v_mov_b32_e32 v10, 0x4f800000
	s_mov_b32 s7, 0x3f317217
	s_movk_i32 s6, 0x4d00
	v_mul_f32_e32 v9, 0x3fb8aa3b, v6
	v_exp_f32_e32 v9, v9
	s_nop 0
	v_add_f32_e32 v9, 1.0, v9
	v_cmp_gt_f32_e32 vcc, s12, v9
	s_nop 1
	v_cndmask_b32_e32 v11, 1.0, v10, vcc
	v_mul_f32_e32 v9, v9, v11
	v_log_f32_e32 v9, v9
	v_mov_b32_e32 v11, 0x41b17218
	v_cndmask_b32_e32 v12, 0, v11, vcc
	v_mul_f32_e32 v13, 0x3f317217, v9
	v_fma_f32 v13, v9, s7, -v13
	v_fmac_f32_e32 v13, 0x3377d1cf, v9
	v_fmac_f32_e32 v13, 0x3f317217, v9
	v_cmp_lt_f32_e64 vcc, |v9|, s13
	s_nop 1
	v_cndmask_b32_e32 v9, v9, v13, vcc
	v_sub_f32_e32 v9, v9, v12
	v_cmp_lt_f16_e32 vcc, s6, v7
	s_nop 1
	v_cndmask_b32_e32 v6, v9, v6, vcc
	v_mul_f32_e32 v9, 0x4f800000, v6
	v_cmp_gt_f32_e32 vcc, s14, v6
	s_nop 1
	v_cndmask_b32_e32 v6, v6, v9, vcc
	v_sqrt_f32_e32 v9, v6
	s_nop 0
	v_add_u32_e32 v12, -1, v9
	v_fma_f32 v13, -v12, v9, v6
	v_cmp_ge_f32_e64 s[4:5], 0, v13
	v_add_u32_e32 v13, 1, v9
	s_nop 0
	v_cndmask_b32_e64 v12, v9, v12, s[4:5]
	v_fma_f32 v9, -v13, v9, v6
	v_cmp_lt_f32_e64 s[4:5], 0, v9
	s_nop 1
	v_cndmask_b32_e64 v9, v12, v13, s[4:5]
	v_mul_f32_e32 v12, 0x37800000, v9
	v_cndmask_b32_e32 v12, v9, v12, vcc
	v_mov_b32_e32 v9, 0x260
	v_cmp_class_f32_e64 s[4:5], v6, v9
	s_and_b64 vcc, exec, s[2:3]
	s_nop 0
	v_cndmask_b32_e64 v6, v12, v6, s[4:5]
	s_cbranch_vccnz .LBB193_18
; %bb.17:
	s_load_dword s4, s[10:11], 0x18
	s_waitcnt lgkmcnt(0)
	v_add_f32_e32 v6, s4, v6
.LBB193_18:
	v_cvt_f32_f16_sdwa v12, v7 dst_sel:DWORD dst_unused:UNUSED_PAD src0_sel:WORD_1
	v_mul_f32_e32 v13, 0x3fb8aa3b, v12
	v_exp_f32_e32 v13, v13
	s_nop 0
	v_add_f32_e32 v13, 1.0, v13
	v_cmp_gt_f32_e32 vcc, s12, v13
	s_nop 1
	v_cndmask_b32_e32 v10, 1.0, v10, vcc
	v_mul_f32_e32 v10, v13, v10
	v_log_f32_e32 v10, v10
	v_cndmask_b32_e32 v11, 0, v11, vcc
	v_mul_f32_e32 v13, 0x3f317217, v10
	v_fma_f32 v13, v10, s7, -v13
	v_fmac_f32_e32 v13, 0x3377d1cf, v10
	v_fmac_f32_e32 v13, 0x3f317217, v10
	v_cmp_lt_f32_e64 vcc, |v10|, s13
	s_nop 1
	v_cndmask_b32_e32 v10, v10, v13, vcc
	v_sub_f32_e32 v10, v10, v11
	v_cmp_gt_f16_sdwa vcc, v7, s6 src0_sel:WORD_1 src1_sel:DWORD
	s_nop 1
	v_cndmask_b32_e32 v7, v10, v12, vcc
	v_mul_f32_e32 v10, 0x4f800000, v7
	v_cmp_gt_f32_e64 s[4:5], s14, v7
	s_and_b64 vcc, exec, s[2:3]
	s_nop 0
	v_cndmask_b32_e64 v7, v7, v10, s[4:5]
	v_sqrt_f32_e32 v10, v7
	s_nop 0
	v_add_u32_e32 v11, -1, v10
	v_add_u32_e32 v12, 1, v10
	v_fma_f32 v13, -v11, v10, v7
	v_fma_f32 v14, -v12, v10, v7
	v_cmp_ge_f32_e64 s[6:7], 0, v13
	s_nop 1
	v_cndmask_b32_e64 v10, v10, v11, s[6:7]
	v_cmp_lt_f32_e64 s[6:7], 0, v14
	s_nop 1
	v_cndmask_b32_e64 v10, v10, v12, s[6:7]
	v_mul_f32_e32 v11, 0x37800000, v10
	v_cndmask_b32_e64 v10, v10, v11, s[4:5]
	v_cmp_class_f32_e64 s[4:5], v7, v9
	s_nop 1
	v_cndmask_b32_e64 v7, v10, v7, s[4:5]
	s_cbranch_vccnz .LBB193_20
; %bb.19:
	s_load_dword s4, s[10:11], 0x1c
	s_waitcnt lgkmcnt(0)
	v_add_f32_e32 v7, s4, v7
.LBB193_20:
	s_load_dwordx4 s[12:15], s[0:1], 0x30
	s_mov_b32 s25, 0
	s_waitcnt lgkmcnt(0)
	s_bitcmp1_b32 s15, 0
	s_cselect_b64 s[4:5], -1, 0
	s_cmp_gt_i32 s12, 0
	s_cselect_b64 s[6:7], -1, 0
	s_and_b64 vcc, exec, s[6:7]
	v_mul_lo_u32 v10, v8, s12
	s_cbranch_vccz .LBB193_27
; %bb.21:
	s_load_dwordx4 s[16:19], s[0:1], 0x20
	v_mov_b32_e32 v13, 0
	v_mov_b32_e32 v11, 0xc61c4000
	;; [unrolled: 1-line block ×3, first 2 shown]
	s_branch .LBB193_23
.LBB193_22:                             ;   in Loop: Header=BB193_23 Depth=1
	v_add_f32_e32 v12, v9, v14
	v_cndmask_b32_e64 v9, v9, v12, s[4:5]
	s_cmp_lg_u32 s12, s25
	v_add_u32_e32 v8, s24, v8
	s_cbranch_scc0 .LBB193_28
.LBB193_23:                             ; =>This Inner Loop Header: Depth=1
	v_cmp_gt_f32_e32 vcc, v1, v0
	s_nop 1
	v_cndmask_b32_e32 v14, v0, v1, vcc
	v_cndmask_b32_e64 v12, 0, 1, vcc
	v_cmp_gt_f32_e32 vcc, v2, v14
	s_nop 1
	v_cndmask_b32_e32 v14, v14, v2, vcc
	v_cndmask_b32_e64 v12, v12, 2, vcc
	;; [unrolled: 4-line block ×6, first 2 shown]
	v_cmp_gt_f32_e64 s[0:1], v7, v14
	s_and_b64 vcc, exec, s[2:3]
	s_nop 0
	v_cndmask_b32_e64 v12, v12, 7, s[0:1]
	v_cndmask_b32_e64 v14, v14, v7, s[0:1]
	s_cbranch_vccnz .LBB193_25
; %bb.24:                               ;   in Loop: Header=BB193_23 Depth=1
	v_lshl_add_u64 v[16:17], v[12:13], 2, s[10:11]
	global_load_dword v15, v[16:17], off
	s_waitcnt vmcnt(0)
	v_sub_f32_e32 v14, v14, v15
.LBB193_25:                             ;   in Loop: Header=BB193_23 Depth=1
	v_add_u32_e32 v16, s25, v10
	v_cmp_le_i32_e32 vcc, s13, v12
	v_cmp_gt_i32_e64 s[0:1], s14, v12
	v_ashrrev_i32_e32 v17, 31, v16
	s_and_b64 s[0:1], vcc, s[0:1]
	v_lshlrev_b64 v[16:17], 2, v[16:17]
	v_lshl_add_u64 v[18:19], s[20:21], 0, v[16:17]
	v_subrev_u32_e32 v15, s13, v12
	s_and_b64 vcc, s[22:23], s[0:1]
	s_add_i32 s25, s25, 1
	global_store_dword v[18:19], v14, off
	v_cndmask_b32_e32 v15, 8, v15, vcc
	s_waitcnt lgkmcnt(0)
	v_lshl_add_u64 v[18:19], s[16:17], 0, v[16:17]
	v_lshl_add_u64 v[16:17], s[18:19], 0, v[16:17]
	s_cmp_ge_i32 s25, s12
	global_store_dword v[18:19], v15, off
	global_store_dword v[16:17], v8, off
	s_cbranch_scc1 .LBB193_22
; %bb.26:                               ;   in Loop: Header=BB193_23 Depth=1
	v_cmp_ne_u32_e32 vcc, 7, v12
	s_nop 1
	v_cndmask_b32_e32 v7, v11, v7, vcc
	v_cmp_ne_u32_e32 vcc, 6, v12
	s_nop 1
	v_cndmask_b32_e32 v6, v11, v6, vcc
	;; [unrolled: 3-line block ×8, first 2 shown]
	s_branch .LBB193_22
.LBB193_27:
	v_mov_b32_e32 v9, 0
.LBB193_28:
	s_andn2_b64 vcc, exec, s[4:5]
	v_cvt_f32_f64_e32 v0, s[8:9]
	s_cbranch_vccnz .LBB193_30
; %bb.29:
	v_cmp_lt_f32_e32 vcc, 0, v9
	s_nop 1
	v_cndmask_b32_e32 v1, 1.0, v9, vcc
	v_div_scale_f32 v2, s[0:1], v1, v1, v0
	v_rcp_f32_e32 v3, v2
	s_nop 0
	v_fma_f32 v4, -v2, v3, 1.0
	v_fmac_f32_e32 v3, v4, v3
	v_div_scale_f32 v4, vcc, v0, v1, v0
	v_mul_f32_e32 v5, v4, v3
	v_fma_f32 v6, -v2, v5, v4
	v_fmac_f32_e32 v5, v6, v3
	v_fma_f32 v2, -v2, v5, v4
	v_div_fmas_f32 v2, v2, v3, v5
	v_div_fixup_f32 v0, v2, v1, v0
.LBB193_30:
	s_andn2_b64 vcc, exec, s[6:7]
	s_cbranch_vccnz .LBB193_40
; %bb.31:
	s_cmp_gt_u32 s12, 3
	v_ashrrev_i32_e32 v11, 31, v10
	s_cbranch_scc0 .LBB193_35
; %bb.32:
	s_and_b32 s0, s12, 0x7ffffffc
	v_lshl_add_u64 v[2:3], v[10:11], 2, s[20:21]
	v_mov_b32_e32 v1, v0
	v_lshl_add_u64 v[2:3], v[2:3], 0, 8
	s_mov_b32 s1, s0
.LBB193_33:                             ; =>This Inner Loop Header: Depth=1
	global_load_dwordx4 v[4:7], v[2:3], off offset:-8
	s_add_i32 s1, s1, -4
	s_cmp_lg_u32 s1, 0
	s_waitcnt vmcnt(0)
	v_pk_mul_f32 v[4:5], v[0:1], v[4:5]
	v_pk_mul_f32 v[6:7], v[0:1], v[6:7]
	global_store_dwordx4 v[2:3], v[4:7], off offset:-8
	v_lshl_add_u64 v[2:3], v[2:3], 0, 16
	s_cbranch_scc1 .LBB193_33
; %bb.34:
	s_cmp_lg_u32 s0, s12
	s_cselect_b64 s[2:3], -1, 0
	s_branch .LBB193_37
.LBB193_35:
	s_mov_b64 s[2:3], 0
                                        ; implicit-def: $sgpr0
	s_cbranch_execz .LBB193_37
; %bb.36:
	s_mov_b64 s[2:3], -1
	s_mov_b32 s0, 0
.LBB193_37:
	s_andn2_b64 vcc, exec, s[2:3]
	s_cbranch_vccnz .LBB193_40
; %bb.38:
	s_mov_b32 s1, 0
	v_lshl_add_u64 v[2:3], v[10:11], 0, s[0:1]
	s_sub_i32 s2, s12, s0
	v_lshl_add_u64 v[2:3], v[2:3], 2, s[20:21]
.LBB193_39:                             ; =>This Inner Loop Header: Depth=1
	global_load_dword v1, v[2:3], off
	s_add_i32 s2, s2, -1
	s_cmp_lg_u32 s2, 0
	s_waitcnt vmcnt(0)
	v_mul_f32_e32 v1, v0, v1
	global_store_dword v[2:3], v1, off
	v_lshl_add_u64 v[2:3], v[2:3], 0, 4
	s_cbranch_scc1 .LBB193_39
.LBB193_40:
	s_endpgm
	.section	.rodata,"a",@progbits
	.p2align	6, 0x0
	.amdhsa_kernel _ZN4vllm3moe22topkGatingSoftplusSqrtILi8ELi8ELi4ELi16ELi64ELb0Ei6__halfEEvPKT6_PKbPfiPT5_PiiiibdPKfPKS9_SF_
		.amdhsa_group_segment_fixed_size 0
		.amdhsa_private_segment_fixed_size 0
		.amdhsa_kernarg_size 96
		.amdhsa_user_sgpr_count 2
		.amdhsa_user_sgpr_dispatch_ptr 0
		.amdhsa_user_sgpr_queue_ptr 0
		.amdhsa_user_sgpr_kernarg_segment_ptr 1
		.amdhsa_user_sgpr_dispatch_id 0
		.amdhsa_user_sgpr_kernarg_preload_length 0
		.amdhsa_user_sgpr_kernarg_preload_offset 0
		.amdhsa_user_sgpr_private_segment_size 0
		.amdhsa_uses_dynamic_stack 0
		.amdhsa_enable_private_segment 0
		.amdhsa_system_sgpr_workgroup_id_x 1
		.amdhsa_system_sgpr_workgroup_id_y 0
		.amdhsa_system_sgpr_workgroup_id_z 0
		.amdhsa_system_sgpr_workgroup_info 0
		.amdhsa_system_vgpr_workitem_id 1
		.amdhsa_next_free_vgpr 20
		.amdhsa_next_free_sgpr 26
		.amdhsa_accum_offset 20
		.amdhsa_reserve_vcc 1
		.amdhsa_float_round_mode_32 0
		.amdhsa_float_round_mode_16_64 0
		.amdhsa_float_denorm_mode_32 3
		.amdhsa_float_denorm_mode_16_64 3
		.amdhsa_dx10_clamp 1
		.amdhsa_ieee_mode 1
		.amdhsa_fp16_overflow 0
		.amdhsa_tg_split 0
		.amdhsa_exception_fp_ieee_invalid_op 0
		.amdhsa_exception_fp_denorm_src 0
		.amdhsa_exception_fp_ieee_div_zero 0
		.amdhsa_exception_fp_ieee_overflow 0
		.amdhsa_exception_fp_ieee_underflow 0
		.amdhsa_exception_fp_ieee_inexact 0
		.amdhsa_exception_int_div_zero 0
	.end_amdhsa_kernel
	.section	.text._ZN4vllm3moe22topkGatingSoftplusSqrtILi8ELi8ELi4ELi16ELi64ELb0Ei6__halfEEvPKT6_PKbPfiPT5_PiiiibdPKfPKS9_SF_,"axG",@progbits,_ZN4vllm3moe22topkGatingSoftplusSqrtILi8ELi8ELi4ELi16ELi64ELb0Ei6__halfEEvPKT6_PKbPfiPT5_PiiiibdPKfPKS9_SF_,comdat
.Lfunc_end193:
	.size	_ZN4vllm3moe22topkGatingSoftplusSqrtILi8ELi8ELi4ELi16ELi64ELb0Ei6__halfEEvPKT6_PKbPfiPT5_PiiiibdPKfPKS9_SF_, .Lfunc_end193-_ZN4vllm3moe22topkGatingSoftplusSqrtILi8ELi8ELi4ELi16ELi64ELb0Ei6__halfEEvPKT6_PKbPfiPT5_PiiiibdPKfPKS9_SF_
                                        ; -- End function
	.section	.AMDGPU.csdata,"",@progbits
; Kernel info:
; codeLenInByte = 3352
; NumSgprs: 32
; NumVgprs: 20
; NumAgprs: 0
; TotalNumVgprs: 20
; ScratchSize: 0
; MemoryBound: 0
; FloatMode: 240
; IeeeMode: 1
; LDSByteSize: 0 bytes/workgroup (compile time only)
; SGPRBlocks: 3
; VGPRBlocks: 2
; NumSGPRsForWavesPerEU: 32
; NumVGPRsForWavesPerEU: 20
; AccumOffset: 20
; Occupancy: 8
; WaveLimiterHint : 0
; COMPUTE_PGM_RSRC2:SCRATCH_EN: 0
; COMPUTE_PGM_RSRC2:USER_SGPR: 2
; COMPUTE_PGM_RSRC2:TRAP_HANDLER: 0
; COMPUTE_PGM_RSRC2:TGID_X_EN: 1
; COMPUTE_PGM_RSRC2:TGID_Y_EN: 0
; COMPUTE_PGM_RSRC2:TGID_Z_EN: 0
; COMPUTE_PGM_RSRC2:TIDIG_COMP_CNT: 1
; COMPUTE_PGM_RSRC3_GFX90A:ACCUM_OFFSET: 4
; COMPUTE_PGM_RSRC3_GFX90A:TG_SPLIT: 0
	.section	.text._ZN4vllm3moe22topkGatingSoftplusSqrtILi8ELi8ELi4ELi16ELi32ELb1Ei6__halfEEvPKT6_PKbPfiPT5_PiiiibdPKfPKS9_SF_,"axG",@progbits,_ZN4vllm3moe22topkGatingSoftplusSqrtILi8ELi8ELi4ELi16ELi32ELb1Ei6__halfEEvPKT6_PKbPfiPT5_PiiiibdPKfPKS9_SF_,comdat
	.protected	_ZN4vllm3moe22topkGatingSoftplusSqrtILi8ELi8ELi4ELi16ELi32ELb1Ei6__halfEEvPKT6_PKbPfiPT5_PiiiibdPKfPKS9_SF_ ; -- Begin function _ZN4vllm3moe22topkGatingSoftplusSqrtILi8ELi8ELi4ELi16ELi32ELb1Ei6__halfEEvPKT6_PKbPfiPT5_PiiiibdPKfPKS9_SF_
	.globl	_ZN4vllm3moe22topkGatingSoftplusSqrtILi8ELi8ELi4ELi16ELi32ELb1Ei6__halfEEvPKT6_PKbPfiPT5_PiiiibdPKfPKS9_SF_
	.p2align	8
	.type	_ZN4vllm3moe22topkGatingSoftplusSqrtILi8ELi8ELi4ELi16ELi32ELb1Ei6__halfEEvPKT6_PKbPfiPT5_PiiiibdPKfPKS9_SF_,@function
_ZN4vllm3moe22topkGatingSoftplusSqrtILi8ELi8ELi4ELi16ELi32ELb1Ei6__halfEEvPKT6_PKbPfiPT5_PiiiibdPKfPKS9_SF_: ; @_ZN4vllm3moe22topkGatingSoftplusSqrtILi8ELi8ELi4ELi16ELi32ELb1Ei6__halfEEvPKT6_PKbPfiPT5_PiiiibdPKfPKS9_SF_
; %bb.0:
	s_load_dword s3, s[0:1], 0x18
	v_bfe_u32 v1, v0, 10, 10
	s_lshl_b32 s2, s2, 7
	v_lshlrev_b32_e32 v1, 5, v1
	v_and_b32_e32 v0, 0x3ff, v0
	v_add3_u32 v6, v1, v0, s2
	s_waitcnt lgkmcnt(0)
	v_cmp_gt_i32_e32 vcc, s3, v6
	s_and_saveexec_b64 s[2:3], vcc
	s_cbranch_execz .LBB194_56
; %bb.1:
	s_load_dwordx2 s[2:3], s[0:1], 0x0
	s_load_dword s16, s[0:1], 0x30
	v_lshlrev_b32_e32 v0, 3, v6
	v_ashrrev_i32_e32 v1, 31, v0
	s_load_dwordx4 s[8:11], s[0:1], 0x50
	s_waitcnt lgkmcnt(0)
	v_lshl_add_u64 v[0:1], v[0:1], 1, s[2:3]
	global_load_dwordx4 v[0:3], v[0:1], off
	v_ashrrev_i32_e32 v7, 31, v6
	s_mov_b32 s15, 0x800000
	v_mov_b32_e32 v4, s8
	v_mov_b32_e32 v5, s9
	v_lshl_add_u64 v[4:5], v[6:7], 2, v[4:5]
	global_load_dword v4, v[4:5], off
	v_mov_b32_e32 v7, 0x4f800000
	s_mov_b32 s13, 0x3f317217
	s_mov_b32 s14, 0x7f800000
	v_mov_b32_e32 v17, 0x41b17218
	s_movk_i32 s9, 0x4d00
	s_mov_b32 s12, 0xf800000
	v_mov_b32_e32 v18, 0x260
	s_cmp_gt_i32 s16, 0
	s_mov_b32 s8, 0
	v_mov_b32_e32 v16, 0
	s_waitcnt vmcnt(1)
	v_cvt_f32_f16_e32 v12, v0
	v_cvt_f32_f16_sdwa v13, v0 dst_sel:DWORD dst_unused:UNUSED_PAD src0_sel:WORD_1
	v_cvt_f32_f16_e32 v14, v1
	v_cvt_f32_f16_sdwa v15, v1 dst_sel:DWORD dst_unused:UNUSED_PAD src0_sel:WORD_1
	v_mul_f32_e32 v5, 0x3fb8aa3b, v12
	v_mul_f32_e32 v9, 0x3fb8aa3b, v13
	v_exp_f32_e32 v8, v5
	v_exp_f32_e32 v9, v9
	v_mul_f32_e32 v10, 0x3fb8aa3b, v14
	v_mul_f32_e32 v11, 0x3fb8aa3b, v15
	v_exp_f32_e32 v10, v10
	v_exp_f32_e32 v11, v11
	v_pk_add_f32 v[8:9], v[8:9], 1.0 op_sel_hi:[1,0]
	s_waitcnt vmcnt(0)
	v_mul_lo_u32 v4, v4, s16
	v_cmp_gt_f32_e32 vcc, s15, v9
	v_pk_add_f32 v[10:11], v[10:11], 1.0 op_sel_hi:[1,0]
	v_cmp_gt_f32_e64 s[2:3], s15, v8
	v_cndmask_b32_e32 v19, 1.0, v7, vcc
	v_cmp_gt_f32_e64 s[4:5], s15, v11
	v_cndmask_b32_e64 v20, 1.0, v7, s[2:3]
	v_mul_f32_e32 v9, v9, v19
	v_cndmask_b32_e64 v21, 1.0, v7, s[4:5]
	v_cmp_gt_f32_e64 s[6:7], s15, v10
	v_mul_f32_e32 v8, v8, v20
	v_log_f32_e32 v9, v9
	v_cndmask_b32_e64 v22, 1.0, v7, s[6:7]
	v_mul_f32_e32 v11, v11, v21
	v_log_f32_e32 v8, v8
	v_mul_f32_e32 v10, v10, v22
	v_log_f32_e32 v11, v11
	v_log_f32_e32 v10, v10
	v_mul_f32_e32 v23, 0x3f317217, v9
	v_mul_f32_e32 v24, 0x3f317217, v8
	v_fma_f32 v23, v9, s13, -v23
	v_mul_f32_e32 v25, 0x3f317217, v11
	v_fma_f32 v24, v8, s13, -v24
	v_fmac_f32_e32 v23, 0x3377d1cf, v9
	v_cndmask_b32_e32 v19, 0, v17, vcc
	v_mul_f32_e32 v26, 0x3f317217, v10
	v_fma_f32 v25, v11, s13, -v25
	v_fmac_f32_e32 v24, 0x3377d1cf, v8
	v_fmac_f32_e32 v23, 0x3f317217, v9
	v_cmp_lt_f32_e64 vcc, |v9|, s14
	v_fma_f32 v26, v10, s13, -v26
	v_fmac_f32_e32 v25, 0x3377d1cf, v11
	v_fmac_f32_e32 v24, 0x3f317217, v8
	v_cndmask_b32_e32 v9, v9, v23, vcc
	v_cmp_lt_f32_e64 vcc, |v8|, s14
	v_fmac_f32_e32 v26, 0x3377d1cf, v10
	v_fmac_f32_e32 v25, 0x3f317217, v11
	v_cndmask_b32_e32 v8, v8, v24, vcc
	v_cmp_lt_f32_e64 vcc, |v11|, s14
	v_cndmask_b32_e64 v20, 0, v17, s[2:3]
	v_fmac_f32_e32 v26, 0x3f317217, v10
	v_cndmask_b32_e32 v11, v11, v25, vcc
	v_cmp_lt_f32_e64 vcc, |v10|, s14
	v_sub_f32_e32 v8, v8, v20
	v_sub_f32_e32 v9, v9, v19
	v_cndmask_b32_e32 v23, v10, v26, vcc
	v_cmp_lt_f16_e32 vcc, s9, v0
	v_cndmask_b32_e64 v21, 0, v17, s[4:5]
	v_cndmask_b32_e64 v22, 0, v17, s[6:7]
	v_cndmask_b32_e32 v8, v8, v12, vcc
	v_cmp_gt_f16_sdwa vcc, v0, s9 src0_sel:WORD_1 src1_sel:DWORD
	v_mul_f32_e32 v10, 0x4f800000, v8
	v_cmp_gt_f32_e64 s[2:3], s12, v8
	v_cndmask_b32_e32 v0, v9, v13, vcc
	v_mul_f32_e32 v9, 0x4f800000, v0
	v_cmp_gt_f32_e32 vcc, s12, v0
	v_cndmask_b32_e64 v8, v8, v10, s[2:3]
	v_sqrt_f32_e32 v10, v8
	v_cndmask_b32_e32 v0, v0, v9, vcc
	v_sqrt_f32_e32 v9, v0
	v_sub_f32_e32 v12, v11, v21
	v_add_u32_e32 v19, -1, v10
	v_fma_f32 v25, -v19, v10, v8
	v_add_u32_e32 v11, -1, v9
	v_fma_f32 v21, -v11, v9, v0
	v_add_u32_e32 v13, 1, v9
	v_cmp_ge_f32_e64 s[4:5], 0, v21
	v_add_u32_e32 v20, 1, v10
	v_fma_f32 v24, -v13, v9, v0
	v_cndmask_b32_e64 v9, v9, v11, s[4:5]
	v_cmp_ge_f32_e64 s[4:5], 0, v25
	v_fma_f32 v26, -v20, v10, v8
	v_ashrrev_i32_e32 v5, 31, v4
	v_cndmask_b32_e64 v10, v10, v19, s[4:5]
	v_cmp_lt_f32_e64 s[4:5], 0, v24
	s_nop 1
	v_cndmask_b32_e64 v9, v9, v13, s[4:5]
	v_cmp_lt_f32_e64 s[4:5], 0, v26
	v_mul_f32_e32 v11, 0x37800000, v9
	v_cndmask_b32_e32 v9, v9, v11, vcc
	v_cndmask_b32_e64 v10, v10, v20, s[4:5]
	v_mul_f32_e32 v13, 0x37800000, v10
	v_cmp_class_f32_e32 vcc, v0, v18
	v_cndmask_b32_e64 v11, v10, v13, s[2:3]
	v_cmp_lt_f16_e64 s[2:3], s9, v1
	v_cndmask_b32_e32 v10, v9, v0, vcc
	v_cmp_class_f32_e32 vcc, v8, v18
	v_sub_f32_e32 v9, v23, v22
	s_nop 0
	v_cndmask_b32_e32 v11, v11, v8, vcc
	v_cmp_gt_f16_sdwa vcc, v1, s9 src0_sel:WORD_1 src1_sel:DWORD
	v_cndmask_b32_e64 v1, v9, v14, s[2:3]
	s_nop 0
	v_cndmask_b32_e32 v0, v12, v15, vcc
	v_mul_f32_e32 v8, 0x4f800000, v0
	v_cmp_gt_f32_e32 vcc, s12, v0
	v_cvt_f32_f16_sdwa v15, v2 dst_sel:DWORD dst_unused:UNUSED_PAD src0_sel:WORD_1
	s_nop 0
	v_cndmask_b32_e32 v0, v0, v8, vcc
	v_sqrt_f32_e32 v8, v0
	s_nop 0
	v_add_u32_e32 v9, -1, v8
	v_fma_f32 v12, -v9, v8, v0
	v_cmp_ge_f32_e64 s[2:3], 0, v12
	v_add_u32_e32 v12, 1, v8
	s_nop 0
	v_cndmask_b32_e64 v9, v8, v9, s[2:3]
	v_fma_f32 v8, -v12, v8, v0
	v_cmp_lt_f32_e64 s[2:3], 0, v8
	s_nop 1
	v_cndmask_b32_e64 v8, v9, v12, s[2:3]
	v_mul_f32_e32 v12, 0x4f800000, v1
	v_cmp_gt_f32_e64 s[2:3], s12, v1
	v_mul_f32_e32 v9, 0x37800000, v8
	v_cndmask_b32_e32 v8, v8, v9, vcc
	v_cndmask_b32_e64 v13, v1, v12, s[2:3]
	v_sqrt_f32_e32 v1, v13
	v_cmp_class_f32_e32 vcc, v0, v18
	v_cvt_f32_f16_e32 v9, v2
	v_add_u32_e32 v14, 1, v1
	v_cndmask_b32_e32 v12, v8, v0, vcc
	v_add_u32_e32 v0, -1, v1
	v_fma_f32 v8, -v0, v1, v13
	v_cmp_ge_f32_e32 vcc, 0, v8
	v_fma_f32 v19, -v14, v1, v13
	s_nop 0
	v_cndmask_b32_e32 v8, v1, v0, vcc
	v_mul_f32_e32 v0, 0x3fb8aa3b, v9
	v_mul_f32_e32 v1, 0x3fb8aa3b, v15
	v_exp_f32_e32 v0, v0
	v_exp_f32_e32 v1, v1
	v_cmp_lt_f32_e32 vcc, 0, v19
	v_pk_add_f32 v[0:1], v[0:1], 1.0 op_sel_hi:[1,0]
	s_nop 0
	v_cndmask_b32_e32 v8, v8, v14, vcc
	v_cmp_gt_f32_e32 vcc, s15, v1
	v_mul_f32_e32 v14, 0x37800000, v8
	v_cndmask_b32_e64 v8, v8, v14, s[2:3]
	v_cndmask_b32_e32 v19, 1.0, v7, vcc
	v_mul_f32_e32 v1, v1, v19
	v_log_f32_e32 v1, v1
	v_cmp_class_f32_e64 s[2:3], v13, v18
	v_cvt_f32_f16_sdwa v19, v3 dst_sel:DWORD dst_unused:UNUSED_PAD src0_sel:WORD_1
	v_cmp_lt_f32_e64 s[4:5], |v1|, s14
	v_cndmask_b32_e64 v13, v8, v13, s[2:3]
	v_cmp_gt_f32_e64 s[2:3], s15, v0
	v_mul_f32_e32 v8, 0x3f317217, v1
	v_fma_f32 v8, v1, s13, -v8
	v_cndmask_b32_e64 v14, 1.0, v7, s[2:3]
	v_mul_f32_e32 v0, v0, v14
	v_log_f32_e32 v0, v0
	v_fmac_f32_e32 v8, 0x3377d1cf, v1
	v_fmac_f32_e32 v8, 0x3f317217, v1
	v_cndmask_b32_e64 v1, v1, v8, s[4:5]
	v_cndmask_b32_e32 v8, 0, v17, vcc
	v_sub_f32_e32 v1, v1, v8
	v_mul_f32_e32 v8, 0x3f317217, v0
	v_fma_f32 v8, v0, s13, -v8
	v_fmac_f32_e32 v8, 0x3377d1cf, v0
	v_fmac_f32_e32 v8, 0x3f317217, v0
	v_cmp_lt_f32_e64 vcc, |v0|, s14
	s_nop 1
	v_cndmask_b32_e32 v0, v0, v8, vcc
	v_cmp_gt_f16_sdwa vcc, v2, s9 src0_sel:WORD_1 src1_sel:DWORD
	v_cndmask_b32_e64 v8, 0, v17, s[2:3]
	v_cmp_lt_f16_e64 s[2:3], s9, v2
	v_cndmask_b32_e32 v1, v1, v15, vcc
	v_mul_f32_e32 v14, 0x4f800000, v1
	v_cmp_gt_f32_e32 vcc, s12, v1
	v_sub_f32_e32 v0, v0, v8
	v_cndmask_b32_e64 v0, v0, v9, s[2:3]
	v_cndmask_b32_e32 v1, v1, v14, vcc
	v_sqrt_f32_e32 v14, v1
	s_nop 0
	v_add_u32_e32 v2, -1, v14
	v_fma_f32 v8, -v2, v14, v1
	v_cmp_ge_f32_e64 s[2:3], 0, v8
	v_add_u32_e32 v8, 1, v14
	v_fma_f32 v9, -v8, v14, v1
	v_cndmask_b32_e64 v2, v14, v2, s[2:3]
	v_cmp_lt_f32_e64 s[2:3], 0, v9
	v_mul_f32_e32 v9, 0x4f800000, v0
	s_nop 0
	v_cndmask_b32_e64 v2, v2, v8, s[2:3]
	v_cmp_gt_f32_e64 s[2:3], s12, v0
	v_mul_f32_e32 v8, 0x37800000, v2
	v_cndmask_b32_e32 v2, v2, v8, vcc
	v_cndmask_b32_e64 v9, v0, v9, s[2:3]
	v_sqrt_f32_e32 v0, v9
	v_cmp_class_f32_e32 vcc, v1, v18
	v_cvt_f32_f16_e32 v8, v3
	v_add_u32_e32 v15, 1, v0
	v_cndmask_b32_e32 v14, v2, v1, vcc
	v_add_u32_e32 v1, -1, v0
	v_fma_f32 v2, -v1, v0, v9
	v_cmp_ge_f32_e32 vcc, 0, v2
	v_fma_f32 v20, -v15, v0, v9
	s_nop 0
	v_cndmask_b32_e32 v2, v0, v1, vcc
	v_mul_f32_e32 v0, 0x3fb8aa3b, v8
	v_mul_f32_e32 v1, 0x3fb8aa3b, v19
	v_exp_f32_e32 v0, v0
	v_exp_f32_e32 v1, v1
	v_cmp_lt_f32_e32 vcc, 0, v20
	v_pk_add_f32 v[0:1], v[0:1], 1.0 op_sel_hi:[1,0]
	s_nop 0
	v_cndmask_b32_e32 v2, v2, v15, vcc
	v_cmp_gt_f32_e32 vcc, s15, v1
	v_mul_f32_e32 v15, 0x37800000, v2
	v_cndmask_b32_e64 v2, v2, v15, s[2:3]
	v_cndmask_b32_e32 v20, 1.0, v7, vcc
	v_mul_f32_e32 v1, v1, v20
	v_log_f32_e32 v1, v1
	v_cmp_class_f32_e64 s[2:3], v9, v18
	v_cmp_lt_f32_e64 s[4:5], |v1|, s14
	s_nop 0
	v_cndmask_b32_e64 v15, v2, v9, s[2:3]
	v_cmp_gt_f32_e64 s[2:3], s15, v0
	v_mul_f32_e32 v2, 0x3f317217, v1
	v_fma_f32 v2, v1, s13, -v2
	v_cndmask_b32_e64 v7, 1.0, v7, s[2:3]
	v_mul_f32_e32 v0, v0, v7
	v_log_f32_e32 v0, v0
	v_fmac_f32_e32 v2, 0x3377d1cf, v1
	v_fmac_f32_e32 v2, 0x3f317217, v1
	v_cndmask_b32_e64 v1, v1, v2, s[4:5]
	v_cndmask_b32_e32 v2, 0, v17, vcc
	v_sub_f32_e32 v1, v1, v2
	v_mul_f32_e32 v2, 0x3f317217, v0
	v_fma_f32 v2, v0, s13, -v2
	v_fmac_f32_e32 v2, 0x3377d1cf, v0
	v_fmac_f32_e32 v2, 0x3f317217, v0
	v_cmp_lt_f32_e64 vcc, |v0|, s14
	s_nop 1
	v_cndmask_b32_e32 v0, v0, v2, vcc
	v_cmp_gt_f16_sdwa vcc, v3, s9 src0_sel:WORD_1 src1_sel:DWORD
	v_cndmask_b32_e64 v2, 0, v17, s[2:3]
	v_sub_f32_e32 v0, v0, v2
	v_cndmask_b32_e32 v1, v1, v19, vcc
	v_mul_f32_e32 v7, 0x4f800000, v1
	v_cmp_gt_f32_e32 vcc, s12, v1
	v_cmp_lt_f16_e64 s[2:3], s9, v3
	s_nop 0
	v_cndmask_b32_e32 v1, v1, v7, vcc
	v_sqrt_f32_e32 v7, v1
	v_cndmask_b32_e64 v0, v0, v8, s[2:3]
	v_add_u32_e32 v2, -1, v7
	v_fma_f32 v3, -v2, v7, v1
	v_cmp_ge_f32_e64 s[2:3], 0, v3
	v_add_u32_e32 v3, 1, v7
	s_nop 0
	v_cndmask_b32_e64 v2, v7, v2, s[2:3]
	v_fma_f32 v7, -v3, v7, v1
	v_cmp_lt_f32_e64 s[2:3], 0, v7
	v_mul_f32_e32 v7, 0x4f800000, v0
	s_nop 0
	v_cndmask_b32_e64 v2, v2, v3, s[2:3]
	v_cmp_gt_f32_e64 s[2:3], s12, v0
	v_mul_f32_e32 v3, 0x37800000, v2
	v_cndmask_b32_e32 v2, v2, v3, vcc
	v_cndmask_b32_e64 v0, v0, v7, s[2:3]
	v_sqrt_f32_e32 v7, v0
	v_cmp_class_f32_e32 vcc, v1, v18
	s_nop 1
	v_cndmask_b32_e32 v17, v2, v1, vcc
	v_add_u32_e32 v1, -1, v7
	v_fma_f32 v2, -v1, v7, v0
	v_cmp_ge_f32_e32 vcc, 0, v2
	v_add_u32_e32 v2, 1, v7
	v_fma_f32 v3, -v2, v7, v0
	v_cndmask_b32_e32 v1, v7, v1, vcc
	v_cmp_lt_f32_e32 vcc, 0, v3
	s_nop 1
	v_cndmask_b32_e32 v1, v1, v2, vcc
	v_mul_f32_e32 v2, 0x37800000, v1
	v_cndmask_b32_e64 v1, v1, v2, s[2:3]
	v_cmp_class_f32_e32 vcc, v0, v18
	v_lshl_add_u64 v[2:3], v[4:5], 2, s[10:11]
	s_cselect_b64 s[2:3], -1, 0
	v_cndmask_b32_e32 v18, v1, v0, vcc
	s_cmp_lt_i32 s16, 1
	v_mul_lo_u32 v0, v6, s16
	s_cbranch_scc1 .LBB194_29
; %bb.2:
	s_load_dwordx2 s[4:5], s[0:1], 0x20
	s_cmp_lt_u32 s16, 4
	s_cbranch_scc1 .LBB194_21
; %bb.3:
	s_mov_b32 s7, 0
	s_and_b32 s8, s16, 0x7ffffffc
	v_ashrrev_i32_e32 v1, 31, v0
	v_mov_b32_e32 v16, 0
	s_mov_b32 s6, s7
	s_branch .LBB194_5
.LBB194_4:                              ;   in Loop: Header=BB194_5 Depth=1
	s_or_b64 exec, exec, s[12:13]
	s_add_i32 s6, s6, 4
	s_cmp_eq_u32 s6, s8
	s_cbranch_scc1 .LBB194_22
.LBB194_5:                              ; =>This Loop Header: Depth=1
                                        ;     Child Loop BB194_7 Depth 2
                                        ;     Child Loop BB194_11 Depth 2
	;; [unrolled: 1-line block ×4, first 2 shown]
	v_lshl_add_u64 v[6:7], s[6:7], 2, v[2:3]
	global_load_dword v19, v[6:7], off
	v_add_u32_e32 v8, s6, v0
	v_ashrrev_i32_e32 v9, 31, v8
	s_mov_b64 s[12:13], 0
	s_waitcnt lgkmcnt(0)
	v_lshl_add_u64 v[8:9], v[8:9], 2, s[4:5]
	s_mov_b32 s9, 0
	s_waitcnt vmcnt(0)
	v_cmp_eq_u32_e32 vcc, 1, v19
	s_nop 1
	v_cndmask_b32_e32 v21, v11, v10, vcc
	v_cmp_eq_u32_e32 vcc, 2, v19
	v_min_u32_e32 v20, 7, v19
	v_add_u32_e32 v20, 1, v20
	v_cndmask_b32_e32 v21, v21, v13, vcc
	v_cmp_eq_u32_e32 vcc, 3, v19
	s_nop 1
	v_cndmask_b32_e32 v21, v21, v12, vcc
	v_cmp_eq_u32_e32 vcc, 4, v19
	s_nop 1
	v_cndmask_b32_e32 v21, v21, v15, vcc
	v_cmp_eq_u32_e32 vcc, 5, v19
	s_nop 1
	v_cndmask_b32_e32 v21, v21, v14, vcc
	v_cmp_eq_u32_e32 vcc, 6, v19
	s_nop 1
	v_cndmask_b32_e32 v21, v21, v18, vcc
	v_cmp_eq_u32_e32 vcc, 7, v19
	s_nop 1
	v_cndmask_b32_e32 v21, v21, v17, vcc
	s_branch .LBB194_7
.LBB194_6:                              ;   in Loop: Header=BB194_7 Depth=2
	s_or_b64 exec, exec, s[14:15]
	s_add_i32 s9, s9, 1
	v_cmp_eq_u32_e32 vcc, s9, v20
	s_or_b64 s[12:13], vcc, s[12:13]
	s_andn2_b64 exec, exec, s[12:13]
	s_cbranch_execz .LBB194_9
.LBB194_7:                              ;   Parent Loop BB194_5 Depth=1
                                        ; =>  This Inner Loop Header: Depth=2
	v_cmp_eq_u32_e32 vcc, s9, v19
	s_and_saveexec_b64 s[14:15], vcc
	s_cbranch_execz .LBB194_6
; %bb.8:                                ;   in Loop: Header=BB194_7 Depth=2
	v_add_f32_e32 v16, v16, v21
	global_store_dword v[8:9], v19, off
	s_branch .LBB194_6
.LBB194_9:                              ;   in Loop: Header=BB194_5 Depth=1
	s_or_b64 exec, exec, s[12:13]
	global_load_dword v19, v[6:7], off offset:4
	s_ashr_i32 s13, s6, 31
	s_mov_b32 s12, s6
	v_lshl_add_u64 v[8:9], s[12:13], 0, v[0:1]
	s_mov_b32 s9, 0
	v_lshl_add_u64 v[8:9], v[8:9], 2, s[4:5]
	s_mov_b64 s[12:13], 0
	s_waitcnt vmcnt(0)
	v_cmp_eq_u32_e32 vcc, 1, v19
	s_nop 1
	v_cndmask_b32_e32 v21, v11, v10, vcc
	v_cmp_eq_u32_e32 vcc, 2, v19
	v_min_u32_e32 v20, 7, v19
	v_add_u32_e32 v20, 1, v20
	v_cndmask_b32_e32 v21, v21, v13, vcc
	v_cmp_eq_u32_e32 vcc, 3, v19
	s_nop 1
	v_cndmask_b32_e32 v21, v21, v12, vcc
	v_cmp_eq_u32_e32 vcc, 4, v19
	s_nop 1
	;; [unrolled: 3-line block ×5, first 2 shown]
	v_cndmask_b32_e32 v21, v21, v17, vcc
	s_branch .LBB194_11
.LBB194_10:                             ;   in Loop: Header=BB194_11 Depth=2
	s_or_b64 exec, exec, s[14:15]
	s_add_i32 s9, s9, 1
	v_cmp_eq_u32_e32 vcc, s9, v20
	s_or_b64 s[12:13], vcc, s[12:13]
	s_andn2_b64 exec, exec, s[12:13]
	s_cbranch_execz .LBB194_13
.LBB194_11:                             ;   Parent Loop BB194_5 Depth=1
                                        ; =>  This Inner Loop Header: Depth=2
	v_cmp_eq_u32_e32 vcc, s9, v19
	s_and_saveexec_b64 s[14:15], vcc
	s_cbranch_execz .LBB194_10
; %bb.12:                               ;   in Loop: Header=BB194_11 Depth=2
	v_add_f32_e32 v16, v16, v21
	global_store_dword v[8:9], v19, off offset:4
	s_branch .LBB194_10
.LBB194_13:                             ;   in Loop: Header=BB194_5 Depth=1
	s_or_b64 exec, exec, s[12:13]
	global_load_dword v19, v[6:7], off offset:8
	s_mov_b32 s9, 0
	s_mov_b64 s[12:13], 0
	s_waitcnt vmcnt(0)
	v_cmp_eq_u32_e32 vcc, 1, v19
	s_nop 1
	v_cndmask_b32_e32 v21, v11, v10, vcc
	v_cmp_eq_u32_e32 vcc, 2, v19
	v_min_u32_e32 v20, 7, v19
	v_add_u32_e32 v20, 1, v20
	v_cndmask_b32_e32 v21, v21, v13, vcc
	v_cmp_eq_u32_e32 vcc, 3, v19
	s_nop 1
	v_cndmask_b32_e32 v21, v21, v12, vcc
	v_cmp_eq_u32_e32 vcc, 4, v19
	s_nop 1
	;; [unrolled: 3-line block ×5, first 2 shown]
	v_cndmask_b32_e32 v21, v21, v17, vcc
	s_branch .LBB194_15
.LBB194_14:                             ;   in Loop: Header=BB194_15 Depth=2
	s_or_b64 exec, exec, s[14:15]
	s_add_i32 s9, s9, 1
	v_cmp_eq_u32_e32 vcc, s9, v20
	s_or_b64 s[12:13], vcc, s[12:13]
	s_andn2_b64 exec, exec, s[12:13]
	s_cbranch_execz .LBB194_17
.LBB194_15:                             ;   Parent Loop BB194_5 Depth=1
                                        ; =>  This Inner Loop Header: Depth=2
	v_cmp_eq_u32_e32 vcc, s9, v19
	s_and_saveexec_b64 s[14:15], vcc
	s_cbranch_execz .LBB194_14
; %bb.16:                               ;   in Loop: Header=BB194_15 Depth=2
	v_add_f32_e32 v16, v16, v21
	global_store_dword v[8:9], v19, off offset:8
	s_branch .LBB194_14
.LBB194_17:                             ;   in Loop: Header=BB194_5 Depth=1
	s_or_b64 exec, exec, s[12:13]
	global_load_dword v6, v[6:7], off offset:12
	s_mov_b32 s9, 0
	s_mov_b64 s[12:13], 0
	s_waitcnt vmcnt(0)
	v_cmp_eq_u32_e32 vcc, 1, v6
	s_nop 1
	v_cndmask_b32_e32 v19, v11, v10, vcc
	v_cmp_eq_u32_e32 vcc, 2, v6
	v_min_u32_e32 v7, 7, v6
	v_add_u32_e32 v7, 1, v7
	v_cndmask_b32_e32 v19, v19, v13, vcc
	v_cmp_eq_u32_e32 vcc, 3, v6
	s_nop 1
	v_cndmask_b32_e32 v19, v19, v12, vcc
	v_cmp_eq_u32_e32 vcc, 4, v6
	s_nop 1
	;; [unrolled: 3-line block ×5, first 2 shown]
	v_cndmask_b32_e32 v19, v19, v17, vcc
	s_branch .LBB194_19
.LBB194_18:                             ;   in Loop: Header=BB194_19 Depth=2
	s_or_b64 exec, exec, s[14:15]
	s_add_i32 s9, s9, 1
	v_cmp_eq_u32_e32 vcc, s9, v7
	s_or_b64 s[12:13], vcc, s[12:13]
	s_andn2_b64 exec, exec, s[12:13]
	s_cbranch_execz .LBB194_4
.LBB194_19:                             ;   Parent Loop BB194_5 Depth=1
                                        ; =>  This Inner Loop Header: Depth=2
	v_cmp_eq_u32_e32 vcc, s9, v6
	s_and_saveexec_b64 s[14:15], vcc
	s_cbranch_execz .LBB194_18
; %bb.20:                               ;   in Loop: Header=BB194_19 Depth=2
	v_add_f32_e32 v16, v16, v19
	global_store_dword v[8:9], v6, off offset:12
	s_branch .LBB194_18
.LBB194_21:
	v_mov_b32_e32 v16, 0
.LBB194_22:
	s_and_b32 s14, s16, 3
	s_cmp_eq_u32 s14, 0
	s_mov_b32 s9, 0
	s_cbranch_scc1 .LBB194_29
; %bb.23:
	s_mov_b32 s15, s9
	s_branch .LBB194_25
.LBB194_24:                             ;   in Loop: Header=BB194_25 Depth=1
	s_or_b64 exec, exec, s[6:7]
	s_add_i32 s8, s8, 1
	s_add_i32 s15, s15, 1
	s_cmp_lg_u32 s15, s14
	s_cbranch_scc0 .LBB194_29
.LBB194_25:                             ; =>This Loop Header: Depth=1
                                        ;     Child Loop BB194_27 Depth 2
	v_lshl_add_u64 v[6:7], s[8:9], 2, v[2:3]
	global_load_dword v1, v[6:7], off
	v_add_u32_e32 v6, s8, v0
	v_ashrrev_i32_e32 v7, 31, v6
	s_mov_b32 s17, 0
	s_waitcnt lgkmcnt(0)
	v_lshl_add_u64 v[6:7], v[6:7], 2, s[4:5]
	s_mov_b64 s[6:7], 0
	s_waitcnt vmcnt(0)
	v_cmp_eq_u32_e32 vcc, 1, v1
	s_nop 1
	v_cndmask_b32_e32 v9, v11, v10, vcc
	v_cmp_eq_u32_e32 vcc, 2, v1
	v_min_u32_e32 v8, 7, v1
	v_add_u32_e32 v8, 1, v8
	v_cndmask_b32_e32 v9, v9, v13, vcc
	v_cmp_eq_u32_e32 vcc, 3, v1
	s_nop 1
	v_cndmask_b32_e32 v9, v9, v12, vcc
	v_cmp_eq_u32_e32 vcc, 4, v1
	s_nop 1
	;; [unrolled: 3-line block ×5, first 2 shown]
	v_cndmask_b32_e32 v9, v9, v17, vcc
	s_branch .LBB194_27
.LBB194_26:                             ;   in Loop: Header=BB194_27 Depth=2
	s_or_b64 exec, exec, s[12:13]
	s_add_i32 s17, s17, 1
	v_cmp_eq_u32_e32 vcc, s17, v8
	s_or_b64 s[6:7], vcc, s[6:7]
	s_andn2_b64 exec, exec, s[6:7]
	s_cbranch_execz .LBB194_24
.LBB194_27:                             ;   Parent Loop BB194_25 Depth=1
                                        ; =>  This Inner Loop Header: Depth=2
	v_cmp_eq_u32_e32 vcc, s17, v1
	s_and_saveexec_b64 s[12:13], vcc
	s_cbranch_execz .LBB194_26
; %bb.28:                               ;   in Loop: Header=BB194_27 Depth=2
	v_add_f32_e32 v16, v16, v9
	global_store_dword v[6:7], v1, off
	s_branch .LBB194_26
.LBB194_29:
	s_load_dword s6, s[0:1], 0x3c
	s_waitcnt lgkmcnt(0)
	s_load_dwordx2 s[4:5], s[0:1], 0x40
	s_bitcmp1_b32 s6, 0
	s_cselect_b64 s[6:7], -1, 0
	s_waitcnt lgkmcnt(0)
	v_cvt_f32_f64_e32 v19, s[4:5]
	s_and_b64 vcc, exec, s[6:7]
	s_cbranch_vccz .LBB194_31
; %bb.30:
	v_cmp_lt_f32_e32 vcc, 0, v16
	s_nop 1
	v_cndmask_b32_e32 v1, 1.0, v16, vcc
	v_div_scale_f32 v6, s[4:5], v1, v1, v19
	v_rcp_f32_e32 v7, v6
	s_nop 0
	v_fma_f32 v8, -v6, v7, 1.0
	v_fmac_f32_e32 v7, v8, v7
	v_div_scale_f32 v8, vcc, v19, v1, v19
	v_mul_f32_e32 v9, v8, v7
	v_fma_f32 v16, -v6, v9, v8
	v_fmac_f32_e32 v9, v16, v7
	v_fma_f32 v6, -v6, v9, v8
	v_div_fmas_f32 v6, v6, v7, v9
	v_div_fixup_f32 v19, v6, v1, v19
.LBB194_31:
	s_andn2_b64 vcc, exec, s[2:3]
	s_cbranch_vccnz .LBB194_56
; %bb.32:
	s_load_dwordx2 s[0:1], s[0:1], 0x10
	s_cmp_lt_u32 s16, 8
	s_mov_b32 s2, 0
	s_cbranch_scc1 .LBB194_51
; %bb.33:
	v_ashrrev_i32_e32 v1, 31, v0
	s_and_b32 s2, s16, 0x7ffffff8
	s_waitcnt lgkmcnt(0)
	v_lshl_add_u64 v[6:7], v[0:1], 2, s[0:1]
	s_mov_b32 s3, 0
	s_mov_b64 s[4:5], 0
	s_branch .LBB194_35
.LBB194_34:                             ;   in Loop: Header=BB194_35 Depth=1
	s_or_b64 exec, exec, s[6:7]
	s_add_i32 s3, s3, 8
	s_add_u32 s4, s4, 32
	s_addc_u32 s5, s5, 0
	s_cmp_eq_u32 s2, s3
	s_cbranch_scc1 .LBB194_51
.LBB194_35:                             ; =>This Inner Loop Header: Depth=1
	v_lshl_add_u64 v[8:9], v[2:3], 0, s[4:5]
	global_load_dword v1, v[8:9], off
	s_waitcnt vmcnt(0)
	v_cmp_gt_u32_e32 vcc, 8, v1
	s_and_saveexec_b64 s[6:7], vcc
	s_cbranch_execz .LBB194_37
; %bb.36:                               ;   in Loop: Header=BB194_35 Depth=1
	v_cmp_eq_u32_e32 vcc, 1, v1
	v_add_u32_e32 v20, s3, v0
	v_ashrrev_i32_e32 v21, 31, v20
	v_cndmask_b32_e32 v16, v11, v10, vcc
	v_cmp_eq_u32_e32 vcc, 2, v1
	v_lshl_add_u64 v[20:21], v[20:21], 2, s[0:1]
	s_nop 0
	v_cndmask_b32_e32 v16, v16, v13, vcc
	v_cmp_eq_u32_e32 vcc, 3, v1
	s_nop 1
	v_cndmask_b32_e32 v16, v16, v12, vcc
	v_cmp_eq_u32_e32 vcc, 4, v1
	;; [unrolled: 3-line block ×5, first 2 shown]
	s_nop 1
	v_cndmask_b32_e32 v1, v16, v17, vcc
	v_mul_f32_e32 v1, v19, v1
	global_store_dword v[20:21], v1, off
.LBB194_37:                             ;   in Loop: Header=BB194_35 Depth=1
	s_or_b64 exec, exec, s[6:7]
	global_load_dword v1, v[8:9], off offset:4
	s_waitcnt vmcnt(0)
	v_cmp_gt_u32_e32 vcc, 8, v1
	s_and_saveexec_b64 s[6:7], vcc
	s_cbranch_execz .LBB194_39
; %bb.38:                               ;   in Loop: Header=BB194_35 Depth=1
	v_cmp_eq_u32_e32 vcc, 1, v1
	v_lshl_add_u64 v[20:21], v[6:7], 0, s[4:5]
	s_nop 0
	v_cndmask_b32_e32 v16, v11, v10, vcc
	v_cmp_eq_u32_e32 vcc, 2, v1
	s_nop 1
	v_cndmask_b32_e32 v16, v16, v13, vcc
	v_cmp_eq_u32_e32 vcc, 3, v1
	s_nop 1
	v_cndmask_b32_e32 v16, v16, v12, vcc
	v_cmp_eq_u32_e32 vcc, 4, v1
	s_nop 1
	v_cndmask_b32_e32 v16, v16, v15, vcc
	v_cmp_eq_u32_e32 vcc, 5, v1
	s_nop 1
	v_cndmask_b32_e32 v16, v16, v14, vcc
	v_cmp_eq_u32_e32 vcc, 6, v1
	s_nop 1
	v_cndmask_b32_e32 v16, v16, v18, vcc
	v_cmp_eq_u32_e32 vcc, 7, v1
	s_nop 1
	v_cndmask_b32_e32 v1, v16, v17, vcc
	v_mul_f32_e32 v1, v19, v1
	global_store_dword v[20:21], v1, off offset:4
.LBB194_39:                             ;   in Loop: Header=BB194_35 Depth=1
	s_or_b64 exec, exec, s[6:7]
	global_load_dword v1, v[8:9], off offset:8
	s_waitcnt vmcnt(0)
	v_cmp_gt_u32_e32 vcc, 8, v1
	s_and_saveexec_b64 s[6:7], vcc
	s_cbranch_execz .LBB194_41
; %bb.40:                               ;   in Loop: Header=BB194_35 Depth=1
	v_cmp_eq_u32_e32 vcc, 1, v1
	v_lshl_add_u64 v[20:21], v[6:7], 0, s[4:5]
	s_nop 0
	v_cndmask_b32_e32 v16, v11, v10, vcc
	v_cmp_eq_u32_e32 vcc, 2, v1
	s_nop 1
	v_cndmask_b32_e32 v16, v16, v13, vcc
	v_cmp_eq_u32_e32 vcc, 3, v1
	s_nop 1
	v_cndmask_b32_e32 v16, v16, v12, vcc
	v_cmp_eq_u32_e32 vcc, 4, v1
	s_nop 1
	v_cndmask_b32_e32 v16, v16, v15, vcc
	v_cmp_eq_u32_e32 vcc, 5, v1
	s_nop 1
	v_cndmask_b32_e32 v16, v16, v14, vcc
	v_cmp_eq_u32_e32 vcc, 6, v1
	s_nop 1
	v_cndmask_b32_e32 v16, v16, v18, vcc
	v_cmp_eq_u32_e32 vcc, 7, v1
	s_nop 1
	v_cndmask_b32_e32 v1, v16, v17, vcc
	v_mul_f32_e32 v1, v19, v1
	global_store_dword v[20:21], v1, off offset:8
.LBB194_41:                             ;   in Loop: Header=BB194_35 Depth=1
	;; [unrolled: 32-line block ×6, first 2 shown]
	s_or_b64 exec, exec, s[6:7]
	global_load_dword v1, v[8:9], off offset:28
	s_waitcnt vmcnt(0)
	v_cmp_gt_u32_e32 vcc, 8, v1
	s_and_saveexec_b64 s[6:7], vcc
	s_cbranch_execz .LBB194_34
; %bb.50:                               ;   in Loop: Header=BB194_35 Depth=1
	v_cmp_eq_u32_e32 vcc, 1, v1
	s_nop 1
	v_cndmask_b32_e32 v8, v11, v10, vcc
	v_cmp_eq_u32_e32 vcc, 2, v1
	s_nop 1
	v_cndmask_b32_e32 v8, v8, v13, vcc
	;; [unrolled: 3-line block ×7, first 2 shown]
	v_mul_f32_e32 v1, v19, v1
	v_lshl_add_u64 v[8:9], v[6:7], 0, s[4:5]
	global_store_dword v[8:9], v1, off offset:28
	s_branch .LBB194_34
.LBB194_51:
	s_and_b32 s4, s16, 7
	s_cmp_eq_u32 s4, 0
	s_mov_b32 s3, 0
	s_cbranch_scc1 .LBB194_56
; %bb.52:
	v_add_u32_e32 v0, s2, v0
	s_lshl_b64 s[2:3], s[2:3], 2
	s_add_u32 s2, s10, s2
	s_addc_u32 s3, s11, s3
	v_lshl_add_u64 v[2:3], v[4:5], 2, s[2:3]
	s_branch .LBB194_54
.LBB194_53:                             ;   in Loop: Header=BB194_54 Depth=1
	s_or_b64 exec, exec, s[2:3]
	s_add_i32 s4, s4, -1
	v_add_u32_e32 v0, 1, v0
	s_cmp_eq_u32 s4, 0
	v_lshl_add_u64 v[2:3], v[2:3], 0, 4
	s_cbranch_scc1 .LBB194_56
.LBB194_54:                             ; =>This Inner Loop Header: Depth=1
	global_load_dword v1, v[2:3], off
	s_waitcnt vmcnt(0)
	v_cmp_gt_u32_e32 vcc, 8, v1
	s_and_saveexec_b64 s[2:3], vcc
	s_cbranch_execz .LBB194_53
; %bb.55:                               ;   in Loop: Header=BB194_54 Depth=1
	v_cmp_eq_u32_e32 vcc, 1, v1
	s_nop 1
	v_cndmask_b32_e32 v4, v11, v10, vcc
	v_cmp_eq_u32_e32 vcc, 2, v1
	s_nop 1
	v_cndmask_b32_e32 v4, v4, v13, vcc
	;; [unrolled: 3-line block ×7, first 2 shown]
	v_mul_f32_e32 v6, v19, v1
	v_ashrrev_i32_e32 v1, 31, v0
	s_waitcnt lgkmcnt(0)
	v_lshl_add_u64 v[4:5], v[0:1], 2, s[0:1]
	global_store_dword v[4:5], v6, off
	s_branch .LBB194_53
.LBB194_56:
	s_endpgm
	.section	.rodata,"a",@progbits
	.p2align	6, 0x0
	.amdhsa_kernel _ZN4vllm3moe22topkGatingSoftplusSqrtILi8ELi8ELi4ELi16ELi32ELb1Ei6__halfEEvPKT6_PKbPfiPT5_PiiiibdPKfPKS9_SF_
		.amdhsa_group_segment_fixed_size 0
		.amdhsa_private_segment_fixed_size 0
		.amdhsa_kernarg_size 96
		.amdhsa_user_sgpr_count 2
		.amdhsa_user_sgpr_dispatch_ptr 0
		.amdhsa_user_sgpr_queue_ptr 0
		.amdhsa_user_sgpr_kernarg_segment_ptr 1
		.amdhsa_user_sgpr_dispatch_id 0
		.amdhsa_user_sgpr_kernarg_preload_length 0
		.amdhsa_user_sgpr_kernarg_preload_offset 0
		.amdhsa_user_sgpr_private_segment_size 0
		.amdhsa_uses_dynamic_stack 0
		.amdhsa_enable_private_segment 0
		.amdhsa_system_sgpr_workgroup_id_x 1
		.amdhsa_system_sgpr_workgroup_id_y 0
		.amdhsa_system_sgpr_workgroup_id_z 0
		.amdhsa_system_sgpr_workgroup_info 0
		.amdhsa_system_vgpr_workitem_id 1
		.amdhsa_next_free_vgpr 27
		.amdhsa_next_free_sgpr 18
		.amdhsa_accum_offset 28
		.amdhsa_reserve_vcc 1
		.amdhsa_float_round_mode_32 0
		.amdhsa_float_round_mode_16_64 0
		.amdhsa_float_denorm_mode_32 3
		.amdhsa_float_denorm_mode_16_64 3
		.amdhsa_dx10_clamp 1
		.amdhsa_ieee_mode 1
		.amdhsa_fp16_overflow 0
		.amdhsa_tg_split 0
		.amdhsa_exception_fp_ieee_invalid_op 0
		.amdhsa_exception_fp_denorm_src 0
		.amdhsa_exception_fp_ieee_div_zero 0
		.amdhsa_exception_fp_ieee_overflow 0
		.amdhsa_exception_fp_ieee_underflow 0
		.amdhsa_exception_fp_ieee_inexact 0
		.amdhsa_exception_int_div_zero 0
	.end_amdhsa_kernel
	.section	.text._ZN4vllm3moe22topkGatingSoftplusSqrtILi8ELi8ELi4ELi16ELi32ELb1Ei6__halfEEvPKT6_PKbPfiPT5_PiiiibdPKfPKS9_SF_,"axG",@progbits,_ZN4vllm3moe22topkGatingSoftplusSqrtILi8ELi8ELi4ELi16ELi32ELb1Ei6__halfEEvPKT6_PKbPfiPT5_PiiiibdPKfPKS9_SF_,comdat
.Lfunc_end194:
	.size	_ZN4vllm3moe22topkGatingSoftplusSqrtILi8ELi8ELi4ELi16ELi32ELb1Ei6__halfEEvPKT6_PKbPfiPT5_PiiiibdPKfPKS9_SF_, .Lfunc_end194-_ZN4vllm3moe22topkGatingSoftplusSqrtILi8ELi8ELi4ELi16ELi32ELb1Ei6__halfEEvPKT6_PKbPfiPT5_PiiiibdPKfPKS9_SF_
                                        ; -- End function
	.section	.AMDGPU.csdata,"",@progbits
; Kernel info:
; codeLenInByte = 4540
; NumSgprs: 24
; NumVgprs: 27
; NumAgprs: 0
; TotalNumVgprs: 27
; ScratchSize: 0
; MemoryBound: 0
; FloatMode: 240
; IeeeMode: 1
; LDSByteSize: 0 bytes/workgroup (compile time only)
; SGPRBlocks: 2
; VGPRBlocks: 3
; NumSGPRsForWavesPerEU: 24
; NumVGPRsForWavesPerEU: 27
; AccumOffset: 28
; Occupancy: 8
; WaveLimiterHint : 1
; COMPUTE_PGM_RSRC2:SCRATCH_EN: 0
; COMPUTE_PGM_RSRC2:USER_SGPR: 2
; COMPUTE_PGM_RSRC2:TRAP_HANDLER: 0
; COMPUTE_PGM_RSRC2:TGID_X_EN: 1
; COMPUTE_PGM_RSRC2:TGID_Y_EN: 0
; COMPUTE_PGM_RSRC2:TGID_Z_EN: 0
; COMPUTE_PGM_RSRC2:TIDIG_COMP_CNT: 1
; COMPUTE_PGM_RSRC3_GFX90A:ACCUM_OFFSET: 6
; COMPUTE_PGM_RSRC3_GFX90A:TG_SPLIT: 0
	.section	.text._ZN4vllm3moe22topkGatingSoftplusSqrtILi8ELi8ELi4ELi16ELi32ELb0Ei6__halfEEvPKT6_PKbPfiPT5_PiiiibdPKfPKS9_SF_,"axG",@progbits,_ZN4vllm3moe22topkGatingSoftplusSqrtILi8ELi8ELi4ELi16ELi32ELb0Ei6__halfEEvPKT6_PKbPfiPT5_PiiiibdPKfPKS9_SF_,comdat
	.protected	_ZN4vllm3moe22topkGatingSoftplusSqrtILi8ELi8ELi4ELi16ELi32ELb0Ei6__halfEEvPKT6_PKbPfiPT5_PiiiibdPKfPKS9_SF_ ; -- Begin function _ZN4vllm3moe22topkGatingSoftplusSqrtILi8ELi8ELi4ELi16ELi32ELb0Ei6__halfEEvPKT6_PKbPfiPT5_PiiiibdPKfPKS9_SF_
	.globl	_ZN4vllm3moe22topkGatingSoftplusSqrtILi8ELi8ELi4ELi16ELi32ELb0Ei6__halfEEvPKT6_PKbPfiPT5_PiiiibdPKfPKS9_SF_
	.p2align	8
	.type	_ZN4vllm3moe22topkGatingSoftplusSqrtILi8ELi8ELi4ELi16ELi32ELb0Ei6__halfEEvPKT6_PKbPfiPT5_PiiiibdPKfPKS9_SF_,@function
_ZN4vllm3moe22topkGatingSoftplusSqrtILi8ELi8ELi4ELi16ELi32ELb0Ei6__halfEEvPKT6_PKbPfiPT5_PiiiibdPKfPKS9_SF_: ; @_ZN4vllm3moe22topkGatingSoftplusSqrtILi8ELi8ELi4ELi16ELi32ELb0Ei6__halfEEvPKT6_PKbPfiPT5_PiiiibdPKfPKS9_SF_
; %bb.0:
	s_load_dword s24, s[0:1], 0x18
	v_bfe_u32 v1, v0, 10, 10
	s_lshl_b32 s2, s2, 7
	v_lshlrev_b32_e32 v1, 5, v1
	v_and_b32_e32 v0, 0x3ff, v0
	v_add3_u32 v8, v1, v0, s2
	s_waitcnt lgkmcnt(0)
	v_cmp_gt_i32_e32 vcc, s24, v8
	s_and_saveexec_b64 s[2:3], vcc
	s_cbranch_execz .LBB195_40
; %bb.1:
	s_load_dwordx4 s[4:7], s[0:1], 0x0
	s_load_dwordx2 s[20:21], s[0:1], 0x10
	s_waitcnt lgkmcnt(0)
	s_cmp_eq_u64 s[6:7], 0
	s_cbranch_scc1 .LBB195_3
; %bb.2:
	v_ashrrev_i32_e32 v9, 31, v8
	v_lshl_add_u64 v[0:1], s[6:7], 0, v[8:9]
	global_load_ubyte v0, v[0:1], off
	s_waitcnt vmcnt(0)
	v_and_b32_e32 v0, 1, v0
	v_cmp_eq_u32_e32 vcc, 1, v0
	s_xor_b64 s[2:3], vcc, -1
	s_orn2_b64 s[22:23], s[2:3], exec
	s_branch .LBB195_4
.LBB195_3:
	s_mov_b64 s[22:23], -1
.LBB195_4:
	v_lshlrev_b32_e32 v2, 3, v8
	v_mov_b32_e32 v0, s4
	v_mov_b32_e32 v1, s5
	v_ashrrev_i32_e32 v3, 31, v2
	v_lshl_add_u64 v[0:1], v[2:3], 1, v[0:1]
	global_load_dwordx4 v[4:7], v[0:1], off
	s_mov_b32 s15, 0x800000
	v_mov_b32_e32 v2, 0x4f800000
	s_mov_b32 s13, 0x3f317217
	s_mov_b32 s14, 0x7f800000
	v_mov_b32_e32 v3, 0x41b17218
	s_movk_i32 s12, 0x4d00
	s_mov_b32 s16, 0xf800000
	s_load_dwordx4 s[8:11], s[0:1], 0x40
	s_waitcnt lgkmcnt(0)
	s_cmp_lg_u64 s[10:11], 0
	s_cselect_b64 s[6:7], -1, 0
	s_and_b64 s[2:3], exec, s[6:7]
	s_waitcnt vmcnt(0)
	v_cvt_f32_f16_e32 v0, v4
	v_mul_f32_e32 v1, 0x3fb8aa3b, v0
	v_exp_f32_e32 v1, v1
	s_nop 0
	v_add_f32_e32 v1, 1.0, v1
	v_cmp_gt_f32_e32 vcc, s15, v1
	s_nop 1
	v_cndmask_b32_e32 v9, 1.0, v2, vcc
	v_mul_f32_e32 v1, v1, v9
	v_log_f32_e32 v9, v1
	v_cndmask_b32_e32 v10, 0, v3, vcc
	v_mov_b32_e32 v1, 0x260
	v_mul_f32_e32 v11, 0x3f317217, v9
	v_fma_f32 v11, v9, s13, -v11
	v_fmac_f32_e32 v11, 0x3377d1cf, v9
	v_fmac_f32_e32 v11, 0x3f317217, v9
	v_cmp_lt_f32_e64 vcc, |v9|, s14
	s_nop 1
	v_cndmask_b32_e32 v9, v9, v11, vcc
	v_sub_f32_e32 v9, v9, v10
	v_cmp_lt_f16_e32 vcc, s12, v4
	s_nop 1
	v_cndmask_b32_e32 v0, v9, v0, vcc
	v_mul_f32_e32 v9, 0x4f800000, v0
	v_cmp_gt_f32_e32 vcc, s16, v0
	s_nop 1
	v_cndmask_b32_e32 v0, v0, v9, vcc
	v_sqrt_f32_e32 v9, v0
	s_nop 0
	v_add_u32_e32 v10, -1, v9
	v_add_u32_e32 v11, 1, v9
	v_fma_f32 v12, -v10, v9, v0
	v_fma_f32 v13, -v11, v9, v0
	v_cmp_ge_f32_e64 s[4:5], 0, v12
	s_nop 1
	v_cndmask_b32_e64 v9, v9, v10, s[4:5]
	v_cmp_lt_f32_e64 s[4:5], 0, v13
	s_nop 1
	v_cndmask_b32_e64 v9, v9, v11, s[4:5]
	v_mul_f32_e32 v10, 0x37800000, v9
	v_cndmask_b32_e32 v9, v9, v10, vcc
	v_cmp_class_f32_e32 vcc, v0, v1
	s_nop 1
	v_cndmask_b32_e32 v0, v9, v0, vcc
	s_mov_b64 vcc, s[2:3]
	s_cbranch_vccz .LBB195_6
; %bb.5:
	s_load_dword s2, s[10:11], 0x0
	s_waitcnt lgkmcnt(0)
	v_add_f32_e32 v0, s2, v0
.LBB195_6:
	v_cvt_f32_f16_sdwa v9, v4 dst_sel:DWORD dst_unused:UNUSED_PAD src0_sel:WORD_1
	v_mul_f32_e32 v10, 0x3fb8aa3b, v9
	v_exp_f32_e32 v10, v10
	s_nop 0
	v_add_f32_e32 v10, 1.0, v10
	v_cmp_gt_f32_e32 vcc, s15, v10
	s_nop 1
	v_cndmask_b32_e32 v2, 1.0, v2, vcc
	v_mul_f32_e32 v2, v10, v2
	v_log_f32_e32 v2, v2
	v_cndmask_b32_e32 v3, 0, v3, vcc
	v_mul_f32_e32 v10, 0x3f317217, v2
	v_fma_f32 v10, v2, s13, -v10
	v_fmac_f32_e32 v10, 0x3377d1cf, v2
	v_fmac_f32_e32 v10, 0x3f317217, v2
	v_cmp_lt_f32_e64 vcc, |v2|, s14
	s_nop 1
	v_cndmask_b32_e32 v2, v2, v10, vcc
	v_sub_f32_e32 v2, v2, v3
	v_cmp_gt_f16_sdwa vcc, v4, s12 src0_sel:WORD_1 src1_sel:DWORD
	v_cndmask_b32_e64 v4, 0, 1, s[6:7]
	v_cmp_ne_u32_e64 s[2:3], 1, v4
	v_cndmask_b32_e32 v2, v2, v9, vcc
	v_mul_f32_e32 v3, 0x4f800000, v2
	v_cmp_gt_f32_e64 s[4:5], s16, v2
	s_andn2_b64 vcc, exec, s[6:7]
	s_nop 0
	v_cndmask_b32_e64 v2, v2, v3, s[4:5]
	v_sqrt_f32_e32 v3, v2
	s_nop 0
	v_add_u32_e32 v4, -1, v3
	v_add_u32_e32 v9, 1, v3
	v_fma_f32 v10, -v4, v3, v2
	v_fma_f32 v11, -v9, v3, v2
	v_cmp_ge_f32_e64 s[6:7], 0, v10
	s_nop 1
	v_cndmask_b32_e64 v3, v3, v4, s[6:7]
	v_cmp_lt_f32_e64 s[6:7], 0, v11
	s_nop 1
	v_cndmask_b32_e64 v3, v3, v9, s[6:7]
	v_mul_f32_e32 v4, 0x37800000, v3
	v_cndmask_b32_e64 v3, v3, v4, s[4:5]
	v_cmp_class_f32_e64 s[4:5], v2, v1
	s_nop 1
	v_cndmask_b32_e64 v1, v3, v2, s[4:5]
	s_cbranch_vccnz .LBB195_8
; %bb.7:
	s_load_dword s4, s[10:11], 0x4
	s_waitcnt lgkmcnt(0)
	v_add_f32_e32 v1, s4, v1
.LBB195_8:
	v_cvt_f32_f16_e32 v2, v5
	s_mov_b32 s12, 0x800000
	v_mov_b32_e32 v4, 0x4f800000
	s_mov_b32 s7, 0x3f317217
	v_mul_f32_e32 v3, 0x3fb8aa3b, v2
	v_exp_f32_e32 v3, v3
	s_mov_b32 s13, 0x7f800000
	s_movk_i32 s6, 0x4d00
	s_mov_b32 s14, 0xf800000
	v_add_f32_e32 v3, 1.0, v3
	v_cmp_gt_f32_e32 vcc, s12, v3
	s_nop 1
	v_cndmask_b32_e32 v9, 1.0, v4, vcc
	v_mul_f32_e32 v3, v3, v9
	v_log_f32_e32 v3, v3
	v_mov_b32_e32 v9, 0x41b17218
	v_cndmask_b32_e32 v10, 0, v9, vcc
	v_mul_f32_e32 v11, 0x3f317217, v3
	v_fma_f32 v11, v3, s7, -v11
	v_fmac_f32_e32 v11, 0x3377d1cf, v3
	v_fmac_f32_e32 v11, 0x3f317217, v3
	v_cmp_lt_f32_e64 vcc, |v3|, s13
	s_nop 1
	v_cndmask_b32_e32 v3, v3, v11, vcc
	v_sub_f32_e32 v3, v3, v10
	v_cmp_lt_f16_e32 vcc, s6, v5
	s_nop 1
	v_cndmask_b32_e32 v2, v3, v2, vcc
	v_mul_f32_e32 v3, 0x4f800000, v2
	v_cmp_gt_f32_e32 vcc, s14, v2
	s_nop 1
	v_cndmask_b32_e32 v2, v2, v3, vcc
	v_sqrt_f32_e32 v3, v2
	s_nop 0
	v_add_u32_e32 v10, -1, v3
	v_fma_f32 v11, -v10, v3, v2
	v_cmp_ge_f32_e64 s[4:5], 0, v11
	v_add_u32_e32 v11, 1, v3
	s_nop 0
	v_cndmask_b32_e64 v10, v3, v10, s[4:5]
	v_fma_f32 v3, -v11, v3, v2
	v_cmp_lt_f32_e64 s[4:5], 0, v3
	s_nop 1
	v_cndmask_b32_e64 v3, v10, v11, s[4:5]
	v_mul_f32_e32 v10, 0x37800000, v3
	v_cndmask_b32_e32 v10, v3, v10, vcc
	v_mov_b32_e32 v3, 0x260
	v_cmp_class_f32_e64 s[4:5], v2, v3
	s_and_b64 vcc, exec, s[2:3]
	s_nop 0
	v_cndmask_b32_e64 v2, v10, v2, s[4:5]
	s_cbranch_vccnz .LBB195_10
; %bb.9:
	s_load_dword s4, s[10:11], 0x8
	s_waitcnt lgkmcnt(0)
	v_add_f32_e32 v2, s4, v2
.LBB195_10:
	v_cvt_f32_f16_sdwa v10, v5 dst_sel:DWORD dst_unused:UNUSED_PAD src0_sel:WORD_1
	v_mul_f32_e32 v11, 0x3fb8aa3b, v10
	v_exp_f32_e32 v11, v11
	s_nop 0
	v_add_f32_e32 v11, 1.0, v11
	v_cmp_gt_f32_e32 vcc, s12, v11
	s_nop 1
	v_cndmask_b32_e32 v4, 1.0, v4, vcc
	v_mul_f32_e32 v4, v11, v4
	v_log_f32_e32 v4, v4
	v_cndmask_b32_e32 v9, 0, v9, vcc
	v_mul_f32_e32 v11, 0x3f317217, v4
	v_fma_f32 v11, v4, s7, -v11
	v_fmac_f32_e32 v11, 0x3377d1cf, v4
	v_fmac_f32_e32 v11, 0x3f317217, v4
	v_cmp_lt_f32_e64 vcc, |v4|, s13
	s_nop 1
	v_cndmask_b32_e32 v4, v4, v11, vcc
	v_sub_f32_e32 v4, v4, v9
	v_cmp_gt_f16_sdwa vcc, v5, s6 src0_sel:WORD_1 src1_sel:DWORD
	s_nop 1
	v_cndmask_b32_e32 v4, v4, v10, vcc
	v_mul_f32_e32 v5, 0x4f800000, v4
	v_cmp_gt_f32_e64 s[4:5], s14, v4
	s_and_b64 vcc, exec, s[2:3]
	s_nop 0
	v_cndmask_b32_e64 v4, v4, v5, s[4:5]
	v_sqrt_f32_e32 v5, v4
	s_nop 0
	v_add_u32_e32 v9, -1, v5
	v_add_u32_e32 v10, 1, v5
	v_fma_f32 v11, -v9, v5, v4
	v_fma_f32 v12, -v10, v5, v4
	v_cmp_ge_f32_e64 s[6:7], 0, v11
	s_nop 1
	v_cndmask_b32_e64 v5, v5, v9, s[6:7]
	v_cmp_lt_f32_e64 s[6:7], 0, v12
	s_nop 1
	v_cndmask_b32_e64 v5, v5, v10, s[6:7]
	v_mul_f32_e32 v9, 0x37800000, v5
	v_cndmask_b32_e64 v5, v5, v9, s[4:5]
	v_cmp_class_f32_e64 s[4:5], v4, v3
	s_nop 1
	v_cndmask_b32_e64 v3, v5, v4, s[4:5]
	s_cbranch_vccnz .LBB195_12
; %bb.11:
	s_load_dword s4, s[10:11], 0xc
	s_waitcnt lgkmcnt(0)
	v_add_f32_e32 v3, s4, v3
.LBB195_12:
	v_cvt_f32_f16_e32 v4, v6
	v_mov_b32_e32 v9, 0x4f800000
	s_mov_b32 s7, 0x3f317217
	s_movk_i32 s6, 0x4d00
	v_mul_f32_e32 v5, 0x3fb8aa3b, v4
	v_exp_f32_e32 v5, v5
	s_nop 0
	v_add_f32_e32 v5, 1.0, v5
	v_cmp_gt_f32_e32 vcc, s12, v5
	s_nop 1
	v_cndmask_b32_e32 v10, 1.0, v9, vcc
	v_mul_f32_e32 v5, v5, v10
	v_log_f32_e32 v5, v5
	v_mov_b32_e32 v10, 0x41b17218
	v_cndmask_b32_e32 v11, 0, v10, vcc
	v_mul_f32_e32 v12, 0x3f317217, v5
	v_fma_f32 v12, v5, s7, -v12
	v_fmac_f32_e32 v12, 0x3377d1cf, v5
	v_fmac_f32_e32 v12, 0x3f317217, v5
	v_cmp_lt_f32_e64 vcc, |v5|, s13
	s_nop 1
	v_cndmask_b32_e32 v5, v5, v12, vcc
	v_sub_f32_e32 v5, v5, v11
	v_cmp_lt_f16_e32 vcc, s6, v6
	s_nop 1
	v_cndmask_b32_e32 v4, v5, v4, vcc
	v_mul_f32_e32 v5, 0x4f800000, v4
	v_cmp_gt_f32_e32 vcc, s14, v4
	s_nop 1
	v_cndmask_b32_e32 v4, v4, v5, vcc
	v_sqrt_f32_e32 v5, v4
	s_nop 0
	v_add_u32_e32 v11, -1, v5
	v_fma_f32 v12, -v11, v5, v4
	v_cmp_ge_f32_e64 s[4:5], 0, v12
	v_add_u32_e32 v12, 1, v5
	s_nop 0
	v_cndmask_b32_e64 v11, v5, v11, s[4:5]
	v_fma_f32 v5, -v12, v5, v4
	v_cmp_lt_f32_e64 s[4:5], 0, v5
	s_nop 1
	v_cndmask_b32_e64 v5, v11, v12, s[4:5]
	v_mul_f32_e32 v11, 0x37800000, v5
	v_cndmask_b32_e32 v11, v5, v11, vcc
	v_mov_b32_e32 v5, 0x260
	v_cmp_class_f32_e64 s[4:5], v4, v5
	s_and_b64 vcc, exec, s[2:3]
	s_nop 0
	v_cndmask_b32_e64 v4, v11, v4, s[4:5]
	s_cbranch_vccnz .LBB195_14
; %bb.13:
	s_load_dword s4, s[10:11], 0x10
	s_waitcnt lgkmcnt(0)
	v_add_f32_e32 v4, s4, v4
.LBB195_14:
	v_cvt_f32_f16_sdwa v11, v6 dst_sel:DWORD dst_unused:UNUSED_PAD src0_sel:WORD_1
	v_mul_f32_e32 v12, 0x3fb8aa3b, v11
	v_exp_f32_e32 v12, v12
	s_nop 0
	v_add_f32_e32 v12, 1.0, v12
	v_cmp_gt_f32_e32 vcc, s12, v12
	s_nop 1
	v_cndmask_b32_e32 v9, 1.0, v9, vcc
	v_mul_f32_e32 v9, v12, v9
	v_log_f32_e32 v9, v9
	v_cndmask_b32_e32 v10, 0, v10, vcc
	v_mul_f32_e32 v12, 0x3f317217, v9
	v_fma_f32 v12, v9, s7, -v12
	v_fmac_f32_e32 v12, 0x3377d1cf, v9
	v_fmac_f32_e32 v12, 0x3f317217, v9
	v_cmp_lt_f32_e64 vcc, |v9|, s13
	s_nop 1
	v_cndmask_b32_e32 v9, v9, v12, vcc
	v_sub_f32_e32 v9, v9, v10
	v_cmp_gt_f16_sdwa vcc, v6, s6 src0_sel:WORD_1 src1_sel:DWORD
	s_nop 1
	v_cndmask_b32_e32 v6, v9, v11, vcc
	v_mul_f32_e32 v9, 0x4f800000, v6
	v_cmp_gt_f32_e64 s[4:5], s14, v6
	s_and_b64 vcc, exec, s[2:3]
	s_nop 0
	v_cndmask_b32_e64 v6, v6, v9, s[4:5]
	v_sqrt_f32_e32 v9, v6
	s_nop 0
	v_add_u32_e32 v10, -1, v9
	v_add_u32_e32 v11, 1, v9
	v_fma_f32 v12, -v10, v9, v6
	v_fma_f32 v13, -v11, v9, v6
	v_cmp_ge_f32_e64 s[6:7], 0, v12
	s_nop 1
	v_cndmask_b32_e64 v9, v9, v10, s[6:7]
	v_cmp_lt_f32_e64 s[6:7], 0, v13
	s_nop 1
	v_cndmask_b32_e64 v9, v9, v11, s[6:7]
	v_mul_f32_e32 v10, 0x37800000, v9
	v_cndmask_b32_e64 v9, v9, v10, s[4:5]
	v_cmp_class_f32_e64 s[4:5], v6, v5
	s_nop 1
	v_cndmask_b32_e64 v5, v9, v6, s[4:5]
	s_cbranch_vccnz .LBB195_16
; %bb.15:
	s_load_dword s4, s[10:11], 0x14
	s_waitcnt lgkmcnt(0)
	v_add_f32_e32 v5, s4, v5
.LBB195_16:
	v_cvt_f32_f16_e32 v6, v7
	v_mov_b32_e32 v10, 0x4f800000
	s_mov_b32 s7, 0x3f317217
	s_movk_i32 s6, 0x4d00
	v_mul_f32_e32 v9, 0x3fb8aa3b, v6
	v_exp_f32_e32 v9, v9
	s_nop 0
	v_add_f32_e32 v9, 1.0, v9
	v_cmp_gt_f32_e32 vcc, s12, v9
	s_nop 1
	v_cndmask_b32_e32 v11, 1.0, v10, vcc
	v_mul_f32_e32 v9, v9, v11
	v_log_f32_e32 v9, v9
	v_mov_b32_e32 v11, 0x41b17218
	v_cndmask_b32_e32 v12, 0, v11, vcc
	v_mul_f32_e32 v13, 0x3f317217, v9
	v_fma_f32 v13, v9, s7, -v13
	v_fmac_f32_e32 v13, 0x3377d1cf, v9
	v_fmac_f32_e32 v13, 0x3f317217, v9
	v_cmp_lt_f32_e64 vcc, |v9|, s13
	s_nop 1
	v_cndmask_b32_e32 v9, v9, v13, vcc
	v_sub_f32_e32 v9, v9, v12
	v_cmp_lt_f16_e32 vcc, s6, v7
	s_nop 1
	v_cndmask_b32_e32 v6, v9, v6, vcc
	v_mul_f32_e32 v9, 0x4f800000, v6
	v_cmp_gt_f32_e32 vcc, s14, v6
	s_nop 1
	v_cndmask_b32_e32 v6, v6, v9, vcc
	v_sqrt_f32_e32 v9, v6
	s_nop 0
	v_add_u32_e32 v12, -1, v9
	v_fma_f32 v13, -v12, v9, v6
	v_cmp_ge_f32_e64 s[4:5], 0, v13
	v_add_u32_e32 v13, 1, v9
	s_nop 0
	v_cndmask_b32_e64 v12, v9, v12, s[4:5]
	v_fma_f32 v9, -v13, v9, v6
	v_cmp_lt_f32_e64 s[4:5], 0, v9
	s_nop 1
	v_cndmask_b32_e64 v9, v12, v13, s[4:5]
	v_mul_f32_e32 v12, 0x37800000, v9
	v_cndmask_b32_e32 v12, v9, v12, vcc
	v_mov_b32_e32 v9, 0x260
	v_cmp_class_f32_e64 s[4:5], v6, v9
	s_and_b64 vcc, exec, s[2:3]
	s_nop 0
	v_cndmask_b32_e64 v6, v12, v6, s[4:5]
	s_cbranch_vccnz .LBB195_18
; %bb.17:
	s_load_dword s4, s[10:11], 0x18
	s_waitcnt lgkmcnt(0)
	v_add_f32_e32 v6, s4, v6
.LBB195_18:
	v_cvt_f32_f16_sdwa v12, v7 dst_sel:DWORD dst_unused:UNUSED_PAD src0_sel:WORD_1
	v_mul_f32_e32 v13, 0x3fb8aa3b, v12
	v_exp_f32_e32 v13, v13
	s_nop 0
	v_add_f32_e32 v13, 1.0, v13
	v_cmp_gt_f32_e32 vcc, s12, v13
	s_nop 1
	v_cndmask_b32_e32 v10, 1.0, v10, vcc
	v_mul_f32_e32 v10, v13, v10
	v_log_f32_e32 v10, v10
	v_cndmask_b32_e32 v11, 0, v11, vcc
	v_mul_f32_e32 v13, 0x3f317217, v10
	v_fma_f32 v13, v10, s7, -v13
	v_fmac_f32_e32 v13, 0x3377d1cf, v10
	v_fmac_f32_e32 v13, 0x3f317217, v10
	v_cmp_lt_f32_e64 vcc, |v10|, s13
	s_nop 1
	v_cndmask_b32_e32 v10, v10, v13, vcc
	v_sub_f32_e32 v10, v10, v11
	v_cmp_gt_f16_sdwa vcc, v7, s6 src0_sel:WORD_1 src1_sel:DWORD
	s_nop 1
	v_cndmask_b32_e32 v7, v10, v12, vcc
	v_mul_f32_e32 v10, 0x4f800000, v7
	v_cmp_gt_f32_e64 s[4:5], s14, v7
	s_and_b64 vcc, exec, s[2:3]
	s_nop 0
	v_cndmask_b32_e64 v7, v7, v10, s[4:5]
	v_sqrt_f32_e32 v10, v7
	s_nop 0
	v_add_u32_e32 v11, -1, v10
	v_add_u32_e32 v12, 1, v10
	v_fma_f32 v13, -v11, v10, v7
	v_fma_f32 v14, -v12, v10, v7
	v_cmp_ge_f32_e64 s[6:7], 0, v13
	s_nop 1
	v_cndmask_b32_e64 v10, v10, v11, s[6:7]
	v_cmp_lt_f32_e64 s[6:7], 0, v14
	s_nop 1
	v_cndmask_b32_e64 v10, v10, v12, s[6:7]
	v_mul_f32_e32 v11, 0x37800000, v10
	v_cndmask_b32_e64 v10, v10, v11, s[4:5]
	v_cmp_class_f32_e64 s[4:5], v7, v9
	s_nop 1
	v_cndmask_b32_e64 v7, v10, v7, s[4:5]
	s_cbranch_vccnz .LBB195_20
; %bb.19:
	s_load_dword s4, s[10:11], 0x1c
	s_waitcnt lgkmcnt(0)
	v_add_f32_e32 v7, s4, v7
.LBB195_20:
	s_load_dwordx4 s[12:15], s[0:1], 0x30
	s_mov_b32 s25, 0
	s_waitcnt lgkmcnt(0)
	s_bitcmp1_b32 s15, 0
	s_cselect_b64 s[4:5], -1, 0
	s_cmp_gt_i32 s12, 0
	s_cselect_b64 s[6:7], -1, 0
	s_and_b64 vcc, exec, s[6:7]
	v_mul_lo_u32 v10, v8, s12
	s_cbranch_vccz .LBB195_27
; %bb.21:
	s_load_dwordx4 s[16:19], s[0:1], 0x20
	v_mov_b32_e32 v13, 0
	v_mov_b32_e32 v11, 0xc61c4000
	;; [unrolled: 1-line block ×3, first 2 shown]
	s_branch .LBB195_23
.LBB195_22:                             ;   in Loop: Header=BB195_23 Depth=1
	v_add_f32_e32 v12, v9, v14
	v_cndmask_b32_e64 v9, v9, v12, s[4:5]
	s_cmp_lg_u32 s12, s25
	v_add_u32_e32 v8, s24, v8
	s_cbranch_scc0 .LBB195_28
.LBB195_23:                             ; =>This Inner Loop Header: Depth=1
	v_cmp_gt_f32_e32 vcc, v1, v0
	s_nop 1
	v_cndmask_b32_e32 v14, v0, v1, vcc
	v_cndmask_b32_e64 v12, 0, 1, vcc
	v_cmp_gt_f32_e32 vcc, v2, v14
	s_nop 1
	v_cndmask_b32_e32 v14, v14, v2, vcc
	v_cndmask_b32_e64 v12, v12, 2, vcc
	;; [unrolled: 4-line block ×6, first 2 shown]
	v_cmp_gt_f32_e64 s[0:1], v7, v14
	s_and_b64 vcc, exec, s[2:3]
	s_nop 0
	v_cndmask_b32_e64 v12, v12, 7, s[0:1]
	v_cndmask_b32_e64 v14, v14, v7, s[0:1]
	s_cbranch_vccnz .LBB195_25
; %bb.24:                               ;   in Loop: Header=BB195_23 Depth=1
	v_lshl_add_u64 v[16:17], v[12:13], 2, s[10:11]
	global_load_dword v15, v[16:17], off
	s_waitcnt vmcnt(0)
	v_sub_f32_e32 v14, v14, v15
.LBB195_25:                             ;   in Loop: Header=BB195_23 Depth=1
	v_add_u32_e32 v16, s25, v10
	v_cmp_le_i32_e32 vcc, s13, v12
	v_cmp_gt_i32_e64 s[0:1], s14, v12
	v_ashrrev_i32_e32 v17, 31, v16
	s_and_b64 s[0:1], vcc, s[0:1]
	v_lshlrev_b64 v[16:17], 2, v[16:17]
	v_lshl_add_u64 v[18:19], s[20:21], 0, v[16:17]
	v_subrev_u32_e32 v15, s13, v12
	s_and_b64 vcc, s[22:23], s[0:1]
	s_add_i32 s25, s25, 1
	global_store_dword v[18:19], v14, off
	v_cndmask_b32_e32 v15, 8, v15, vcc
	s_waitcnt lgkmcnt(0)
	v_lshl_add_u64 v[18:19], s[16:17], 0, v[16:17]
	v_lshl_add_u64 v[16:17], s[18:19], 0, v[16:17]
	s_cmp_ge_i32 s25, s12
	global_store_dword v[18:19], v15, off
	global_store_dword v[16:17], v8, off
	s_cbranch_scc1 .LBB195_22
; %bb.26:                               ;   in Loop: Header=BB195_23 Depth=1
	v_cmp_ne_u32_e32 vcc, 7, v12
	s_nop 1
	v_cndmask_b32_e32 v7, v11, v7, vcc
	v_cmp_ne_u32_e32 vcc, 6, v12
	s_nop 1
	v_cndmask_b32_e32 v6, v11, v6, vcc
	;; [unrolled: 3-line block ×8, first 2 shown]
	s_branch .LBB195_22
.LBB195_27:
	v_mov_b32_e32 v9, 0
.LBB195_28:
	s_andn2_b64 vcc, exec, s[4:5]
	v_cvt_f32_f64_e32 v0, s[8:9]
	s_cbranch_vccnz .LBB195_30
; %bb.29:
	v_cmp_lt_f32_e32 vcc, 0, v9
	s_nop 1
	v_cndmask_b32_e32 v1, 1.0, v9, vcc
	v_div_scale_f32 v2, s[0:1], v1, v1, v0
	v_rcp_f32_e32 v3, v2
	s_nop 0
	v_fma_f32 v4, -v2, v3, 1.0
	v_fmac_f32_e32 v3, v4, v3
	v_div_scale_f32 v4, vcc, v0, v1, v0
	v_mul_f32_e32 v5, v4, v3
	v_fma_f32 v6, -v2, v5, v4
	v_fmac_f32_e32 v5, v6, v3
	v_fma_f32 v2, -v2, v5, v4
	v_div_fmas_f32 v2, v2, v3, v5
	v_div_fixup_f32 v0, v2, v1, v0
.LBB195_30:
	s_andn2_b64 vcc, exec, s[6:7]
	s_cbranch_vccnz .LBB195_40
; %bb.31:
	s_cmp_gt_u32 s12, 3
	v_ashrrev_i32_e32 v11, 31, v10
	s_cbranch_scc0 .LBB195_35
; %bb.32:
	s_and_b32 s0, s12, 0x7ffffffc
	v_lshl_add_u64 v[2:3], v[10:11], 2, s[20:21]
	v_mov_b32_e32 v1, v0
	v_lshl_add_u64 v[2:3], v[2:3], 0, 8
	s_mov_b32 s1, s0
.LBB195_33:                             ; =>This Inner Loop Header: Depth=1
	global_load_dwordx4 v[4:7], v[2:3], off offset:-8
	s_add_i32 s1, s1, -4
	s_cmp_lg_u32 s1, 0
	s_waitcnt vmcnt(0)
	v_pk_mul_f32 v[4:5], v[0:1], v[4:5]
	v_pk_mul_f32 v[6:7], v[0:1], v[6:7]
	global_store_dwordx4 v[2:3], v[4:7], off offset:-8
	v_lshl_add_u64 v[2:3], v[2:3], 0, 16
	s_cbranch_scc1 .LBB195_33
; %bb.34:
	s_cmp_lg_u32 s0, s12
	s_cselect_b64 s[2:3], -1, 0
	s_branch .LBB195_37
.LBB195_35:
	s_mov_b64 s[2:3], 0
                                        ; implicit-def: $sgpr0
	s_cbranch_execz .LBB195_37
; %bb.36:
	s_mov_b64 s[2:3], -1
	s_mov_b32 s0, 0
.LBB195_37:
	s_andn2_b64 vcc, exec, s[2:3]
	s_cbranch_vccnz .LBB195_40
; %bb.38:
	s_mov_b32 s1, 0
	v_lshl_add_u64 v[2:3], v[10:11], 0, s[0:1]
	s_sub_i32 s2, s12, s0
	v_lshl_add_u64 v[2:3], v[2:3], 2, s[20:21]
.LBB195_39:                             ; =>This Inner Loop Header: Depth=1
	global_load_dword v1, v[2:3], off
	s_add_i32 s2, s2, -1
	s_cmp_lg_u32 s2, 0
	s_waitcnt vmcnt(0)
	v_mul_f32_e32 v1, v0, v1
	global_store_dword v[2:3], v1, off
	v_lshl_add_u64 v[2:3], v[2:3], 0, 4
	s_cbranch_scc1 .LBB195_39
.LBB195_40:
	s_endpgm
	.section	.rodata,"a",@progbits
	.p2align	6, 0x0
	.amdhsa_kernel _ZN4vllm3moe22topkGatingSoftplusSqrtILi8ELi8ELi4ELi16ELi32ELb0Ei6__halfEEvPKT6_PKbPfiPT5_PiiiibdPKfPKS9_SF_
		.amdhsa_group_segment_fixed_size 0
		.amdhsa_private_segment_fixed_size 0
		.amdhsa_kernarg_size 96
		.amdhsa_user_sgpr_count 2
		.amdhsa_user_sgpr_dispatch_ptr 0
		.amdhsa_user_sgpr_queue_ptr 0
		.amdhsa_user_sgpr_kernarg_segment_ptr 1
		.amdhsa_user_sgpr_dispatch_id 0
		.amdhsa_user_sgpr_kernarg_preload_length 0
		.amdhsa_user_sgpr_kernarg_preload_offset 0
		.amdhsa_user_sgpr_private_segment_size 0
		.amdhsa_uses_dynamic_stack 0
		.amdhsa_enable_private_segment 0
		.amdhsa_system_sgpr_workgroup_id_x 1
		.amdhsa_system_sgpr_workgroup_id_y 0
		.amdhsa_system_sgpr_workgroup_id_z 0
		.amdhsa_system_sgpr_workgroup_info 0
		.amdhsa_system_vgpr_workitem_id 1
		.amdhsa_next_free_vgpr 20
		.amdhsa_next_free_sgpr 26
		.amdhsa_accum_offset 20
		.amdhsa_reserve_vcc 1
		.amdhsa_float_round_mode_32 0
		.amdhsa_float_round_mode_16_64 0
		.amdhsa_float_denorm_mode_32 3
		.amdhsa_float_denorm_mode_16_64 3
		.amdhsa_dx10_clamp 1
		.amdhsa_ieee_mode 1
		.amdhsa_fp16_overflow 0
		.amdhsa_tg_split 0
		.amdhsa_exception_fp_ieee_invalid_op 0
		.amdhsa_exception_fp_denorm_src 0
		.amdhsa_exception_fp_ieee_div_zero 0
		.amdhsa_exception_fp_ieee_overflow 0
		.amdhsa_exception_fp_ieee_underflow 0
		.amdhsa_exception_fp_ieee_inexact 0
		.amdhsa_exception_int_div_zero 0
	.end_amdhsa_kernel
	.section	.text._ZN4vllm3moe22topkGatingSoftplusSqrtILi8ELi8ELi4ELi16ELi32ELb0Ei6__halfEEvPKT6_PKbPfiPT5_PiiiibdPKfPKS9_SF_,"axG",@progbits,_ZN4vllm3moe22topkGatingSoftplusSqrtILi8ELi8ELi4ELi16ELi32ELb0Ei6__halfEEvPKT6_PKbPfiPT5_PiiiibdPKfPKS9_SF_,comdat
.Lfunc_end195:
	.size	_ZN4vllm3moe22topkGatingSoftplusSqrtILi8ELi8ELi4ELi16ELi32ELb0Ei6__halfEEvPKT6_PKbPfiPT5_PiiiibdPKfPKS9_SF_, .Lfunc_end195-_ZN4vllm3moe22topkGatingSoftplusSqrtILi8ELi8ELi4ELi16ELi32ELb0Ei6__halfEEvPKT6_PKbPfiPT5_PiiiibdPKfPKS9_SF_
                                        ; -- End function
	.section	.AMDGPU.csdata,"",@progbits
; Kernel info:
; codeLenInByte = 3352
; NumSgprs: 32
; NumVgprs: 20
; NumAgprs: 0
; TotalNumVgprs: 20
; ScratchSize: 0
; MemoryBound: 0
; FloatMode: 240
; IeeeMode: 1
; LDSByteSize: 0 bytes/workgroup (compile time only)
; SGPRBlocks: 3
; VGPRBlocks: 2
; NumSGPRsForWavesPerEU: 32
; NumVGPRsForWavesPerEU: 20
; AccumOffset: 20
; Occupancy: 8
; WaveLimiterHint : 0
; COMPUTE_PGM_RSRC2:SCRATCH_EN: 0
; COMPUTE_PGM_RSRC2:USER_SGPR: 2
; COMPUTE_PGM_RSRC2:TRAP_HANDLER: 0
; COMPUTE_PGM_RSRC2:TGID_X_EN: 1
; COMPUTE_PGM_RSRC2:TGID_Y_EN: 0
; COMPUTE_PGM_RSRC2:TGID_Z_EN: 0
; COMPUTE_PGM_RSRC2:TIDIG_COMP_CNT: 1
; COMPUTE_PGM_RSRC3_GFX90A:ACCUM_OFFSET: 4
; COMPUTE_PGM_RSRC3_GFX90A:TG_SPLIT: 0
	.section	.text._ZN4vllm3moe22topkGatingSoftplusSqrtILi8ELi16ELi4ELi16ELi64ELb1Ei6__halfEEvPKT6_PKbPfiPT5_PiiiibdPKfPKS9_SF_,"axG",@progbits,_ZN4vllm3moe22topkGatingSoftplusSqrtILi8ELi16ELi4ELi16ELi64ELb1Ei6__halfEEvPKT6_PKbPfiPT5_PiiiibdPKfPKS9_SF_,comdat
	.protected	_ZN4vllm3moe22topkGatingSoftplusSqrtILi8ELi16ELi4ELi16ELi64ELb1Ei6__halfEEvPKT6_PKbPfiPT5_PiiiibdPKfPKS9_SF_ ; -- Begin function _ZN4vllm3moe22topkGatingSoftplusSqrtILi8ELi16ELi4ELi16ELi64ELb1Ei6__halfEEvPKT6_PKbPfiPT5_PiiiibdPKfPKS9_SF_
	.globl	_ZN4vllm3moe22topkGatingSoftplusSqrtILi8ELi16ELi4ELi16ELi64ELb1Ei6__halfEEvPKT6_PKbPfiPT5_PiiiibdPKfPKS9_SF_
	.p2align	8
	.type	_ZN4vllm3moe22topkGatingSoftplusSqrtILi8ELi16ELi4ELi16ELi64ELb1Ei6__halfEEvPKT6_PKbPfiPT5_PiiiibdPKfPKS9_SF_,@function
_ZN4vllm3moe22topkGatingSoftplusSqrtILi8ELi16ELi4ELi16ELi64ELb1Ei6__halfEEvPKT6_PKbPfiPT5_PiiiibdPKfPKS9_SF_: ; @_ZN4vllm3moe22topkGatingSoftplusSqrtILi8ELi16ELi4ELi16ELi64ELb1Ei6__halfEEvPKT6_PKbPfiPT5_PiiiibdPKfPKS9_SF_
; %bb.0:
	s_load_dword s3, s[0:1], 0x18
	v_bfe_u32 v1, v0, 10, 10
	v_and_b32_e32 v11, 0x3ff, v0
	s_lshl_b32 s2, s2, 7
	v_lshlrev_b32_e32 v1, 5, v1
	v_lshrrev_b32_e32 v0, 1, v11
	v_add3_u32 v6, s2, v1, v0
	s_waitcnt lgkmcnt(0)
	v_cmp_gt_i32_e32 vcc, s3, v6
	s_and_saveexec_b64 s[2:3], vcc
	s_cbranch_execz .LBB196_31
; %bb.1:
	s_load_dwordx2 s[2:3], s[0:1], 0x0
	s_load_dword s33, s[0:1], 0x30
	v_lshlrev_b32_e32 v0, 4, v6
	v_lshlrev_b32_e32 v2, 3, v11
	v_ashrrev_i32_e32 v1, 31, v0
	v_and_b32_e32 v10, 8, v2
	s_waitcnt lgkmcnt(0)
	v_lshl_add_u64 v[0:1], v[0:1], 1, s[2:3]
	v_lshlrev_b32_e32 v4, 1, v10
	v_mov_b32_e32 v5, 0
	v_lshl_add_u64 v[0:1], v[0:1], 0, v[4:5]
	global_load_dwordx4 v[0:3], v[0:1], off
	s_load_dwordx4 s[8:11], s[0:1], 0x50
	v_ashrrev_i32_e32 v7, 31, v6
	s_mov_b32 s15, 0x800000
	s_mov_b32 s13, 0x3f317217
	;; [unrolled: 1-line block ×3, first 2 shown]
	s_waitcnt lgkmcnt(0)
	v_mov_b32_e32 v8, s8
	v_mov_b32_e32 v9, s9
	v_lshl_add_u64 v[8:9], v[6:7], 2, v[8:9]
	global_load_dword v4, v[8:9], off
	v_mov_b32_e32 v7, 0x4f800000
	v_mov_b32_e32 v16, 0x41b17218
	s_movk_i32 s9, 0x4d00
	s_mov_b32 s12, 0xf800000
	v_mov_b32_e32 v17, 0x260
	s_cmp_gt_i32 s33, 0
	s_mov_b32 s8, 0
	s_waitcnt vmcnt(1)
	v_cvt_f32_f16_e32 v18, v0
	v_cvt_f32_f16_sdwa v19, v0 dst_sel:DWORD dst_unused:UNUSED_PAD src0_sel:WORD_1
	v_cvt_f32_f16_e32 v20, v1
	v_cvt_f32_f16_sdwa v21, v1 dst_sel:DWORD dst_unused:UNUSED_PAD src0_sel:WORD_1
	v_mul_f32_e32 v8, 0x3fb8aa3b, v18
	v_mul_f32_e32 v9, 0x3fb8aa3b, v19
	v_exp_f32_e32 v12, v8
	v_exp_f32_e32 v13, v9
	v_mul_f32_e32 v14, 0x3fb8aa3b, v20
	v_mul_f32_e32 v15, 0x3fb8aa3b, v21
	v_exp_f32_e32 v14, v14
	v_exp_f32_e32 v15, v15
	v_pk_add_f32 v[12:13], v[12:13], 1.0 op_sel_hi:[1,0]
	s_waitcnt vmcnt(0)
	v_mul_lo_u32 v8, v4, s33
	v_cmp_gt_f32_e32 vcc, s15, v13
	v_pk_add_f32 v[14:15], v[14:15], 1.0 op_sel_hi:[1,0]
	v_cmp_gt_f32_e64 s[2:3], s15, v12
	v_cndmask_b32_e32 v4, 1.0, v7, vcc
	v_cmp_gt_f32_e64 s[4:5], s15, v15
	v_cndmask_b32_e64 v22, 1.0, v7, s[2:3]
	v_mul_f32_e32 v4, v13, v4
	v_cndmask_b32_e64 v23, 1.0, v7, s[4:5]
	v_mul_f32_e32 v12, v12, v22
	v_log_f32_e32 v4, v4
	v_mul_f32_e32 v15, v15, v23
	v_log_f32_e32 v12, v12
	v_cmp_gt_f32_e64 s[6:7], s15, v14
	v_log_f32_e32 v15, v15
	v_cndmask_b32_e32 v13, 0, v16, vcc
	v_cndmask_b32_e64 v24, 1.0, v7, s[6:7]
	v_mul_f32_e32 v14, v14, v24
	v_mul_f32_e32 v24, 0x3f317217, v4
	;; [unrolled: 1-line block ×3, first 2 shown]
	v_fma_f32 v24, v4, s13, -v24
	v_mul_f32_e32 v26, 0x3f317217, v15
	v_fma_f32 v25, v12, s13, -v25
	v_fmac_f32_e32 v24, 0x3377d1cf, v4
	v_fma_f32 v26, v15, s13, -v26
	v_fmac_f32_e32 v25, 0x3377d1cf, v12
	v_fmac_f32_e32 v24, 0x3f317217, v4
	v_cmp_lt_f32_e64 vcc, |v4|, s14
	v_fmac_f32_e32 v26, 0x3377d1cf, v15
	v_fmac_f32_e32 v25, 0x3f317217, v12
	v_cndmask_b32_e32 v4, v4, v24, vcc
	v_cmp_lt_f32_e64 vcc, |v12|, s14
	v_cndmask_b32_e64 v22, 0, v16, s[2:3]
	v_fmac_f32_e32 v26, 0x3f317217, v15
	v_cndmask_b32_e32 v12, v12, v25, vcc
	v_cmp_lt_f32_e64 vcc, |v15|, s14
	v_sub_f32_e32 v12, v12, v22
	v_sub_f32_e32 v4, v4, v13
	v_cndmask_b32_e32 v15, v15, v26, vcc
	v_cmp_lt_f16_e32 vcc, s9, v0
	v_cndmask_b32_e64 v23, 0, v16, s[4:5]
	v_log_f32_e32 v14, v14
	v_cndmask_b32_e32 v12, v12, v18, vcc
	v_cmp_gt_f16_sdwa vcc, v0, s9 src0_sel:WORD_1 src1_sel:DWORD
	v_mul_f32_e32 v13, 0x4f800000, v12
	v_cmp_gt_f32_e64 s[2:3], s12, v12
	v_cndmask_b32_e32 v0, v4, v19, vcc
	v_mul_f32_e32 v4, 0x4f800000, v0
	v_cmp_gt_f32_e32 vcc, s12, v0
	v_cndmask_b32_e64 v12, v12, v13, s[2:3]
	v_sqrt_f32_e32 v13, v12
	v_cndmask_b32_e32 v0, v0, v4, vcc
	v_sqrt_f32_e32 v4, v0
	v_sub_f32_e32 v15, v15, v23
	v_add_u32_e32 v22, -1, v13
	v_fma_f32 v26, -v22, v13, v12
	v_add_u32_e32 v18, -1, v4
	v_fma_f32 v24, -v18, v4, v0
	v_add_u32_e32 v19, 1, v4
	v_cmp_ge_f32_e64 s[4:5], 0, v24
	v_add_u32_e32 v23, 1, v13
	v_fma_f32 v25, -v19, v4, v0
	v_cndmask_b32_e64 v4, v4, v18, s[4:5]
	v_cmp_ge_f32_e64 s[4:5], 0, v26
	v_fma_f32 v28, -v23, v13, v12
	v_mul_f32_e32 v27, 0x3f317217, v14
	v_cndmask_b32_e64 v13, v13, v22, s[4:5]
	v_cmp_lt_f32_e64 s[4:5], 0, v25
	v_fma_f32 v27, v14, s13, -v27
	v_fmac_f32_e32 v27, 0x3377d1cf, v14
	v_cndmask_b32_e64 v4, v4, v19, s[4:5]
	v_cmp_lt_f32_e64 s[4:5], 0, v28
	v_mul_f32_e32 v18, 0x37800000, v4
	v_cndmask_b32_e32 v4, v4, v18, vcc
	v_cndmask_b32_e64 v13, v13, v23, s[4:5]
	v_mul_f32_e32 v19, 0x37800000, v13
	v_cmp_class_f32_e32 vcc, v0, v17
	v_cndmask_b32_e64 v18, v13, v19, s[2:3]
	v_fmac_f32_e32 v27, 0x3f317217, v14
	v_cndmask_b32_e32 v13, v4, v0, vcc
	v_cmp_class_f32_e32 vcc, v12, v17
	v_cndmask_b32_e64 v4, 0, v16, s[6:7]
	v_cmp_lt_f16_e64 s[2:3], s9, v1
	v_cndmask_b32_e32 v12, v18, v12, vcc
	v_cmp_lt_f32_e64 vcc, |v14|, s14
	v_cvt_f32_f16_e32 v19, v2
	v_ashrrev_i32_e32 v9, 31, v8
	v_cndmask_b32_e32 v0, v14, v27, vcc
	v_cmp_gt_f16_sdwa vcc, v1, s9 src0_sel:WORD_1 src1_sel:DWORD
	v_sub_f32_e32 v0, v0, v4
	v_cndmask_b32_e64 v0, v0, v20, s[2:3]
	v_cndmask_b32_e32 v14, v15, v21, vcc
	v_mul_f32_e32 v15, 0x4f800000, v14
	v_cmp_gt_f32_e32 vcc, s12, v14
	v_cvt_f32_f16_sdwa v20, v2 dst_sel:DWORD dst_unused:UNUSED_PAD src0_sel:WORD_1
	s_nop 0
	v_cndmask_b32_e32 v14, v14, v15, vcc
	v_sqrt_f32_e32 v15, v14
	s_nop 0
	v_add_u32_e32 v1, -1, v15
	v_fma_f32 v4, -v1, v15, v14
	v_cmp_ge_f32_e64 s[2:3], 0, v4
	v_add_u32_e32 v4, 1, v15
	s_nop 0
	v_cndmask_b32_e64 v1, v15, v1, s[2:3]
	v_fma_f32 v15, -v4, v15, v14
	v_cmp_lt_f32_e64 s[2:3], 0, v15
	v_mul_f32_e32 v15, 0x4f800000, v0
	s_nop 0
	v_cndmask_b32_e64 v1, v1, v4, s[2:3]
	v_cmp_gt_f32_e64 s[2:3], s12, v0
	v_mul_f32_e32 v4, 0x37800000, v1
	v_cndmask_b32_e32 v1, v1, v4, vcc
	v_cndmask_b32_e64 v18, v0, v15, s[2:3]
	v_sqrt_f32_e32 v0, v18
	v_cmp_class_f32_e32 vcc, v14, v17
	s_nop 1
	v_cndmask_b32_e32 v15, v1, v14, vcc
	v_add_u32_e32 v1, -1, v0
	v_fma_f32 v4, -v1, v0, v18
	v_cmp_ge_f32_e32 vcc, 0, v4
	v_add_u32_e32 v14, 1, v0
	v_fma_f32 v21, -v14, v0, v18
	v_cndmask_b32_e32 v4, v0, v1, vcc
	v_mul_f32_e32 v0, 0x3fb8aa3b, v19
	v_mul_f32_e32 v1, 0x3fb8aa3b, v20
	v_exp_f32_e32 v0, v0
	v_exp_f32_e32 v1, v1
	v_cmp_lt_f32_e32 vcc, 0, v21
	v_pk_add_f32 v[0:1], v[0:1], 1.0 op_sel_hi:[1,0]
	s_nop 0
	v_cndmask_b32_e32 v4, v4, v14, vcc
	v_mul_f32_e32 v14, 0x37800000, v4
	v_cmp_gt_f32_e32 vcc, s15, v1
	v_cndmask_b32_e64 v4, v4, v14, s[2:3]
	v_cmp_class_f32_e64 s[2:3], v18, v17
	v_cndmask_b32_e32 v14, 1.0, v7, vcc
	v_mul_f32_e32 v1, v1, v14
	v_log_f32_e32 v1, v1
	v_cndmask_b32_e64 v14, v4, v18, s[2:3]
	v_cmp_gt_f32_e64 s[2:3], s15, v0
	scratch_store_dwordx4 off, v[12:15], off
	v_mul_f32_e32 v4, 0x3f317217, v1
	v_fma_f32 v4, v1, s13, -v4
	v_cndmask_b32_e64 v12, 1.0, v7, s[2:3]
	v_mul_f32_e32 v0, v0, v12
	v_log_f32_e32 v0, v0
	v_fmac_f32_e32 v4, 0x3377d1cf, v1
	v_fmac_f32_e32 v4, 0x3f317217, v1
	v_cmp_lt_f32_e64 s[4:5], |v1|, s14
	v_cvt_f32_f16_sdwa v15, v3 dst_sel:DWORD dst_unused:UNUSED_PAD src0_sel:WORD_1
	v_mul_f32_e32 v13, 0x3fb8aa3b, v15
	v_cndmask_b32_e64 v1, v1, v4, s[4:5]
	v_cndmask_b32_e32 v4, 0, v16, vcc
	v_sub_f32_e32 v1, v1, v4
	v_mul_f32_e32 v4, 0x3f317217, v0
	v_fma_f32 v4, v0, s13, -v4
	v_fmac_f32_e32 v4, 0x3377d1cf, v0
	v_fmac_f32_e32 v4, 0x3f317217, v0
	v_cmp_lt_f32_e64 vcc, |v0|, s14
	v_exp_f32_e32 v13, v13
	s_nop 0
	v_cndmask_b32_e32 v0, v0, v4, vcc
	v_cmp_gt_f16_sdwa vcc, v2, s9 src0_sel:WORD_1 src1_sel:DWORD
	v_cndmask_b32_e64 v4, 0, v16, s[2:3]
	v_cmp_lt_f16_e64 s[2:3], s9, v2
	v_cndmask_b32_e32 v1, v1, v20, vcc
	v_mul_f32_e32 v12, 0x4f800000, v1
	v_cmp_gt_f32_e32 vcc, s12, v1
	v_sub_f32_e32 v0, v0, v4
	v_cndmask_b32_e64 v0, v0, v19, s[2:3]
	v_cndmask_b32_e32 v1, v1, v12, vcc
	v_sqrt_f32_e32 v12, v1
	s_nop 0
	v_add_u32_e32 v2, -1, v12
	v_fma_f32 v4, -v2, v12, v1
	v_cmp_ge_f32_e64 s[2:3], 0, v4
	v_add_u32_e32 v4, 1, v12
	s_nop 0
	v_cndmask_b32_e64 v2, v12, v2, s[2:3]
	v_fma_f32 v12, -v4, v12, v1
	v_cmp_lt_f32_e64 s[2:3], 0, v12
	v_mul_f32_e32 v12, 0x4f800000, v0
	s_nop 0
	v_cndmask_b32_e64 v2, v2, v4, s[2:3]
	v_cmp_gt_f32_e64 s[2:3], s12, v0
	v_mul_f32_e32 v4, 0x37800000, v2
	v_cndmask_b32_e32 v2, v2, v4, vcc
	v_cndmask_b32_e64 v0, v0, v12, s[2:3]
	v_sqrt_f32_e32 v12, v0
	v_cmp_class_f32_e32 vcc, v1, v17
	v_add_u32_e32 v14, 1, v12
	s_nop 0
	v_cndmask_b32_e32 v1, v2, v1, vcc
	v_add_u32_e32 v2, -1, v12
	v_fma_f32 v4, -v2, v12, v0
	v_cmp_ge_f32_e32 vcc, 0, v4
	v_cvt_f32_f16_e32 v4, v3
	v_fma_f32 v18, -v14, v12, v0
	v_cndmask_b32_e32 v2, v12, v2, vcc
	v_cmp_lt_f32_e32 vcc, 0, v18
	v_mul_f32_e32 v12, 0x3fb8aa3b, v4
	v_exp_f32_e32 v12, v12
	v_cndmask_b32_e32 v2, v2, v14, vcc
	v_mul_f32_e32 v14, 0x37800000, v2
	v_cndmask_b32_e64 v2, v2, v14, s[2:3]
	v_pk_add_f32 v[12:13], v[12:13], 1.0 op_sel_hi:[1,0]
	v_cmp_class_f32_e64 s[2:3], v0, v17
	v_cmp_gt_f32_e32 vcc, s15, v13
	s_nop 0
	v_cndmask_b32_e64 v0, v2, v0, s[2:3]
	v_cndmask_b32_e32 v18, 1.0, v7, vcc
	v_mul_f32_e32 v13, v13, v18
	v_log_f32_e32 v13, v13
	v_cmp_gt_f32_e64 s[2:3], s15, v12
	v_mul_f32_e32 v2, 0x3f317217, v13
	s_nop 0
	v_cndmask_b32_e64 v7, 1.0, v7, s[2:3]
	v_mul_f32_e32 v7, v12, v7
	v_fma_f32 v2, v13, s13, -v2
	v_log_f32_e32 v7, v7
	v_fmac_f32_e32 v2, 0x3377d1cf, v13
	v_fmac_f32_e32 v2, 0x3f317217, v13
	v_cmp_lt_f32_e64 s[4:5], |v13|, s14
	v_cndmask_b32_e32 v12, 0, v16, vcc
	v_cmp_lt_f32_e64 vcc, |v7|, s14
	v_cndmask_b32_e64 v2, v13, v2, s[4:5]
	v_sub_f32_e32 v2, v2, v12
	v_mul_f32_e32 v12, 0x3f317217, v7
	v_fma_f32 v12, v7, s13, -v12
	v_fmac_f32_e32 v12, 0x3377d1cf, v7
	v_fmac_f32_e32 v12, 0x3f317217, v7
	v_cndmask_b32_e32 v7, v7, v12, vcc
	v_cmp_gt_f16_sdwa vcc, v3, s9 src0_sel:WORD_1 src1_sel:DWORD
	v_cndmask_b32_e64 v12, 0, v16, s[2:3]
	v_sub_f32_e32 v7, v7, v12
	v_cndmask_b32_e32 v2, v2, v15, vcc
	v_mul_f32_e32 v13, 0x4f800000, v2
	v_cmp_gt_f32_e32 vcc, s12, v2
	v_cmp_lt_f16_e64 s[2:3], s9, v3
	s_cselect_b64 s[4:5], -1, 0
	v_cndmask_b32_e32 v2, v2, v13, vcc
	v_sqrt_f32_e32 v13, v2
	v_cndmask_b32_e64 v3, v7, v4, s[2:3]
	s_cmp_lt_i32 s33, 1
	v_add_u32_e32 v4, -1, v13
	v_fma_f32 v7, -v4, v13, v2
	v_cmp_ge_f32_e64 s[2:3], 0, v7
	v_add_u32_e32 v7, 1, v13
	v_fma_f32 v12, -v7, v13, v2
	v_cndmask_b32_e64 v4, v13, v4, s[2:3]
	v_cmp_lt_f32_e64 s[2:3], 0, v12
	v_mul_f32_e32 v12, 0x4f800000, v3
	s_nop 0
	v_cndmask_b32_e64 v4, v4, v7, s[2:3]
	v_cmp_gt_f32_e64 s[2:3], s12, v3
	v_mul_f32_e32 v7, 0x37800000, v4
	s_nop 0
	v_cndmask_b32_e64 v12, v3, v12, s[2:3]
	v_sqrt_f32_e32 v13, v12
	v_cndmask_b32_e32 v3, v4, v7, vcc
	v_cmp_class_f32_e32 vcc, v2, v17
	s_nop 1
	v_cndmask_b32_e32 v3, v3, v2, vcc
	v_add_u32_e32 v2, -1, v13
	v_fma_f32 v4, -v2, v13, v12
	v_cmp_ge_f32_e32 vcc, 0, v4
	v_add_u32_e32 v4, 1, v13
	v_fma_f32 v7, -v4, v13, v12
	v_cndmask_b32_e32 v2, v13, v2, vcc
	v_cmp_lt_f32_e32 vcc, 0, v7
	s_nop 1
	v_cndmask_b32_e32 v2, v2, v4, vcc
	v_mul_f32_e32 v4, 0x37800000, v2
	v_cndmask_b32_e64 v2, v2, v4, s[2:3]
	v_cmp_class_f32_e32 vcc, v12, v17
	s_nop 1
	v_cndmask_b32_e32 v2, v2, v12, vcc
	scratch_store_dwordx4 off, v[0:3], off offset:16
	s_nop 1
	v_lshl_add_u64 v[2:3], v[8:9], 2, s[10:11]
	v_mul_lo_u32 v0, v6, s33
	s_cbranch_scc1 .LBB196_28
; %bb.2:
	s_load_dwordx2 s[6:7], s[0:1], 0x20
	s_cmp_lt_u32 s33, 4
	v_and_b32_e32 v4, 1, v11
	s_cbranch_scc1 .LBB196_21
; %bb.3:
	v_lshlrev_b32_e32 v5, 3, v4
	s_mov_b32 s11, 0
	s_and_b32 s8, s33, 0x7ffffffc
	v_ashrrev_i32_e32 v1, 31, v0
	v_sub_u32_e32 v11, 0, v5
	v_mov_b32_e32 v5, 0
	s_mov_b32 s10, s11
	s_branch .LBB196_5
.LBB196_4:                              ;   in Loop: Header=BB196_5 Depth=1
	s_or_b64 exec, exec, s[12:13]
	s_add_i32 s10, s10, 4
	s_cmp_eq_u32 s10, s8
	s_cbranch_scc1 .LBB196_21
.LBB196_5:                              ; =>This Loop Header: Depth=1
                                        ;     Child Loop BB196_7 Depth 2
                                        ;     Child Loop BB196_11 Depth 2
                                        ;     Child Loop BB196_15 Depth 2
                                        ;     Child Loop BB196_19 Depth 2
	v_lshl_add_u64 v[6:7], s[10:11], 2, v[2:3]
	global_load_dword v12, v[6:7], off
	v_add_u32_e32 v8, s10, v0
	v_ashrrev_i32_e32 v9, 31, v8
	v_mov_b32_e32 v13, 0
	s_mov_b64 s[12:13], 0
	s_waitcnt lgkmcnt(0)
	v_lshl_add_u64 v[8:9], v[8:9], 2, s[6:7]
	s_mov_b32 s9, 0
	s_waitcnt vmcnt(0)
	v_add_u32_e32 v14, v11, v12
	s_branch .LBB196_7
.LBB196_6:                              ;   in Loop: Header=BB196_7 Depth=2
	s_or_b64 exec, exec, s[14:15]
	s_add_i32 s16, s9, 1
	s_cmp_gt_u32 s9, 6
	s_cselect_b64 s[2:3], -1, 0
	s_xor_b64 s[14:15], vcc, -1
	s_or_b64 s[2:3], s[14:15], s[2:3]
	s_and_b64 s[2:3], exec, s[2:3]
	v_add_u32_e32 v13, 4, v13
	s_or_b64 s[12:13], s[2:3], s[12:13]
	s_mov_b32 s9, s16
	s_andn2_b64 exec, exec, s[12:13]
	s_cbranch_execz .LBB196_9
.LBB196_7:                              ;   Parent Loop BB196_5 Depth=1
                                        ; =>  This Inner Loop Header: Depth=2
	v_cmp_ne_u32_e32 vcc, s9, v14
	v_cmp_eq_u32_e64 s[2:3], s9, v14
	s_and_saveexec_b64 s[14:15], s[2:3]
	s_cbranch_execz .LBB196_6
; %bb.8:                                ;   in Loop: Header=BB196_7 Depth=2
	scratch_load_dword v15, v13, off
	s_waitcnt vmcnt(0)
	v_add_f32_e32 v5, v5, v15
	global_store_dword v[8:9], v12, off
	s_branch .LBB196_6
.LBB196_9:                              ;   in Loop: Header=BB196_5 Depth=1
	s_or_b64 exec, exec, s[12:13]
	global_load_dword v12, v[6:7], off offset:4
	s_ashr_i32 s3, s10, 31
	s_mov_b32 s2, s10
	v_lshl_add_u64 v[8:9], s[2:3], 0, v[0:1]
	v_mov_b32_e32 v13, 0
	s_mov_b32 s9, 0
	v_lshl_add_u64 v[8:9], v[8:9], 2, s[6:7]
	s_mov_b64 s[12:13], 0
	s_waitcnt vmcnt(0)
	v_add_u32_e32 v14, v11, v12
	s_branch .LBB196_11
.LBB196_10:                             ;   in Loop: Header=BB196_11 Depth=2
	s_or_b64 exec, exec, s[14:15]
	s_add_i32 s16, s9, 1
	s_cmp_gt_u32 s9, 6
	s_cselect_b64 s[2:3], -1, 0
	s_xor_b64 s[14:15], vcc, -1
	s_or_b64 s[2:3], s[14:15], s[2:3]
	s_and_b64 s[2:3], exec, s[2:3]
	v_add_u32_e32 v13, 4, v13
	s_or_b64 s[12:13], s[2:3], s[12:13]
	s_mov_b32 s9, s16
	s_andn2_b64 exec, exec, s[12:13]
	s_cbranch_execz .LBB196_13
.LBB196_11:                             ;   Parent Loop BB196_5 Depth=1
                                        ; =>  This Inner Loop Header: Depth=2
	v_cmp_ne_u32_e32 vcc, s9, v14
	v_cmp_eq_u32_e64 s[2:3], s9, v14
	s_and_saveexec_b64 s[14:15], s[2:3]
	s_cbranch_execz .LBB196_10
; %bb.12:                               ;   in Loop: Header=BB196_11 Depth=2
	scratch_load_dword v15, v13, off
	s_waitcnt vmcnt(0)
	v_add_f32_e32 v5, v5, v15
	global_store_dword v[8:9], v12, off offset:4
	s_branch .LBB196_10
.LBB196_13:                             ;   in Loop: Header=BB196_5 Depth=1
	s_or_b64 exec, exec, s[12:13]
	global_load_dword v12, v[6:7], off offset:8
	v_mov_b32_e32 v13, 0
	s_mov_b32 s9, 0
	s_mov_b64 s[12:13], 0
	s_waitcnt vmcnt(0)
	v_add_u32_e32 v14, v11, v12
	s_branch .LBB196_15
.LBB196_14:                             ;   in Loop: Header=BB196_15 Depth=2
	s_or_b64 exec, exec, s[14:15]
	s_add_i32 s16, s9, 1
	s_cmp_gt_u32 s9, 6
	s_cselect_b64 s[2:3], -1, 0
	s_xor_b64 s[14:15], vcc, -1
	s_or_b64 s[2:3], s[14:15], s[2:3]
	s_and_b64 s[2:3], exec, s[2:3]
	v_add_u32_e32 v13, 4, v13
	s_or_b64 s[12:13], s[2:3], s[12:13]
	s_mov_b32 s9, s16
	s_andn2_b64 exec, exec, s[12:13]
	s_cbranch_execz .LBB196_17
.LBB196_15:                             ;   Parent Loop BB196_5 Depth=1
                                        ; =>  This Inner Loop Header: Depth=2
	v_cmp_ne_u32_e32 vcc, s9, v14
	v_cmp_eq_u32_e64 s[2:3], s9, v14
	s_and_saveexec_b64 s[14:15], s[2:3]
	s_cbranch_execz .LBB196_14
; %bb.16:                               ;   in Loop: Header=BB196_15 Depth=2
	scratch_load_dword v15, v13, off
	s_waitcnt vmcnt(0)
	v_add_f32_e32 v5, v5, v15
	global_store_dword v[8:9], v12, off offset:8
	s_branch .LBB196_14
.LBB196_17:                             ;   in Loop: Header=BB196_5 Depth=1
	s_or_b64 exec, exec, s[12:13]
	global_load_dword v6, v[6:7], off offset:12
	v_mov_b32_e32 v7, 0
	s_mov_b32 s9, 0
	s_mov_b64 s[12:13], 0
	s_waitcnt vmcnt(0)
	v_add_u32_e32 v12, v11, v6
	s_branch .LBB196_19
.LBB196_18:                             ;   in Loop: Header=BB196_19 Depth=2
	s_or_b64 exec, exec, s[14:15]
	s_add_i32 s16, s9, 1
	s_cmp_gt_u32 s9, 6
	s_cselect_b64 s[2:3], -1, 0
	s_xor_b64 s[14:15], vcc, -1
	s_or_b64 s[2:3], s[14:15], s[2:3]
	s_and_b64 s[2:3], exec, s[2:3]
	v_add_u32_e32 v7, 4, v7
	s_or_b64 s[12:13], s[2:3], s[12:13]
	s_mov_b32 s9, s16
	s_andn2_b64 exec, exec, s[12:13]
	s_cbranch_execz .LBB196_4
.LBB196_19:                             ;   Parent Loop BB196_5 Depth=1
                                        ; =>  This Inner Loop Header: Depth=2
	v_cmp_ne_u32_e32 vcc, s9, v12
	v_cmp_eq_u32_e64 s[2:3], s9, v12
	s_and_saveexec_b64 s[14:15], s[2:3]
	s_cbranch_execz .LBB196_18
; %bb.20:                               ;   in Loop: Header=BB196_19 Depth=2
	scratch_load_dword v13, v7, off
	s_waitcnt vmcnt(0)
	v_add_f32_e32 v5, v5, v13
	global_store_dword v[8:9], v6, off offset:12
	s_branch .LBB196_18
.LBB196_21:
	s_and_b32 s14, s33, 3
	s_cmp_eq_u32 s14, 0
	s_mov_b32 s9, 0
	s_cbranch_scc1 .LBB196_28
; %bb.22:
	v_lshlrev_b32_e32 v1, 3, v4
	v_sub_u32_e32 v1, 0, v1
	s_mov_b32 s15, s9
	s_branch .LBB196_24
.LBB196_23:                             ;   in Loop: Header=BB196_24 Depth=1
	s_or_b64 exec, exec, s[10:11]
	s_add_i32 s8, s8, 1
	s_add_i32 s15, s15, 1
	s_cmp_lg_u32 s15, s14
	s_cbranch_scc0 .LBB196_28
.LBB196_24:                             ; =>This Loop Header: Depth=1
                                        ;     Child Loop BB196_26 Depth 2
	v_lshl_add_u64 v[6:7], s[8:9], 2, v[2:3]
	global_load_dword v4, v[6:7], off
	v_add_u32_e32 v6, s8, v0
	v_ashrrev_i32_e32 v7, 31, v6
	v_mov_b32_e32 v8, 0
	s_mov_b32 s16, 0
	s_waitcnt lgkmcnt(0)
	v_lshl_add_u64 v[6:7], v[6:7], 2, s[6:7]
	s_mov_b64 s[10:11], 0
	s_waitcnt vmcnt(0)
	v_add_u32_e32 v9, v1, v4
	s_branch .LBB196_26
.LBB196_25:                             ;   in Loop: Header=BB196_26 Depth=2
	s_or_b64 exec, exec, s[12:13]
	s_add_i32 s17, s16, 1
	s_cmp_gt_u32 s16, 6
	s_cselect_b64 s[2:3], -1, 0
	s_xor_b64 s[12:13], vcc, -1
	s_or_b64 s[2:3], s[12:13], s[2:3]
	s_and_b64 s[2:3], exec, s[2:3]
	v_add_u32_e32 v8, 4, v8
	s_or_b64 s[10:11], s[2:3], s[10:11]
	s_mov_b32 s16, s17
	s_andn2_b64 exec, exec, s[10:11]
	s_cbranch_execz .LBB196_23
.LBB196_26:                             ;   Parent Loop BB196_24 Depth=1
                                        ; =>  This Inner Loop Header: Depth=2
	v_cmp_ne_u32_e32 vcc, s16, v9
	v_cmp_eq_u32_e64 s[2:3], s16, v9
	s_and_saveexec_b64 s[12:13], s[2:3]
	s_cbranch_execz .LBB196_25
; %bb.27:                               ;   in Loop: Header=BB196_26 Depth=2
	scratch_load_dword v11, v8, off
	s_waitcnt vmcnt(0)
	v_add_f32_e32 v5, v5, v11
	global_store_dword v[6:7], v4, off
	s_branch .LBB196_25
.LBB196_28:
	s_waitcnt lgkmcnt(0)
	s_load_dword s6, s[0:1], 0x3c
	s_waitcnt lgkmcnt(0)
	s_bitcmp1_b32 s6, 0
	s_cselect_b64 s[2:3], -1, 0
	s_bitcmp0_b32 s6, 0
	s_cbranch_scc0 .LBB196_32
; %bb.29:
	s_load_dwordx2 s[6:7], s[0:1], 0x40
	s_andn2_b64 vcc, exec, s[2:3]
	s_waitcnt lgkmcnt(0)
	v_cvt_f32_f64_e32 v8, s[6:7]
	s_cbranch_vccz .LBB196_33
.LBB196_30:
	s_andn2_b64 vcc, exec, s[4:5]
	s_cbranch_vccz .LBB196_34
.LBB196_31:
	s_endpgm
.LBB196_32:
	v_mbcnt_lo_u32_b32 v1, -1, 0
	v_mbcnt_hi_u32_b32 v1, -1, v1
	v_and_b32_e32 v6, 0x7e, v1
	v_xor_b32_e32 v4, 1, v1
	v_add_u32_e32 v6, 2, v6
	v_cmp_lt_i32_e32 vcc, v4, v6
	s_nop 1
	v_cndmask_b32_e32 v1, v1, v4, vcc
	v_lshlrev_b32_e32 v1, 2, v1
	ds_bpermute_b32 v1, v1, v5
	s_waitcnt lgkmcnt(0)
	v_add_f32_e32 v5, v5, v1
	s_load_dwordx2 s[6:7], s[0:1], 0x40
	s_andn2_b64 vcc, exec, s[2:3]
	s_waitcnt lgkmcnt(0)
	v_cvt_f32_f64_e32 v8, s[6:7]
	s_cbranch_vccnz .LBB196_30
.LBB196_33:
	v_cmp_lt_f32_e32 vcc, 0, v5
	s_nop 1
	v_cndmask_b32_e32 v1, 1.0, v5, vcc
	v_div_scale_f32 v4, s[2:3], v1, v1, v8
	v_rcp_f32_e32 v5, v4
	s_nop 0
	v_fma_f32 v6, -v4, v5, 1.0
	v_fmac_f32_e32 v5, v6, v5
	v_div_scale_f32 v6, vcc, v8, v1, v8
	v_mul_f32_e32 v7, v6, v5
	v_fma_f32 v9, -v4, v7, v6
	v_fmac_f32_e32 v7, v9, v5
	v_fma_f32 v4, -v4, v7, v6
	v_div_fmas_f32 v4, v4, v5, v7
	v_div_fixup_f32 v8, v4, v1, v8
	s_andn2_b64 vcc, exec, s[4:5]
	s_cbranch_vccnz .LBB196_31
.LBB196_34:
	s_load_dwordx2 s[12:13], s[0:1], 0x10
	v_mov_b32_e32 v1, 0
	v_or_b32_e32 v20, 4, v1
	v_or_b32_e32 v18, 8, v1
	;; [unrolled: 1-line block ×3, first 2 shown]
	v_add_u32_e32 v14, 16, v1
	v_add_u32_e32 v12, 20, v1
	;; [unrolled: 1-line block ×4, first 2 shown]
	v_or_b32_e32 v23, 1, v10
	v_or_b32_e32 v22, 2, v10
	;; [unrolled: 1-line block ×7, first 2 shown]
	s_cmp_eq_u32 s33, 1
	s_mov_b32 s14, 0
	s_cbranch_scc1 .LBB196_69
; %bb.35:
	v_ashrrev_i32_e32 v1, 31, v0
	s_waitcnt lgkmcnt(0)
	v_lshl_add_u64 v[4:5], v[0:1], 2, s[12:13]
	s_and_b32 s14, s33, 0x7ffffffe
	v_lshl_add_u64 v[4:5], v[4:5], 0, 4
	v_lshl_add_u64 v[6:7], v[2:3], 0, 4
	s_mov_b32 s15, 0
	s_branch .LBB196_37
.LBB196_36:                             ;   in Loop: Header=BB196_37 Depth=1
	s_or_b64 exec, exec, s[0:1]
	s_add_i32 s15, s15, 2
	v_lshl_add_u64 v[4:5], v[4:5], 0, 8
	s_cmp_eq_u32 s14, s15
	v_lshl_add_u64 v[6:7], v[6:7], 0, 8
	s_cbranch_scc1 .LBB196_69
.LBB196_37:                             ; =>This Inner Loop Header: Depth=1
	global_load_dword v24, v[6:7], off offset:-4
	v_mov_b32_e32 v1, 0
	s_waitcnt vmcnt(0)
	v_cmp_eq_u32_e32 vcc, v24, v10
	v_cmp_ne_u32_e64 s[0:1], v24, v10
	s_and_saveexec_b64 s[16:17], s[0:1]
	s_cbranch_execz .LBB196_51
; %bb.38:                               ;   in Loop: Header=BB196_37 Depth=1
	v_cmp_eq_u32_e64 s[0:1], v24, v23
	v_cmp_ne_u32_e64 s[2:3], v24, v23
	v_mov_b32_e32 v1, v20
	s_and_saveexec_b64 s[18:19], s[2:3]
	s_cbranch_execz .LBB196_50
; %bb.39:                               ;   in Loop: Header=BB196_37 Depth=1
	v_cmp_eq_u32_e64 s[2:3], v24, v22
	v_cmp_ne_u32_e64 s[4:5], v24, v22
	v_mov_b32_e32 v1, v18
	;; [unrolled: 6-line block ×6, first 2 shown]
	s_and_saveexec_b64 s[30:31], s[10:11]
	s_xor_b64 s[30:31], exec, s[30:31]
; %bb.44:                               ;   in Loop: Header=BB196_37 Depth=1
	v_cmp_eq_u32_e64 s[10:11], v24, v13
	s_andn2_b64 s[28:29], s[28:29], exec
	s_and_b64 s[10:11], s[10:11], exec
	s_or_b64 s[28:29], s[28:29], s[10:11]
	v_mov_b32_e32 v1, v11
; %bb.45:                               ;   in Loop: Header=BB196_37 Depth=1
	s_or_b64 exec, exec, s[30:31]
	s_andn2_b64 s[8:9], s[8:9], exec
	s_and_b64 s[10:11], s[28:29], exec
	s_or_b64 s[8:9], s[8:9], s[10:11]
.LBB196_46:                             ;   in Loop: Header=BB196_37 Depth=1
	s_or_b64 exec, exec, s[26:27]
	s_andn2_b64 s[6:7], s[6:7], exec
	s_and_b64 s[8:9], s[8:9], exec
	s_or_b64 s[6:7], s[6:7], s[8:9]
.LBB196_47:                             ;   in Loop: Header=BB196_37 Depth=1
	s_or_b64 exec, exec, s[24:25]
	s_andn2_b64 s[4:5], s[4:5], exec
	s_and_b64 s[6:7], s[6:7], exec
	s_or_b64 s[4:5], s[4:5], s[6:7]
.LBB196_48:                             ;   in Loop: Header=BB196_37 Depth=1
	s_or_b64 exec, exec, s[22:23]
	s_andn2_b64 s[2:3], s[2:3], exec
	s_and_b64 s[4:5], s[4:5], exec
	s_or_b64 s[2:3], s[2:3], s[4:5]
.LBB196_49:                             ;   in Loop: Header=BB196_37 Depth=1
	s_or_b64 exec, exec, s[20:21]
	s_andn2_b64 s[0:1], s[0:1], exec
	s_and_b64 s[2:3], s[2:3], exec
	s_or_b64 s[0:1], s[0:1], s[2:3]
.LBB196_50:                             ;   in Loop: Header=BB196_37 Depth=1
	s_or_b64 exec, exec, s[18:19]
	s_andn2_b64 s[2:3], vcc, exec
	s_and_b64 s[0:1], s[0:1], exec
	s_or_b64 vcc, s[2:3], s[0:1]
.LBB196_51:                             ;   in Loop: Header=BB196_37 Depth=1
	s_or_b64 exec, exec, s[16:17]
	s_and_saveexec_b64 s[0:1], vcc
	s_cbranch_execz .LBB196_53
; %bb.52:                               ;   in Loop: Header=BB196_37 Depth=1
	scratch_load_dword v1, v1, off
	v_add_u32_e32 v24, s15, v0
	v_ashrrev_i32_e32 v25, 31, v24
	v_lshl_add_u64 v[24:25], v[24:25], 2, s[12:13]
	s_waitcnt vmcnt(0)
	v_mul_f32_e32 v1, v8, v1
	global_store_dword v[24:25], v1, off
.LBB196_53:                             ;   in Loop: Header=BB196_37 Depth=1
	s_or_b64 exec, exec, s[0:1]
	global_load_dword v24, v[6:7], off
	v_mov_b32_e32 v1, 0
	s_waitcnt vmcnt(0)
	v_cmp_eq_u32_e64 s[8:9], v24, v10
	v_cmp_ne_u32_e32 vcc, v24, v10
	s_and_saveexec_b64 s[10:11], vcc
	s_cbranch_execz .LBB196_67
; %bb.54:                               ;   in Loop: Header=BB196_37 Depth=1
	v_cmp_eq_u32_e32 vcc, v24, v23
	v_cmp_ne_u32_e64 s[0:1], v24, v23
	v_mov_b32_e32 v1, v20
	s_and_saveexec_b64 s[16:17], s[0:1]
	s_cbranch_execz .LBB196_66
; %bb.55:                               ;   in Loop: Header=BB196_37 Depth=1
	v_cmp_eq_u32_e64 s[0:1], v24, v22
	v_cmp_ne_u32_e64 s[2:3], v24, v22
	v_mov_b32_e32 v1, v18
	s_and_saveexec_b64 s[18:19], s[2:3]
	s_cbranch_execz .LBB196_65
; %bb.56:                               ;   in Loop: Header=BB196_37 Depth=1
	v_cmp_eq_u32_e64 s[2:3], v24, v21
	;; [unrolled: 6-line block ×5, first 2 shown]
	v_cmp_ne_u32_e64 s[6:7], v24, v15
	v_mov_b32_e32 v1, v9
	s_and_saveexec_b64 s[30:31], s[6:7]
; %bb.60:                               ;   in Loop: Header=BB196_37 Depth=1
	v_cmp_eq_u32_e64 s[6:7], v24, v13
	s_andn2_b64 s[28:29], s[28:29], exec
	s_and_b64 s[6:7], s[6:7], exec
	s_or_b64 s[28:29], s[28:29], s[6:7]
	v_mov_b32_e32 v1, v11
; %bb.61:                               ;   in Loop: Header=BB196_37 Depth=1
	s_or_b64 exec, exec, s[30:31]
	s_andn2_b64 s[6:7], s[24:25], exec
	s_and_b64 s[24:25], s[28:29], exec
	s_or_b64 s[24:25], s[6:7], s[24:25]
.LBB196_62:                             ;   in Loop: Header=BB196_37 Depth=1
	s_or_b64 exec, exec, s[26:27]
	s_andn2_b64 s[4:5], s[4:5], exec
	s_and_b64 s[6:7], s[24:25], exec
	s_or_b64 s[4:5], s[4:5], s[6:7]
.LBB196_63:                             ;   in Loop: Header=BB196_37 Depth=1
	s_or_b64 exec, exec, s[22:23]
	s_andn2_b64 s[2:3], s[2:3], exec
	s_and_b64 s[4:5], s[4:5], exec
	s_or_b64 s[2:3], s[2:3], s[4:5]
.LBB196_64:                             ;   in Loop: Header=BB196_37 Depth=1
	s_or_b64 exec, exec, s[20:21]
	s_andn2_b64 s[0:1], s[0:1], exec
	s_and_b64 s[2:3], s[2:3], exec
	s_or_b64 s[0:1], s[0:1], s[2:3]
.LBB196_65:                             ;   in Loop: Header=BB196_37 Depth=1
	s_or_b64 exec, exec, s[18:19]
	s_andn2_b64 s[2:3], vcc, exec
	s_and_b64 s[0:1], s[0:1], exec
	s_or_b64 vcc, s[2:3], s[0:1]
.LBB196_66:                             ;   in Loop: Header=BB196_37 Depth=1
	s_or_b64 exec, exec, s[16:17]
	s_andn2_b64 s[0:1], s[8:9], exec
	s_and_b64 s[2:3], vcc, exec
	s_or_b64 s[8:9], s[0:1], s[2:3]
.LBB196_67:                             ;   in Loop: Header=BB196_37 Depth=1
	s_or_b64 exec, exec, s[10:11]
	s_and_saveexec_b64 s[0:1], s[8:9]
	s_cbranch_execz .LBB196_36
; %bb.68:                               ;   in Loop: Header=BB196_37 Depth=1
	scratch_load_dword v1, v1, off
	s_waitcnt vmcnt(0)
	v_mul_f32_e32 v1, v8, v1
	global_store_dword v[4:5], v1, off
	s_branch .LBB196_36
.LBB196_69:
	s_bitcmp0_b32 s33, 0
	s_mov_b32 s15, 0
	s_cbranch_scc1 .LBB196_31
; %bb.70:
	v_lshl_add_u64 v[2:3], s[14:15], 2, v[2:3]
	global_load_dword v1, v[2:3], off
	v_mov_b32_e32 v2, 0
	s_waitcnt vmcnt(0)
	v_cmp_eq_u32_e64 s[8:9], v1, v10
	v_cmp_ne_u32_e32 vcc, v1, v10
	s_and_saveexec_b64 s[10:11], vcc
	s_cbranch_execz .LBB196_84
; %bb.71:
	v_cmp_eq_u32_e32 vcc, v1, v23
	v_cmp_ne_u32_e64 s[0:1], v1, v23
	s_and_saveexec_b64 s[16:17], s[0:1]
	s_cbranch_execz .LBB196_83
; %bb.72:
	v_cmp_eq_u32_e64 s[0:1], v1, v22
	v_cmp_ne_u32_e64 s[2:3], v1, v22
	s_and_saveexec_b64 s[18:19], s[2:3]
	s_cbranch_execz .LBB196_82
; %bb.73:
	v_cmp_eq_u32_e64 s[2:3], v1, v21
	;; [unrolled: 5-line block ×5, first 2 shown]
	v_cmp_ne_u32_e64 s[6:7], v1, v15
	s_and_saveexec_b64 s[30:31], s[6:7]
; %bb.77:
	v_cmp_eq_u32_e64 s[6:7], v1, v13
	s_andn2_b64 s[28:29], s[28:29], exec
	s_and_b64 s[6:7], s[6:7], exec
	s_or_b64 s[28:29], s[28:29], s[6:7]
	v_mov_b32_e32 v9, v11
; %bb.78:
	s_or_b64 exec, exec, s[30:31]
	s_andn2_b64 s[6:7], s[24:25], exec
	s_and_b64 s[24:25], s[28:29], exec
	s_or_b64 s[24:25], s[6:7], s[24:25]
	v_mov_b32_e32 v12, v9
.LBB196_79:
	s_or_b64 exec, exec, s[26:27]
	s_andn2_b64 s[4:5], s[4:5], exec
	s_and_b64 s[6:7], s[24:25], exec
	s_or_b64 s[4:5], s[4:5], s[6:7]
	v_mov_b32_e32 v14, v12
.LBB196_80:
	s_or_b64 exec, exec, s[22:23]
	s_andn2_b64 s[2:3], s[2:3], exec
	s_and_b64 s[4:5], s[4:5], exec
	s_or_b64 s[2:3], s[2:3], s[4:5]
	v_mov_b32_e32 v16, v14
.LBB196_81:
	s_or_b64 exec, exec, s[20:21]
	s_andn2_b64 s[0:1], s[0:1], exec
	s_and_b64 s[2:3], s[2:3], exec
	s_or_b64 s[0:1], s[0:1], s[2:3]
	v_mov_b32_e32 v18, v16
.LBB196_82:
	s_or_b64 exec, exec, s[18:19]
	s_andn2_b64 s[2:3], vcc, exec
	s_and_b64 s[0:1], s[0:1], exec
	s_or_b64 vcc, s[2:3], s[0:1]
	v_mov_b32_e32 v20, v18
.LBB196_83:
	s_or_b64 exec, exec, s[16:17]
	s_andn2_b64 s[0:1], s[8:9], exec
	s_and_b64 s[2:3], vcc, exec
	s_or_b64 s[8:9], s[0:1], s[2:3]
	v_mov_b32_e32 v2, v20
.LBB196_84:
	s_or_b64 exec, exec, s[10:11]
	s_and_b64 exec, exec, s[8:9]
	s_cbranch_execz .LBB196_31
; %bb.85:
	scratch_load_dword v2, v2, off
	v_add_u32_e32 v0, s14, v0
	v_ashrrev_i32_e32 v1, 31, v0
	s_waitcnt lgkmcnt(0)
	v_lshl_add_u64 v[0:1], v[0:1], 2, s[12:13]
	s_waitcnt vmcnt(0)
	v_mul_f32_e32 v2, v8, v2
	global_store_dword v[0:1], v2, off
	s_endpgm
	.section	.rodata,"a",@progbits
	.p2align	6, 0x0
	.amdhsa_kernel _ZN4vllm3moe22topkGatingSoftplusSqrtILi8ELi16ELi4ELi16ELi64ELb1Ei6__halfEEvPKT6_PKbPfiPT5_PiiiibdPKfPKS9_SF_
		.amdhsa_group_segment_fixed_size 0
		.amdhsa_private_segment_fixed_size 48
		.amdhsa_kernarg_size 96
		.amdhsa_user_sgpr_count 2
		.amdhsa_user_sgpr_dispatch_ptr 0
		.amdhsa_user_sgpr_queue_ptr 0
		.amdhsa_user_sgpr_kernarg_segment_ptr 1
		.amdhsa_user_sgpr_dispatch_id 0
		.amdhsa_user_sgpr_kernarg_preload_length 0
		.amdhsa_user_sgpr_kernarg_preload_offset 0
		.amdhsa_user_sgpr_private_segment_size 0
		.amdhsa_uses_dynamic_stack 0
		.amdhsa_enable_private_segment 1
		.amdhsa_system_sgpr_workgroup_id_x 1
		.amdhsa_system_sgpr_workgroup_id_y 0
		.amdhsa_system_sgpr_workgroup_id_z 0
		.amdhsa_system_sgpr_workgroup_info 0
		.amdhsa_system_vgpr_workitem_id 1
		.amdhsa_next_free_vgpr 29
		.amdhsa_next_free_sgpr 34
		.amdhsa_accum_offset 32
		.amdhsa_reserve_vcc 1
		.amdhsa_float_round_mode_32 0
		.amdhsa_float_round_mode_16_64 0
		.amdhsa_float_denorm_mode_32 3
		.amdhsa_float_denorm_mode_16_64 3
		.amdhsa_dx10_clamp 1
		.amdhsa_ieee_mode 1
		.amdhsa_fp16_overflow 0
		.amdhsa_tg_split 0
		.amdhsa_exception_fp_ieee_invalid_op 0
		.amdhsa_exception_fp_denorm_src 0
		.amdhsa_exception_fp_ieee_div_zero 0
		.amdhsa_exception_fp_ieee_overflow 0
		.amdhsa_exception_fp_ieee_underflow 0
		.amdhsa_exception_fp_ieee_inexact 0
		.amdhsa_exception_int_div_zero 0
	.end_amdhsa_kernel
	.section	.text._ZN4vllm3moe22topkGatingSoftplusSqrtILi8ELi16ELi4ELi16ELi64ELb1Ei6__halfEEvPKT6_PKbPfiPT5_PiiiibdPKfPKS9_SF_,"axG",@progbits,_ZN4vllm3moe22topkGatingSoftplusSqrtILi8ELi16ELi4ELi16ELi64ELb1Ei6__halfEEvPKT6_PKbPfiPT5_PiiiibdPKfPKS9_SF_,comdat
.Lfunc_end196:
	.size	_ZN4vllm3moe22topkGatingSoftplusSqrtILi8ELi16ELi4ELi16ELi64ELb1Ei6__halfEEvPKT6_PKbPfiPT5_PiiiibdPKfPKS9_SF_, .Lfunc_end196-_ZN4vllm3moe22topkGatingSoftplusSqrtILi8ELi16ELi4ELi16ELi64ELb1Ei6__halfEEvPKT6_PKbPfiPT5_PiiiibdPKfPKS9_SF_
                                        ; -- End function
	.section	.AMDGPU.csdata,"",@progbits
; Kernel info:
; codeLenInByte = 4452
; NumSgprs: 40
; NumVgprs: 29
; NumAgprs: 0
; TotalNumVgprs: 29
; ScratchSize: 48
; MemoryBound: 0
; FloatMode: 240
; IeeeMode: 1
; LDSByteSize: 0 bytes/workgroup (compile time only)
; SGPRBlocks: 4
; VGPRBlocks: 3
; NumSGPRsForWavesPerEU: 40
; NumVGPRsForWavesPerEU: 29
; AccumOffset: 32
; Occupancy: 8
; WaveLimiterHint : 1
; COMPUTE_PGM_RSRC2:SCRATCH_EN: 1
; COMPUTE_PGM_RSRC2:USER_SGPR: 2
; COMPUTE_PGM_RSRC2:TRAP_HANDLER: 0
; COMPUTE_PGM_RSRC2:TGID_X_EN: 1
; COMPUTE_PGM_RSRC2:TGID_Y_EN: 0
; COMPUTE_PGM_RSRC2:TGID_Z_EN: 0
; COMPUTE_PGM_RSRC2:TIDIG_COMP_CNT: 1
; COMPUTE_PGM_RSRC3_GFX90A:ACCUM_OFFSET: 7
; COMPUTE_PGM_RSRC3_GFX90A:TG_SPLIT: 0
	.section	.text._ZN4vllm3moe22topkGatingSoftplusSqrtILi8ELi16ELi4ELi16ELi64ELb0Ei6__halfEEvPKT6_PKbPfiPT5_PiiiibdPKfPKS9_SF_,"axG",@progbits,_ZN4vllm3moe22topkGatingSoftplusSqrtILi8ELi16ELi4ELi16ELi64ELb0Ei6__halfEEvPKT6_PKbPfiPT5_PiiiibdPKfPKS9_SF_,comdat
	.protected	_ZN4vllm3moe22topkGatingSoftplusSqrtILi8ELi16ELi4ELi16ELi64ELb0Ei6__halfEEvPKT6_PKbPfiPT5_PiiiibdPKfPKS9_SF_ ; -- Begin function _ZN4vllm3moe22topkGatingSoftplusSqrtILi8ELi16ELi4ELi16ELi64ELb0Ei6__halfEEvPKT6_PKbPfiPT5_PiiiibdPKfPKS9_SF_
	.globl	_ZN4vllm3moe22topkGatingSoftplusSqrtILi8ELi16ELi4ELi16ELi64ELb0Ei6__halfEEvPKT6_PKbPfiPT5_PiiiibdPKfPKS9_SF_
	.p2align	8
	.type	_ZN4vllm3moe22topkGatingSoftplusSqrtILi8ELi16ELi4ELi16ELi64ELb0Ei6__halfEEvPKT6_PKbPfiPT5_PiiiibdPKfPKS9_SF_,@function
_ZN4vllm3moe22topkGatingSoftplusSqrtILi8ELi16ELi4ELi16ELi64ELb0Ei6__halfEEvPKT6_PKbPfiPT5_PiiiibdPKfPKS9_SF_: ; @_ZN4vllm3moe22topkGatingSoftplusSqrtILi8ELi16ELi4ELi16ELi64ELb0Ei6__halfEEvPKT6_PKbPfiPT5_PiiiibdPKfPKS9_SF_
; %bb.0:
	s_load_dword s33, s[0:1], 0x18
	v_bfe_u32 v1, v0, 10, 10
	v_and_b32_e32 v0, 0x3ff, v0
	s_lshl_b32 s2, s2, 7
	v_lshlrev_b32_e32 v1, 5, v1
	v_lshrrev_b32_e32 v2, 1, v0
	v_add3_u32 v8, s2, v1, v2
	s_waitcnt lgkmcnt(0)
	v_cmp_gt_i32_e32 vcc, s33, v8
	s_and_saveexec_b64 s[2:3], vcc
	s_cbranch_execz .LBB197_49
; %bb.1:
	s_load_dwordx4 s[4:7], s[0:1], 0x0
	s_load_dwordx2 s[34:35], s[0:1], 0x10
	s_waitcnt lgkmcnt(0)
	s_cmp_eq_u64 s[6:7], 0
	s_cbranch_scc1 .LBB197_3
; %bb.2:
	v_ashrrev_i32_e32 v9, 31, v8
	v_lshl_add_u64 v[2:3], s[6:7], 0, v[8:9]
	global_load_ubyte v1, v[2:3], off
	s_waitcnt vmcnt(0)
	v_and_b32_e32 v1, 1, v1
	v_cmp_eq_u32_e32 vcc, 1, v1
	s_xor_b64 s[2:3], vcc, -1
	s_orn2_b64 s[36:37], s[2:3], exec
	s_branch .LBB197_4
.LBB197_3:
	s_mov_b64 s[36:37], -1
.LBB197_4:
	v_lshlrev_b32_e32 v4, 4, v8
	v_mov_b32_e32 v2, s4
	v_mov_b32_e32 v3, s5
	v_ashrrev_i32_e32 v5, 31, v4
	v_and_b32_e32 v9, 1, v0
	v_lshl_add_u64 v[2:3], v[4:5], 1, v[2:3]
	v_mov_b32_e32 v1, 0
	v_lshlrev_b32_e32 v0, 4, v9
	v_lshl_add_u64 v[0:1], v[2:3], 0, v[0:1]
	global_load_dwordx4 v[4:7], v[0:1], off
	s_mov_b32 s12, 0x800000
	v_mov_b32_e32 v2, 0x4f800000
	s_mov_b32 s9, 0x3f317217
	s_mov_b32 s10, 0x7f800000
	v_mov_b32_e32 v3, 0x41b17218
	s_movk_i32 s8, 0x4d00
	s_mov_b32 s11, 0xf800000
	s_load_dwordx4 s[20:23], s[0:1], 0x40
	v_lshlrev_b32_e32 v12, 3, v9
	s_waitcnt lgkmcnt(0)
	s_cmp_lg_u64 s[22:23], 0
	s_cselect_b64 s[6:7], -1, 0
	s_and_b64 s[2:3], exec, s[6:7]
	s_waitcnt vmcnt(0)
	v_cvt_f32_f16_e32 v0, v4
	v_mul_f32_e32 v1, 0x3fb8aa3b, v0
	v_exp_f32_e32 v10, v1
	v_mov_b32_e32 v1, 0x260
	v_add_f32_e32 v10, 1.0, v10
	v_cmp_gt_f32_e32 vcc, s12, v10
	s_nop 1
	v_cndmask_b32_e32 v11, 1.0, v2, vcc
	v_mul_f32_e32 v10, v10, v11
	v_log_f32_e32 v11, v10
	v_cndmask_b32_e32 v13, 0, v3, vcc
	v_lshlrev_b32_e32 v10, 2, v12
	v_mul_f32_e32 v14, 0x3f317217, v11
	v_fma_f32 v14, v11, s9, -v14
	v_fmac_f32_e32 v14, 0x3377d1cf, v11
	v_fmac_f32_e32 v14, 0x3f317217, v11
	v_cmp_lt_f32_e64 vcc, |v11|, s10
	s_nop 1
	v_cndmask_b32_e32 v11, v11, v14, vcc
	v_sub_f32_e32 v11, v11, v13
	v_cmp_lt_f16_e32 vcc, s8, v4
	s_nop 1
	v_cndmask_b32_e32 v0, v11, v0, vcc
	v_mul_f32_e32 v11, 0x4f800000, v0
	v_cmp_gt_f32_e32 vcc, s11, v0
	s_nop 1
	v_cndmask_b32_e32 v0, v0, v11, vcc
	v_sqrt_f32_e32 v11, v0
	s_nop 0
	v_add_u32_e32 v13, -1, v11
	v_add_u32_e32 v14, 1, v11
	v_fma_f32 v15, -v13, v11, v0
	v_fma_f32 v16, -v14, v11, v0
	v_cmp_ge_f32_e64 s[4:5], 0, v15
	s_nop 1
	v_cndmask_b32_e64 v11, v11, v13, s[4:5]
	v_cmp_lt_f32_e64 s[4:5], 0, v16
	s_nop 1
	v_cndmask_b32_e64 v11, v11, v14, s[4:5]
	v_mul_f32_e32 v13, 0x37800000, v11
	v_cndmask_b32_e32 v11, v11, v13, vcc
	v_cmp_class_f32_e32 vcc, v0, v1
	s_nop 1
	v_cndmask_b32_e32 v0, v11, v0, vcc
	s_mov_b64 vcc, s[2:3]
	s_cbranch_vccz .LBB197_6
; %bb.5:
	global_load_dword v11, v10, s[22:23]
	s_waitcnt vmcnt(0)
	v_add_f32_e32 v0, v0, v11
.LBB197_6:
	v_cvt_f32_f16_sdwa v11, v4 dst_sel:DWORD dst_unused:UNUSED_PAD src0_sel:WORD_1
	v_mul_f32_e32 v13, 0x3fb8aa3b, v11
	v_exp_f32_e32 v13, v13
	s_nop 0
	v_add_f32_e32 v13, 1.0, v13
	v_cmp_gt_f32_e32 vcc, s12, v13
	s_nop 1
	v_cndmask_b32_e32 v2, 1.0, v2, vcc
	v_mul_f32_e32 v2, v13, v2
	v_log_f32_e32 v2, v2
	v_cndmask_b32_e32 v3, 0, v3, vcc
	v_mul_f32_e32 v13, 0x3f317217, v2
	v_fma_f32 v13, v2, s9, -v13
	v_fmac_f32_e32 v13, 0x3377d1cf, v2
	v_fmac_f32_e32 v13, 0x3f317217, v2
	v_cmp_lt_f32_e64 vcc, |v2|, s10
	s_nop 1
	v_cndmask_b32_e32 v2, v2, v13, vcc
	v_sub_f32_e32 v2, v2, v3
	v_cmp_gt_f16_sdwa vcc, v4, s8 src0_sel:WORD_1 src1_sel:DWORD
	v_cndmask_b32_e64 v4, 0, 1, s[6:7]
	v_cmp_ne_u32_e64 s[2:3], 1, v4
	v_cndmask_b32_e32 v2, v2, v11, vcc
	v_mul_f32_e32 v3, 0x4f800000, v2
	v_cmp_gt_f32_e64 s[4:5], s11, v2
	s_andn2_b64 vcc, exec, s[6:7]
	s_nop 0
	v_cndmask_b32_e64 v2, v2, v3, s[4:5]
	v_sqrt_f32_e32 v3, v2
	s_nop 0
	v_add_u32_e32 v4, -1, v3
	v_add_u32_e32 v11, 1, v3
	v_fma_f32 v13, -v4, v3, v2
	v_fma_f32 v14, -v11, v3, v2
	v_cmp_ge_f32_e64 s[6:7], 0, v13
	s_nop 1
	v_cndmask_b32_e64 v3, v3, v4, s[6:7]
	v_cmp_lt_f32_e64 s[6:7], 0, v14
	s_nop 1
	v_cndmask_b32_e64 v3, v3, v11, s[6:7]
	v_mul_f32_e32 v4, 0x37800000, v3
	v_cndmask_b32_e64 v3, v3, v4, s[4:5]
	v_cmp_class_f32_e64 s[4:5], v2, v1
	s_nop 1
	v_cndmask_b32_e64 v1, v3, v2, s[4:5]
	s_cbranch_vccnz .LBB197_8
; %bb.7:
	global_load_dword v2, v10, s[22:23] offset:4
	s_waitcnt vmcnt(0)
	v_add_f32_e32 v1, v1, v2
.LBB197_8:
	v_cvt_f32_f16_e32 v2, v5
	s_mov_b32 s8, 0x800000
	v_mov_b32_e32 v4, 0x4f800000
	s_mov_b32 s7, 0x3f317217
	v_mul_f32_e32 v3, 0x3fb8aa3b, v2
	v_exp_f32_e32 v3, v3
	s_mov_b32 s9, 0x7f800000
	s_movk_i32 s6, 0x4d00
	s_mov_b32 s10, 0xf800000
	v_add_f32_e32 v3, 1.0, v3
	v_cmp_gt_f32_e32 vcc, s8, v3
	s_nop 1
	v_cndmask_b32_e32 v11, 1.0, v4, vcc
	v_mul_f32_e32 v3, v3, v11
	v_log_f32_e32 v3, v3
	v_mov_b32_e32 v11, 0x41b17218
	v_cndmask_b32_e32 v13, 0, v11, vcc
	v_mul_f32_e32 v14, 0x3f317217, v3
	v_fma_f32 v14, v3, s7, -v14
	v_fmac_f32_e32 v14, 0x3377d1cf, v3
	v_fmac_f32_e32 v14, 0x3f317217, v3
	v_cmp_lt_f32_e64 vcc, |v3|, s9
	s_nop 1
	v_cndmask_b32_e32 v3, v3, v14, vcc
	v_sub_f32_e32 v3, v3, v13
	v_cmp_lt_f16_e32 vcc, s6, v5
	s_nop 1
	v_cndmask_b32_e32 v2, v3, v2, vcc
	v_mul_f32_e32 v3, 0x4f800000, v2
	v_cmp_gt_f32_e32 vcc, s10, v2
	s_nop 1
	v_cndmask_b32_e32 v2, v2, v3, vcc
	v_sqrt_f32_e32 v3, v2
	s_nop 0
	v_add_u32_e32 v13, -1, v3
	v_fma_f32 v14, -v13, v3, v2
	v_cmp_ge_f32_e64 s[4:5], 0, v14
	v_add_u32_e32 v14, 1, v3
	s_nop 0
	v_cndmask_b32_e64 v13, v3, v13, s[4:5]
	v_fma_f32 v3, -v14, v3, v2
	v_cmp_lt_f32_e64 s[4:5], 0, v3
	s_nop 1
	v_cndmask_b32_e64 v3, v13, v14, s[4:5]
	v_mul_f32_e32 v13, 0x37800000, v3
	v_cndmask_b32_e32 v13, v3, v13, vcc
	v_mov_b32_e32 v3, 0x260
	v_cmp_class_f32_e64 s[4:5], v2, v3
	s_and_b64 vcc, exec, s[2:3]
	s_nop 0
	v_cndmask_b32_e64 v2, v13, v2, s[4:5]
	s_cbranch_vccnz .LBB197_10
; %bb.9:
	global_load_dword v13, v10, s[22:23] offset:8
	s_waitcnt vmcnt(0)
	v_add_f32_e32 v2, v2, v13
.LBB197_10:
	v_cvt_f32_f16_sdwa v13, v5 dst_sel:DWORD dst_unused:UNUSED_PAD src0_sel:WORD_1
	v_mul_f32_e32 v14, 0x3fb8aa3b, v13
	v_exp_f32_e32 v14, v14
	s_nop 0
	v_add_f32_e32 v14, 1.0, v14
	v_cmp_gt_f32_e32 vcc, s8, v14
	s_nop 1
	v_cndmask_b32_e32 v4, 1.0, v4, vcc
	v_mul_f32_e32 v4, v14, v4
	v_log_f32_e32 v4, v4
	v_cndmask_b32_e32 v11, 0, v11, vcc
	v_mul_f32_e32 v14, 0x3f317217, v4
	v_fma_f32 v14, v4, s7, -v14
	v_fmac_f32_e32 v14, 0x3377d1cf, v4
	v_fmac_f32_e32 v14, 0x3f317217, v4
	v_cmp_lt_f32_e64 vcc, |v4|, s9
	s_nop 1
	v_cndmask_b32_e32 v4, v4, v14, vcc
	v_sub_f32_e32 v4, v4, v11
	v_cmp_gt_f16_sdwa vcc, v5, s6 src0_sel:WORD_1 src1_sel:DWORD
	s_nop 1
	v_cndmask_b32_e32 v4, v4, v13, vcc
	v_mul_f32_e32 v5, 0x4f800000, v4
	v_cmp_gt_f32_e64 s[4:5], s10, v4
	s_and_b64 vcc, exec, s[2:3]
	s_nop 0
	v_cndmask_b32_e64 v4, v4, v5, s[4:5]
	v_sqrt_f32_e32 v5, v4
	s_nop 0
	v_add_u32_e32 v11, -1, v5
	v_add_u32_e32 v13, 1, v5
	v_fma_f32 v14, -v11, v5, v4
	v_fma_f32 v15, -v13, v5, v4
	v_cmp_ge_f32_e64 s[6:7], 0, v14
	s_nop 1
	v_cndmask_b32_e64 v5, v5, v11, s[6:7]
	v_cmp_lt_f32_e64 s[6:7], 0, v15
	s_nop 1
	v_cndmask_b32_e64 v5, v5, v13, s[6:7]
	v_mul_f32_e32 v11, 0x37800000, v5
	v_cndmask_b32_e64 v5, v5, v11, s[4:5]
	v_cmp_class_f32_e64 s[4:5], v4, v3
	s_nop 1
	v_cndmask_b32_e64 v3, v5, v4, s[4:5]
	s_cbranch_vccnz .LBB197_12
; %bb.11:
	global_load_dword v4, v10, s[22:23] offset:12
	s_waitcnt vmcnt(0)
	v_add_f32_e32 v3, v3, v4
.LBB197_12:
	v_cvt_f32_f16_e32 v4, v6
	v_mov_b32_e32 v11, 0x4f800000
	s_mov_b32 s7, 0x3f317217
	s_movk_i32 s6, 0x4d00
	v_mul_f32_e32 v5, 0x3fb8aa3b, v4
	v_exp_f32_e32 v5, v5
	s_nop 0
	v_add_f32_e32 v5, 1.0, v5
	v_cmp_gt_f32_e32 vcc, s8, v5
	s_nop 1
	v_cndmask_b32_e32 v13, 1.0, v11, vcc
	v_mul_f32_e32 v5, v5, v13
	v_log_f32_e32 v5, v5
	v_mov_b32_e32 v13, 0x41b17218
	v_cndmask_b32_e32 v14, 0, v13, vcc
	v_mul_f32_e32 v15, 0x3f317217, v5
	v_fma_f32 v15, v5, s7, -v15
	v_fmac_f32_e32 v15, 0x3377d1cf, v5
	v_fmac_f32_e32 v15, 0x3f317217, v5
	v_cmp_lt_f32_e64 vcc, |v5|, s9
	s_nop 1
	v_cndmask_b32_e32 v5, v5, v15, vcc
	v_sub_f32_e32 v5, v5, v14
	v_cmp_lt_f16_e32 vcc, s6, v6
	s_nop 1
	v_cndmask_b32_e32 v4, v5, v4, vcc
	v_mul_f32_e32 v5, 0x4f800000, v4
	v_cmp_gt_f32_e32 vcc, s10, v4
	s_nop 1
	v_cndmask_b32_e32 v4, v4, v5, vcc
	v_sqrt_f32_e32 v5, v4
	s_nop 0
	v_add_u32_e32 v14, -1, v5
	v_fma_f32 v15, -v14, v5, v4
	v_cmp_ge_f32_e64 s[4:5], 0, v15
	v_add_u32_e32 v15, 1, v5
	s_nop 0
	v_cndmask_b32_e64 v14, v5, v14, s[4:5]
	v_fma_f32 v5, -v15, v5, v4
	v_cmp_lt_f32_e64 s[4:5], 0, v5
	s_nop 1
	v_cndmask_b32_e64 v5, v14, v15, s[4:5]
	v_mul_f32_e32 v14, 0x37800000, v5
	v_cndmask_b32_e32 v14, v5, v14, vcc
	v_mov_b32_e32 v5, 0x260
	v_cmp_class_f32_e64 s[4:5], v4, v5
	s_and_b64 vcc, exec, s[2:3]
	s_nop 0
	v_cndmask_b32_e64 v4, v14, v4, s[4:5]
	s_cbranch_vccnz .LBB197_14
; %bb.13:
	global_load_dword v14, v10, s[22:23] offset:16
	s_waitcnt vmcnt(0)
	v_add_f32_e32 v4, v4, v14
.LBB197_14:
	v_cvt_f32_f16_sdwa v14, v6 dst_sel:DWORD dst_unused:UNUSED_PAD src0_sel:WORD_1
	v_mul_f32_e32 v15, 0x3fb8aa3b, v14
	v_exp_f32_e32 v15, v15
	s_nop 0
	v_add_f32_e32 v15, 1.0, v15
	v_cmp_gt_f32_e32 vcc, s8, v15
	s_nop 1
	v_cndmask_b32_e32 v11, 1.0, v11, vcc
	v_mul_f32_e32 v11, v15, v11
	v_log_f32_e32 v11, v11
	v_cndmask_b32_e32 v13, 0, v13, vcc
	v_mul_f32_e32 v15, 0x3f317217, v11
	v_fma_f32 v15, v11, s7, -v15
	v_fmac_f32_e32 v15, 0x3377d1cf, v11
	v_fmac_f32_e32 v15, 0x3f317217, v11
	v_cmp_lt_f32_e64 vcc, |v11|, s9
	s_nop 1
	v_cndmask_b32_e32 v11, v11, v15, vcc
	v_sub_f32_e32 v11, v11, v13
	v_cmp_gt_f16_sdwa vcc, v6, s6 src0_sel:WORD_1 src1_sel:DWORD
	s_nop 1
	v_cndmask_b32_e32 v6, v11, v14, vcc
	v_mul_f32_e32 v11, 0x4f800000, v6
	v_cmp_gt_f32_e64 s[4:5], s10, v6
	s_and_b64 vcc, exec, s[2:3]
	s_nop 0
	v_cndmask_b32_e64 v6, v6, v11, s[4:5]
	v_sqrt_f32_e32 v11, v6
	s_nop 0
	v_add_u32_e32 v13, -1, v11
	v_add_u32_e32 v14, 1, v11
	v_fma_f32 v15, -v13, v11, v6
	v_fma_f32 v16, -v14, v11, v6
	v_cmp_ge_f32_e64 s[6:7], 0, v15
	s_nop 1
	v_cndmask_b32_e64 v11, v11, v13, s[6:7]
	v_cmp_lt_f32_e64 s[6:7], 0, v16
	s_nop 1
	v_cndmask_b32_e64 v11, v11, v14, s[6:7]
	v_mul_f32_e32 v13, 0x37800000, v11
	v_cndmask_b32_e64 v11, v11, v13, s[4:5]
	v_cmp_class_f32_e64 s[4:5], v6, v5
	s_nop 1
	v_cndmask_b32_e64 v5, v11, v6, s[4:5]
	s_cbranch_vccnz .LBB197_16
; %bb.15:
	global_load_dword v6, v10, s[22:23] offset:20
	s_waitcnt vmcnt(0)
	v_add_f32_e32 v5, v5, v6
.LBB197_16:
	v_cvt_f32_f16_e32 v6, v7
	v_mov_b32_e32 v13, 0x4f800000
	s_mov_b32 s7, 0x3f317217
	s_movk_i32 s6, 0x4d00
	v_mul_f32_e32 v11, 0x3fb8aa3b, v6
	v_exp_f32_e32 v11, v11
	s_nop 0
	v_add_f32_e32 v11, 1.0, v11
	v_cmp_gt_f32_e32 vcc, s8, v11
	s_nop 1
	v_cndmask_b32_e32 v14, 1.0, v13, vcc
	v_mul_f32_e32 v11, v11, v14
	v_log_f32_e32 v11, v11
	v_mov_b32_e32 v14, 0x41b17218
	v_cndmask_b32_e32 v15, 0, v14, vcc
	v_mul_f32_e32 v16, 0x3f317217, v11
	v_fma_f32 v16, v11, s7, -v16
	v_fmac_f32_e32 v16, 0x3377d1cf, v11
	v_fmac_f32_e32 v16, 0x3f317217, v11
	v_cmp_lt_f32_e64 vcc, |v11|, s9
	s_nop 1
	v_cndmask_b32_e32 v11, v11, v16, vcc
	v_sub_f32_e32 v11, v11, v15
	v_cmp_lt_f16_e32 vcc, s6, v7
	s_nop 1
	v_cndmask_b32_e32 v6, v11, v6, vcc
	v_mul_f32_e32 v11, 0x4f800000, v6
	v_cmp_gt_f32_e32 vcc, s10, v6
	s_nop 1
	v_cndmask_b32_e32 v6, v6, v11, vcc
	v_sqrt_f32_e32 v11, v6
	s_nop 0
	v_add_u32_e32 v15, -1, v11
	v_fma_f32 v16, -v15, v11, v6
	v_cmp_ge_f32_e64 s[4:5], 0, v16
	v_add_u32_e32 v16, 1, v11
	s_nop 0
	v_cndmask_b32_e64 v15, v11, v15, s[4:5]
	v_fma_f32 v11, -v16, v11, v6
	v_cmp_lt_f32_e64 s[4:5], 0, v11
	s_nop 1
	v_cndmask_b32_e64 v11, v15, v16, s[4:5]
	v_mul_f32_e32 v15, 0x37800000, v11
	v_cndmask_b32_e32 v15, v11, v15, vcc
	v_mov_b32_e32 v11, 0x260
	v_cmp_class_f32_e64 s[4:5], v6, v11
	s_and_b64 vcc, exec, s[2:3]
	s_nop 0
	v_cndmask_b32_e64 v6, v15, v6, s[4:5]
	s_cbranch_vccnz .LBB197_18
; %bb.17:
	global_load_dword v15, v10, s[22:23] offset:24
	s_waitcnt vmcnt(0)
	v_add_f32_e32 v6, v6, v15
.LBB197_18:
	v_cvt_f32_f16_sdwa v15, v7 dst_sel:DWORD dst_unused:UNUSED_PAD src0_sel:WORD_1
	v_mul_f32_e32 v16, 0x3fb8aa3b, v15
	v_exp_f32_e32 v16, v16
	s_nop 0
	v_add_f32_e32 v16, 1.0, v16
	v_cmp_gt_f32_e32 vcc, s8, v16
	s_nop 1
	v_cndmask_b32_e32 v13, 1.0, v13, vcc
	v_mul_f32_e32 v13, v16, v13
	v_log_f32_e32 v13, v13
	v_cndmask_b32_e32 v14, 0, v14, vcc
	v_mul_f32_e32 v16, 0x3f317217, v13
	v_fma_f32 v16, v13, s7, -v16
	v_fmac_f32_e32 v16, 0x3377d1cf, v13
	v_fmac_f32_e32 v16, 0x3f317217, v13
	v_cmp_lt_f32_e64 vcc, |v13|, s9
	s_nop 1
	v_cndmask_b32_e32 v13, v13, v16, vcc
	v_sub_f32_e32 v13, v13, v14
	v_cmp_gt_f16_sdwa vcc, v7, s6 src0_sel:WORD_1 src1_sel:DWORD
	s_nop 1
	v_cndmask_b32_e32 v7, v13, v15, vcc
	v_mul_f32_e32 v13, 0x4f800000, v7
	v_cmp_gt_f32_e64 s[4:5], s10, v7
	s_and_b64 vcc, exec, s[2:3]
	s_nop 0
	v_cndmask_b32_e64 v7, v7, v13, s[4:5]
	v_sqrt_f32_e32 v13, v7
	s_nop 0
	v_add_u32_e32 v14, -1, v13
	v_add_u32_e32 v15, 1, v13
	v_fma_f32 v16, -v14, v13, v7
	v_fma_f32 v17, -v15, v13, v7
	v_cmp_ge_f32_e64 s[6:7], 0, v16
	s_nop 1
	v_cndmask_b32_e64 v13, v13, v14, s[6:7]
	v_cmp_lt_f32_e64 s[6:7], 0, v17
	s_nop 1
	v_cndmask_b32_e64 v13, v13, v15, s[6:7]
	v_mul_f32_e32 v14, 0x37800000, v13
	v_cndmask_b32_e64 v13, v13, v14, s[4:5]
	v_cmp_class_f32_e64 s[4:5], v7, v11
	s_nop 1
	v_cndmask_b32_e64 v7, v13, v7, s[4:5]
	s_cbranch_vccnz .LBB197_20
; %bb.19:
	global_load_dword v10, v10, s[22:23] offset:28
	s_waitcnt vmcnt(0)
	v_add_f32_e32 v7, v7, v10
.LBB197_20:
	s_load_dwordx4 s[24:27], s[0:1], 0x30
	s_mov_b32 s42, 0
	v_cmp_eq_u32_e64 s[6:7], 0, v9
	s_waitcnt lgkmcnt(0)
	s_bitcmp1_b32 s27, 0
	s_cselect_b64 s[4:5], -1, 0
	s_cmp_gt_i32 s24, 0
	s_cselect_b64 s[38:39], -1, 0
	s_and_b64 vcc, exec, s[38:39]
	s_cbranch_vccz .LBB197_35
; %bb.21:
	v_mbcnt_lo_u32_b32 v10, -1, 0
	v_mbcnt_hi_u32_b32 v10, -1, v10
	s_load_dwordx4 s[28:31], s[0:1], 0x20
	v_and_b32_e32 v13, 0x7e, v10
	v_xor_b32_e32 v11, 1, v10
	v_add_u32_e32 v13, 2, v13
	v_cmp_lt_i32_e32 vcc, v11, v13
	v_mul_lo_u32 v15, v8, s24
	v_mov_b32_e32 v13, 0
	v_cndmask_b32_e32 v10, v10, v11, vcc
	v_lshlrev_b32_e32 v14, 2, v10
	v_mov_b32_e32 v16, 0xc61c4000
	v_mov_b32_e32 v17, v8
	s_branch .LBB197_24
.LBB197_22:                             ;   in Loop: Header=BB197_24 Depth=1
	s_or_b64 exec, exec, s[40:41]
.LBB197_23:                             ;   in Loop: Header=BB197_24 Depth=1
	s_cmp_eq_u32 s24, s42
	v_add_u32_e32 v17, s33, v17
	s_cbranch_scc1 .LBB197_36
.LBB197_24:                             ; =>This Inner Loop Header: Depth=1
	v_cmp_gt_f32_e32 vcc, v1, v0
	s_nop 1
	v_cndmask_b32_e32 v11, v0, v1, vcc
	v_cndmask_b32_e64 v10, 0, 1, vcc
	v_cmp_gt_f32_e32 vcc, v2, v11
	s_nop 1
	v_cndmask_b32_e32 v11, v11, v2, vcc
	v_cndmask_b32_e64 v10, v10, 2, vcc
	;; [unrolled: 4-line block ×6, first 2 shown]
	v_cmp_gt_f32_e32 vcc, v7, v11
	s_nop 1
	v_cndmask_b32_e64 v10, v10, 7, vcc
	v_cndmask_b32_e32 v18, v11, v7, vcc
	ds_bpermute_b32 v11, v14, v18
	v_or_b32_e32 v10, v12, v10
	ds_bpermute_b32 v19, v14, v10
	s_waitcnt lgkmcnt(0)
	v_cmp_lt_f32_e64 s[8:9], v18, v11
	v_cmp_nlt_f32_e32 vcc, v18, v11
	s_and_saveexec_b64 s[10:11], vcc
	s_cbranch_execnz .LBB197_28
; %bb.25:                               ;   in Loop: Header=BB197_24 Depth=1
	s_or_b64 exec, exec, s[10:11]
	s_and_saveexec_b64 s[0:1], s[8:9]
	s_cbranch_execnz .LBB197_29
.LBB197_26:                             ;   in Loop: Header=BB197_24 Depth=1
	s_or_b64 exec, exec, s[0:1]
	s_and_saveexec_b64 s[8:9], s[6:7]
	s_cbranch_execnz .LBB197_30
.LBB197_27:                             ;   in Loop: Header=BB197_24 Depth=1
	s_or_b64 exec, exec, s[8:9]
	s_add_i32 s42, s42, 1
	s_cmp_ge_i32 s42, s24
	s_cbranch_scc1 .LBB197_23
	s_branch .LBB197_33
.LBB197_28:                             ;   in Loop: Header=BB197_24 Depth=1
	v_cmp_eq_f32_e32 vcc, v18, v11
	v_cmp_lt_i32_e64 s[0:1], v19, v10
	s_and_b64 s[0:1], vcc, s[0:1]
	s_andn2_b64 s[8:9], s[8:9], exec
	s_and_b64 s[0:1], s[0:1], exec
	s_or_b64 s[8:9], s[8:9], s[0:1]
	s_or_b64 exec, exec, s[10:11]
	s_and_saveexec_b64 s[0:1], s[8:9]
	s_cbranch_execz .LBB197_26
.LBB197_29:                             ;   in Loop: Header=BB197_24 Depth=1
	v_mov_b32_e32 v10, v19
	v_mov_b32_e32 v18, v11
	s_or_b64 exec, exec, s[0:1]
	s_and_saveexec_b64 s[8:9], s[6:7]
	s_cbranch_execz .LBB197_27
.LBB197_30:                             ;   in Loop: Header=BB197_24 Depth=1
	s_and_b64 vcc, exec, s[2:3]
	s_cbranch_vccnz .LBB197_32
; %bb.31:                               ;   in Loop: Header=BB197_24 Depth=1
	v_ashrrev_i32_e32 v11, 31, v10
	v_lshl_add_u64 v[20:21], v[10:11], 2, s[22:23]
	global_load_dword v11, v[20:21], off
	s_waitcnt vmcnt(0)
	v_sub_f32_e32 v18, v18, v11
.LBB197_32:                             ;   in Loop: Header=BB197_24 Depth=1
	v_add_u32_e32 v20, s42, v15
	v_cmp_le_i32_e32 vcc, s25, v10
	v_cmp_gt_i32_e64 s[0:1], s26, v10
	v_ashrrev_i32_e32 v21, 31, v20
	s_and_b64 s[0:1], vcc, s[0:1]
	v_lshlrev_b64 v[20:21], 2, v[20:21]
	v_lshl_add_u64 v[22:23], s[34:35], 0, v[20:21]
	v_subrev_u32_e32 v11, s25, v10
	s_and_b64 vcc, s[36:37], s[0:1]
	global_store_dword v[22:23], v18, off
	v_cndmask_b32_e32 v11, 16, v11, vcc
	v_lshl_add_u64 v[22:23], s[28:29], 0, v[20:21]
	global_store_dword v[22:23], v11, off
	v_add_f32_e32 v11, v13, v18
	v_lshl_add_u64 v[20:21], s[30:31], 0, v[20:21]
	v_cndmask_b32_e64 v13, v13, v11, s[4:5]
	global_store_dword v[20:21], v17, off
	s_or_b64 exec, exec, s[8:9]
	s_add_i32 s42, s42, 1
	s_cmp_ge_i32 s42, s24
	s_cbranch_scc1 .LBB197_23
.LBB197_33:                             ;   in Loop: Header=BB197_24 Depth=1
	v_ashrrev_i32_e32 v18, 31, v10
	v_lshrrev_b32_e32 v11, 29, v18
	v_add_u32_e32 v19, v10, v11
	v_ashrrev_i32_e32 v11, 3, v19
	v_lshrrev_b32_e32 v19, 31, v19
	v_add_u32_e32 v19, v11, v19
	v_and_b32_e32 v19, -2, v19
	v_sub_u32_e32 v19, v11, v19
	v_cmp_eq_u32_e32 vcc, v9, v19
	s_and_saveexec_b64 s[40:41], vcc
	s_cbranch_execz .LBB197_22
; %bb.34:                               ;   in Loop: Header=BB197_24 Depth=1
	v_lshrrev_b32_e32 v18, 28, v18
	v_add_u32_e32 v18, v10, v18
	v_lshlrev_b32_e32 v11, 3, v11
	v_sub_u32_e32 v10, v10, v11
	v_ashrrev_i32_e32 v11, 4, v18
	v_lshl_add_u32 v10, v11, 3, v10
	v_cmp_ne_u32_e32 vcc, 6, v10
	v_cmp_ne_u32_e64 s[0:1], 5, v10
	v_cmp_ne_u32_e64 s[8:9], 4, v10
	v_cmp_ne_u32_e64 s[10:11], 3, v10
	v_cmp_ne_u32_e64 s[12:13], 2, v10
	v_cmp_ne_u32_e64 s[14:15], 1, v10
	v_cmp_ne_u32_e64 s[16:17], 0, v10
	v_cmp_ne_u32_e64 s[18:19], 7, v10
	v_cndmask_b32_e32 v6, v16, v6, vcc
	v_cndmask_b32_e64 v5, v16, v5, s[0:1]
	v_cndmask_b32_e64 v7, v16, v7, s[18:19]
	v_cndmask_b32_e64 v4, v16, v4, s[8:9]
	v_cndmask_b32_e64 v3, v16, v3, s[10:11]
	v_cndmask_b32_e64 v2, v16, v2, s[12:13]
	v_cndmask_b32_e64 v1, v16, v1, s[14:15]
	v_cndmask_b32_e64 v0, v16, v0, s[16:17]
	s_branch .LBB197_22
.LBB197_35:
	v_mov_b32_e32 v13, 0
.LBB197_36:
	v_cmp_eq_u32_e32 vcc, 0, v9
	s_and_b64 exec, exec, vcc
	s_cbranch_execz .LBB197_49
; %bb.37:
	s_andn2_b64 vcc, exec, s[4:5]
	v_cvt_f32_f64_e32 v0, s[20:21]
	s_cbranch_vccnz .LBB197_39
; %bb.38:
	v_cmp_lt_f32_e32 vcc, 0, v13
	s_nop 1
	v_cndmask_b32_e32 v1, 1.0, v13, vcc
	v_div_scale_f32 v2, s[0:1], v1, v1, v0
	v_rcp_f32_e32 v3, v2
	s_nop 0
	v_fma_f32 v4, -v2, v3, 1.0
	v_fmac_f32_e32 v3, v4, v3
	v_div_scale_f32 v4, vcc, v0, v1, v0
	v_mul_f32_e32 v5, v4, v3
	v_fma_f32 v6, -v2, v5, v4
	v_fmac_f32_e32 v5, v6, v3
	v_fma_f32 v2, -v2, v5, v4
	v_div_fmas_f32 v2, v2, v3, v5
	v_div_fixup_f32 v0, v2, v1, v0
.LBB197_39:
	s_andn2_b64 vcc, exec, s[38:39]
	s_cbranch_vccnz .LBB197_49
; %bb.40:
	v_mul_lo_u32 v2, v8, s24
	s_cmp_gt_u32 s24, 3
	v_ashrrev_i32_e32 v3, 31, v2
	s_cbranch_scc0 .LBB197_44
; %bb.41:
	s_and_b32 s0, s24, 0x7ffffffc
	v_lshl_add_u64 v[4:5], v[2:3], 2, s[34:35]
	v_mov_b32_e32 v1, v0
	v_lshl_add_u64 v[4:5], v[4:5], 0, 8
	s_mov_b32 s1, s0
.LBB197_42:                             ; =>This Inner Loop Header: Depth=1
	global_load_dwordx4 v[6:9], v[4:5], off offset:-8
	s_add_i32 s1, s1, -4
	s_cmp_lg_u32 s1, 0
	s_waitcnt vmcnt(0)
	v_pk_mul_f32 v[6:7], v[0:1], v[6:7]
	v_pk_mul_f32 v[8:9], v[0:1], v[8:9]
	global_store_dwordx4 v[4:5], v[6:9], off offset:-8
	v_lshl_add_u64 v[4:5], v[4:5], 0, 16
	s_cbranch_scc1 .LBB197_42
; %bb.43:
	s_cmp_lg_u32 s0, s24
	s_cselect_b64 s[2:3], -1, 0
	s_branch .LBB197_46
.LBB197_44:
	s_mov_b64 s[2:3], 0
                                        ; implicit-def: $sgpr0
	s_cbranch_execz .LBB197_46
; %bb.45:
	s_mov_b64 s[2:3], -1
	s_mov_b32 s0, 0
.LBB197_46:
	s_andn2_b64 vcc, exec, s[2:3]
	s_cbranch_vccnz .LBB197_49
; %bb.47:
	s_mov_b32 s1, 0
	v_lshl_add_u64 v[2:3], v[2:3], 0, s[0:1]
	s_sub_i32 s2, s24, s0
	v_lshl_add_u64 v[2:3], v[2:3], 2, s[34:35]
.LBB197_48:                             ; =>This Inner Loop Header: Depth=1
	global_load_dword v1, v[2:3], off
	s_add_i32 s2, s2, -1
	s_cmp_lg_u32 s2, 0
	s_waitcnt vmcnt(0)
	v_mul_f32_e32 v1, v0, v1
	global_store_dword v[2:3], v1, off
	v_lshl_add_u64 v[2:3], v[2:3], 0, 4
	s_cbranch_scc1 .LBB197_48
.LBB197_49:
	s_endpgm
	.section	.rodata,"a",@progbits
	.p2align	6, 0x0
	.amdhsa_kernel _ZN4vllm3moe22topkGatingSoftplusSqrtILi8ELi16ELi4ELi16ELi64ELb0Ei6__halfEEvPKT6_PKbPfiPT5_PiiiibdPKfPKS9_SF_
		.amdhsa_group_segment_fixed_size 0
		.amdhsa_private_segment_fixed_size 0
		.amdhsa_kernarg_size 96
		.amdhsa_user_sgpr_count 2
		.amdhsa_user_sgpr_dispatch_ptr 0
		.amdhsa_user_sgpr_queue_ptr 0
		.amdhsa_user_sgpr_kernarg_segment_ptr 1
		.amdhsa_user_sgpr_dispatch_id 0
		.amdhsa_user_sgpr_kernarg_preload_length 0
		.amdhsa_user_sgpr_kernarg_preload_offset 0
		.amdhsa_user_sgpr_private_segment_size 0
		.amdhsa_uses_dynamic_stack 0
		.amdhsa_enable_private_segment 0
		.amdhsa_system_sgpr_workgroup_id_x 1
		.amdhsa_system_sgpr_workgroup_id_y 0
		.amdhsa_system_sgpr_workgroup_id_z 0
		.amdhsa_system_sgpr_workgroup_info 0
		.amdhsa_system_vgpr_workitem_id 1
		.amdhsa_next_free_vgpr 24
		.amdhsa_next_free_sgpr 43
		.amdhsa_accum_offset 24
		.amdhsa_reserve_vcc 1
		.amdhsa_float_round_mode_32 0
		.amdhsa_float_round_mode_16_64 0
		.amdhsa_float_denorm_mode_32 3
		.amdhsa_float_denorm_mode_16_64 3
		.amdhsa_dx10_clamp 1
		.amdhsa_ieee_mode 1
		.amdhsa_fp16_overflow 0
		.amdhsa_tg_split 0
		.amdhsa_exception_fp_ieee_invalid_op 0
		.amdhsa_exception_fp_denorm_src 0
		.amdhsa_exception_fp_ieee_div_zero 0
		.amdhsa_exception_fp_ieee_overflow 0
		.amdhsa_exception_fp_ieee_underflow 0
		.amdhsa_exception_fp_ieee_inexact 0
		.amdhsa_exception_int_div_zero 0
	.end_amdhsa_kernel
	.section	.text._ZN4vllm3moe22topkGatingSoftplusSqrtILi8ELi16ELi4ELi16ELi64ELb0Ei6__halfEEvPKT6_PKbPfiPT5_PiiiibdPKfPKS9_SF_,"axG",@progbits,_ZN4vllm3moe22topkGatingSoftplusSqrtILi8ELi16ELi4ELi16ELi64ELb0Ei6__halfEEvPKT6_PKbPfiPT5_PiiiibdPKfPKS9_SF_,comdat
.Lfunc_end197:
	.size	_ZN4vllm3moe22topkGatingSoftplusSqrtILi8ELi16ELi4ELi16ELi64ELb0Ei6__halfEEvPKT6_PKbPfiPT5_PiiiibdPKfPKS9_SF_, .Lfunc_end197-_ZN4vllm3moe22topkGatingSoftplusSqrtILi8ELi16ELi4ELi16ELi64ELb0Ei6__halfEEvPKT6_PKbPfiPT5_PiiiibdPKfPKS9_SF_
                                        ; -- End function
	.section	.AMDGPU.csdata,"",@progbits
; Kernel info:
; codeLenInByte = 3696
; NumSgprs: 49
; NumVgprs: 24
; NumAgprs: 0
; TotalNumVgprs: 24
; ScratchSize: 0
; MemoryBound: 0
; FloatMode: 240
; IeeeMode: 1
; LDSByteSize: 0 bytes/workgroup (compile time only)
; SGPRBlocks: 6
; VGPRBlocks: 2
; NumSGPRsForWavesPerEU: 49
; NumVGPRsForWavesPerEU: 24
; AccumOffset: 24
; Occupancy: 8
; WaveLimiterHint : 0
; COMPUTE_PGM_RSRC2:SCRATCH_EN: 0
; COMPUTE_PGM_RSRC2:USER_SGPR: 2
; COMPUTE_PGM_RSRC2:TRAP_HANDLER: 0
; COMPUTE_PGM_RSRC2:TGID_X_EN: 1
; COMPUTE_PGM_RSRC2:TGID_Y_EN: 0
; COMPUTE_PGM_RSRC2:TGID_Z_EN: 0
; COMPUTE_PGM_RSRC2:TIDIG_COMP_CNT: 1
; COMPUTE_PGM_RSRC3_GFX90A:ACCUM_OFFSET: 5
; COMPUTE_PGM_RSRC3_GFX90A:TG_SPLIT: 0
	.section	.text._ZN4vllm3moe22topkGatingSoftplusSqrtILi8ELi16ELi4ELi16ELi32ELb1Ei6__halfEEvPKT6_PKbPfiPT5_PiiiibdPKfPKS9_SF_,"axG",@progbits,_ZN4vllm3moe22topkGatingSoftplusSqrtILi8ELi16ELi4ELi16ELi32ELb1Ei6__halfEEvPKT6_PKbPfiPT5_PiiiibdPKfPKS9_SF_,comdat
	.protected	_ZN4vllm3moe22topkGatingSoftplusSqrtILi8ELi16ELi4ELi16ELi32ELb1Ei6__halfEEvPKT6_PKbPfiPT5_PiiiibdPKfPKS9_SF_ ; -- Begin function _ZN4vllm3moe22topkGatingSoftplusSqrtILi8ELi16ELi4ELi16ELi32ELb1Ei6__halfEEvPKT6_PKbPfiPT5_PiiiibdPKfPKS9_SF_
	.globl	_ZN4vllm3moe22topkGatingSoftplusSqrtILi8ELi16ELi4ELi16ELi32ELb1Ei6__halfEEvPKT6_PKbPfiPT5_PiiiibdPKfPKS9_SF_
	.p2align	8
	.type	_ZN4vllm3moe22topkGatingSoftplusSqrtILi8ELi16ELi4ELi16ELi32ELb1Ei6__halfEEvPKT6_PKbPfiPT5_PiiiibdPKfPKS9_SF_,@function
_ZN4vllm3moe22topkGatingSoftplusSqrtILi8ELi16ELi4ELi16ELi32ELb1Ei6__halfEEvPKT6_PKbPfiPT5_PiiiibdPKfPKS9_SF_: ; @_ZN4vllm3moe22topkGatingSoftplusSqrtILi8ELi16ELi4ELi16ELi32ELb1Ei6__halfEEvPKT6_PKbPfiPT5_PiiiibdPKfPKS9_SF_
; %bb.0:
	s_load_dword s3, s[0:1], 0x18
	v_bfe_u32 v1, v0, 10, 10
	v_and_b32_e32 v11, 0x3ff, v0
	s_lshl_b32 s2, s2, 6
	v_lshlrev_b32_e32 v1, 4, v1
	v_lshrrev_b32_e32 v0, 1, v11
	v_add3_u32 v6, s2, v1, v0
	s_waitcnt lgkmcnt(0)
	v_cmp_gt_i32_e32 vcc, s3, v6
	s_and_saveexec_b64 s[2:3], vcc
	s_cbranch_execz .LBB198_31
; %bb.1:
	s_load_dwordx2 s[2:3], s[0:1], 0x0
	s_load_dword s33, s[0:1], 0x30
	v_lshlrev_b32_e32 v0, 4, v6
	v_lshlrev_b32_e32 v2, 3, v11
	v_ashrrev_i32_e32 v1, 31, v0
	v_and_b32_e32 v10, 8, v2
	s_waitcnt lgkmcnt(0)
	v_lshl_add_u64 v[0:1], v[0:1], 1, s[2:3]
	v_lshlrev_b32_e32 v4, 1, v10
	v_mov_b32_e32 v5, 0
	v_lshl_add_u64 v[0:1], v[0:1], 0, v[4:5]
	global_load_dwordx4 v[0:3], v[0:1], off
	s_load_dwordx4 s[8:11], s[0:1], 0x50
	v_ashrrev_i32_e32 v7, 31, v6
	s_mov_b32 s15, 0x800000
	s_mov_b32 s13, 0x3f317217
	s_mov_b32 s14, 0x7f800000
	s_waitcnt lgkmcnt(0)
	v_mov_b32_e32 v8, s8
	v_mov_b32_e32 v9, s9
	v_lshl_add_u64 v[8:9], v[6:7], 2, v[8:9]
	global_load_dword v4, v[8:9], off
	v_mov_b32_e32 v7, 0x4f800000
	v_mov_b32_e32 v16, 0x41b17218
	s_movk_i32 s9, 0x4d00
	s_mov_b32 s12, 0xf800000
	v_mov_b32_e32 v17, 0x260
	s_cmp_gt_i32 s33, 0
	s_mov_b32 s8, 0
	s_waitcnt vmcnt(1)
	v_cvt_f32_f16_e32 v18, v0
	v_cvt_f32_f16_sdwa v19, v0 dst_sel:DWORD dst_unused:UNUSED_PAD src0_sel:WORD_1
	v_cvt_f32_f16_e32 v20, v1
	v_cvt_f32_f16_sdwa v21, v1 dst_sel:DWORD dst_unused:UNUSED_PAD src0_sel:WORD_1
	v_mul_f32_e32 v8, 0x3fb8aa3b, v18
	v_mul_f32_e32 v9, 0x3fb8aa3b, v19
	v_exp_f32_e32 v12, v8
	v_exp_f32_e32 v13, v9
	v_mul_f32_e32 v14, 0x3fb8aa3b, v20
	v_mul_f32_e32 v15, 0x3fb8aa3b, v21
	v_exp_f32_e32 v14, v14
	v_exp_f32_e32 v15, v15
	v_pk_add_f32 v[12:13], v[12:13], 1.0 op_sel_hi:[1,0]
	s_waitcnt vmcnt(0)
	v_mul_lo_u32 v8, v4, s33
	v_cmp_gt_f32_e32 vcc, s15, v13
	v_pk_add_f32 v[14:15], v[14:15], 1.0 op_sel_hi:[1,0]
	v_cmp_gt_f32_e64 s[2:3], s15, v12
	v_cndmask_b32_e32 v4, 1.0, v7, vcc
	v_cmp_gt_f32_e64 s[4:5], s15, v15
	v_cndmask_b32_e64 v22, 1.0, v7, s[2:3]
	v_mul_f32_e32 v4, v13, v4
	v_cndmask_b32_e64 v23, 1.0, v7, s[4:5]
	v_mul_f32_e32 v12, v12, v22
	v_log_f32_e32 v4, v4
	v_mul_f32_e32 v15, v15, v23
	v_log_f32_e32 v12, v12
	v_cmp_gt_f32_e64 s[6:7], s15, v14
	v_log_f32_e32 v15, v15
	v_cndmask_b32_e32 v13, 0, v16, vcc
	v_cndmask_b32_e64 v24, 1.0, v7, s[6:7]
	v_mul_f32_e32 v14, v14, v24
	v_mul_f32_e32 v24, 0x3f317217, v4
	;; [unrolled: 1-line block ×3, first 2 shown]
	v_fma_f32 v24, v4, s13, -v24
	v_mul_f32_e32 v26, 0x3f317217, v15
	v_fma_f32 v25, v12, s13, -v25
	v_fmac_f32_e32 v24, 0x3377d1cf, v4
	v_fma_f32 v26, v15, s13, -v26
	v_fmac_f32_e32 v25, 0x3377d1cf, v12
	v_fmac_f32_e32 v24, 0x3f317217, v4
	v_cmp_lt_f32_e64 vcc, |v4|, s14
	v_fmac_f32_e32 v26, 0x3377d1cf, v15
	v_fmac_f32_e32 v25, 0x3f317217, v12
	v_cndmask_b32_e32 v4, v4, v24, vcc
	v_cmp_lt_f32_e64 vcc, |v12|, s14
	v_cndmask_b32_e64 v22, 0, v16, s[2:3]
	v_fmac_f32_e32 v26, 0x3f317217, v15
	v_cndmask_b32_e32 v12, v12, v25, vcc
	v_cmp_lt_f32_e64 vcc, |v15|, s14
	v_sub_f32_e32 v12, v12, v22
	v_sub_f32_e32 v4, v4, v13
	v_cndmask_b32_e32 v15, v15, v26, vcc
	v_cmp_lt_f16_e32 vcc, s9, v0
	v_cndmask_b32_e64 v23, 0, v16, s[4:5]
	v_log_f32_e32 v14, v14
	v_cndmask_b32_e32 v12, v12, v18, vcc
	v_cmp_gt_f16_sdwa vcc, v0, s9 src0_sel:WORD_1 src1_sel:DWORD
	v_mul_f32_e32 v13, 0x4f800000, v12
	v_cmp_gt_f32_e64 s[2:3], s12, v12
	v_cndmask_b32_e32 v0, v4, v19, vcc
	v_mul_f32_e32 v4, 0x4f800000, v0
	v_cmp_gt_f32_e32 vcc, s12, v0
	v_cndmask_b32_e64 v12, v12, v13, s[2:3]
	v_sqrt_f32_e32 v13, v12
	v_cndmask_b32_e32 v0, v0, v4, vcc
	v_sqrt_f32_e32 v4, v0
	v_sub_f32_e32 v15, v15, v23
	v_add_u32_e32 v22, -1, v13
	v_fma_f32 v26, -v22, v13, v12
	v_add_u32_e32 v18, -1, v4
	v_fma_f32 v24, -v18, v4, v0
	v_add_u32_e32 v19, 1, v4
	v_cmp_ge_f32_e64 s[4:5], 0, v24
	v_add_u32_e32 v23, 1, v13
	v_fma_f32 v25, -v19, v4, v0
	v_cndmask_b32_e64 v4, v4, v18, s[4:5]
	v_cmp_ge_f32_e64 s[4:5], 0, v26
	v_fma_f32 v28, -v23, v13, v12
	v_mul_f32_e32 v27, 0x3f317217, v14
	v_cndmask_b32_e64 v13, v13, v22, s[4:5]
	v_cmp_lt_f32_e64 s[4:5], 0, v25
	v_fma_f32 v27, v14, s13, -v27
	v_fmac_f32_e32 v27, 0x3377d1cf, v14
	v_cndmask_b32_e64 v4, v4, v19, s[4:5]
	v_cmp_lt_f32_e64 s[4:5], 0, v28
	v_mul_f32_e32 v18, 0x37800000, v4
	v_cndmask_b32_e32 v4, v4, v18, vcc
	v_cndmask_b32_e64 v13, v13, v23, s[4:5]
	v_mul_f32_e32 v19, 0x37800000, v13
	v_cmp_class_f32_e32 vcc, v0, v17
	v_cndmask_b32_e64 v18, v13, v19, s[2:3]
	v_fmac_f32_e32 v27, 0x3f317217, v14
	v_cndmask_b32_e32 v13, v4, v0, vcc
	v_cmp_class_f32_e32 vcc, v12, v17
	v_cndmask_b32_e64 v4, 0, v16, s[6:7]
	v_cmp_lt_f16_e64 s[2:3], s9, v1
	v_cndmask_b32_e32 v12, v18, v12, vcc
	v_cmp_lt_f32_e64 vcc, |v14|, s14
	v_cvt_f32_f16_e32 v19, v2
	v_ashrrev_i32_e32 v9, 31, v8
	v_cndmask_b32_e32 v0, v14, v27, vcc
	v_cmp_gt_f16_sdwa vcc, v1, s9 src0_sel:WORD_1 src1_sel:DWORD
	v_sub_f32_e32 v0, v0, v4
	v_cndmask_b32_e64 v0, v0, v20, s[2:3]
	v_cndmask_b32_e32 v14, v15, v21, vcc
	v_mul_f32_e32 v15, 0x4f800000, v14
	v_cmp_gt_f32_e32 vcc, s12, v14
	v_cvt_f32_f16_sdwa v20, v2 dst_sel:DWORD dst_unused:UNUSED_PAD src0_sel:WORD_1
	s_nop 0
	v_cndmask_b32_e32 v14, v14, v15, vcc
	v_sqrt_f32_e32 v15, v14
	s_nop 0
	v_add_u32_e32 v1, -1, v15
	v_fma_f32 v4, -v1, v15, v14
	v_cmp_ge_f32_e64 s[2:3], 0, v4
	v_add_u32_e32 v4, 1, v15
	s_nop 0
	v_cndmask_b32_e64 v1, v15, v1, s[2:3]
	v_fma_f32 v15, -v4, v15, v14
	v_cmp_lt_f32_e64 s[2:3], 0, v15
	v_mul_f32_e32 v15, 0x4f800000, v0
	s_nop 0
	v_cndmask_b32_e64 v1, v1, v4, s[2:3]
	v_cmp_gt_f32_e64 s[2:3], s12, v0
	v_mul_f32_e32 v4, 0x37800000, v1
	v_cndmask_b32_e32 v1, v1, v4, vcc
	v_cndmask_b32_e64 v18, v0, v15, s[2:3]
	v_sqrt_f32_e32 v0, v18
	v_cmp_class_f32_e32 vcc, v14, v17
	s_nop 1
	v_cndmask_b32_e32 v15, v1, v14, vcc
	v_add_u32_e32 v1, -1, v0
	v_fma_f32 v4, -v1, v0, v18
	v_cmp_ge_f32_e32 vcc, 0, v4
	v_add_u32_e32 v14, 1, v0
	v_fma_f32 v21, -v14, v0, v18
	v_cndmask_b32_e32 v4, v0, v1, vcc
	v_mul_f32_e32 v0, 0x3fb8aa3b, v19
	v_mul_f32_e32 v1, 0x3fb8aa3b, v20
	v_exp_f32_e32 v0, v0
	v_exp_f32_e32 v1, v1
	v_cmp_lt_f32_e32 vcc, 0, v21
	v_pk_add_f32 v[0:1], v[0:1], 1.0 op_sel_hi:[1,0]
	s_nop 0
	v_cndmask_b32_e32 v4, v4, v14, vcc
	v_mul_f32_e32 v14, 0x37800000, v4
	v_cmp_gt_f32_e32 vcc, s15, v1
	v_cndmask_b32_e64 v4, v4, v14, s[2:3]
	v_cmp_class_f32_e64 s[2:3], v18, v17
	v_cndmask_b32_e32 v14, 1.0, v7, vcc
	v_mul_f32_e32 v1, v1, v14
	v_log_f32_e32 v1, v1
	v_cndmask_b32_e64 v14, v4, v18, s[2:3]
	v_cmp_gt_f32_e64 s[2:3], s15, v0
	scratch_store_dwordx4 off, v[12:15], off
	v_mul_f32_e32 v4, 0x3f317217, v1
	v_fma_f32 v4, v1, s13, -v4
	v_cndmask_b32_e64 v12, 1.0, v7, s[2:3]
	v_mul_f32_e32 v0, v0, v12
	v_log_f32_e32 v0, v0
	v_fmac_f32_e32 v4, 0x3377d1cf, v1
	v_fmac_f32_e32 v4, 0x3f317217, v1
	v_cmp_lt_f32_e64 s[4:5], |v1|, s14
	v_cvt_f32_f16_sdwa v15, v3 dst_sel:DWORD dst_unused:UNUSED_PAD src0_sel:WORD_1
	v_mul_f32_e32 v13, 0x3fb8aa3b, v15
	v_cndmask_b32_e64 v1, v1, v4, s[4:5]
	v_cndmask_b32_e32 v4, 0, v16, vcc
	v_sub_f32_e32 v1, v1, v4
	v_mul_f32_e32 v4, 0x3f317217, v0
	v_fma_f32 v4, v0, s13, -v4
	v_fmac_f32_e32 v4, 0x3377d1cf, v0
	v_fmac_f32_e32 v4, 0x3f317217, v0
	v_cmp_lt_f32_e64 vcc, |v0|, s14
	v_exp_f32_e32 v13, v13
	s_nop 0
	v_cndmask_b32_e32 v0, v0, v4, vcc
	v_cmp_gt_f16_sdwa vcc, v2, s9 src0_sel:WORD_1 src1_sel:DWORD
	v_cndmask_b32_e64 v4, 0, v16, s[2:3]
	v_cmp_lt_f16_e64 s[2:3], s9, v2
	v_cndmask_b32_e32 v1, v1, v20, vcc
	v_mul_f32_e32 v12, 0x4f800000, v1
	v_cmp_gt_f32_e32 vcc, s12, v1
	v_sub_f32_e32 v0, v0, v4
	v_cndmask_b32_e64 v0, v0, v19, s[2:3]
	v_cndmask_b32_e32 v1, v1, v12, vcc
	v_sqrt_f32_e32 v12, v1
	s_nop 0
	v_add_u32_e32 v2, -1, v12
	v_fma_f32 v4, -v2, v12, v1
	v_cmp_ge_f32_e64 s[2:3], 0, v4
	v_add_u32_e32 v4, 1, v12
	s_nop 0
	v_cndmask_b32_e64 v2, v12, v2, s[2:3]
	v_fma_f32 v12, -v4, v12, v1
	v_cmp_lt_f32_e64 s[2:3], 0, v12
	v_mul_f32_e32 v12, 0x4f800000, v0
	s_nop 0
	v_cndmask_b32_e64 v2, v2, v4, s[2:3]
	v_cmp_gt_f32_e64 s[2:3], s12, v0
	v_mul_f32_e32 v4, 0x37800000, v2
	v_cndmask_b32_e32 v2, v2, v4, vcc
	v_cndmask_b32_e64 v0, v0, v12, s[2:3]
	v_sqrt_f32_e32 v12, v0
	v_cmp_class_f32_e32 vcc, v1, v17
	v_add_u32_e32 v14, 1, v12
	s_nop 0
	v_cndmask_b32_e32 v1, v2, v1, vcc
	v_add_u32_e32 v2, -1, v12
	v_fma_f32 v4, -v2, v12, v0
	v_cmp_ge_f32_e32 vcc, 0, v4
	v_cvt_f32_f16_e32 v4, v3
	v_fma_f32 v18, -v14, v12, v0
	v_cndmask_b32_e32 v2, v12, v2, vcc
	v_cmp_lt_f32_e32 vcc, 0, v18
	v_mul_f32_e32 v12, 0x3fb8aa3b, v4
	v_exp_f32_e32 v12, v12
	v_cndmask_b32_e32 v2, v2, v14, vcc
	v_mul_f32_e32 v14, 0x37800000, v2
	v_cndmask_b32_e64 v2, v2, v14, s[2:3]
	v_pk_add_f32 v[12:13], v[12:13], 1.0 op_sel_hi:[1,0]
	v_cmp_class_f32_e64 s[2:3], v0, v17
	v_cmp_gt_f32_e32 vcc, s15, v13
	s_nop 0
	v_cndmask_b32_e64 v0, v2, v0, s[2:3]
	v_cndmask_b32_e32 v18, 1.0, v7, vcc
	v_mul_f32_e32 v13, v13, v18
	v_log_f32_e32 v13, v13
	v_cmp_gt_f32_e64 s[2:3], s15, v12
	v_mul_f32_e32 v2, 0x3f317217, v13
	s_nop 0
	v_cndmask_b32_e64 v7, 1.0, v7, s[2:3]
	v_mul_f32_e32 v7, v12, v7
	v_fma_f32 v2, v13, s13, -v2
	v_log_f32_e32 v7, v7
	v_fmac_f32_e32 v2, 0x3377d1cf, v13
	v_fmac_f32_e32 v2, 0x3f317217, v13
	v_cmp_lt_f32_e64 s[4:5], |v13|, s14
	v_cndmask_b32_e32 v12, 0, v16, vcc
	v_cmp_lt_f32_e64 vcc, |v7|, s14
	v_cndmask_b32_e64 v2, v13, v2, s[4:5]
	v_sub_f32_e32 v2, v2, v12
	v_mul_f32_e32 v12, 0x3f317217, v7
	v_fma_f32 v12, v7, s13, -v12
	v_fmac_f32_e32 v12, 0x3377d1cf, v7
	v_fmac_f32_e32 v12, 0x3f317217, v7
	v_cndmask_b32_e32 v7, v7, v12, vcc
	v_cmp_gt_f16_sdwa vcc, v3, s9 src0_sel:WORD_1 src1_sel:DWORD
	v_cndmask_b32_e64 v12, 0, v16, s[2:3]
	v_sub_f32_e32 v7, v7, v12
	v_cndmask_b32_e32 v2, v2, v15, vcc
	v_mul_f32_e32 v13, 0x4f800000, v2
	v_cmp_gt_f32_e32 vcc, s12, v2
	v_cmp_lt_f16_e64 s[2:3], s9, v3
	s_cselect_b64 s[4:5], -1, 0
	v_cndmask_b32_e32 v2, v2, v13, vcc
	v_sqrt_f32_e32 v13, v2
	v_cndmask_b32_e64 v3, v7, v4, s[2:3]
	s_cmp_lt_i32 s33, 1
	v_add_u32_e32 v4, -1, v13
	v_fma_f32 v7, -v4, v13, v2
	v_cmp_ge_f32_e64 s[2:3], 0, v7
	v_add_u32_e32 v7, 1, v13
	v_fma_f32 v12, -v7, v13, v2
	v_cndmask_b32_e64 v4, v13, v4, s[2:3]
	v_cmp_lt_f32_e64 s[2:3], 0, v12
	v_mul_f32_e32 v12, 0x4f800000, v3
	s_nop 0
	v_cndmask_b32_e64 v4, v4, v7, s[2:3]
	v_cmp_gt_f32_e64 s[2:3], s12, v3
	v_mul_f32_e32 v7, 0x37800000, v4
	s_nop 0
	v_cndmask_b32_e64 v12, v3, v12, s[2:3]
	v_sqrt_f32_e32 v13, v12
	v_cndmask_b32_e32 v3, v4, v7, vcc
	v_cmp_class_f32_e32 vcc, v2, v17
	s_nop 1
	v_cndmask_b32_e32 v3, v3, v2, vcc
	v_add_u32_e32 v2, -1, v13
	v_fma_f32 v4, -v2, v13, v12
	v_cmp_ge_f32_e32 vcc, 0, v4
	v_add_u32_e32 v4, 1, v13
	v_fma_f32 v7, -v4, v13, v12
	v_cndmask_b32_e32 v2, v13, v2, vcc
	v_cmp_lt_f32_e32 vcc, 0, v7
	s_nop 1
	v_cndmask_b32_e32 v2, v2, v4, vcc
	v_mul_f32_e32 v4, 0x37800000, v2
	v_cndmask_b32_e64 v2, v2, v4, s[2:3]
	v_cmp_class_f32_e32 vcc, v12, v17
	s_nop 1
	v_cndmask_b32_e32 v2, v2, v12, vcc
	scratch_store_dwordx4 off, v[0:3], off offset:16
	s_nop 1
	v_lshl_add_u64 v[2:3], v[8:9], 2, s[10:11]
	v_mul_lo_u32 v0, v6, s33
	s_cbranch_scc1 .LBB198_28
; %bb.2:
	s_load_dwordx2 s[6:7], s[0:1], 0x20
	s_cmp_lt_u32 s33, 4
	v_and_b32_e32 v4, 1, v11
	s_cbranch_scc1 .LBB198_21
; %bb.3:
	v_lshlrev_b32_e32 v5, 3, v4
	s_mov_b32 s11, 0
	s_and_b32 s8, s33, 0x7ffffffc
	v_ashrrev_i32_e32 v1, 31, v0
	v_sub_u32_e32 v11, 0, v5
	v_mov_b32_e32 v5, 0
	s_mov_b32 s10, s11
	s_branch .LBB198_5
.LBB198_4:                              ;   in Loop: Header=BB198_5 Depth=1
	s_or_b64 exec, exec, s[12:13]
	s_add_i32 s10, s10, 4
	s_cmp_eq_u32 s10, s8
	s_cbranch_scc1 .LBB198_21
.LBB198_5:                              ; =>This Loop Header: Depth=1
                                        ;     Child Loop BB198_7 Depth 2
                                        ;     Child Loop BB198_11 Depth 2
	;; [unrolled: 1-line block ×4, first 2 shown]
	v_lshl_add_u64 v[6:7], s[10:11], 2, v[2:3]
	global_load_dword v12, v[6:7], off
	v_add_u32_e32 v8, s10, v0
	v_ashrrev_i32_e32 v9, 31, v8
	v_mov_b32_e32 v13, 0
	s_mov_b64 s[12:13], 0
	s_waitcnt lgkmcnt(0)
	v_lshl_add_u64 v[8:9], v[8:9], 2, s[6:7]
	s_mov_b32 s9, 0
	s_waitcnt vmcnt(0)
	v_add_u32_e32 v14, v11, v12
	s_branch .LBB198_7
.LBB198_6:                              ;   in Loop: Header=BB198_7 Depth=2
	s_or_b64 exec, exec, s[14:15]
	s_add_i32 s16, s9, 1
	s_cmp_gt_u32 s9, 6
	s_cselect_b64 s[2:3], -1, 0
	s_xor_b64 s[14:15], vcc, -1
	s_or_b64 s[2:3], s[14:15], s[2:3]
	s_and_b64 s[2:3], exec, s[2:3]
	v_add_u32_e32 v13, 4, v13
	s_or_b64 s[12:13], s[2:3], s[12:13]
	s_mov_b32 s9, s16
	s_andn2_b64 exec, exec, s[12:13]
	s_cbranch_execz .LBB198_9
.LBB198_7:                              ;   Parent Loop BB198_5 Depth=1
                                        ; =>  This Inner Loop Header: Depth=2
	v_cmp_ne_u32_e32 vcc, s9, v14
	v_cmp_eq_u32_e64 s[2:3], s9, v14
	s_and_saveexec_b64 s[14:15], s[2:3]
	s_cbranch_execz .LBB198_6
; %bb.8:                                ;   in Loop: Header=BB198_7 Depth=2
	scratch_load_dword v15, v13, off
	s_waitcnt vmcnt(0)
	v_add_f32_e32 v5, v5, v15
	global_store_dword v[8:9], v12, off
	s_branch .LBB198_6
.LBB198_9:                              ;   in Loop: Header=BB198_5 Depth=1
	s_or_b64 exec, exec, s[12:13]
	global_load_dword v12, v[6:7], off offset:4
	s_ashr_i32 s3, s10, 31
	s_mov_b32 s2, s10
	v_lshl_add_u64 v[8:9], s[2:3], 0, v[0:1]
	v_mov_b32_e32 v13, 0
	s_mov_b32 s9, 0
	v_lshl_add_u64 v[8:9], v[8:9], 2, s[6:7]
	s_mov_b64 s[12:13], 0
	s_waitcnt vmcnt(0)
	v_add_u32_e32 v14, v11, v12
	s_branch .LBB198_11
.LBB198_10:                             ;   in Loop: Header=BB198_11 Depth=2
	s_or_b64 exec, exec, s[14:15]
	s_add_i32 s16, s9, 1
	s_cmp_gt_u32 s9, 6
	s_cselect_b64 s[2:3], -1, 0
	s_xor_b64 s[14:15], vcc, -1
	s_or_b64 s[2:3], s[14:15], s[2:3]
	s_and_b64 s[2:3], exec, s[2:3]
	v_add_u32_e32 v13, 4, v13
	s_or_b64 s[12:13], s[2:3], s[12:13]
	s_mov_b32 s9, s16
	s_andn2_b64 exec, exec, s[12:13]
	s_cbranch_execz .LBB198_13
.LBB198_11:                             ;   Parent Loop BB198_5 Depth=1
                                        ; =>  This Inner Loop Header: Depth=2
	v_cmp_ne_u32_e32 vcc, s9, v14
	v_cmp_eq_u32_e64 s[2:3], s9, v14
	s_and_saveexec_b64 s[14:15], s[2:3]
	s_cbranch_execz .LBB198_10
; %bb.12:                               ;   in Loop: Header=BB198_11 Depth=2
	scratch_load_dword v15, v13, off
	s_waitcnt vmcnt(0)
	v_add_f32_e32 v5, v5, v15
	global_store_dword v[8:9], v12, off offset:4
	s_branch .LBB198_10
.LBB198_13:                             ;   in Loop: Header=BB198_5 Depth=1
	s_or_b64 exec, exec, s[12:13]
	global_load_dword v12, v[6:7], off offset:8
	v_mov_b32_e32 v13, 0
	s_mov_b32 s9, 0
	s_mov_b64 s[12:13], 0
	s_waitcnt vmcnt(0)
	v_add_u32_e32 v14, v11, v12
	s_branch .LBB198_15
.LBB198_14:                             ;   in Loop: Header=BB198_15 Depth=2
	s_or_b64 exec, exec, s[14:15]
	s_add_i32 s16, s9, 1
	s_cmp_gt_u32 s9, 6
	s_cselect_b64 s[2:3], -1, 0
	s_xor_b64 s[14:15], vcc, -1
	s_or_b64 s[2:3], s[14:15], s[2:3]
	s_and_b64 s[2:3], exec, s[2:3]
	v_add_u32_e32 v13, 4, v13
	s_or_b64 s[12:13], s[2:3], s[12:13]
	s_mov_b32 s9, s16
	s_andn2_b64 exec, exec, s[12:13]
	s_cbranch_execz .LBB198_17
.LBB198_15:                             ;   Parent Loop BB198_5 Depth=1
                                        ; =>  This Inner Loop Header: Depth=2
	v_cmp_ne_u32_e32 vcc, s9, v14
	v_cmp_eq_u32_e64 s[2:3], s9, v14
	s_and_saveexec_b64 s[14:15], s[2:3]
	s_cbranch_execz .LBB198_14
; %bb.16:                               ;   in Loop: Header=BB198_15 Depth=2
	scratch_load_dword v15, v13, off
	s_waitcnt vmcnt(0)
	v_add_f32_e32 v5, v5, v15
	global_store_dword v[8:9], v12, off offset:8
	s_branch .LBB198_14
.LBB198_17:                             ;   in Loop: Header=BB198_5 Depth=1
	s_or_b64 exec, exec, s[12:13]
	global_load_dword v6, v[6:7], off offset:12
	v_mov_b32_e32 v7, 0
	s_mov_b32 s9, 0
	s_mov_b64 s[12:13], 0
	s_waitcnt vmcnt(0)
	v_add_u32_e32 v12, v11, v6
	s_branch .LBB198_19
.LBB198_18:                             ;   in Loop: Header=BB198_19 Depth=2
	s_or_b64 exec, exec, s[14:15]
	s_add_i32 s16, s9, 1
	s_cmp_gt_u32 s9, 6
	s_cselect_b64 s[2:3], -1, 0
	s_xor_b64 s[14:15], vcc, -1
	s_or_b64 s[2:3], s[14:15], s[2:3]
	s_and_b64 s[2:3], exec, s[2:3]
	v_add_u32_e32 v7, 4, v7
	s_or_b64 s[12:13], s[2:3], s[12:13]
	s_mov_b32 s9, s16
	s_andn2_b64 exec, exec, s[12:13]
	s_cbranch_execz .LBB198_4
.LBB198_19:                             ;   Parent Loop BB198_5 Depth=1
                                        ; =>  This Inner Loop Header: Depth=2
	v_cmp_ne_u32_e32 vcc, s9, v12
	v_cmp_eq_u32_e64 s[2:3], s9, v12
	s_and_saveexec_b64 s[14:15], s[2:3]
	s_cbranch_execz .LBB198_18
; %bb.20:                               ;   in Loop: Header=BB198_19 Depth=2
	scratch_load_dword v13, v7, off
	s_waitcnt vmcnt(0)
	v_add_f32_e32 v5, v5, v13
	global_store_dword v[8:9], v6, off offset:12
	s_branch .LBB198_18
.LBB198_21:
	s_and_b32 s14, s33, 3
	s_cmp_eq_u32 s14, 0
	s_mov_b32 s9, 0
	s_cbranch_scc1 .LBB198_28
; %bb.22:
	v_lshlrev_b32_e32 v1, 3, v4
	v_sub_u32_e32 v1, 0, v1
	s_mov_b32 s15, s9
	s_branch .LBB198_24
.LBB198_23:                             ;   in Loop: Header=BB198_24 Depth=1
	s_or_b64 exec, exec, s[10:11]
	s_add_i32 s8, s8, 1
	s_add_i32 s15, s15, 1
	s_cmp_lg_u32 s15, s14
	s_cbranch_scc0 .LBB198_28
.LBB198_24:                             ; =>This Loop Header: Depth=1
                                        ;     Child Loop BB198_26 Depth 2
	v_lshl_add_u64 v[6:7], s[8:9], 2, v[2:3]
	global_load_dword v4, v[6:7], off
	v_add_u32_e32 v6, s8, v0
	v_ashrrev_i32_e32 v7, 31, v6
	v_mov_b32_e32 v8, 0
	s_mov_b32 s16, 0
	s_waitcnt lgkmcnt(0)
	v_lshl_add_u64 v[6:7], v[6:7], 2, s[6:7]
	s_mov_b64 s[10:11], 0
	s_waitcnt vmcnt(0)
	v_add_u32_e32 v9, v1, v4
	s_branch .LBB198_26
.LBB198_25:                             ;   in Loop: Header=BB198_26 Depth=2
	s_or_b64 exec, exec, s[12:13]
	s_add_i32 s17, s16, 1
	s_cmp_gt_u32 s16, 6
	s_cselect_b64 s[2:3], -1, 0
	s_xor_b64 s[12:13], vcc, -1
	s_or_b64 s[2:3], s[12:13], s[2:3]
	s_and_b64 s[2:3], exec, s[2:3]
	v_add_u32_e32 v8, 4, v8
	s_or_b64 s[10:11], s[2:3], s[10:11]
	s_mov_b32 s16, s17
	s_andn2_b64 exec, exec, s[10:11]
	s_cbranch_execz .LBB198_23
.LBB198_26:                             ;   Parent Loop BB198_24 Depth=1
                                        ; =>  This Inner Loop Header: Depth=2
	v_cmp_ne_u32_e32 vcc, s16, v9
	v_cmp_eq_u32_e64 s[2:3], s16, v9
	s_and_saveexec_b64 s[12:13], s[2:3]
	s_cbranch_execz .LBB198_25
; %bb.27:                               ;   in Loop: Header=BB198_26 Depth=2
	scratch_load_dword v11, v8, off
	s_waitcnt vmcnt(0)
	v_add_f32_e32 v5, v5, v11
	global_store_dword v[6:7], v4, off
	s_branch .LBB198_25
.LBB198_28:
	s_waitcnt lgkmcnt(0)
	s_load_dword s6, s[0:1], 0x3c
	s_waitcnt lgkmcnt(0)
	s_bitcmp1_b32 s6, 0
	s_cselect_b64 s[2:3], -1, 0
	s_bitcmp0_b32 s6, 0
	s_cbranch_scc0 .LBB198_32
; %bb.29:
	s_load_dwordx2 s[6:7], s[0:1], 0x40
	s_andn2_b64 vcc, exec, s[2:3]
	s_waitcnt lgkmcnt(0)
	v_cvt_f32_f64_e32 v8, s[6:7]
	s_cbranch_vccz .LBB198_33
.LBB198_30:
	s_andn2_b64 vcc, exec, s[4:5]
	s_cbranch_vccz .LBB198_34
.LBB198_31:
	s_endpgm
.LBB198_32:
	v_mbcnt_lo_u32_b32 v1, -1, 0
	v_mbcnt_hi_u32_b32 v1, -1, v1
	v_and_b32_e32 v6, 0x7e, v1
	v_xor_b32_e32 v4, 1, v1
	v_add_u32_e32 v6, 2, v6
	v_cmp_lt_i32_e32 vcc, v4, v6
	s_nop 1
	v_cndmask_b32_e32 v1, v1, v4, vcc
	v_lshlrev_b32_e32 v1, 2, v1
	ds_bpermute_b32 v1, v1, v5
	s_waitcnt lgkmcnt(0)
	v_add_f32_e32 v5, v5, v1
	s_load_dwordx2 s[6:7], s[0:1], 0x40
	s_andn2_b64 vcc, exec, s[2:3]
	s_waitcnt lgkmcnt(0)
	v_cvt_f32_f64_e32 v8, s[6:7]
	s_cbranch_vccnz .LBB198_30
.LBB198_33:
	v_cmp_lt_f32_e32 vcc, 0, v5
	s_nop 1
	v_cndmask_b32_e32 v1, 1.0, v5, vcc
	v_div_scale_f32 v4, s[2:3], v1, v1, v8
	v_rcp_f32_e32 v5, v4
	s_nop 0
	v_fma_f32 v6, -v4, v5, 1.0
	v_fmac_f32_e32 v5, v6, v5
	v_div_scale_f32 v6, vcc, v8, v1, v8
	v_mul_f32_e32 v7, v6, v5
	v_fma_f32 v9, -v4, v7, v6
	v_fmac_f32_e32 v7, v9, v5
	v_fma_f32 v4, -v4, v7, v6
	v_div_fmas_f32 v4, v4, v5, v7
	v_div_fixup_f32 v8, v4, v1, v8
	s_andn2_b64 vcc, exec, s[4:5]
	s_cbranch_vccnz .LBB198_31
.LBB198_34:
	s_load_dwordx2 s[12:13], s[0:1], 0x10
	v_mov_b32_e32 v1, 0
	v_or_b32_e32 v20, 4, v1
	v_or_b32_e32 v18, 8, v1
	;; [unrolled: 1-line block ×3, first 2 shown]
	v_add_u32_e32 v14, 16, v1
	v_add_u32_e32 v12, 20, v1
	;; [unrolled: 1-line block ×4, first 2 shown]
	v_or_b32_e32 v23, 1, v10
	v_or_b32_e32 v22, 2, v10
	;; [unrolled: 1-line block ×7, first 2 shown]
	s_cmp_eq_u32 s33, 1
	s_mov_b32 s14, 0
	s_cbranch_scc1 .LBB198_69
; %bb.35:
	v_ashrrev_i32_e32 v1, 31, v0
	s_waitcnt lgkmcnt(0)
	v_lshl_add_u64 v[4:5], v[0:1], 2, s[12:13]
	s_and_b32 s14, s33, 0x7ffffffe
	v_lshl_add_u64 v[4:5], v[4:5], 0, 4
	v_lshl_add_u64 v[6:7], v[2:3], 0, 4
	s_mov_b32 s15, 0
	s_branch .LBB198_37
.LBB198_36:                             ;   in Loop: Header=BB198_37 Depth=1
	s_or_b64 exec, exec, s[0:1]
	s_add_i32 s15, s15, 2
	v_lshl_add_u64 v[4:5], v[4:5], 0, 8
	s_cmp_eq_u32 s14, s15
	v_lshl_add_u64 v[6:7], v[6:7], 0, 8
	s_cbranch_scc1 .LBB198_69
.LBB198_37:                             ; =>This Inner Loop Header: Depth=1
	global_load_dword v24, v[6:7], off offset:-4
	v_mov_b32_e32 v1, 0
	s_waitcnt vmcnt(0)
	v_cmp_eq_u32_e32 vcc, v24, v10
	v_cmp_ne_u32_e64 s[0:1], v24, v10
	s_and_saveexec_b64 s[16:17], s[0:1]
	s_cbranch_execz .LBB198_51
; %bb.38:                               ;   in Loop: Header=BB198_37 Depth=1
	v_cmp_eq_u32_e64 s[0:1], v24, v23
	v_cmp_ne_u32_e64 s[2:3], v24, v23
	v_mov_b32_e32 v1, v20
	s_and_saveexec_b64 s[18:19], s[2:3]
	s_cbranch_execz .LBB198_50
; %bb.39:                               ;   in Loop: Header=BB198_37 Depth=1
	v_cmp_eq_u32_e64 s[2:3], v24, v22
	v_cmp_ne_u32_e64 s[4:5], v24, v22
	v_mov_b32_e32 v1, v18
	s_and_saveexec_b64 s[20:21], s[4:5]
	s_cbranch_execz .LBB198_49
; %bb.40:                               ;   in Loop: Header=BB198_37 Depth=1
	v_cmp_eq_u32_e64 s[4:5], v24, v21
	v_cmp_ne_u32_e64 s[6:7], v24, v21
	v_mov_b32_e32 v1, v16
	s_and_saveexec_b64 s[22:23], s[6:7]
	s_cbranch_execz .LBB198_48
; %bb.41:                               ;   in Loop: Header=BB198_37 Depth=1
	v_cmp_eq_u32_e64 s[6:7], v24, v19
	v_cmp_ne_u32_e64 s[8:9], v24, v19
	v_mov_b32_e32 v1, v14
	s_and_saveexec_b64 s[24:25], s[8:9]
	s_cbranch_execz .LBB198_47
; %bb.42:                               ;   in Loop: Header=BB198_37 Depth=1
	v_cmp_eq_u32_e64 s[8:9], v24, v17
	v_cmp_ne_u32_e64 s[10:11], v24, v17
	v_mov_b32_e32 v1, v12
	s_and_saveexec_b64 s[26:27], s[10:11]
	s_cbranch_execz .LBB198_46
; %bb.43:                               ;   in Loop: Header=BB198_37 Depth=1
	v_cmp_eq_u32_e64 s[28:29], v24, v15
	v_cmp_ne_u32_e64 s[10:11], v24, v15
	v_mov_b32_e32 v1, v9
	s_and_saveexec_b64 s[30:31], s[10:11]
	s_xor_b64 s[30:31], exec, s[30:31]
; %bb.44:                               ;   in Loop: Header=BB198_37 Depth=1
	v_cmp_eq_u32_e64 s[10:11], v24, v13
	s_andn2_b64 s[28:29], s[28:29], exec
	s_and_b64 s[10:11], s[10:11], exec
	s_or_b64 s[28:29], s[28:29], s[10:11]
	v_mov_b32_e32 v1, v11
; %bb.45:                               ;   in Loop: Header=BB198_37 Depth=1
	s_or_b64 exec, exec, s[30:31]
	s_andn2_b64 s[8:9], s[8:9], exec
	s_and_b64 s[10:11], s[28:29], exec
	s_or_b64 s[8:9], s[8:9], s[10:11]
.LBB198_46:                             ;   in Loop: Header=BB198_37 Depth=1
	s_or_b64 exec, exec, s[26:27]
	s_andn2_b64 s[6:7], s[6:7], exec
	s_and_b64 s[8:9], s[8:9], exec
	s_or_b64 s[6:7], s[6:7], s[8:9]
.LBB198_47:                             ;   in Loop: Header=BB198_37 Depth=1
	s_or_b64 exec, exec, s[24:25]
	s_andn2_b64 s[4:5], s[4:5], exec
	s_and_b64 s[6:7], s[6:7], exec
	s_or_b64 s[4:5], s[4:5], s[6:7]
.LBB198_48:                             ;   in Loop: Header=BB198_37 Depth=1
	s_or_b64 exec, exec, s[22:23]
	s_andn2_b64 s[2:3], s[2:3], exec
	s_and_b64 s[4:5], s[4:5], exec
	s_or_b64 s[2:3], s[2:3], s[4:5]
.LBB198_49:                             ;   in Loop: Header=BB198_37 Depth=1
	s_or_b64 exec, exec, s[20:21]
	s_andn2_b64 s[0:1], s[0:1], exec
	s_and_b64 s[2:3], s[2:3], exec
	s_or_b64 s[0:1], s[0:1], s[2:3]
.LBB198_50:                             ;   in Loop: Header=BB198_37 Depth=1
	s_or_b64 exec, exec, s[18:19]
	s_andn2_b64 s[2:3], vcc, exec
	s_and_b64 s[0:1], s[0:1], exec
	s_or_b64 vcc, s[2:3], s[0:1]
.LBB198_51:                             ;   in Loop: Header=BB198_37 Depth=1
	s_or_b64 exec, exec, s[16:17]
	s_and_saveexec_b64 s[0:1], vcc
	s_cbranch_execz .LBB198_53
; %bb.52:                               ;   in Loop: Header=BB198_37 Depth=1
	scratch_load_dword v1, v1, off
	v_add_u32_e32 v24, s15, v0
	v_ashrrev_i32_e32 v25, 31, v24
	v_lshl_add_u64 v[24:25], v[24:25], 2, s[12:13]
	s_waitcnt vmcnt(0)
	v_mul_f32_e32 v1, v8, v1
	global_store_dword v[24:25], v1, off
.LBB198_53:                             ;   in Loop: Header=BB198_37 Depth=1
	s_or_b64 exec, exec, s[0:1]
	global_load_dword v24, v[6:7], off
	v_mov_b32_e32 v1, 0
	s_waitcnt vmcnt(0)
	v_cmp_eq_u32_e64 s[8:9], v24, v10
	v_cmp_ne_u32_e32 vcc, v24, v10
	s_and_saveexec_b64 s[10:11], vcc
	s_cbranch_execz .LBB198_67
; %bb.54:                               ;   in Loop: Header=BB198_37 Depth=1
	v_cmp_eq_u32_e32 vcc, v24, v23
	v_cmp_ne_u32_e64 s[0:1], v24, v23
	v_mov_b32_e32 v1, v20
	s_and_saveexec_b64 s[16:17], s[0:1]
	s_cbranch_execz .LBB198_66
; %bb.55:                               ;   in Loop: Header=BB198_37 Depth=1
	v_cmp_eq_u32_e64 s[0:1], v24, v22
	v_cmp_ne_u32_e64 s[2:3], v24, v22
	v_mov_b32_e32 v1, v18
	s_and_saveexec_b64 s[18:19], s[2:3]
	s_cbranch_execz .LBB198_65
; %bb.56:                               ;   in Loop: Header=BB198_37 Depth=1
	v_cmp_eq_u32_e64 s[2:3], v24, v21
	;; [unrolled: 6-line block ×5, first 2 shown]
	v_cmp_ne_u32_e64 s[6:7], v24, v15
	v_mov_b32_e32 v1, v9
	s_and_saveexec_b64 s[30:31], s[6:7]
; %bb.60:                               ;   in Loop: Header=BB198_37 Depth=1
	v_cmp_eq_u32_e64 s[6:7], v24, v13
	s_andn2_b64 s[28:29], s[28:29], exec
	s_and_b64 s[6:7], s[6:7], exec
	s_or_b64 s[28:29], s[28:29], s[6:7]
	v_mov_b32_e32 v1, v11
; %bb.61:                               ;   in Loop: Header=BB198_37 Depth=1
	s_or_b64 exec, exec, s[30:31]
	s_andn2_b64 s[6:7], s[24:25], exec
	s_and_b64 s[24:25], s[28:29], exec
	s_or_b64 s[24:25], s[6:7], s[24:25]
.LBB198_62:                             ;   in Loop: Header=BB198_37 Depth=1
	s_or_b64 exec, exec, s[26:27]
	s_andn2_b64 s[4:5], s[4:5], exec
	s_and_b64 s[6:7], s[24:25], exec
	s_or_b64 s[4:5], s[4:5], s[6:7]
.LBB198_63:                             ;   in Loop: Header=BB198_37 Depth=1
	s_or_b64 exec, exec, s[22:23]
	s_andn2_b64 s[2:3], s[2:3], exec
	s_and_b64 s[4:5], s[4:5], exec
	s_or_b64 s[2:3], s[2:3], s[4:5]
.LBB198_64:                             ;   in Loop: Header=BB198_37 Depth=1
	s_or_b64 exec, exec, s[20:21]
	s_andn2_b64 s[0:1], s[0:1], exec
	s_and_b64 s[2:3], s[2:3], exec
	s_or_b64 s[0:1], s[0:1], s[2:3]
.LBB198_65:                             ;   in Loop: Header=BB198_37 Depth=1
	s_or_b64 exec, exec, s[18:19]
	s_andn2_b64 s[2:3], vcc, exec
	s_and_b64 s[0:1], s[0:1], exec
	s_or_b64 vcc, s[2:3], s[0:1]
.LBB198_66:                             ;   in Loop: Header=BB198_37 Depth=1
	s_or_b64 exec, exec, s[16:17]
	s_andn2_b64 s[0:1], s[8:9], exec
	s_and_b64 s[2:3], vcc, exec
	s_or_b64 s[8:9], s[0:1], s[2:3]
.LBB198_67:                             ;   in Loop: Header=BB198_37 Depth=1
	s_or_b64 exec, exec, s[10:11]
	s_and_saveexec_b64 s[0:1], s[8:9]
	s_cbranch_execz .LBB198_36
; %bb.68:                               ;   in Loop: Header=BB198_37 Depth=1
	scratch_load_dword v1, v1, off
	s_waitcnt vmcnt(0)
	v_mul_f32_e32 v1, v8, v1
	global_store_dword v[4:5], v1, off
	s_branch .LBB198_36
.LBB198_69:
	s_bitcmp0_b32 s33, 0
	s_mov_b32 s15, 0
	s_cbranch_scc1 .LBB198_31
; %bb.70:
	v_lshl_add_u64 v[2:3], s[14:15], 2, v[2:3]
	global_load_dword v1, v[2:3], off
	v_mov_b32_e32 v2, 0
	s_waitcnt vmcnt(0)
	v_cmp_eq_u32_e64 s[8:9], v1, v10
	v_cmp_ne_u32_e32 vcc, v1, v10
	s_and_saveexec_b64 s[10:11], vcc
	s_cbranch_execz .LBB198_84
; %bb.71:
	v_cmp_eq_u32_e32 vcc, v1, v23
	v_cmp_ne_u32_e64 s[0:1], v1, v23
	s_and_saveexec_b64 s[16:17], s[0:1]
	s_cbranch_execz .LBB198_83
; %bb.72:
	v_cmp_eq_u32_e64 s[0:1], v1, v22
	v_cmp_ne_u32_e64 s[2:3], v1, v22
	s_and_saveexec_b64 s[18:19], s[2:3]
	s_cbranch_execz .LBB198_82
; %bb.73:
	v_cmp_eq_u32_e64 s[2:3], v1, v21
	;; [unrolled: 5-line block ×5, first 2 shown]
	v_cmp_ne_u32_e64 s[6:7], v1, v15
	s_and_saveexec_b64 s[30:31], s[6:7]
; %bb.77:
	v_cmp_eq_u32_e64 s[6:7], v1, v13
	s_andn2_b64 s[28:29], s[28:29], exec
	s_and_b64 s[6:7], s[6:7], exec
	s_or_b64 s[28:29], s[28:29], s[6:7]
	v_mov_b32_e32 v9, v11
; %bb.78:
	s_or_b64 exec, exec, s[30:31]
	s_andn2_b64 s[6:7], s[24:25], exec
	s_and_b64 s[24:25], s[28:29], exec
	s_or_b64 s[24:25], s[6:7], s[24:25]
	v_mov_b32_e32 v12, v9
.LBB198_79:
	s_or_b64 exec, exec, s[26:27]
	s_andn2_b64 s[4:5], s[4:5], exec
	s_and_b64 s[6:7], s[24:25], exec
	s_or_b64 s[4:5], s[4:5], s[6:7]
	v_mov_b32_e32 v14, v12
.LBB198_80:
	s_or_b64 exec, exec, s[22:23]
	s_andn2_b64 s[2:3], s[2:3], exec
	s_and_b64 s[4:5], s[4:5], exec
	s_or_b64 s[2:3], s[2:3], s[4:5]
	v_mov_b32_e32 v16, v14
.LBB198_81:
	s_or_b64 exec, exec, s[20:21]
	s_andn2_b64 s[0:1], s[0:1], exec
	s_and_b64 s[2:3], s[2:3], exec
	s_or_b64 s[0:1], s[0:1], s[2:3]
	v_mov_b32_e32 v18, v16
.LBB198_82:
	s_or_b64 exec, exec, s[18:19]
	s_andn2_b64 s[2:3], vcc, exec
	s_and_b64 s[0:1], s[0:1], exec
	s_or_b64 vcc, s[2:3], s[0:1]
	v_mov_b32_e32 v20, v18
.LBB198_83:
	s_or_b64 exec, exec, s[16:17]
	s_andn2_b64 s[0:1], s[8:9], exec
	s_and_b64 s[2:3], vcc, exec
	s_or_b64 s[8:9], s[0:1], s[2:3]
	v_mov_b32_e32 v2, v20
.LBB198_84:
	s_or_b64 exec, exec, s[10:11]
	s_and_b64 exec, exec, s[8:9]
	s_cbranch_execz .LBB198_31
; %bb.85:
	scratch_load_dword v2, v2, off
	v_add_u32_e32 v0, s14, v0
	v_ashrrev_i32_e32 v1, 31, v0
	s_waitcnt lgkmcnt(0)
	v_lshl_add_u64 v[0:1], v[0:1], 2, s[12:13]
	s_waitcnt vmcnt(0)
	v_mul_f32_e32 v2, v8, v2
	global_store_dword v[0:1], v2, off
	s_endpgm
	.section	.rodata,"a",@progbits
	.p2align	6, 0x0
	.amdhsa_kernel _ZN4vllm3moe22topkGatingSoftplusSqrtILi8ELi16ELi4ELi16ELi32ELb1Ei6__halfEEvPKT6_PKbPfiPT5_PiiiibdPKfPKS9_SF_
		.amdhsa_group_segment_fixed_size 0
		.amdhsa_private_segment_fixed_size 48
		.amdhsa_kernarg_size 96
		.amdhsa_user_sgpr_count 2
		.amdhsa_user_sgpr_dispatch_ptr 0
		.amdhsa_user_sgpr_queue_ptr 0
		.amdhsa_user_sgpr_kernarg_segment_ptr 1
		.amdhsa_user_sgpr_dispatch_id 0
		.amdhsa_user_sgpr_kernarg_preload_length 0
		.amdhsa_user_sgpr_kernarg_preload_offset 0
		.amdhsa_user_sgpr_private_segment_size 0
		.amdhsa_uses_dynamic_stack 0
		.amdhsa_enable_private_segment 1
		.amdhsa_system_sgpr_workgroup_id_x 1
		.amdhsa_system_sgpr_workgroup_id_y 0
		.amdhsa_system_sgpr_workgroup_id_z 0
		.amdhsa_system_sgpr_workgroup_info 0
		.amdhsa_system_vgpr_workitem_id 1
		.amdhsa_next_free_vgpr 29
		.amdhsa_next_free_sgpr 34
		.amdhsa_accum_offset 32
		.amdhsa_reserve_vcc 1
		.amdhsa_float_round_mode_32 0
		.amdhsa_float_round_mode_16_64 0
		.amdhsa_float_denorm_mode_32 3
		.amdhsa_float_denorm_mode_16_64 3
		.amdhsa_dx10_clamp 1
		.amdhsa_ieee_mode 1
		.amdhsa_fp16_overflow 0
		.amdhsa_tg_split 0
		.amdhsa_exception_fp_ieee_invalid_op 0
		.amdhsa_exception_fp_denorm_src 0
		.amdhsa_exception_fp_ieee_div_zero 0
		.amdhsa_exception_fp_ieee_overflow 0
		.amdhsa_exception_fp_ieee_underflow 0
		.amdhsa_exception_fp_ieee_inexact 0
		.amdhsa_exception_int_div_zero 0
	.end_amdhsa_kernel
	.section	.text._ZN4vllm3moe22topkGatingSoftplusSqrtILi8ELi16ELi4ELi16ELi32ELb1Ei6__halfEEvPKT6_PKbPfiPT5_PiiiibdPKfPKS9_SF_,"axG",@progbits,_ZN4vllm3moe22topkGatingSoftplusSqrtILi8ELi16ELi4ELi16ELi32ELb1Ei6__halfEEvPKT6_PKbPfiPT5_PiiiibdPKfPKS9_SF_,comdat
.Lfunc_end198:
	.size	_ZN4vllm3moe22topkGatingSoftplusSqrtILi8ELi16ELi4ELi16ELi32ELb1Ei6__halfEEvPKT6_PKbPfiPT5_PiiiibdPKfPKS9_SF_, .Lfunc_end198-_ZN4vllm3moe22topkGatingSoftplusSqrtILi8ELi16ELi4ELi16ELi32ELb1Ei6__halfEEvPKT6_PKbPfiPT5_PiiiibdPKfPKS9_SF_
                                        ; -- End function
	.section	.AMDGPU.csdata,"",@progbits
; Kernel info:
; codeLenInByte = 4452
; NumSgprs: 40
; NumVgprs: 29
; NumAgprs: 0
; TotalNumVgprs: 29
; ScratchSize: 48
; MemoryBound: 0
; FloatMode: 240
; IeeeMode: 1
; LDSByteSize: 0 bytes/workgroup (compile time only)
; SGPRBlocks: 4
; VGPRBlocks: 3
; NumSGPRsForWavesPerEU: 40
; NumVGPRsForWavesPerEU: 29
; AccumOffset: 32
; Occupancy: 8
; WaveLimiterHint : 1
; COMPUTE_PGM_RSRC2:SCRATCH_EN: 1
; COMPUTE_PGM_RSRC2:USER_SGPR: 2
; COMPUTE_PGM_RSRC2:TRAP_HANDLER: 0
; COMPUTE_PGM_RSRC2:TGID_X_EN: 1
; COMPUTE_PGM_RSRC2:TGID_Y_EN: 0
; COMPUTE_PGM_RSRC2:TGID_Z_EN: 0
; COMPUTE_PGM_RSRC2:TIDIG_COMP_CNT: 1
; COMPUTE_PGM_RSRC3_GFX90A:ACCUM_OFFSET: 7
; COMPUTE_PGM_RSRC3_GFX90A:TG_SPLIT: 0
	.section	.text._ZN4vllm3moe22topkGatingSoftplusSqrtILi8ELi16ELi4ELi16ELi32ELb0Ei6__halfEEvPKT6_PKbPfiPT5_PiiiibdPKfPKS9_SF_,"axG",@progbits,_ZN4vllm3moe22topkGatingSoftplusSqrtILi8ELi16ELi4ELi16ELi32ELb0Ei6__halfEEvPKT6_PKbPfiPT5_PiiiibdPKfPKS9_SF_,comdat
	.protected	_ZN4vllm3moe22topkGatingSoftplusSqrtILi8ELi16ELi4ELi16ELi32ELb0Ei6__halfEEvPKT6_PKbPfiPT5_PiiiibdPKfPKS9_SF_ ; -- Begin function _ZN4vllm3moe22topkGatingSoftplusSqrtILi8ELi16ELi4ELi16ELi32ELb0Ei6__halfEEvPKT6_PKbPfiPT5_PiiiibdPKfPKS9_SF_
	.globl	_ZN4vllm3moe22topkGatingSoftplusSqrtILi8ELi16ELi4ELi16ELi32ELb0Ei6__halfEEvPKT6_PKbPfiPT5_PiiiibdPKfPKS9_SF_
	.p2align	8
	.type	_ZN4vllm3moe22topkGatingSoftplusSqrtILi8ELi16ELi4ELi16ELi32ELb0Ei6__halfEEvPKT6_PKbPfiPT5_PiiiibdPKfPKS9_SF_,@function
_ZN4vllm3moe22topkGatingSoftplusSqrtILi8ELi16ELi4ELi16ELi32ELb0Ei6__halfEEvPKT6_PKbPfiPT5_PiiiibdPKfPKS9_SF_: ; @_ZN4vllm3moe22topkGatingSoftplusSqrtILi8ELi16ELi4ELi16ELi32ELb0Ei6__halfEEvPKT6_PKbPfiPT5_PiiiibdPKfPKS9_SF_
; %bb.0:
	s_load_dword s33, s[0:1], 0x18
	v_bfe_u32 v1, v0, 10, 10
	v_and_b32_e32 v0, 0x3ff, v0
	s_lshl_b32 s2, s2, 6
	v_lshlrev_b32_e32 v1, 4, v1
	v_lshrrev_b32_e32 v2, 1, v0
	v_add3_u32 v8, s2, v1, v2
	s_waitcnt lgkmcnt(0)
	v_cmp_gt_i32_e32 vcc, s33, v8
	s_and_saveexec_b64 s[2:3], vcc
	s_cbranch_execz .LBB199_49
; %bb.1:
	s_load_dwordx4 s[4:7], s[0:1], 0x0
	s_load_dwordx2 s[34:35], s[0:1], 0x10
	s_waitcnt lgkmcnt(0)
	s_cmp_eq_u64 s[6:7], 0
	s_cbranch_scc1 .LBB199_3
; %bb.2:
	v_ashrrev_i32_e32 v9, 31, v8
	v_lshl_add_u64 v[2:3], s[6:7], 0, v[8:9]
	global_load_ubyte v1, v[2:3], off
	s_waitcnt vmcnt(0)
	v_and_b32_e32 v1, 1, v1
	v_cmp_eq_u32_e32 vcc, 1, v1
	s_xor_b64 s[2:3], vcc, -1
	s_orn2_b64 s[36:37], s[2:3], exec
	s_branch .LBB199_4
.LBB199_3:
	s_mov_b64 s[36:37], -1
.LBB199_4:
	v_lshlrev_b32_e32 v4, 4, v8
	v_mov_b32_e32 v2, s4
	v_mov_b32_e32 v3, s5
	v_ashrrev_i32_e32 v5, 31, v4
	v_and_b32_e32 v9, 1, v0
	v_lshl_add_u64 v[2:3], v[4:5], 1, v[2:3]
	v_mov_b32_e32 v1, 0
	v_lshlrev_b32_e32 v0, 4, v9
	v_lshl_add_u64 v[0:1], v[2:3], 0, v[0:1]
	global_load_dwordx4 v[4:7], v[0:1], off
	s_mov_b32 s12, 0x800000
	v_mov_b32_e32 v2, 0x4f800000
	s_mov_b32 s9, 0x3f317217
	s_mov_b32 s10, 0x7f800000
	v_mov_b32_e32 v3, 0x41b17218
	s_movk_i32 s8, 0x4d00
	s_mov_b32 s11, 0xf800000
	s_load_dwordx4 s[20:23], s[0:1], 0x40
	v_lshlrev_b32_e32 v12, 3, v9
	s_waitcnt lgkmcnt(0)
	s_cmp_lg_u64 s[22:23], 0
	s_cselect_b64 s[6:7], -1, 0
	s_and_b64 s[2:3], exec, s[6:7]
	s_waitcnt vmcnt(0)
	v_cvt_f32_f16_e32 v0, v4
	v_mul_f32_e32 v1, 0x3fb8aa3b, v0
	v_exp_f32_e32 v10, v1
	v_mov_b32_e32 v1, 0x260
	v_add_f32_e32 v10, 1.0, v10
	v_cmp_gt_f32_e32 vcc, s12, v10
	s_nop 1
	v_cndmask_b32_e32 v11, 1.0, v2, vcc
	v_mul_f32_e32 v10, v10, v11
	v_log_f32_e32 v11, v10
	v_cndmask_b32_e32 v13, 0, v3, vcc
	v_lshlrev_b32_e32 v10, 2, v12
	v_mul_f32_e32 v14, 0x3f317217, v11
	v_fma_f32 v14, v11, s9, -v14
	v_fmac_f32_e32 v14, 0x3377d1cf, v11
	v_fmac_f32_e32 v14, 0x3f317217, v11
	v_cmp_lt_f32_e64 vcc, |v11|, s10
	s_nop 1
	v_cndmask_b32_e32 v11, v11, v14, vcc
	v_sub_f32_e32 v11, v11, v13
	v_cmp_lt_f16_e32 vcc, s8, v4
	s_nop 1
	v_cndmask_b32_e32 v0, v11, v0, vcc
	v_mul_f32_e32 v11, 0x4f800000, v0
	v_cmp_gt_f32_e32 vcc, s11, v0
	s_nop 1
	v_cndmask_b32_e32 v0, v0, v11, vcc
	v_sqrt_f32_e32 v11, v0
	s_nop 0
	v_add_u32_e32 v13, -1, v11
	v_add_u32_e32 v14, 1, v11
	v_fma_f32 v15, -v13, v11, v0
	v_fma_f32 v16, -v14, v11, v0
	v_cmp_ge_f32_e64 s[4:5], 0, v15
	s_nop 1
	v_cndmask_b32_e64 v11, v11, v13, s[4:5]
	v_cmp_lt_f32_e64 s[4:5], 0, v16
	s_nop 1
	v_cndmask_b32_e64 v11, v11, v14, s[4:5]
	v_mul_f32_e32 v13, 0x37800000, v11
	v_cndmask_b32_e32 v11, v11, v13, vcc
	v_cmp_class_f32_e32 vcc, v0, v1
	s_nop 1
	v_cndmask_b32_e32 v0, v11, v0, vcc
	s_mov_b64 vcc, s[2:3]
	s_cbranch_vccz .LBB199_6
; %bb.5:
	global_load_dword v11, v10, s[22:23]
	s_waitcnt vmcnt(0)
	v_add_f32_e32 v0, v0, v11
.LBB199_6:
	v_cvt_f32_f16_sdwa v11, v4 dst_sel:DWORD dst_unused:UNUSED_PAD src0_sel:WORD_1
	v_mul_f32_e32 v13, 0x3fb8aa3b, v11
	v_exp_f32_e32 v13, v13
	s_nop 0
	v_add_f32_e32 v13, 1.0, v13
	v_cmp_gt_f32_e32 vcc, s12, v13
	s_nop 1
	v_cndmask_b32_e32 v2, 1.0, v2, vcc
	v_mul_f32_e32 v2, v13, v2
	v_log_f32_e32 v2, v2
	v_cndmask_b32_e32 v3, 0, v3, vcc
	v_mul_f32_e32 v13, 0x3f317217, v2
	v_fma_f32 v13, v2, s9, -v13
	v_fmac_f32_e32 v13, 0x3377d1cf, v2
	v_fmac_f32_e32 v13, 0x3f317217, v2
	v_cmp_lt_f32_e64 vcc, |v2|, s10
	s_nop 1
	v_cndmask_b32_e32 v2, v2, v13, vcc
	v_sub_f32_e32 v2, v2, v3
	v_cmp_gt_f16_sdwa vcc, v4, s8 src0_sel:WORD_1 src1_sel:DWORD
	v_cndmask_b32_e64 v4, 0, 1, s[6:7]
	v_cmp_ne_u32_e64 s[2:3], 1, v4
	v_cndmask_b32_e32 v2, v2, v11, vcc
	v_mul_f32_e32 v3, 0x4f800000, v2
	v_cmp_gt_f32_e64 s[4:5], s11, v2
	s_andn2_b64 vcc, exec, s[6:7]
	s_nop 0
	v_cndmask_b32_e64 v2, v2, v3, s[4:5]
	v_sqrt_f32_e32 v3, v2
	s_nop 0
	v_add_u32_e32 v4, -1, v3
	v_add_u32_e32 v11, 1, v3
	v_fma_f32 v13, -v4, v3, v2
	v_fma_f32 v14, -v11, v3, v2
	v_cmp_ge_f32_e64 s[6:7], 0, v13
	s_nop 1
	v_cndmask_b32_e64 v3, v3, v4, s[6:7]
	v_cmp_lt_f32_e64 s[6:7], 0, v14
	s_nop 1
	v_cndmask_b32_e64 v3, v3, v11, s[6:7]
	v_mul_f32_e32 v4, 0x37800000, v3
	v_cndmask_b32_e64 v3, v3, v4, s[4:5]
	v_cmp_class_f32_e64 s[4:5], v2, v1
	s_nop 1
	v_cndmask_b32_e64 v1, v3, v2, s[4:5]
	s_cbranch_vccnz .LBB199_8
; %bb.7:
	global_load_dword v2, v10, s[22:23] offset:4
	s_waitcnt vmcnt(0)
	v_add_f32_e32 v1, v1, v2
.LBB199_8:
	v_cvt_f32_f16_e32 v2, v5
	s_mov_b32 s8, 0x800000
	v_mov_b32_e32 v4, 0x4f800000
	s_mov_b32 s7, 0x3f317217
	v_mul_f32_e32 v3, 0x3fb8aa3b, v2
	v_exp_f32_e32 v3, v3
	s_mov_b32 s9, 0x7f800000
	s_movk_i32 s6, 0x4d00
	s_mov_b32 s10, 0xf800000
	v_add_f32_e32 v3, 1.0, v3
	v_cmp_gt_f32_e32 vcc, s8, v3
	s_nop 1
	v_cndmask_b32_e32 v11, 1.0, v4, vcc
	v_mul_f32_e32 v3, v3, v11
	v_log_f32_e32 v3, v3
	v_mov_b32_e32 v11, 0x41b17218
	v_cndmask_b32_e32 v13, 0, v11, vcc
	v_mul_f32_e32 v14, 0x3f317217, v3
	v_fma_f32 v14, v3, s7, -v14
	v_fmac_f32_e32 v14, 0x3377d1cf, v3
	v_fmac_f32_e32 v14, 0x3f317217, v3
	v_cmp_lt_f32_e64 vcc, |v3|, s9
	s_nop 1
	v_cndmask_b32_e32 v3, v3, v14, vcc
	v_sub_f32_e32 v3, v3, v13
	v_cmp_lt_f16_e32 vcc, s6, v5
	s_nop 1
	v_cndmask_b32_e32 v2, v3, v2, vcc
	v_mul_f32_e32 v3, 0x4f800000, v2
	v_cmp_gt_f32_e32 vcc, s10, v2
	s_nop 1
	v_cndmask_b32_e32 v2, v2, v3, vcc
	v_sqrt_f32_e32 v3, v2
	s_nop 0
	v_add_u32_e32 v13, -1, v3
	v_fma_f32 v14, -v13, v3, v2
	v_cmp_ge_f32_e64 s[4:5], 0, v14
	v_add_u32_e32 v14, 1, v3
	s_nop 0
	v_cndmask_b32_e64 v13, v3, v13, s[4:5]
	v_fma_f32 v3, -v14, v3, v2
	v_cmp_lt_f32_e64 s[4:5], 0, v3
	s_nop 1
	v_cndmask_b32_e64 v3, v13, v14, s[4:5]
	v_mul_f32_e32 v13, 0x37800000, v3
	v_cndmask_b32_e32 v13, v3, v13, vcc
	v_mov_b32_e32 v3, 0x260
	v_cmp_class_f32_e64 s[4:5], v2, v3
	s_and_b64 vcc, exec, s[2:3]
	s_nop 0
	v_cndmask_b32_e64 v2, v13, v2, s[4:5]
	s_cbranch_vccnz .LBB199_10
; %bb.9:
	global_load_dword v13, v10, s[22:23] offset:8
	s_waitcnt vmcnt(0)
	v_add_f32_e32 v2, v2, v13
.LBB199_10:
	v_cvt_f32_f16_sdwa v13, v5 dst_sel:DWORD dst_unused:UNUSED_PAD src0_sel:WORD_1
	v_mul_f32_e32 v14, 0x3fb8aa3b, v13
	v_exp_f32_e32 v14, v14
	s_nop 0
	v_add_f32_e32 v14, 1.0, v14
	v_cmp_gt_f32_e32 vcc, s8, v14
	s_nop 1
	v_cndmask_b32_e32 v4, 1.0, v4, vcc
	v_mul_f32_e32 v4, v14, v4
	v_log_f32_e32 v4, v4
	v_cndmask_b32_e32 v11, 0, v11, vcc
	v_mul_f32_e32 v14, 0x3f317217, v4
	v_fma_f32 v14, v4, s7, -v14
	v_fmac_f32_e32 v14, 0x3377d1cf, v4
	v_fmac_f32_e32 v14, 0x3f317217, v4
	v_cmp_lt_f32_e64 vcc, |v4|, s9
	s_nop 1
	v_cndmask_b32_e32 v4, v4, v14, vcc
	v_sub_f32_e32 v4, v4, v11
	v_cmp_gt_f16_sdwa vcc, v5, s6 src0_sel:WORD_1 src1_sel:DWORD
	s_nop 1
	v_cndmask_b32_e32 v4, v4, v13, vcc
	v_mul_f32_e32 v5, 0x4f800000, v4
	v_cmp_gt_f32_e64 s[4:5], s10, v4
	s_and_b64 vcc, exec, s[2:3]
	s_nop 0
	v_cndmask_b32_e64 v4, v4, v5, s[4:5]
	v_sqrt_f32_e32 v5, v4
	s_nop 0
	v_add_u32_e32 v11, -1, v5
	v_add_u32_e32 v13, 1, v5
	v_fma_f32 v14, -v11, v5, v4
	v_fma_f32 v15, -v13, v5, v4
	v_cmp_ge_f32_e64 s[6:7], 0, v14
	s_nop 1
	v_cndmask_b32_e64 v5, v5, v11, s[6:7]
	v_cmp_lt_f32_e64 s[6:7], 0, v15
	s_nop 1
	v_cndmask_b32_e64 v5, v5, v13, s[6:7]
	v_mul_f32_e32 v11, 0x37800000, v5
	v_cndmask_b32_e64 v5, v5, v11, s[4:5]
	v_cmp_class_f32_e64 s[4:5], v4, v3
	s_nop 1
	v_cndmask_b32_e64 v3, v5, v4, s[4:5]
	s_cbranch_vccnz .LBB199_12
; %bb.11:
	global_load_dword v4, v10, s[22:23] offset:12
	s_waitcnt vmcnt(0)
	v_add_f32_e32 v3, v3, v4
.LBB199_12:
	v_cvt_f32_f16_e32 v4, v6
	v_mov_b32_e32 v11, 0x4f800000
	s_mov_b32 s7, 0x3f317217
	s_movk_i32 s6, 0x4d00
	v_mul_f32_e32 v5, 0x3fb8aa3b, v4
	v_exp_f32_e32 v5, v5
	s_nop 0
	v_add_f32_e32 v5, 1.0, v5
	v_cmp_gt_f32_e32 vcc, s8, v5
	s_nop 1
	v_cndmask_b32_e32 v13, 1.0, v11, vcc
	v_mul_f32_e32 v5, v5, v13
	v_log_f32_e32 v5, v5
	v_mov_b32_e32 v13, 0x41b17218
	v_cndmask_b32_e32 v14, 0, v13, vcc
	v_mul_f32_e32 v15, 0x3f317217, v5
	v_fma_f32 v15, v5, s7, -v15
	v_fmac_f32_e32 v15, 0x3377d1cf, v5
	v_fmac_f32_e32 v15, 0x3f317217, v5
	v_cmp_lt_f32_e64 vcc, |v5|, s9
	s_nop 1
	v_cndmask_b32_e32 v5, v5, v15, vcc
	v_sub_f32_e32 v5, v5, v14
	v_cmp_lt_f16_e32 vcc, s6, v6
	s_nop 1
	v_cndmask_b32_e32 v4, v5, v4, vcc
	v_mul_f32_e32 v5, 0x4f800000, v4
	v_cmp_gt_f32_e32 vcc, s10, v4
	s_nop 1
	v_cndmask_b32_e32 v4, v4, v5, vcc
	v_sqrt_f32_e32 v5, v4
	s_nop 0
	v_add_u32_e32 v14, -1, v5
	v_fma_f32 v15, -v14, v5, v4
	v_cmp_ge_f32_e64 s[4:5], 0, v15
	v_add_u32_e32 v15, 1, v5
	s_nop 0
	v_cndmask_b32_e64 v14, v5, v14, s[4:5]
	v_fma_f32 v5, -v15, v5, v4
	v_cmp_lt_f32_e64 s[4:5], 0, v5
	s_nop 1
	v_cndmask_b32_e64 v5, v14, v15, s[4:5]
	v_mul_f32_e32 v14, 0x37800000, v5
	v_cndmask_b32_e32 v14, v5, v14, vcc
	v_mov_b32_e32 v5, 0x260
	v_cmp_class_f32_e64 s[4:5], v4, v5
	s_and_b64 vcc, exec, s[2:3]
	s_nop 0
	v_cndmask_b32_e64 v4, v14, v4, s[4:5]
	s_cbranch_vccnz .LBB199_14
; %bb.13:
	global_load_dword v14, v10, s[22:23] offset:16
	s_waitcnt vmcnt(0)
	v_add_f32_e32 v4, v4, v14
.LBB199_14:
	v_cvt_f32_f16_sdwa v14, v6 dst_sel:DWORD dst_unused:UNUSED_PAD src0_sel:WORD_1
	v_mul_f32_e32 v15, 0x3fb8aa3b, v14
	v_exp_f32_e32 v15, v15
	s_nop 0
	v_add_f32_e32 v15, 1.0, v15
	v_cmp_gt_f32_e32 vcc, s8, v15
	s_nop 1
	v_cndmask_b32_e32 v11, 1.0, v11, vcc
	v_mul_f32_e32 v11, v15, v11
	v_log_f32_e32 v11, v11
	v_cndmask_b32_e32 v13, 0, v13, vcc
	v_mul_f32_e32 v15, 0x3f317217, v11
	v_fma_f32 v15, v11, s7, -v15
	v_fmac_f32_e32 v15, 0x3377d1cf, v11
	v_fmac_f32_e32 v15, 0x3f317217, v11
	v_cmp_lt_f32_e64 vcc, |v11|, s9
	s_nop 1
	v_cndmask_b32_e32 v11, v11, v15, vcc
	v_sub_f32_e32 v11, v11, v13
	v_cmp_gt_f16_sdwa vcc, v6, s6 src0_sel:WORD_1 src1_sel:DWORD
	s_nop 1
	v_cndmask_b32_e32 v6, v11, v14, vcc
	v_mul_f32_e32 v11, 0x4f800000, v6
	v_cmp_gt_f32_e64 s[4:5], s10, v6
	s_and_b64 vcc, exec, s[2:3]
	s_nop 0
	v_cndmask_b32_e64 v6, v6, v11, s[4:5]
	v_sqrt_f32_e32 v11, v6
	s_nop 0
	v_add_u32_e32 v13, -1, v11
	v_add_u32_e32 v14, 1, v11
	v_fma_f32 v15, -v13, v11, v6
	v_fma_f32 v16, -v14, v11, v6
	v_cmp_ge_f32_e64 s[6:7], 0, v15
	s_nop 1
	v_cndmask_b32_e64 v11, v11, v13, s[6:7]
	v_cmp_lt_f32_e64 s[6:7], 0, v16
	s_nop 1
	v_cndmask_b32_e64 v11, v11, v14, s[6:7]
	v_mul_f32_e32 v13, 0x37800000, v11
	v_cndmask_b32_e64 v11, v11, v13, s[4:5]
	v_cmp_class_f32_e64 s[4:5], v6, v5
	s_nop 1
	v_cndmask_b32_e64 v5, v11, v6, s[4:5]
	s_cbranch_vccnz .LBB199_16
; %bb.15:
	global_load_dword v6, v10, s[22:23] offset:20
	s_waitcnt vmcnt(0)
	v_add_f32_e32 v5, v5, v6
.LBB199_16:
	v_cvt_f32_f16_e32 v6, v7
	v_mov_b32_e32 v13, 0x4f800000
	s_mov_b32 s7, 0x3f317217
	s_movk_i32 s6, 0x4d00
	v_mul_f32_e32 v11, 0x3fb8aa3b, v6
	v_exp_f32_e32 v11, v11
	s_nop 0
	v_add_f32_e32 v11, 1.0, v11
	v_cmp_gt_f32_e32 vcc, s8, v11
	s_nop 1
	v_cndmask_b32_e32 v14, 1.0, v13, vcc
	v_mul_f32_e32 v11, v11, v14
	v_log_f32_e32 v11, v11
	v_mov_b32_e32 v14, 0x41b17218
	v_cndmask_b32_e32 v15, 0, v14, vcc
	v_mul_f32_e32 v16, 0x3f317217, v11
	v_fma_f32 v16, v11, s7, -v16
	v_fmac_f32_e32 v16, 0x3377d1cf, v11
	v_fmac_f32_e32 v16, 0x3f317217, v11
	v_cmp_lt_f32_e64 vcc, |v11|, s9
	s_nop 1
	v_cndmask_b32_e32 v11, v11, v16, vcc
	v_sub_f32_e32 v11, v11, v15
	v_cmp_lt_f16_e32 vcc, s6, v7
	s_nop 1
	v_cndmask_b32_e32 v6, v11, v6, vcc
	v_mul_f32_e32 v11, 0x4f800000, v6
	v_cmp_gt_f32_e32 vcc, s10, v6
	s_nop 1
	v_cndmask_b32_e32 v6, v6, v11, vcc
	v_sqrt_f32_e32 v11, v6
	s_nop 0
	v_add_u32_e32 v15, -1, v11
	v_fma_f32 v16, -v15, v11, v6
	v_cmp_ge_f32_e64 s[4:5], 0, v16
	v_add_u32_e32 v16, 1, v11
	s_nop 0
	v_cndmask_b32_e64 v15, v11, v15, s[4:5]
	v_fma_f32 v11, -v16, v11, v6
	v_cmp_lt_f32_e64 s[4:5], 0, v11
	s_nop 1
	v_cndmask_b32_e64 v11, v15, v16, s[4:5]
	v_mul_f32_e32 v15, 0x37800000, v11
	v_cndmask_b32_e32 v15, v11, v15, vcc
	v_mov_b32_e32 v11, 0x260
	v_cmp_class_f32_e64 s[4:5], v6, v11
	s_and_b64 vcc, exec, s[2:3]
	s_nop 0
	v_cndmask_b32_e64 v6, v15, v6, s[4:5]
	s_cbranch_vccnz .LBB199_18
; %bb.17:
	global_load_dword v15, v10, s[22:23] offset:24
	s_waitcnt vmcnt(0)
	v_add_f32_e32 v6, v6, v15
.LBB199_18:
	v_cvt_f32_f16_sdwa v15, v7 dst_sel:DWORD dst_unused:UNUSED_PAD src0_sel:WORD_1
	v_mul_f32_e32 v16, 0x3fb8aa3b, v15
	v_exp_f32_e32 v16, v16
	s_nop 0
	v_add_f32_e32 v16, 1.0, v16
	v_cmp_gt_f32_e32 vcc, s8, v16
	s_nop 1
	v_cndmask_b32_e32 v13, 1.0, v13, vcc
	v_mul_f32_e32 v13, v16, v13
	v_log_f32_e32 v13, v13
	v_cndmask_b32_e32 v14, 0, v14, vcc
	v_mul_f32_e32 v16, 0x3f317217, v13
	v_fma_f32 v16, v13, s7, -v16
	v_fmac_f32_e32 v16, 0x3377d1cf, v13
	v_fmac_f32_e32 v16, 0x3f317217, v13
	v_cmp_lt_f32_e64 vcc, |v13|, s9
	s_nop 1
	v_cndmask_b32_e32 v13, v13, v16, vcc
	v_sub_f32_e32 v13, v13, v14
	v_cmp_gt_f16_sdwa vcc, v7, s6 src0_sel:WORD_1 src1_sel:DWORD
	s_nop 1
	v_cndmask_b32_e32 v7, v13, v15, vcc
	v_mul_f32_e32 v13, 0x4f800000, v7
	v_cmp_gt_f32_e64 s[4:5], s10, v7
	s_and_b64 vcc, exec, s[2:3]
	s_nop 0
	v_cndmask_b32_e64 v7, v7, v13, s[4:5]
	v_sqrt_f32_e32 v13, v7
	s_nop 0
	v_add_u32_e32 v14, -1, v13
	v_add_u32_e32 v15, 1, v13
	v_fma_f32 v16, -v14, v13, v7
	v_fma_f32 v17, -v15, v13, v7
	v_cmp_ge_f32_e64 s[6:7], 0, v16
	s_nop 1
	v_cndmask_b32_e64 v13, v13, v14, s[6:7]
	v_cmp_lt_f32_e64 s[6:7], 0, v17
	s_nop 1
	v_cndmask_b32_e64 v13, v13, v15, s[6:7]
	v_mul_f32_e32 v14, 0x37800000, v13
	v_cndmask_b32_e64 v13, v13, v14, s[4:5]
	v_cmp_class_f32_e64 s[4:5], v7, v11
	s_nop 1
	v_cndmask_b32_e64 v7, v13, v7, s[4:5]
	s_cbranch_vccnz .LBB199_20
; %bb.19:
	global_load_dword v10, v10, s[22:23] offset:28
	s_waitcnt vmcnt(0)
	v_add_f32_e32 v7, v7, v10
.LBB199_20:
	s_load_dwordx4 s[24:27], s[0:1], 0x30
	s_mov_b32 s42, 0
	v_cmp_eq_u32_e64 s[6:7], 0, v9
	s_waitcnt lgkmcnt(0)
	s_bitcmp1_b32 s27, 0
	s_cselect_b64 s[4:5], -1, 0
	s_cmp_gt_i32 s24, 0
	s_cselect_b64 s[38:39], -1, 0
	s_and_b64 vcc, exec, s[38:39]
	s_cbranch_vccz .LBB199_35
; %bb.21:
	v_mbcnt_lo_u32_b32 v10, -1, 0
	v_mbcnt_hi_u32_b32 v10, -1, v10
	s_load_dwordx4 s[28:31], s[0:1], 0x20
	v_and_b32_e32 v13, 0x7e, v10
	v_xor_b32_e32 v11, 1, v10
	v_add_u32_e32 v13, 2, v13
	v_cmp_lt_i32_e32 vcc, v11, v13
	v_mul_lo_u32 v15, v8, s24
	v_mov_b32_e32 v13, 0
	v_cndmask_b32_e32 v10, v10, v11, vcc
	v_lshlrev_b32_e32 v14, 2, v10
	v_mov_b32_e32 v16, 0xc61c4000
	v_mov_b32_e32 v17, v8
	s_branch .LBB199_24
.LBB199_22:                             ;   in Loop: Header=BB199_24 Depth=1
	s_or_b64 exec, exec, s[40:41]
.LBB199_23:                             ;   in Loop: Header=BB199_24 Depth=1
	s_cmp_eq_u32 s24, s42
	v_add_u32_e32 v17, s33, v17
	s_cbranch_scc1 .LBB199_36
.LBB199_24:                             ; =>This Inner Loop Header: Depth=1
	v_cmp_gt_f32_e32 vcc, v1, v0
	s_nop 1
	v_cndmask_b32_e32 v11, v0, v1, vcc
	v_cndmask_b32_e64 v10, 0, 1, vcc
	v_cmp_gt_f32_e32 vcc, v2, v11
	s_nop 1
	v_cndmask_b32_e32 v11, v11, v2, vcc
	v_cndmask_b32_e64 v10, v10, 2, vcc
	;; [unrolled: 4-line block ×6, first 2 shown]
	v_cmp_gt_f32_e32 vcc, v7, v11
	s_nop 1
	v_cndmask_b32_e64 v10, v10, 7, vcc
	v_cndmask_b32_e32 v18, v11, v7, vcc
	ds_bpermute_b32 v11, v14, v18
	v_or_b32_e32 v10, v12, v10
	ds_bpermute_b32 v19, v14, v10
	s_waitcnt lgkmcnt(0)
	v_cmp_lt_f32_e64 s[8:9], v18, v11
	v_cmp_nlt_f32_e32 vcc, v18, v11
	s_and_saveexec_b64 s[10:11], vcc
	s_cbranch_execnz .LBB199_28
; %bb.25:                               ;   in Loop: Header=BB199_24 Depth=1
	s_or_b64 exec, exec, s[10:11]
	s_and_saveexec_b64 s[0:1], s[8:9]
	s_cbranch_execnz .LBB199_29
.LBB199_26:                             ;   in Loop: Header=BB199_24 Depth=1
	s_or_b64 exec, exec, s[0:1]
	s_and_saveexec_b64 s[8:9], s[6:7]
	s_cbranch_execnz .LBB199_30
.LBB199_27:                             ;   in Loop: Header=BB199_24 Depth=1
	s_or_b64 exec, exec, s[8:9]
	s_add_i32 s42, s42, 1
	s_cmp_ge_i32 s42, s24
	s_cbranch_scc1 .LBB199_23
	s_branch .LBB199_33
.LBB199_28:                             ;   in Loop: Header=BB199_24 Depth=1
	v_cmp_eq_f32_e32 vcc, v18, v11
	v_cmp_lt_i32_e64 s[0:1], v19, v10
	s_and_b64 s[0:1], vcc, s[0:1]
	s_andn2_b64 s[8:9], s[8:9], exec
	s_and_b64 s[0:1], s[0:1], exec
	s_or_b64 s[8:9], s[8:9], s[0:1]
	s_or_b64 exec, exec, s[10:11]
	s_and_saveexec_b64 s[0:1], s[8:9]
	s_cbranch_execz .LBB199_26
.LBB199_29:                             ;   in Loop: Header=BB199_24 Depth=1
	v_mov_b32_e32 v10, v19
	v_mov_b32_e32 v18, v11
	s_or_b64 exec, exec, s[0:1]
	s_and_saveexec_b64 s[8:9], s[6:7]
	s_cbranch_execz .LBB199_27
.LBB199_30:                             ;   in Loop: Header=BB199_24 Depth=1
	s_and_b64 vcc, exec, s[2:3]
	s_cbranch_vccnz .LBB199_32
; %bb.31:                               ;   in Loop: Header=BB199_24 Depth=1
	v_ashrrev_i32_e32 v11, 31, v10
	v_lshl_add_u64 v[20:21], v[10:11], 2, s[22:23]
	global_load_dword v11, v[20:21], off
	s_waitcnt vmcnt(0)
	v_sub_f32_e32 v18, v18, v11
.LBB199_32:                             ;   in Loop: Header=BB199_24 Depth=1
	v_add_u32_e32 v20, s42, v15
	v_cmp_le_i32_e32 vcc, s25, v10
	v_cmp_gt_i32_e64 s[0:1], s26, v10
	v_ashrrev_i32_e32 v21, 31, v20
	s_and_b64 s[0:1], vcc, s[0:1]
	v_lshlrev_b64 v[20:21], 2, v[20:21]
	v_lshl_add_u64 v[22:23], s[34:35], 0, v[20:21]
	v_subrev_u32_e32 v11, s25, v10
	s_and_b64 vcc, s[36:37], s[0:1]
	global_store_dword v[22:23], v18, off
	v_cndmask_b32_e32 v11, 16, v11, vcc
	v_lshl_add_u64 v[22:23], s[28:29], 0, v[20:21]
	global_store_dword v[22:23], v11, off
	v_add_f32_e32 v11, v13, v18
	v_lshl_add_u64 v[20:21], s[30:31], 0, v[20:21]
	v_cndmask_b32_e64 v13, v13, v11, s[4:5]
	global_store_dword v[20:21], v17, off
	s_or_b64 exec, exec, s[8:9]
	s_add_i32 s42, s42, 1
	s_cmp_ge_i32 s42, s24
	s_cbranch_scc1 .LBB199_23
.LBB199_33:                             ;   in Loop: Header=BB199_24 Depth=1
	v_ashrrev_i32_e32 v18, 31, v10
	v_lshrrev_b32_e32 v11, 29, v18
	v_add_u32_e32 v19, v10, v11
	v_ashrrev_i32_e32 v11, 3, v19
	v_lshrrev_b32_e32 v19, 31, v19
	v_add_u32_e32 v19, v11, v19
	v_and_b32_e32 v19, -2, v19
	v_sub_u32_e32 v19, v11, v19
	v_cmp_eq_u32_e32 vcc, v9, v19
	s_and_saveexec_b64 s[40:41], vcc
	s_cbranch_execz .LBB199_22
; %bb.34:                               ;   in Loop: Header=BB199_24 Depth=1
	v_lshrrev_b32_e32 v18, 28, v18
	v_add_u32_e32 v18, v10, v18
	v_lshlrev_b32_e32 v11, 3, v11
	v_sub_u32_e32 v10, v10, v11
	v_ashrrev_i32_e32 v11, 4, v18
	v_lshl_add_u32 v10, v11, 3, v10
	v_cmp_ne_u32_e32 vcc, 6, v10
	v_cmp_ne_u32_e64 s[0:1], 5, v10
	v_cmp_ne_u32_e64 s[8:9], 4, v10
	;; [unrolled: 1-line block ×7, first 2 shown]
	v_cndmask_b32_e32 v6, v16, v6, vcc
	v_cndmask_b32_e64 v5, v16, v5, s[0:1]
	v_cndmask_b32_e64 v7, v16, v7, s[18:19]
	;; [unrolled: 1-line block ×7, first 2 shown]
	s_branch .LBB199_22
.LBB199_35:
	v_mov_b32_e32 v13, 0
.LBB199_36:
	v_cmp_eq_u32_e32 vcc, 0, v9
	s_and_b64 exec, exec, vcc
	s_cbranch_execz .LBB199_49
; %bb.37:
	s_andn2_b64 vcc, exec, s[4:5]
	v_cvt_f32_f64_e32 v0, s[20:21]
	s_cbranch_vccnz .LBB199_39
; %bb.38:
	v_cmp_lt_f32_e32 vcc, 0, v13
	s_nop 1
	v_cndmask_b32_e32 v1, 1.0, v13, vcc
	v_div_scale_f32 v2, s[0:1], v1, v1, v0
	v_rcp_f32_e32 v3, v2
	s_nop 0
	v_fma_f32 v4, -v2, v3, 1.0
	v_fmac_f32_e32 v3, v4, v3
	v_div_scale_f32 v4, vcc, v0, v1, v0
	v_mul_f32_e32 v5, v4, v3
	v_fma_f32 v6, -v2, v5, v4
	v_fmac_f32_e32 v5, v6, v3
	v_fma_f32 v2, -v2, v5, v4
	v_div_fmas_f32 v2, v2, v3, v5
	v_div_fixup_f32 v0, v2, v1, v0
.LBB199_39:
	s_andn2_b64 vcc, exec, s[38:39]
	s_cbranch_vccnz .LBB199_49
; %bb.40:
	v_mul_lo_u32 v2, v8, s24
	s_cmp_gt_u32 s24, 3
	v_ashrrev_i32_e32 v3, 31, v2
	s_cbranch_scc0 .LBB199_44
; %bb.41:
	s_and_b32 s0, s24, 0x7ffffffc
	v_lshl_add_u64 v[4:5], v[2:3], 2, s[34:35]
	v_mov_b32_e32 v1, v0
	v_lshl_add_u64 v[4:5], v[4:5], 0, 8
	s_mov_b32 s1, s0
.LBB199_42:                             ; =>This Inner Loop Header: Depth=1
	global_load_dwordx4 v[6:9], v[4:5], off offset:-8
	s_add_i32 s1, s1, -4
	s_cmp_lg_u32 s1, 0
	s_waitcnt vmcnt(0)
	v_pk_mul_f32 v[6:7], v[0:1], v[6:7]
	v_pk_mul_f32 v[8:9], v[0:1], v[8:9]
	global_store_dwordx4 v[4:5], v[6:9], off offset:-8
	v_lshl_add_u64 v[4:5], v[4:5], 0, 16
	s_cbranch_scc1 .LBB199_42
; %bb.43:
	s_cmp_lg_u32 s0, s24
	s_cselect_b64 s[2:3], -1, 0
	s_branch .LBB199_46
.LBB199_44:
	s_mov_b64 s[2:3], 0
                                        ; implicit-def: $sgpr0
	s_cbranch_execz .LBB199_46
; %bb.45:
	s_mov_b64 s[2:3], -1
	s_mov_b32 s0, 0
.LBB199_46:
	s_andn2_b64 vcc, exec, s[2:3]
	s_cbranch_vccnz .LBB199_49
; %bb.47:
	s_mov_b32 s1, 0
	v_lshl_add_u64 v[2:3], v[2:3], 0, s[0:1]
	s_sub_i32 s2, s24, s0
	v_lshl_add_u64 v[2:3], v[2:3], 2, s[34:35]
.LBB199_48:                             ; =>This Inner Loop Header: Depth=1
	global_load_dword v1, v[2:3], off
	s_add_i32 s2, s2, -1
	s_cmp_lg_u32 s2, 0
	s_waitcnt vmcnt(0)
	v_mul_f32_e32 v1, v0, v1
	global_store_dword v[2:3], v1, off
	v_lshl_add_u64 v[2:3], v[2:3], 0, 4
	s_cbranch_scc1 .LBB199_48
.LBB199_49:
	s_endpgm
	.section	.rodata,"a",@progbits
	.p2align	6, 0x0
	.amdhsa_kernel _ZN4vllm3moe22topkGatingSoftplusSqrtILi8ELi16ELi4ELi16ELi32ELb0Ei6__halfEEvPKT6_PKbPfiPT5_PiiiibdPKfPKS9_SF_
		.amdhsa_group_segment_fixed_size 0
		.amdhsa_private_segment_fixed_size 0
		.amdhsa_kernarg_size 96
		.amdhsa_user_sgpr_count 2
		.amdhsa_user_sgpr_dispatch_ptr 0
		.amdhsa_user_sgpr_queue_ptr 0
		.amdhsa_user_sgpr_kernarg_segment_ptr 1
		.amdhsa_user_sgpr_dispatch_id 0
		.amdhsa_user_sgpr_kernarg_preload_length 0
		.amdhsa_user_sgpr_kernarg_preload_offset 0
		.amdhsa_user_sgpr_private_segment_size 0
		.amdhsa_uses_dynamic_stack 0
		.amdhsa_enable_private_segment 0
		.amdhsa_system_sgpr_workgroup_id_x 1
		.amdhsa_system_sgpr_workgroup_id_y 0
		.amdhsa_system_sgpr_workgroup_id_z 0
		.amdhsa_system_sgpr_workgroup_info 0
		.amdhsa_system_vgpr_workitem_id 1
		.amdhsa_next_free_vgpr 24
		.amdhsa_next_free_sgpr 43
		.amdhsa_accum_offset 24
		.amdhsa_reserve_vcc 1
		.amdhsa_float_round_mode_32 0
		.amdhsa_float_round_mode_16_64 0
		.amdhsa_float_denorm_mode_32 3
		.amdhsa_float_denorm_mode_16_64 3
		.amdhsa_dx10_clamp 1
		.amdhsa_ieee_mode 1
		.amdhsa_fp16_overflow 0
		.amdhsa_tg_split 0
		.amdhsa_exception_fp_ieee_invalid_op 0
		.amdhsa_exception_fp_denorm_src 0
		.amdhsa_exception_fp_ieee_div_zero 0
		.amdhsa_exception_fp_ieee_overflow 0
		.amdhsa_exception_fp_ieee_underflow 0
		.amdhsa_exception_fp_ieee_inexact 0
		.amdhsa_exception_int_div_zero 0
	.end_amdhsa_kernel
	.section	.text._ZN4vllm3moe22topkGatingSoftplusSqrtILi8ELi16ELi4ELi16ELi32ELb0Ei6__halfEEvPKT6_PKbPfiPT5_PiiiibdPKfPKS9_SF_,"axG",@progbits,_ZN4vllm3moe22topkGatingSoftplusSqrtILi8ELi16ELi4ELi16ELi32ELb0Ei6__halfEEvPKT6_PKbPfiPT5_PiiiibdPKfPKS9_SF_,comdat
.Lfunc_end199:
	.size	_ZN4vllm3moe22topkGatingSoftplusSqrtILi8ELi16ELi4ELi16ELi32ELb0Ei6__halfEEvPKT6_PKbPfiPT5_PiiiibdPKfPKS9_SF_, .Lfunc_end199-_ZN4vllm3moe22topkGatingSoftplusSqrtILi8ELi16ELi4ELi16ELi32ELb0Ei6__halfEEvPKT6_PKbPfiPT5_PiiiibdPKfPKS9_SF_
                                        ; -- End function
	.section	.AMDGPU.csdata,"",@progbits
; Kernel info:
; codeLenInByte = 3696
; NumSgprs: 49
; NumVgprs: 24
; NumAgprs: 0
; TotalNumVgprs: 24
; ScratchSize: 0
; MemoryBound: 0
; FloatMode: 240
; IeeeMode: 1
; LDSByteSize: 0 bytes/workgroup (compile time only)
; SGPRBlocks: 6
; VGPRBlocks: 2
; NumSGPRsForWavesPerEU: 49
; NumVGPRsForWavesPerEU: 24
; AccumOffset: 24
; Occupancy: 8
; WaveLimiterHint : 0
; COMPUTE_PGM_RSRC2:SCRATCH_EN: 0
; COMPUTE_PGM_RSRC2:USER_SGPR: 2
; COMPUTE_PGM_RSRC2:TRAP_HANDLER: 0
; COMPUTE_PGM_RSRC2:TGID_X_EN: 1
; COMPUTE_PGM_RSRC2:TGID_Y_EN: 0
; COMPUTE_PGM_RSRC2:TGID_Z_EN: 0
; COMPUTE_PGM_RSRC2:TIDIG_COMP_CNT: 1
; COMPUTE_PGM_RSRC3_GFX90A:ACCUM_OFFSET: 5
; COMPUTE_PGM_RSRC3_GFX90A:TG_SPLIT: 0
	.section	.text._ZN4vllm3moe22topkGatingSoftplusSqrtILi8ELi32ELi4ELi16ELi64ELb1Ei6__halfEEvPKT6_PKbPfiPT5_PiiiibdPKfPKS9_SF_,"axG",@progbits,_ZN4vllm3moe22topkGatingSoftplusSqrtILi8ELi32ELi4ELi16ELi64ELb1Ei6__halfEEvPKT6_PKbPfiPT5_PiiiibdPKfPKS9_SF_,comdat
	.protected	_ZN4vllm3moe22topkGatingSoftplusSqrtILi8ELi32ELi4ELi16ELi64ELb1Ei6__halfEEvPKT6_PKbPfiPT5_PiiiibdPKfPKS9_SF_ ; -- Begin function _ZN4vllm3moe22topkGatingSoftplusSqrtILi8ELi32ELi4ELi16ELi64ELb1Ei6__halfEEvPKT6_PKbPfiPT5_PiiiibdPKfPKS9_SF_
	.globl	_ZN4vllm3moe22topkGatingSoftplusSqrtILi8ELi32ELi4ELi16ELi64ELb1Ei6__halfEEvPKT6_PKbPfiPT5_PiiiibdPKfPKS9_SF_
	.p2align	8
	.type	_ZN4vllm3moe22topkGatingSoftplusSqrtILi8ELi32ELi4ELi16ELi64ELb1Ei6__halfEEvPKT6_PKbPfiPT5_PiiiibdPKfPKS9_SF_,@function
_ZN4vllm3moe22topkGatingSoftplusSqrtILi8ELi32ELi4ELi16ELi64ELb1Ei6__halfEEvPKT6_PKbPfiPT5_PiiiibdPKfPKS9_SF_: ; @_ZN4vllm3moe22topkGatingSoftplusSqrtILi8ELi32ELi4ELi16ELi64ELb1Ei6__halfEEvPKT6_PKbPfiPT5_PiiiibdPKfPKS9_SF_
; %bb.0:
	s_load_dword s3, s[0:1], 0x18
	v_bfe_u32 v1, v0, 10, 10
	v_and_b32_e32 v11, 0x3ff, v0
	s_lshl_b32 s2, s2, 6
	v_lshlrev_b32_e32 v1, 4, v1
	v_lshrrev_b32_e32 v0, 2, v11
	v_add3_u32 v6, s2, v1, v0
	s_waitcnt lgkmcnt(0)
	v_cmp_gt_i32_e32 vcc, s3, v6
	s_and_saveexec_b64 s[2:3], vcc
	s_cbranch_execz .LBB200_31
; %bb.1:
	s_load_dwordx2 s[2:3], s[0:1], 0x0
	s_load_dword s33, s[0:1], 0x30
	v_lshlrev_b32_e32 v0, 5, v6
	v_lshlrev_b32_e32 v2, 3, v11
	v_ashrrev_i32_e32 v1, 31, v0
	v_and_b32_e32 v10, 24, v2
	s_waitcnt lgkmcnt(0)
	v_lshl_add_u64 v[0:1], v[0:1], 1, s[2:3]
	v_lshlrev_b32_e32 v4, 1, v10
	v_mov_b32_e32 v5, 0
	v_lshl_add_u64 v[0:1], v[0:1], 0, v[4:5]
	global_load_dwordx4 v[0:3], v[0:1], off
	s_load_dwordx4 s[8:11], s[0:1], 0x50
	v_ashrrev_i32_e32 v7, 31, v6
	s_mov_b32 s15, 0x800000
	s_mov_b32 s13, 0x3f317217
	s_mov_b32 s14, 0x7f800000
	s_waitcnt lgkmcnt(0)
	v_mov_b32_e32 v8, s8
	v_mov_b32_e32 v9, s9
	v_lshl_add_u64 v[8:9], v[6:7], 2, v[8:9]
	global_load_dword v4, v[8:9], off
	v_mov_b32_e32 v7, 0x4f800000
	v_mov_b32_e32 v16, 0x41b17218
	s_movk_i32 s9, 0x4d00
	s_mov_b32 s12, 0xf800000
	v_mov_b32_e32 v17, 0x260
	s_cmp_gt_i32 s33, 0
	s_mov_b32 s8, 0
	s_waitcnt vmcnt(1)
	v_cvt_f32_f16_e32 v18, v0
	v_cvt_f32_f16_sdwa v19, v0 dst_sel:DWORD dst_unused:UNUSED_PAD src0_sel:WORD_1
	v_cvt_f32_f16_e32 v20, v1
	v_cvt_f32_f16_sdwa v21, v1 dst_sel:DWORD dst_unused:UNUSED_PAD src0_sel:WORD_1
	v_mul_f32_e32 v8, 0x3fb8aa3b, v18
	v_mul_f32_e32 v9, 0x3fb8aa3b, v19
	v_exp_f32_e32 v12, v8
	v_exp_f32_e32 v13, v9
	v_mul_f32_e32 v14, 0x3fb8aa3b, v20
	v_mul_f32_e32 v15, 0x3fb8aa3b, v21
	v_exp_f32_e32 v14, v14
	v_exp_f32_e32 v15, v15
	v_pk_add_f32 v[12:13], v[12:13], 1.0 op_sel_hi:[1,0]
	s_waitcnt vmcnt(0)
	v_mul_lo_u32 v8, v4, s33
	v_cmp_gt_f32_e32 vcc, s15, v13
	v_pk_add_f32 v[14:15], v[14:15], 1.0 op_sel_hi:[1,0]
	v_cmp_gt_f32_e64 s[2:3], s15, v12
	v_cndmask_b32_e32 v4, 1.0, v7, vcc
	v_cmp_gt_f32_e64 s[4:5], s15, v15
	v_cndmask_b32_e64 v22, 1.0, v7, s[2:3]
	v_mul_f32_e32 v4, v13, v4
	v_cndmask_b32_e64 v23, 1.0, v7, s[4:5]
	v_mul_f32_e32 v12, v12, v22
	v_log_f32_e32 v4, v4
	v_mul_f32_e32 v15, v15, v23
	v_log_f32_e32 v12, v12
	v_cmp_gt_f32_e64 s[6:7], s15, v14
	v_log_f32_e32 v15, v15
	v_cndmask_b32_e32 v13, 0, v16, vcc
	v_cndmask_b32_e64 v24, 1.0, v7, s[6:7]
	v_mul_f32_e32 v14, v14, v24
	v_mul_f32_e32 v24, 0x3f317217, v4
	;; [unrolled: 1-line block ×3, first 2 shown]
	v_fma_f32 v24, v4, s13, -v24
	v_mul_f32_e32 v26, 0x3f317217, v15
	v_fma_f32 v25, v12, s13, -v25
	v_fmac_f32_e32 v24, 0x3377d1cf, v4
	v_fma_f32 v26, v15, s13, -v26
	v_fmac_f32_e32 v25, 0x3377d1cf, v12
	v_fmac_f32_e32 v24, 0x3f317217, v4
	v_cmp_lt_f32_e64 vcc, |v4|, s14
	v_fmac_f32_e32 v26, 0x3377d1cf, v15
	v_fmac_f32_e32 v25, 0x3f317217, v12
	v_cndmask_b32_e32 v4, v4, v24, vcc
	v_cmp_lt_f32_e64 vcc, |v12|, s14
	v_cndmask_b32_e64 v22, 0, v16, s[2:3]
	v_fmac_f32_e32 v26, 0x3f317217, v15
	v_cndmask_b32_e32 v12, v12, v25, vcc
	v_cmp_lt_f32_e64 vcc, |v15|, s14
	v_sub_f32_e32 v12, v12, v22
	v_sub_f32_e32 v4, v4, v13
	v_cndmask_b32_e32 v15, v15, v26, vcc
	v_cmp_lt_f16_e32 vcc, s9, v0
	v_cndmask_b32_e64 v23, 0, v16, s[4:5]
	v_log_f32_e32 v14, v14
	v_cndmask_b32_e32 v12, v12, v18, vcc
	v_cmp_gt_f16_sdwa vcc, v0, s9 src0_sel:WORD_1 src1_sel:DWORD
	v_mul_f32_e32 v13, 0x4f800000, v12
	v_cmp_gt_f32_e64 s[2:3], s12, v12
	v_cndmask_b32_e32 v0, v4, v19, vcc
	v_mul_f32_e32 v4, 0x4f800000, v0
	v_cmp_gt_f32_e32 vcc, s12, v0
	v_cndmask_b32_e64 v12, v12, v13, s[2:3]
	v_sqrt_f32_e32 v13, v12
	v_cndmask_b32_e32 v0, v0, v4, vcc
	v_sqrt_f32_e32 v4, v0
	v_sub_f32_e32 v15, v15, v23
	v_add_u32_e32 v22, -1, v13
	v_fma_f32 v26, -v22, v13, v12
	v_add_u32_e32 v18, -1, v4
	v_fma_f32 v24, -v18, v4, v0
	v_add_u32_e32 v19, 1, v4
	v_cmp_ge_f32_e64 s[4:5], 0, v24
	v_add_u32_e32 v23, 1, v13
	v_fma_f32 v25, -v19, v4, v0
	v_cndmask_b32_e64 v4, v4, v18, s[4:5]
	v_cmp_ge_f32_e64 s[4:5], 0, v26
	v_fma_f32 v28, -v23, v13, v12
	v_mul_f32_e32 v27, 0x3f317217, v14
	v_cndmask_b32_e64 v13, v13, v22, s[4:5]
	v_cmp_lt_f32_e64 s[4:5], 0, v25
	v_fma_f32 v27, v14, s13, -v27
	v_fmac_f32_e32 v27, 0x3377d1cf, v14
	v_cndmask_b32_e64 v4, v4, v19, s[4:5]
	v_cmp_lt_f32_e64 s[4:5], 0, v28
	v_mul_f32_e32 v18, 0x37800000, v4
	v_cndmask_b32_e32 v4, v4, v18, vcc
	v_cndmask_b32_e64 v13, v13, v23, s[4:5]
	v_mul_f32_e32 v19, 0x37800000, v13
	v_cmp_class_f32_e32 vcc, v0, v17
	v_cndmask_b32_e64 v18, v13, v19, s[2:3]
	v_fmac_f32_e32 v27, 0x3f317217, v14
	v_cndmask_b32_e32 v13, v4, v0, vcc
	v_cmp_class_f32_e32 vcc, v12, v17
	v_cndmask_b32_e64 v4, 0, v16, s[6:7]
	v_cmp_lt_f16_e64 s[2:3], s9, v1
	v_cndmask_b32_e32 v12, v18, v12, vcc
	v_cmp_lt_f32_e64 vcc, |v14|, s14
	v_cvt_f32_f16_e32 v19, v2
	v_ashrrev_i32_e32 v9, 31, v8
	v_cndmask_b32_e32 v0, v14, v27, vcc
	v_cmp_gt_f16_sdwa vcc, v1, s9 src0_sel:WORD_1 src1_sel:DWORD
	v_sub_f32_e32 v0, v0, v4
	v_cndmask_b32_e64 v0, v0, v20, s[2:3]
	v_cndmask_b32_e32 v14, v15, v21, vcc
	v_mul_f32_e32 v15, 0x4f800000, v14
	v_cmp_gt_f32_e32 vcc, s12, v14
	v_cvt_f32_f16_sdwa v20, v2 dst_sel:DWORD dst_unused:UNUSED_PAD src0_sel:WORD_1
	s_nop 0
	v_cndmask_b32_e32 v14, v14, v15, vcc
	v_sqrt_f32_e32 v15, v14
	s_nop 0
	v_add_u32_e32 v1, -1, v15
	v_fma_f32 v4, -v1, v15, v14
	v_cmp_ge_f32_e64 s[2:3], 0, v4
	v_add_u32_e32 v4, 1, v15
	s_nop 0
	v_cndmask_b32_e64 v1, v15, v1, s[2:3]
	v_fma_f32 v15, -v4, v15, v14
	v_cmp_lt_f32_e64 s[2:3], 0, v15
	v_mul_f32_e32 v15, 0x4f800000, v0
	s_nop 0
	v_cndmask_b32_e64 v1, v1, v4, s[2:3]
	v_cmp_gt_f32_e64 s[2:3], s12, v0
	v_mul_f32_e32 v4, 0x37800000, v1
	v_cndmask_b32_e32 v1, v1, v4, vcc
	v_cndmask_b32_e64 v18, v0, v15, s[2:3]
	v_sqrt_f32_e32 v0, v18
	v_cmp_class_f32_e32 vcc, v14, v17
	s_nop 1
	v_cndmask_b32_e32 v15, v1, v14, vcc
	v_add_u32_e32 v1, -1, v0
	v_fma_f32 v4, -v1, v0, v18
	v_cmp_ge_f32_e32 vcc, 0, v4
	v_add_u32_e32 v14, 1, v0
	v_fma_f32 v21, -v14, v0, v18
	v_cndmask_b32_e32 v4, v0, v1, vcc
	v_mul_f32_e32 v0, 0x3fb8aa3b, v19
	v_mul_f32_e32 v1, 0x3fb8aa3b, v20
	v_exp_f32_e32 v0, v0
	v_exp_f32_e32 v1, v1
	v_cmp_lt_f32_e32 vcc, 0, v21
	v_pk_add_f32 v[0:1], v[0:1], 1.0 op_sel_hi:[1,0]
	s_nop 0
	v_cndmask_b32_e32 v4, v4, v14, vcc
	v_mul_f32_e32 v14, 0x37800000, v4
	v_cmp_gt_f32_e32 vcc, s15, v1
	v_cndmask_b32_e64 v4, v4, v14, s[2:3]
	v_cmp_class_f32_e64 s[2:3], v18, v17
	v_cndmask_b32_e32 v14, 1.0, v7, vcc
	v_mul_f32_e32 v1, v1, v14
	v_log_f32_e32 v1, v1
	v_cndmask_b32_e64 v14, v4, v18, s[2:3]
	v_cmp_gt_f32_e64 s[2:3], s15, v0
	scratch_store_dwordx4 off, v[12:15], off
	v_mul_f32_e32 v4, 0x3f317217, v1
	v_fma_f32 v4, v1, s13, -v4
	v_cndmask_b32_e64 v12, 1.0, v7, s[2:3]
	v_mul_f32_e32 v0, v0, v12
	v_log_f32_e32 v0, v0
	v_fmac_f32_e32 v4, 0x3377d1cf, v1
	v_fmac_f32_e32 v4, 0x3f317217, v1
	v_cmp_lt_f32_e64 s[4:5], |v1|, s14
	v_cvt_f32_f16_sdwa v15, v3 dst_sel:DWORD dst_unused:UNUSED_PAD src0_sel:WORD_1
	v_mul_f32_e32 v13, 0x3fb8aa3b, v15
	v_cndmask_b32_e64 v1, v1, v4, s[4:5]
	v_cndmask_b32_e32 v4, 0, v16, vcc
	v_sub_f32_e32 v1, v1, v4
	v_mul_f32_e32 v4, 0x3f317217, v0
	v_fma_f32 v4, v0, s13, -v4
	v_fmac_f32_e32 v4, 0x3377d1cf, v0
	v_fmac_f32_e32 v4, 0x3f317217, v0
	v_cmp_lt_f32_e64 vcc, |v0|, s14
	v_exp_f32_e32 v13, v13
	s_nop 0
	v_cndmask_b32_e32 v0, v0, v4, vcc
	v_cmp_gt_f16_sdwa vcc, v2, s9 src0_sel:WORD_1 src1_sel:DWORD
	v_cndmask_b32_e64 v4, 0, v16, s[2:3]
	v_cmp_lt_f16_e64 s[2:3], s9, v2
	v_cndmask_b32_e32 v1, v1, v20, vcc
	v_mul_f32_e32 v12, 0x4f800000, v1
	v_cmp_gt_f32_e32 vcc, s12, v1
	v_sub_f32_e32 v0, v0, v4
	v_cndmask_b32_e64 v0, v0, v19, s[2:3]
	v_cndmask_b32_e32 v1, v1, v12, vcc
	v_sqrt_f32_e32 v12, v1
	s_nop 0
	v_add_u32_e32 v2, -1, v12
	v_fma_f32 v4, -v2, v12, v1
	v_cmp_ge_f32_e64 s[2:3], 0, v4
	v_add_u32_e32 v4, 1, v12
	s_nop 0
	v_cndmask_b32_e64 v2, v12, v2, s[2:3]
	v_fma_f32 v12, -v4, v12, v1
	v_cmp_lt_f32_e64 s[2:3], 0, v12
	v_mul_f32_e32 v12, 0x4f800000, v0
	s_nop 0
	v_cndmask_b32_e64 v2, v2, v4, s[2:3]
	v_cmp_gt_f32_e64 s[2:3], s12, v0
	v_mul_f32_e32 v4, 0x37800000, v2
	v_cndmask_b32_e32 v2, v2, v4, vcc
	v_cndmask_b32_e64 v0, v0, v12, s[2:3]
	v_sqrt_f32_e32 v12, v0
	v_cmp_class_f32_e32 vcc, v1, v17
	v_add_u32_e32 v14, 1, v12
	s_nop 0
	v_cndmask_b32_e32 v1, v2, v1, vcc
	v_add_u32_e32 v2, -1, v12
	v_fma_f32 v4, -v2, v12, v0
	v_cmp_ge_f32_e32 vcc, 0, v4
	v_cvt_f32_f16_e32 v4, v3
	v_fma_f32 v18, -v14, v12, v0
	v_cndmask_b32_e32 v2, v12, v2, vcc
	v_cmp_lt_f32_e32 vcc, 0, v18
	v_mul_f32_e32 v12, 0x3fb8aa3b, v4
	v_exp_f32_e32 v12, v12
	v_cndmask_b32_e32 v2, v2, v14, vcc
	v_mul_f32_e32 v14, 0x37800000, v2
	v_cndmask_b32_e64 v2, v2, v14, s[2:3]
	v_pk_add_f32 v[12:13], v[12:13], 1.0 op_sel_hi:[1,0]
	v_cmp_class_f32_e64 s[2:3], v0, v17
	v_cmp_gt_f32_e32 vcc, s15, v13
	s_nop 0
	v_cndmask_b32_e64 v0, v2, v0, s[2:3]
	v_cndmask_b32_e32 v18, 1.0, v7, vcc
	v_mul_f32_e32 v13, v13, v18
	v_log_f32_e32 v13, v13
	v_cmp_gt_f32_e64 s[2:3], s15, v12
	v_mul_f32_e32 v2, 0x3f317217, v13
	s_nop 0
	v_cndmask_b32_e64 v7, 1.0, v7, s[2:3]
	v_mul_f32_e32 v7, v12, v7
	v_fma_f32 v2, v13, s13, -v2
	v_log_f32_e32 v7, v7
	v_fmac_f32_e32 v2, 0x3377d1cf, v13
	v_fmac_f32_e32 v2, 0x3f317217, v13
	v_cmp_lt_f32_e64 s[4:5], |v13|, s14
	v_cndmask_b32_e32 v12, 0, v16, vcc
	v_cmp_lt_f32_e64 vcc, |v7|, s14
	v_cndmask_b32_e64 v2, v13, v2, s[4:5]
	v_sub_f32_e32 v2, v2, v12
	v_mul_f32_e32 v12, 0x3f317217, v7
	v_fma_f32 v12, v7, s13, -v12
	v_fmac_f32_e32 v12, 0x3377d1cf, v7
	v_fmac_f32_e32 v12, 0x3f317217, v7
	v_cndmask_b32_e32 v7, v7, v12, vcc
	v_cmp_gt_f16_sdwa vcc, v3, s9 src0_sel:WORD_1 src1_sel:DWORD
	v_cndmask_b32_e64 v12, 0, v16, s[2:3]
	v_sub_f32_e32 v7, v7, v12
	v_cndmask_b32_e32 v2, v2, v15, vcc
	v_mul_f32_e32 v13, 0x4f800000, v2
	v_cmp_gt_f32_e32 vcc, s12, v2
	v_cmp_lt_f16_e64 s[2:3], s9, v3
	s_cselect_b64 s[4:5], -1, 0
	v_cndmask_b32_e32 v2, v2, v13, vcc
	v_sqrt_f32_e32 v13, v2
	v_cndmask_b32_e64 v3, v7, v4, s[2:3]
	s_cmp_lt_i32 s33, 1
	v_add_u32_e32 v4, -1, v13
	v_fma_f32 v7, -v4, v13, v2
	v_cmp_ge_f32_e64 s[2:3], 0, v7
	v_add_u32_e32 v7, 1, v13
	v_fma_f32 v12, -v7, v13, v2
	v_cndmask_b32_e64 v4, v13, v4, s[2:3]
	v_cmp_lt_f32_e64 s[2:3], 0, v12
	v_mul_f32_e32 v12, 0x4f800000, v3
	s_nop 0
	v_cndmask_b32_e64 v4, v4, v7, s[2:3]
	v_cmp_gt_f32_e64 s[2:3], s12, v3
	v_mul_f32_e32 v7, 0x37800000, v4
	s_nop 0
	v_cndmask_b32_e64 v12, v3, v12, s[2:3]
	v_sqrt_f32_e32 v13, v12
	v_cndmask_b32_e32 v3, v4, v7, vcc
	v_cmp_class_f32_e32 vcc, v2, v17
	s_nop 1
	v_cndmask_b32_e32 v3, v3, v2, vcc
	v_add_u32_e32 v2, -1, v13
	v_fma_f32 v4, -v2, v13, v12
	v_cmp_ge_f32_e32 vcc, 0, v4
	v_add_u32_e32 v4, 1, v13
	v_fma_f32 v7, -v4, v13, v12
	v_cndmask_b32_e32 v2, v13, v2, vcc
	v_cmp_lt_f32_e32 vcc, 0, v7
	s_nop 1
	v_cndmask_b32_e32 v2, v2, v4, vcc
	v_mul_f32_e32 v4, 0x37800000, v2
	v_cndmask_b32_e64 v2, v2, v4, s[2:3]
	v_cmp_class_f32_e32 vcc, v12, v17
	s_nop 1
	v_cndmask_b32_e32 v2, v2, v12, vcc
	scratch_store_dwordx4 off, v[0:3], off offset:16
	s_nop 1
	v_lshl_add_u64 v[2:3], v[8:9], 2, s[10:11]
	v_mul_lo_u32 v0, v6, s33
	s_cbranch_scc1 .LBB200_28
; %bb.2:
	s_load_dwordx2 s[6:7], s[0:1], 0x20
	s_cmp_lt_u32 s33, 4
	v_and_b32_e32 v4, 3, v11
	s_cbranch_scc1 .LBB200_21
; %bb.3:
	v_lshlrev_b32_e32 v5, 3, v4
	s_mov_b32 s11, 0
	s_and_b32 s8, s33, 0x7ffffffc
	v_ashrrev_i32_e32 v1, 31, v0
	v_sub_u32_e32 v11, 0, v5
	v_mov_b32_e32 v5, 0
	s_mov_b32 s10, s11
	s_branch .LBB200_5
.LBB200_4:                              ;   in Loop: Header=BB200_5 Depth=1
	s_or_b64 exec, exec, s[12:13]
	s_add_i32 s10, s10, 4
	s_cmp_eq_u32 s10, s8
	s_cbranch_scc1 .LBB200_21
.LBB200_5:                              ; =>This Loop Header: Depth=1
                                        ;     Child Loop BB200_7 Depth 2
                                        ;     Child Loop BB200_11 Depth 2
	;; [unrolled: 1-line block ×4, first 2 shown]
	v_lshl_add_u64 v[6:7], s[10:11], 2, v[2:3]
	global_load_dword v12, v[6:7], off
	v_add_u32_e32 v8, s10, v0
	v_ashrrev_i32_e32 v9, 31, v8
	v_mov_b32_e32 v13, 0
	s_mov_b64 s[12:13], 0
	s_waitcnt lgkmcnt(0)
	v_lshl_add_u64 v[8:9], v[8:9], 2, s[6:7]
	s_mov_b32 s9, 0
	s_waitcnt vmcnt(0)
	v_add_u32_e32 v14, v11, v12
	s_branch .LBB200_7
.LBB200_6:                              ;   in Loop: Header=BB200_7 Depth=2
	s_or_b64 exec, exec, s[14:15]
	s_add_i32 s16, s9, 1
	s_cmp_gt_u32 s9, 6
	s_cselect_b64 s[2:3], -1, 0
	s_xor_b64 s[14:15], vcc, -1
	s_or_b64 s[2:3], s[14:15], s[2:3]
	s_and_b64 s[2:3], exec, s[2:3]
	v_add_u32_e32 v13, 4, v13
	s_or_b64 s[12:13], s[2:3], s[12:13]
	s_mov_b32 s9, s16
	s_andn2_b64 exec, exec, s[12:13]
	s_cbranch_execz .LBB200_9
.LBB200_7:                              ;   Parent Loop BB200_5 Depth=1
                                        ; =>  This Inner Loop Header: Depth=2
	v_cmp_ne_u32_e32 vcc, s9, v14
	v_cmp_eq_u32_e64 s[2:3], s9, v14
	s_and_saveexec_b64 s[14:15], s[2:3]
	s_cbranch_execz .LBB200_6
; %bb.8:                                ;   in Loop: Header=BB200_7 Depth=2
	scratch_load_dword v15, v13, off
	s_waitcnt vmcnt(0)
	v_add_f32_e32 v5, v5, v15
	global_store_dword v[8:9], v12, off
	s_branch .LBB200_6
.LBB200_9:                              ;   in Loop: Header=BB200_5 Depth=1
	s_or_b64 exec, exec, s[12:13]
	global_load_dword v12, v[6:7], off offset:4
	s_ashr_i32 s3, s10, 31
	s_mov_b32 s2, s10
	v_lshl_add_u64 v[8:9], s[2:3], 0, v[0:1]
	v_mov_b32_e32 v13, 0
	s_mov_b32 s9, 0
	v_lshl_add_u64 v[8:9], v[8:9], 2, s[6:7]
	s_mov_b64 s[12:13], 0
	s_waitcnt vmcnt(0)
	v_add_u32_e32 v14, v11, v12
	s_branch .LBB200_11
.LBB200_10:                             ;   in Loop: Header=BB200_11 Depth=2
	s_or_b64 exec, exec, s[14:15]
	s_add_i32 s16, s9, 1
	s_cmp_gt_u32 s9, 6
	s_cselect_b64 s[2:3], -1, 0
	s_xor_b64 s[14:15], vcc, -1
	s_or_b64 s[2:3], s[14:15], s[2:3]
	s_and_b64 s[2:3], exec, s[2:3]
	v_add_u32_e32 v13, 4, v13
	s_or_b64 s[12:13], s[2:3], s[12:13]
	s_mov_b32 s9, s16
	s_andn2_b64 exec, exec, s[12:13]
	s_cbranch_execz .LBB200_13
.LBB200_11:                             ;   Parent Loop BB200_5 Depth=1
                                        ; =>  This Inner Loop Header: Depth=2
	v_cmp_ne_u32_e32 vcc, s9, v14
	v_cmp_eq_u32_e64 s[2:3], s9, v14
	s_and_saveexec_b64 s[14:15], s[2:3]
	s_cbranch_execz .LBB200_10
; %bb.12:                               ;   in Loop: Header=BB200_11 Depth=2
	scratch_load_dword v15, v13, off
	s_waitcnt vmcnt(0)
	v_add_f32_e32 v5, v5, v15
	global_store_dword v[8:9], v12, off offset:4
	s_branch .LBB200_10
.LBB200_13:                             ;   in Loop: Header=BB200_5 Depth=1
	s_or_b64 exec, exec, s[12:13]
	global_load_dword v12, v[6:7], off offset:8
	v_mov_b32_e32 v13, 0
	s_mov_b32 s9, 0
	s_mov_b64 s[12:13], 0
	s_waitcnt vmcnt(0)
	v_add_u32_e32 v14, v11, v12
	s_branch .LBB200_15
.LBB200_14:                             ;   in Loop: Header=BB200_15 Depth=2
	s_or_b64 exec, exec, s[14:15]
	s_add_i32 s16, s9, 1
	s_cmp_gt_u32 s9, 6
	s_cselect_b64 s[2:3], -1, 0
	s_xor_b64 s[14:15], vcc, -1
	s_or_b64 s[2:3], s[14:15], s[2:3]
	s_and_b64 s[2:3], exec, s[2:3]
	v_add_u32_e32 v13, 4, v13
	s_or_b64 s[12:13], s[2:3], s[12:13]
	s_mov_b32 s9, s16
	s_andn2_b64 exec, exec, s[12:13]
	s_cbranch_execz .LBB200_17
.LBB200_15:                             ;   Parent Loop BB200_5 Depth=1
                                        ; =>  This Inner Loop Header: Depth=2
	v_cmp_ne_u32_e32 vcc, s9, v14
	v_cmp_eq_u32_e64 s[2:3], s9, v14
	s_and_saveexec_b64 s[14:15], s[2:3]
	s_cbranch_execz .LBB200_14
; %bb.16:                               ;   in Loop: Header=BB200_15 Depth=2
	scratch_load_dword v15, v13, off
	s_waitcnt vmcnt(0)
	v_add_f32_e32 v5, v5, v15
	global_store_dword v[8:9], v12, off offset:8
	s_branch .LBB200_14
.LBB200_17:                             ;   in Loop: Header=BB200_5 Depth=1
	s_or_b64 exec, exec, s[12:13]
	global_load_dword v6, v[6:7], off offset:12
	v_mov_b32_e32 v7, 0
	s_mov_b32 s9, 0
	s_mov_b64 s[12:13], 0
	s_waitcnt vmcnt(0)
	v_add_u32_e32 v12, v11, v6
	s_branch .LBB200_19
.LBB200_18:                             ;   in Loop: Header=BB200_19 Depth=2
	s_or_b64 exec, exec, s[14:15]
	s_add_i32 s16, s9, 1
	s_cmp_gt_u32 s9, 6
	s_cselect_b64 s[2:3], -1, 0
	s_xor_b64 s[14:15], vcc, -1
	s_or_b64 s[2:3], s[14:15], s[2:3]
	s_and_b64 s[2:3], exec, s[2:3]
	v_add_u32_e32 v7, 4, v7
	s_or_b64 s[12:13], s[2:3], s[12:13]
	s_mov_b32 s9, s16
	s_andn2_b64 exec, exec, s[12:13]
	s_cbranch_execz .LBB200_4
.LBB200_19:                             ;   Parent Loop BB200_5 Depth=1
                                        ; =>  This Inner Loop Header: Depth=2
	v_cmp_ne_u32_e32 vcc, s9, v12
	v_cmp_eq_u32_e64 s[2:3], s9, v12
	s_and_saveexec_b64 s[14:15], s[2:3]
	s_cbranch_execz .LBB200_18
; %bb.20:                               ;   in Loop: Header=BB200_19 Depth=2
	scratch_load_dword v13, v7, off
	s_waitcnt vmcnt(0)
	v_add_f32_e32 v5, v5, v13
	global_store_dword v[8:9], v6, off offset:12
	s_branch .LBB200_18
.LBB200_21:
	s_and_b32 s14, s33, 3
	s_cmp_eq_u32 s14, 0
	s_mov_b32 s9, 0
	s_cbranch_scc1 .LBB200_28
; %bb.22:
	v_lshlrev_b32_e32 v1, 3, v4
	v_sub_u32_e32 v1, 0, v1
	s_mov_b32 s15, s9
	s_branch .LBB200_24
.LBB200_23:                             ;   in Loop: Header=BB200_24 Depth=1
	s_or_b64 exec, exec, s[10:11]
	s_add_i32 s8, s8, 1
	s_add_i32 s15, s15, 1
	s_cmp_lg_u32 s15, s14
	s_cbranch_scc0 .LBB200_28
.LBB200_24:                             ; =>This Loop Header: Depth=1
                                        ;     Child Loop BB200_26 Depth 2
	v_lshl_add_u64 v[6:7], s[8:9], 2, v[2:3]
	global_load_dword v4, v[6:7], off
	v_add_u32_e32 v6, s8, v0
	v_ashrrev_i32_e32 v7, 31, v6
	v_mov_b32_e32 v8, 0
	s_mov_b32 s16, 0
	s_waitcnt lgkmcnt(0)
	v_lshl_add_u64 v[6:7], v[6:7], 2, s[6:7]
	s_mov_b64 s[10:11], 0
	s_waitcnt vmcnt(0)
	v_add_u32_e32 v9, v1, v4
	s_branch .LBB200_26
.LBB200_25:                             ;   in Loop: Header=BB200_26 Depth=2
	s_or_b64 exec, exec, s[12:13]
	s_add_i32 s17, s16, 1
	s_cmp_gt_u32 s16, 6
	s_cselect_b64 s[2:3], -1, 0
	s_xor_b64 s[12:13], vcc, -1
	s_or_b64 s[2:3], s[12:13], s[2:3]
	s_and_b64 s[2:3], exec, s[2:3]
	v_add_u32_e32 v8, 4, v8
	s_or_b64 s[10:11], s[2:3], s[10:11]
	s_mov_b32 s16, s17
	s_andn2_b64 exec, exec, s[10:11]
	s_cbranch_execz .LBB200_23
.LBB200_26:                             ;   Parent Loop BB200_24 Depth=1
                                        ; =>  This Inner Loop Header: Depth=2
	v_cmp_ne_u32_e32 vcc, s16, v9
	v_cmp_eq_u32_e64 s[2:3], s16, v9
	s_and_saveexec_b64 s[12:13], s[2:3]
	s_cbranch_execz .LBB200_25
; %bb.27:                               ;   in Loop: Header=BB200_26 Depth=2
	scratch_load_dword v11, v8, off
	s_waitcnt vmcnt(0)
	v_add_f32_e32 v5, v5, v11
	global_store_dword v[6:7], v4, off
	s_branch .LBB200_25
.LBB200_28:
	s_waitcnt lgkmcnt(0)
	s_load_dword s6, s[0:1], 0x3c
	s_waitcnt lgkmcnt(0)
	s_bitcmp1_b32 s6, 0
	s_cselect_b64 s[2:3], -1, 0
	s_bitcmp0_b32 s6, 0
	s_cbranch_scc0 .LBB200_32
; %bb.29:
	s_load_dwordx2 s[6:7], s[0:1], 0x40
	s_andn2_b64 vcc, exec, s[2:3]
	s_waitcnt lgkmcnt(0)
	v_cvt_f32_f64_e32 v8, s[6:7]
	s_cbranch_vccz .LBB200_33
.LBB200_30:
	s_andn2_b64 vcc, exec, s[4:5]
	s_cbranch_vccz .LBB200_34
.LBB200_31:
	s_endpgm
.LBB200_32:
	v_mbcnt_lo_u32_b32 v1, -1, 0
	v_mbcnt_hi_u32_b32 v1, -1, v1
	v_and_b32_e32 v4, 0x7c, v1
	v_add_u32_e32 v4, 4, v4
	v_xor_b32_e32 v6, 2, v1
	v_cmp_lt_i32_e32 vcc, v6, v4
	v_xor_b32_e32 v7, 1, v1
	s_nop 0
	v_cndmask_b32_e32 v6, v1, v6, vcc
	v_lshlrev_b32_e32 v6, 2, v6
	ds_bpermute_b32 v6, v6, v5
	v_cmp_lt_i32_e32 vcc, v7, v4
	s_waitcnt lgkmcnt(0)
	v_add_f32_e32 v5, v5, v6
	v_cndmask_b32_e32 v1, v1, v7, vcc
	v_lshlrev_b32_e32 v1, 2, v1
	ds_bpermute_b32 v1, v1, v5
	s_waitcnt lgkmcnt(0)
	v_add_f32_e32 v5, v5, v1
	s_load_dwordx2 s[6:7], s[0:1], 0x40
	s_andn2_b64 vcc, exec, s[2:3]
	s_waitcnt lgkmcnt(0)
	v_cvt_f32_f64_e32 v8, s[6:7]
	s_cbranch_vccnz .LBB200_30
.LBB200_33:
	v_cmp_lt_f32_e32 vcc, 0, v5
	s_nop 1
	v_cndmask_b32_e32 v1, 1.0, v5, vcc
	v_div_scale_f32 v4, s[2:3], v1, v1, v8
	v_rcp_f32_e32 v5, v4
	s_nop 0
	v_fma_f32 v6, -v4, v5, 1.0
	v_fmac_f32_e32 v5, v6, v5
	v_div_scale_f32 v6, vcc, v8, v1, v8
	v_mul_f32_e32 v7, v6, v5
	v_fma_f32 v9, -v4, v7, v6
	v_fmac_f32_e32 v7, v9, v5
	v_fma_f32 v4, -v4, v7, v6
	v_div_fmas_f32 v4, v4, v5, v7
	v_div_fixup_f32 v8, v4, v1, v8
	s_andn2_b64 vcc, exec, s[4:5]
	s_cbranch_vccnz .LBB200_31
.LBB200_34:
	s_load_dwordx2 s[12:13], s[0:1], 0x10
	v_mov_b32_e32 v1, 0
	v_or_b32_e32 v20, 4, v1
	v_or_b32_e32 v18, 8, v1
	;; [unrolled: 1-line block ×3, first 2 shown]
	v_add_u32_e32 v14, 16, v1
	v_add_u32_e32 v12, 20, v1
	;; [unrolled: 1-line block ×4, first 2 shown]
	v_or_b32_e32 v23, 1, v10
	v_or_b32_e32 v22, 2, v10
	;; [unrolled: 1-line block ×7, first 2 shown]
	s_cmp_eq_u32 s33, 1
	s_mov_b32 s14, 0
	s_cbranch_scc1 .LBB200_69
; %bb.35:
	v_ashrrev_i32_e32 v1, 31, v0
	s_waitcnt lgkmcnt(0)
	v_lshl_add_u64 v[4:5], v[0:1], 2, s[12:13]
	s_and_b32 s14, s33, 0x7ffffffe
	v_lshl_add_u64 v[4:5], v[4:5], 0, 4
	v_lshl_add_u64 v[6:7], v[2:3], 0, 4
	s_mov_b32 s15, 0
	s_branch .LBB200_37
.LBB200_36:                             ;   in Loop: Header=BB200_37 Depth=1
	s_or_b64 exec, exec, s[0:1]
	s_add_i32 s15, s15, 2
	v_lshl_add_u64 v[4:5], v[4:5], 0, 8
	s_cmp_eq_u32 s14, s15
	v_lshl_add_u64 v[6:7], v[6:7], 0, 8
	s_cbranch_scc1 .LBB200_69
.LBB200_37:                             ; =>This Inner Loop Header: Depth=1
	global_load_dword v24, v[6:7], off offset:-4
	v_mov_b32_e32 v1, 0
	s_waitcnt vmcnt(0)
	v_cmp_eq_u32_e32 vcc, v24, v10
	v_cmp_ne_u32_e64 s[0:1], v24, v10
	s_and_saveexec_b64 s[16:17], s[0:1]
	s_cbranch_execz .LBB200_51
; %bb.38:                               ;   in Loop: Header=BB200_37 Depth=1
	v_cmp_eq_u32_e64 s[0:1], v24, v23
	v_cmp_ne_u32_e64 s[2:3], v24, v23
	v_mov_b32_e32 v1, v20
	s_and_saveexec_b64 s[18:19], s[2:3]
	s_cbranch_execz .LBB200_50
; %bb.39:                               ;   in Loop: Header=BB200_37 Depth=1
	v_cmp_eq_u32_e64 s[2:3], v24, v22
	v_cmp_ne_u32_e64 s[4:5], v24, v22
	v_mov_b32_e32 v1, v18
	;; [unrolled: 6-line block ×6, first 2 shown]
	s_and_saveexec_b64 s[30:31], s[10:11]
	s_xor_b64 s[30:31], exec, s[30:31]
; %bb.44:                               ;   in Loop: Header=BB200_37 Depth=1
	v_cmp_eq_u32_e64 s[10:11], v24, v13
	s_andn2_b64 s[28:29], s[28:29], exec
	s_and_b64 s[10:11], s[10:11], exec
	s_or_b64 s[28:29], s[28:29], s[10:11]
	v_mov_b32_e32 v1, v11
; %bb.45:                               ;   in Loop: Header=BB200_37 Depth=1
	s_or_b64 exec, exec, s[30:31]
	s_andn2_b64 s[8:9], s[8:9], exec
	s_and_b64 s[10:11], s[28:29], exec
	s_or_b64 s[8:9], s[8:9], s[10:11]
.LBB200_46:                             ;   in Loop: Header=BB200_37 Depth=1
	s_or_b64 exec, exec, s[26:27]
	s_andn2_b64 s[6:7], s[6:7], exec
	s_and_b64 s[8:9], s[8:9], exec
	s_or_b64 s[6:7], s[6:7], s[8:9]
.LBB200_47:                             ;   in Loop: Header=BB200_37 Depth=1
	s_or_b64 exec, exec, s[24:25]
	s_andn2_b64 s[4:5], s[4:5], exec
	s_and_b64 s[6:7], s[6:7], exec
	s_or_b64 s[4:5], s[4:5], s[6:7]
.LBB200_48:                             ;   in Loop: Header=BB200_37 Depth=1
	s_or_b64 exec, exec, s[22:23]
	s_andn2_b64 s[2:3], s[2:3], exec
	s_and_b64 s[4:5], s[4:5], exec
	s_or_b64 s[2:3], s[2:3], s[4:5]
.LBB200_49:                             ;   in Loop: Header=BB200_37 Depth=1
	s_or_b64 exec, exec, s[20:21]
	s_andn2_b64 s[0:1], s[0:1], exec
	s_and_b64 s[2:3], s[2:3], exec
	s_or_b64 s[0:1], s[0:1], s[2:3]
.LBB200_50:                             ;   in Loop: Header=BB200_37 Depth=1
	s_or_b64 exec, exec, s[18:19]
	s_andn2_b64 s[2:3], vcc, exec
	s_and_b64 s[0:1], s[0:1], exec
	s_or_b64 vcc, s[2:3], s[0:1]
.LBB200_51:                             ;   in Loop: Header=BB200_37 Depth=1
	s_or_b64 exec, exec, s[16:17]
	s_and_saveexec_b64 s[0:1], vcc
	s_cbranch_execz .LBB200_53
; %bb.52:                               ;   in Loop: Header=BB200_37 Depth=1
	scratch_load_dword v1, v1, off
	v_add_u32_e32 v24, s15, v0
	v_ashrrev_i32_e32 v25, 31, v24
	v_lshl_add_u64 v[24:25], v[24:25], 2, s[12:13]
	s_waitcnt vmcnt(0)
	v_mul_f32_e32 v1, v8, v1
	global_store_dword v[24:25], v1, off
.LBB200_53:                             ;   in Loop: Header=BB200_37 Depth=1
	s_or_b64 exec, exec, s[0:1]
	global_load_dword v24, v[6:7], off
	v_mov_b32_e32 v1, 0
	s_waitcnt vmcnt(0)
	v_cmp_eq_u32_e64 s[8:9], v24, v10
	v_cmp_ne_u32_e32 vcc, v24, v10
	s_and_saveexec_b64 s[10:11], vcc
	s_cbranch_execz .LBB200_67
; %bb.54:                               ;   in Loop: Header=BB200_37 Depth=1
	v_cmp_eq_u32_e32 vcc, v24, v23
	v_cmp_ne_u32_e64 s[0:1], v24, v23
	v_mov_b32_e32 v1, v20
	s_and_saveexec_b64 s[16:17], s[0:1]
	s_cbranch_execz .LBB200_66
; %bb.55:                               ;   in Loop: Header=BB200_37 Depth=1
	v_cmp_eq_u32_e64 s[0:1], v24, v22
	v_cmp_ne_u32_e64 s[2:3], v24, v22
	v_mov_b32_e32 v1, v18
	s_and_saveexec_b64 s[18:19], s[2:3]
	s_cbranch_execz .LBB200_65
; %bb.56:                               ;   in Loop: Header=BB200_37 Depth=1
	v_cmp_eq_u32_e64 s[2:3], v24, v21
	;; [unrolled: 6-line block ×5, first 2 shown]
	v_cmp_ne_u32_e64 s[6:7], v24, v15
	v_mov_b32_e32 v1, v9
	s_and_saveexec_b64 s[30:31], s[6:7]
; %bb.60:                               ;   in Loop: Header=BB200_37 Depth=1
	v_cmp_eq_u32_e64 s[6:7], v24, v13
	s_andn2_b64 s[28:29], s[28:29], exec
	s_and_b64 s[6:7], s[6:7], exec
	s_or_b64 s[28:29], s[28:29], s[6:7]
	v_mov_b32_e32 v1, v11
; %bb.61:                               ;   in Loop: Header=BB200_37 Depth=1
	s_or_b64 exec, exec, s[30:31]
	s_andn2_b64 s[6:7], s[24:25], exec
	s_and_b64 s[24:25], s[28:29], exec
	s_or_b64 s[24:25], s[6:7], s[24:25]
.LBB200_62:                             ;   in Loop: Header=BB200_37 Depth=1
	s_or_b64 exec, exec, s[26:27]
	s_andn2_b64 s[4:5], s[4:5], exec
	s_and_b64 s[6:7], s[24:25], exec
	s_or_b64 s[4:5], s[4:5], s[6:7]
.LBB200_63:                             ;   in Loop: Header=BB200_37 Depth=1
	s_or_b64 exec, exec, s[22:23]
	s_andn2_b64 s[2:3], s[2:3], exec
	s_and_b64 s[4:5], s[4:5], exec
	s_or_b64 s[2:3], s[2:3], s[4:5]
.LBB200_64:                             ;   in Loop: Header=BB200_37 Depth=1
	s_or_b64 exec, exec, s[20:21]
	s_andn2_b64 s[0:1], s[0:1], exec
	s_and_b64 s[2:3], s[2:3], exec
	s_or_b64 s[0:1], s[0:1], s[2:3]
.LBB200_65:                             ;   in Loop: Header=BB200_37 Depth=1
	s_or_b64 exec, exec, s[18:19]
	s_andn2_b64 s[2:3], vcc, exec
	s_and_b64 s[0:1], s[0:1], exec
	s_or_b64 vcc, s[2:3], s[0:1]
.LBB200_66:                             ;   in Loop: Header=BB200_37 Depth=1
	s_or_b64 exec, exec, s[16:17]
	s_andn2_b64 s[0:1], s[8:9], exec
	s_and_b64 s[2:3], vcc, exec
	s_or_b64 s[8:9], s[0:1], s[2:3]
.LBB200_67:                             ;   in Loop: Header=BB200_37 Depth=1
	s_or_b64 exec, exec, s[10:11]
	s_and_saveexec_b64 s[0:1], s[8:9]
	s_cbranch_execz .LBB200_36
; %bb.68:                               ;   in Loop: Header=BB200_37 Depth=1
	scratch_load_dword v1, v1, off
	s_waitcnt vmcnt(0)
	v_mul_f32_e32 v1, v8, v1
	global_store_dword v[4:5], v1, off
	s_branch .LBB200_36
.LBB200_69:
	s_bitcmp0_b32 s33, 0
	s_mov_b32 s15, 0
	s_cbranch_scc1 .LBB200_31
; %bb.70:
	v_lshl_add_u64 v[2:3], s[14:15], 2, v[2:3]
	global_load_dword v1, v[2:3], off
	v_mov_b32_e32 v2, 0
	s_waitcnt vmcnt(0)
	v_cmp_eq_u32_e64 s[8:9], v1, v10
	v_cmp_ne_u32_e32 vcc, v1, v10
	s_and_saveexec_b64 s[10:11], vcc
	s_cbranch_execz .LBB200_84
; %bb.71:
	v_cmp_eq_u32_e32 vcc, v1, v23
	v_cmp_ne_u32_e64 s[0:1], v1, v23
	s_and_saveexec_b64 s[16:17], s[0:1]
	s_cbranch_execz .LBB200_83
; %bb.72:
	v_cmp_eq_u32_e64 s[0:1], v1, v22
	v_cmp_ne_u32_e64 s[2:3], v1, v22
	s_and_saveexec_b64 s[18:19], s[2:3]
	s_cbranch_execz .LBB200_82
; %bb.73:
	v_cmp_eq_u32_e64 s[2:3], v1, v21
	;; [unrolled: 5-line block ×5, first 2 shown]
	v_cmp_ne_u32_e64 s[6:7], v1, v15
	s_and_saveexec_b64 s[30:31], s[6:7]
; %bb.77:
	v_cmp_eq_u32_e64 s[6:7], v1, v13
	s_andn2_b64 s[28:29], s[28:29], exec
	s_and_b64 s[6:7], s[6:7], exec
	s_or_b64 s[28:29], s[28:29], s[6:7]
	v_mov_b32_e32 v9, v11
; %bb.78:
	s_or_b64 exec, exec, s[30:31]
	s_andn2_b64 s[6:7], s[24:25], exec
	s_and_b64 s[24:25], s[28:29], exec
	s_or_b64 s[24:25], s[6:7], s[24:25]
	v_mov_b32_e32 v12, v9
.LBB200_79:
	s_or_b64 exec, exec, s[26:27]
	s_andn2_b64 s[4:5], s[4:5], exec
	s_and_b64 s[6:7], s[24:25], exec
	s_or_b64 s[4:5], s[4:5], s[6:7]
	v_mov_b32_e32 v14, v12
.LBB200_80:
	s_or_b64 exec, exec, s[22:23]
	s_andn2_b64 s[2:3], s[2:3], exec
	s_and_b64 s[4:5], s[4:5], exec
	s_or_b64 s[2:3], s[2:3], s[4:5]
	v_mov_b32_e32 v16, v14
.LBB200_81:
	s_or_b64 exec, exec, s[20:21]
	s_andn2_b64 s[0:1], s[0:1], exec
	s_and_b64 s[2:3], s[2:3], exec
	s_or_b64 s[0:1], s[0:1], s[2:3]
	v_mov_b32_e32 v18, v16
.LBB200_82:
	s_or_b64 exec, exec, s[18:19]
	s_andn2_b64 s[2:3], vcc, exec
	s_and_b64 s[0:1], s[0:1], exec
	s_or_b64 vcc, s[2:3], s[0:1]
	v_mov_b32_e32 v20, v18
.LBB200_83:
	s_or_b64 exec, exec, s[16:17]
	s_andn2_b64 s[0:1], s[8:9], exec
	s_and_b64 s[2:3], vcc, exec
	s_or_b64 s[8:9], s[0:1], s[2:3]
	v_mov_b32_e32 v2, v20
.LBB200_84:
	s_or_b64 exec, exec, s[10:11]
	s_and_b64 exec, exec, s[8:9]
	s_cbranch_execz .LBB200_31
; %bb.85:
	scratch_load_dword v2, v2, off
	v_add_u32_e32 v0, s14, v0
	v_ashrrev_i32_e32 v1, 31, v0
	s_waitcnt lgkmcnt(0)
	v_lshl_add_u64 v[0:1], v[0:1], 2, s[12:13]
	s_waitcnt vmcnt(0)
	v_mul_f32_e32 v2, v8, v2
	global_store_dword v[0:1], v2, off
	s_endpgm
	.section	.rodata,"a",@progbits
	.p2align	6, 0x0
	.amdhsa_kernel _ZN4vllm3moe22topkGatingSoftplusSqrtILi8ELi32ELi4ELi16ELi64ELb1Ei6__halfEEvPKT6_PKbPfiPT5_PiiiibdPKfPKS9_SF_
		.amdhsa_group_segment_fixed_size 0
		.amdhsa_private_segment_fixed_size 48
		.amdhsa_kernarg_size 96
		.amdhsa_user_sgpr_count 2
		.amdhsa_user_sgpr_dispatch_ptr 0
		.amdhsa_user_sgpr_queue_ptr 0
		.amdhsa_user_sgpr_kernarg_segment_ptr 1
		.amdhsa_user_sgpr_dispatch_id 0
		.amdhsa_user_sgpr_kernarg_preload_length 0
		.amdhsa_user_sgpr_kernarg_preload_offset 0
		.amdhsa_user_sgpr_private_segment_size 0
		.amdhsa_uses_dynamic_stack 0
		.amdhsa_enable_private_segment 1
		.amdhsa_system_sgpr_workgroup_id_x 1
		.amdhsa_system_sgpr_workgroup_id_y 0
		.amdhsa_system_sgpr_workgroup_id_z 0
		.amdhsa_system_sgpr_workgroup_info 0
		.amdhsa_system_vgpr_workitem_id 1
		.amdhsa_next_free_vgpr 29
		.amdhsa_next_free_sgpr 34
		.amdhsa_accum_offset 32
		.amdhsa_reserve_vcc 1
		.amdhsa_float_round_mode_32 0
		.amdhsa_float_round_mode_16_64 0
		.amdhsa_float_denorm_mode_32 3
		.amdhsa_float_denorm_mode_16_64 3
		.amdhsa_dx10_clamp 1
		.amdhsa_ieee_mode 1
		.amdhsa_fp16_overflow 0
		.amdhsa_tg_split 0
		.amdhsa_exception_fp_ieee_invalid_op 0
		.amdhsa_exception_fp_denorm_src 0
		.amdhsa_exception_fp_ieee_div_zero 0
		.amdhsa_exception_fp_ieee_overflow 0
		.amdhsa_exception_fp_ieee_underflow 0
		.amdhsa_exception_fp_ieee_inexact 0
		.amdhsa_exception_int_div_zero 0
	.end_amdhsa_kernel
	.section	.text._ZN4vllm3moe22topkGatingSoftplusSqrtILi8ELi32ELi4ELi16ELi64ELb1Ei6__halfEEvPKT6_PKbPfiPT5_PiiiibdPKfPKS9_SF_,"axG",@progbits,_ZN4vllm3moe22topkGatingSoftplusSqrtILi8ELi32ELi4ELi16ELi64ELb1Ei6__halfEEvPKT6_PKbPfiPT5_PiiiibdPKfPKS9_SF_,comdat
.Lfunc_end200:
	.size	_ZN4vllm3moe22topkGatingSoftplusSqrtILi8ELi32ELi4ELi16ELi64ELb1Ei6__halfEEvPKT6_PKbPfiPT5_PiiiibdPKfPKS9_SF_, .Lfunc_end200-_ZN4vllm3moe22topkGatingSoftplusSqrtILi8ELi32ELi4ELi16ELi64ELb1Ei6__halfEEvPKT6_PKbPfiPT5_PiiiibdPKfPKS9_SF_
                                        ; -- End function
	.section	.AMDGPU.csdata,"",@progbits
; Kernel info:
; codeLenInByte = 4484
; NumSgprs: 40
; NumVgprs: 29
; NumAgprs: 0
; TotalNumVgprs: 29
; ScratchSize: 48
; MemoryBound: 0
; FloatMode: 240
; IeeeMode: 1
; LDSByteSize: 0 bytes/workgroup (compile time only)
; SGPRBlocks: 4
; VGPRBlocks: 3
; NumSGPRsForWavesPerEU: 40
; NumVGPRsForWavesPerEU: 29
; AccumOffset: 32
; Occupancy: 8
; WaveLimiterHint : 1
; COMPUTE_PGM_RSRC2:SCRATCH_EN: 1
; COMPUTE_PGM_RSRC2:USER_SGPR: 2
; COMPUTE_PGM_RSRC2:TRAP_HANDLER: 0
; COMPUTE_PGM_RSRC2:TGID_X_EN: 1
; COMPUTE_PGM_RSRC2:TGID_Y_EN: 0
; COMPUTE_PGM_RSRC2:TGID_Z_EN: 0
; COMPUTE_PGM_RSRC2:TIDIG_COMP_CNT: 1
; COMPUTE_PGM_RSRC3_GFX90A:ACCUM_OFFSET: 7
; COMPUTE_PGM_RSRC3_GFX90A:TG_SPLIT: 0
	.section	.text._ZN4vllm3moe22topkGatingSoftplusSqrtILi8ELi32ELi4ELi16ELi64ELb0Ei6__halfEEvPKT6_PKbPfiPT5_PiiiibdPKfPKS9_SF_,"axG",@progbits,_ZN4vllm3moe22topkGatingSoftplusSqrtILi8ELi32ELi4ELi16ELi64ELb0Ei6__halfEEvPKT6_PKbPfiPT5_PiiiibdPKfPKS9_SF_,comdat
	.protected	_ZN4vllm3moe22topkGatingSoftplusSqrtILi8ELi32ELi4ELi16ELi64ELb0Ei6__halfEEvPKT6_PKbPfiPT5_PiiiibdPKfPKS9_SF_ ; -- Begin function _ZN4vllm3moe22topkGatingSoftplusSqrtILi8ELi32ELi4ELi16ELi64ELb0Ei6__halfEEvPKT6_PKbPfiPT5_PiiiibdPKfPKS9_SF_
	.globl	_ZN4vllm3moe22topkGatingSoftplusSqrtILi8ELi32ELi4ELi16ELi64ELb0Ei6__halfEEvPKT6_PKbPfiPT5_PiiiibdPKfPKS9_SF_
	.p2align	8
	.type	_ZN4vllm3moe22topkGatingSoftplusSqrtILi8ELi32ELi4ELi16ELi64ELb0Ei6__halfEEvPKT6_PKbPfiPT5_PiiiibdPKfPKS9_SF_,@function
_ZN4vllm3moe22topkGatingSoftplusSqrtILi8ELi32ELi4ELi16ELi64ELb0Ei6__halfEEvPKT6_PKbPfiPT5_PiiiibdPKfPKS9_SF_: ; @_ZN4vllm3moe22topkGatingSoftplusSqrtILi8ELi32ELi4ELi16ELi64ELb0Ei6__halfEEvPKT6_PKbPfiPT5_PiiiibdPKfPKS9_SF_
; %bb.0:
	s_load_dword s33, s[0:1], 0x18
	v_bfe_u32 v1, v0, 10, 10
	v_and_b32_e32 v0, 0x3ff, v0
	s_lshl_b32 s2, s2, 6
	v_lshlrev_b32_e32 v1, 4, v1
	v_lshrrev_b32_e32 v2, 2, v0
	v_add3_u32 v8, s2, v1, v2
	s_waitcnt lgkmcnt(0)
	v_cmp_gt_i32_e32 vcc, s33, v8
	s_and_saveexec_b64 s[2:3], vcc
	s_cbranch_execz .LBB201_53
; %bb.1:
	s_load_dwordx4 s[4:7], s[0:1], 0x0
	s_load_dwordx2 s[34:35], s[0:1], 0x10
	s_waitcnt lgkmcnt(0)
	s_cmp_eq_u64 s[6:7], 0
	s_cbranch_scc1 .LBB201_3
; %bb.2:
	v_ashrrev_i32_e32 v9, 31, v8
	v_lshl_add_u64 v[2:3], s[6:7], 0, v[8:9]
	global_load_ubyte v1, v[2:3], off
	s_waitcnt vmcnt(0)
	v_and_b32_e32 v1, 1, v1
	v_cmp_eq_u32_e32 vcc, 1, v1
	s_xor_b64 s[2:3], vcc, -1
	s_orn2_b64 s[36:37], s[2:3], exec
	s_branch .LBB201_4
.LBB201_3:
	s_mov_b64 s[36:37], -1
.LBB201_4:
	v_lshlrev_b32_e32 v4, 5, v8
	v_mov_b32_e32 v2, s4
	v_mov_b32_e32 v3, s5
	v_ashrrev_i32_e32 v5, 31, v4
	v_and_b32_e32 v9, 3, v0
	v_lshl_add_u64 v[2:3], v[4:5], 1, v[2:3]
	v_mov_b32_e32 v1, 0
	v_lshlrev_b32_e32 v0, 4, v9
	v_lshl_add_u64 v[0:1], v[2:3], 0, v[0:1]
	global_load_dwordx4 v[4:7], v[0:1], off
	s_mov_b32 s12, 0x800000
	v_mov_b32_e32 v2, 0x4f800000
	s_mov_b32 s9, 0x3f317217
	s_mov_b32 s10, 0x7f800000
	v_mov_b32_e32 v3, 0x41b17218
	s_movk_i32 s8, 0x4d00
	s_mov_b32 s11, 0xf800000
	s_load_dwordx4 s[20:23], s[0:1], 0x40
	v_lshlrev_b32_e32 v12, 3, v9
	s_waitcnt lgkmcnt(0)
	s_cmp_lg_u64 s[22:23], 0
	s_cselect_b64 s[6:7], -1, 0
	s_and_b64 s[2:3], exec, s[6:7]
	s_waitcnt vmcnt(0)
	v_cvt_f32_f16_e32 v0, v4
	v_mul_f32_e32 v1, 0x3fb8aa3b, v0
	v_exp_f32_e32 v10, v1
	v_mov_b32_e32 v1, 0x260
	v_add_f32_e32 v10, 1.0, v10
	v_cmp_gt_f32_e32 vcc, s12, v10
	s_nop 1
	v_cndmask_b32_e32 v11, 1.0, v2, vcc
	v_mul_f32_e32 v10, v10, v11
	v_log_f32_e32 v11, v10
	v_cndmask_b32_e32 v13, 0, v3, vcc
	v_lshlrev_b32_e32 v10, 2, v12
	v_mul_f32_e32 v14, 0x3f317217, v11
	v_fma_f32 v14, v11, s9, -v14
	v_fmac_f32_e32 v14, 0x3377d1cf, v11
	v_fmac_f32_e32 v14, 0x3f317217, v11
	v_cmp_lt_f32_e64 vcc, |v11|, s10
	s_nop 1
	v_cndmask_b32_e32 v11, v11, v14, vcc
	v_sub_f32_e32 v11, v11, v13
	v_cmp_lt_f16_e32 vcc, s8, v4
	s_nop 1
	v_cndmask_b32_e32 v0, v11, v0, vcc
	v_mul_f32_e32 v11, 0x4f800000, v0
	v_cmp_gt_f32_e32 vcc, s11, v0
	s_nop 1
	v_cndmask_b32_e32 v0, v0, v11, vcc
	v_sqrt_f32_e32 v11, v0
	s_nop 0
	v_add_u32_e32 v13, -1, v11
	v_add_u32_e32 v14, 1, v11
	v_fma_f32 v15, -v13, v11, v0
	v_fma_f32 v16, -v14, v11, v0
	v_cmp_ge_f32_e64 s[4:5], 0, v15
	s_nop 1
	v_cndmask_b32_e64 v11, v11, v13, s[4:5]
	v_cmp_lt_f32_e64 s[4:5], 0, v16
	s_nop 1
	v_cndmask_b32_e64 v11, v11, v14, s[4:5]
	v_mul_f32_e32 v13, 0x37800000, v11
	v_cndmask_b32_e32 v11, v11, v13, vcc
	v_cmp_class_f32_e32 vcc, v0, v1
	s_nop 1
	v_cndmask_b32_e32 v0, v11, v0, vcc
	s_mov_b64 vcc, s[2:3]
	s_cbranch_vccz .LBB201_6
; %bb.5:
	global_load_dword v11, v10, s[22:23]
	s_waitcnt vmcnt(0)
	v_add_f32_e32 v0, v0, v11
.LBB201_6:
	v_cvt_f32_f16_sdwa v11, v4 dst_sel:DWORD dst_unused:UNUSED_PAD src0_sel:WORD_1
	v_mul_f32_e32 v13, 0x3fb8aa3b, v11
	v_exp_f32_e32 v13, v13
	s_nop 0
	v_add_f32_e32 v13, 1.0, v13
	v_cmp_gt_f32_e32 vcc, s12, v13
	s_nop 1
	v_cndmask_b32_e32 v2, 1.0, v2, vcc
	v_mul_f32_e32 v2, v13, v2
	v_log_f32_e32 v2, v2
	v_cndmask_b32_e32 v3, 0, v3, vcc
	v_mul_f32_e32 v13, 0x3f317217, v2
	v_fma_f32 v13, v2, s9, -v13
	v_fmac_f32_e32 v13, 0x3377d1cf, v2
	v_fmac_f32_e32 v13, 0x3f317217, v2
	v_cmp_lt_f32_e64 vcc, |v2|, s10
	s_nop 1
	v_cndmask_b32_e32 v2, v2, v13, vcc
	v_sub_f32_e32 v2, v2, v3
	v_cmp_gt_f16_sdwa vcc, v4, s8 src0_sel:WORD_1 src1_sel:DWORD
	v_cndmask_b32_e64 v4, 0, 1, s[6:7]
	v_cmp_ne_u32_e64 s[2:3], 1, v4
	v_cndmask_b32_e32 v2, v2, v11, vcc
	v_mul_f32_e32 v3, 0x4f800000, v2
	v_cmp_gt_f32_e64 s[4:5], s11, v2
	s_andn2_b64 vcc, exec, s[6:7]
	s_nop 0
	v_cndmask_b32_e64 v2, v2, v3, s[4:5]
	v_sqrt_f32_e32 v3, v2
	s_nop 0
	v_add_u32_e32 v4, -1, v3
	v_add_u32_e32 v11, 1, v3
	v_fma_f32 v13, -v4, v3, v2
	v_fma_f32 v14, -v11, v3, v2
	v_cmp_ge_f32_e64 s[6:7], 0, v13
	s_nop 1
	v_cndmask_b32_e64 v3, v3, v4, s[6:7]
	v_cmp_lt_f32_e64 s[6:7], 0, v14
	s_nop 1
	v_cndmask_b32_e64 v3, v3, v11, s[6:7]
	v_mul_f32_e32 v4, 0x37800000, v3
	v_cndmask_b32_e64 v3, v3, v4, s[4:5]
	v_cmp_class_f32_e64 s[4:5], v2, v1
	s_nop 1
	v_cndmask_b32_e64 v1, v3, v2, s[4:5]
	s_cbranch_vccnz .LBB201_8
; %bb.7:
	global_load_dword v2, v10, s[22:23] offset:4
	s_waitcnt vmcnt(0)
	v_add_f32_e32 v1, v1, v2
.LBB201_8:
	v_cvt_f32_f16_e32 v2, v5
	s_mov_b32 s8, 0x800000
	v_mov_b32_e32 v4, 0x4f800000
	s_mov_b32 s7, 0x3f317217
	v_mul_f32_e32 v3, 0x3fb8aa3b, v2
	v_exp_f32_e32 v3, v3
	s_mov_b32 s9, 0x7f800000
	s_movk_i32 s6, 0x4d00
	s_mov_b32 s10, 0xf800000
	v_add_f32_e32 v3, 1.0, v3
	v_cmp_gt_f32_e32 vcc, s8, v3
	s_nop 1
	v_cndmask_b32_e32 v11, 1.0, v4, vcc
	v_mul_f32_e32 v3, v3, v11
	v_log_f32_e32 v3, v3
	v_mov_b32_e32 v11, 0x41b17218
	v_cndmask_b32_e32 v13, 0, v11, vcc
	v_mul_f32_e32 v14, 0x3f317217, v3
	v_fma_f32 v14, v3, s7, -v14
	v_fmac_f32_e32 v14, 0x3377d1cf, v3
	v_fmac_f32_e32 v14, 0x3f317217, v3
	v_cmp_lt_f32_e64 vcc, |v3|, s9
	s_nop 1
	v_cndmask_b32_e32 v3, v3, v14, vcc
	v_sub_f32_e32 v3, v3, v13
	v_cmp_lt_f16_e32 vcc, s6, v5
	s_nop 1
	v_cndmask_b32_e32 v2, v3, v2, vcc
	v_mul_f32_e32 v3, 0x4f800000, v2
	v_cmp_gt_f32_e32 vcc, s10, v2
	s_nop 1
	v_cndmask_b32_e32 v2, v2, v3, vcc
	v_sqrt_f32_e32 v3, v2
	s_nop 0
	v_add_u32_e32 v13, -1, v3
	v_fma_f32 v14, -v13, v3, v2
	v_cmp_ge_f32_e64 s[4:5], 0, v14
	v_add_u32_e32 v14, 1, v3
	s_nop 0
	v_cndmask_b32_e64 v13, v3, v13, s[4:5]
	v_fma_f32 v3, -v14, v3, v2
	v_cmp_lt_f32_e64 s[4:5], 0, v3
	s_nop 1
	v_cndmask_b32_e64 v3, v13, v14, s[4:5]
	v_mul_f32_e32 v13, 0x37800000, v3
	v_cndmask_b32_e32 v13, v3, v13, vcc
	v_mov_b32_e32 v3, 0x260
	v_cmp_class_f32_e64 s[4:5], v2, v3
	s_and_b64 vcc, exec, s[2:3]
	s_nop 0
	v_cndmask_b32_e64 v2, v13, v2, s[4:5]
	s_cbranch_vccnz .LBB201_10
; %bb.9:
	global_load_dword v13, v10, s[22:23] offset:8
	s_waitcnt vmcnt(0)
	v_add_f32_e32 v2, v2, v13
.LBB201_10:
	v_cvt_f32_f16_sdwa v13, v5 dst_sel:DWORD dst_unused:UNUSED_PAD src0_sel:WORD_1
	v_mul_f32_e32 v14, 0x3fb8aa3b, v13
	v_exp_f32_e32 v14, v14
	s_nop 0
	v_add_f32_e32 v14, 1.0, v14
	v_cmp_gt_f32_e32 vcc, s8, v14
	s_nop 1
	v_cndmask_b32_e32 v4, 1.0, v4, vcc
	v_mul_f32_e32 v4, v14, v4
	v_log_f32_e32 v4, v4
	v_cndmask_b32_e32 v11, 0, v11, vcc
	v_mul_f32_e32 v14, 0x3f317217, v4
	v_fma_f32 v14, v4, s7, -v14
	v_fmac_f32_e32 v14, 0x3377d1cf, v4
	v_fmac_f32_e32 v14, 0x3f317217, v4
	v_cmp_lt_f32_e64 vcc, |v4|, s9
	s_nop 1
	v_cndmask_b32_e32 v4, v4, v14, vcc
	v_sub_f32_e32 v4, v4, v11
	v_cmp_gt_f16_sdwa vcc, v5, s6 src0_sel:WORD_1 src1_sel:DWORD
	s_nop 1
	v_cndmask_b32_e32 v4, v4, v13, vcc
	v_mul_f32_e32 v5, 0x4f800000, v4
	v_cmp_gt_f32_e64 s[4:5], s10, v4
	s_and_b64 vcc, exec, s[2:3]
	s_nop 0
	v_cndmask_b32_e64 v4, v4, v5, s[4:5]
	v_sqrt_f32_e32 v5, v4
	s_nop 0
	v_add_u32_e32 v11, -1, v5
	v_add_u32_e32 v13, 1, v5
	v_fma_f32 v14, -v11, v5, v4
	v_fma_f32 v15, -v13, v5, v4
	v_cmp_ge_f32_e64 s[6:7], 0, v14
	s_nop 1
	v_cndmask_b32_e64 v5, v5, v11, s[6:7]
	v_cmp_lt_f32_e64 s[6:7], 0, v15
	s_nop 1
	v_cndmask_b32_e64 v5, v5, v13, s[6:7]
	v_mul_f32_e32 v11, 0x37800000, v5
	v_cndmask_b32_e64 v5, v5, v11, s[4:5]
	v_cmp_class_f32_e64 s[4:5], v4, v3
	s_nop 1
	v_cndmask_b32_e64 v3, v5, v4, s[4:5]
	s_cbranch_vccnz .LBB201_12
; %bb.11:
	global_load_dword v4, v10, s[22:23] offset:12
	s_waitcnt vmcnt(0)
	v_add_f32_e32 v3, v3, v4
.LBB201_12:
	v_cvt_f32_f16_e32 v4, v6
	v_mov_b32_e32 v11, 0x4f800000
	s_mov_b32 s7, 0x3f317217
	s_movk_i32 s6, 0x4d00
	v_mul_f32_e32 v5, 0x3fb8aa3b, v4
	v_exp_f32_e32 v5, v5
	s_nop 0
	v_add_f32_e32 v5, 1.0, v5
	v_cmp_gt_f32_e32 vcc, s8, v5
	s_nop 1
	v_cndmask_b32_e32 v13, 1.0, v11, vcc
	v_mul_f32_e32 v5, v5, v13
	v_log_f32_e32 v5, v5
	v_mov_b32_e32 v13, 0x41b17218
	v_cndmask_b32_e32 v14, 0, v13, vcc
	v_mul_f32_e32 v15, 0x3f317217, v5
	v_fma_f32 v15, v5, s7, -v15
	v_fmac_f32_e32 v15, 0x3377d1cf, v5
	v_fmac_f32_e32 v15, 0x3f317217, v5
	v_cmp_lt_f32_e64 vcc, |v5|, s9
	s_nop 1
	v_cndmask_b32_e32 v5, v5, v15, vcc
	v_sub_f32_e32 v5, v5, v14
	v_cmp_lt_f16_e32 vcc, s6, v6
	s_nop 1
	v_cndmask_b32_e32 v4, v5, v4, vcc
	v_mul_f32_e32 v5, 0x4f800000, v4
	v_cmp_gt_f32_e32 vcc, s10, v4
	s_nop 1
	v_cndmask_b32_e32 v4, v4, v5, vcc
	v_sqrt_f32_e32 v5, v4
	s_nop 0
	v_add_u32_e32 v14, -1, v5
	v_fma_f32 v15, -v14, v5, v4
	v_cmp_ge_f32_e64 s[4:5], 0, v15
	v_add_u32_e32 v15, 1, v5
	s_nop 0
	v_cndmask_b32_e64 v14, v5, v14, s[4:5]
	v_fma_f32 v5, -v15, v5, v4
	v_cmp_lt_f32_e64 s[4:5], 0, v5
	s_nop 1
	v_cndmask_b32_e64 v5, v14, v15, s[4:5]
	v_mul_f32_e32 v14, 0x37800000, v5
	v_cndmask_b32_e32 v14, v5, v14, vcc
	v_mov_b32_e32 v5, 0x260
	v_cmp_class_f32_e64 s[4:5], v4, v5
	s_and_b64 vcc, exec, s[2:3]
	s_nop 0
	v_cndmask_b32_e64 v4, v14, v4, s[4:5]
	s_cbranch_vccnz .LBB201_14
; %bb.13:
	global_load_dword v14, v10, s[22:23] offset:16
	s_waitcnt vmcnt(0)
	v_add_f32_e32 v4, v4, v14
.LBB201_14:
	v_cvt_f32_f16_sdwa v14, v6 dst_sel:DWORD dst_unused:UNUSED_PAD src0_sel:WORD_1
	v_mul_f32_e32 v15, 0x3fb8aa3b, v14
	v_exp_f32_e32 v15, v15
	s_nop 0
	v_add_f32_e32 v15, 1.0, v15
	v_cmp_gt_f32_e32 vcc, s8, v15
	s_nop 1
	v_cndmask_b32_e32 v11, 1.0, v11, vcc
	v_mul_f32_e32 v11, v15, v11
	v_log_f32_e32 v11, v11
	v_cndmask_b32_e32 v13, 0, v13, vcc
	v_mul_f32_e32 v15, 0x3f317217, v11
	v_fma_f32 v15, v11, s7, -v15
	v_fmac_f32_e32 v15, 0x3377d1cf, v11
	v_fmac_f32_e32 v15, 0x3f317217, v11
	v_cmp_lt_f32_e64 vcc, |v11|, s9
	s_nop 1
	v_cndmask_b32_e32 v11, v11, v15, vcc
	v_sub_f32_e32 v11, v11, v13
	v_cmp_gt_f16_sdwa vcc, v6, s6 src0_sel:WORD_1 src1_sel:DWORD
	s_nop 1
	v_cndmask_b32_e32 v6, v11, v14, vcc
	v_mul_f32_e32 v11, 0x4f800000, v6
	v_cmp_gt_f32_e64 s[4:5], s10, v6
	s_and_b64 vcc, exec, s[2:3]
	s_nop 0
	v_cndmask_b32_e64 v6, v6, v11, s[4:5]
	v_sqrt_f32_e32 v11, v6
	s_nop 0
	v_add_u32_e32 v13, -1, v11
	v_add_u32_e32 v14, 1, v11
	v_fma_f32 v15, -v13, v11, v6
	v_fma_f32 v16, -v14, v11, v6
	v_cmp_ge_f32_e64 s[6:7], 0, v15
	s_nop 1
	v_cndmask_b32_e64 v11, v11, v13, s[6:7]
	v_cmp_lt_f32_e64 s[6:7], 0, v16
	s_nop 1
	v_cndmask_b32_e64 v11, v11, v14, s[6:7]
	v_mul_f32_e32 v13, 0x37800000, v11
	v_cndmask_b32_e64 v11, v11, v13, s[4:5]
	v_cmp_class_f32_e64 s[4:5], v6, v5
	s_nop 1
	v_cndmask_b32_e64 v5, v11, v6, s[4:5]
	s_cbranch_vccnz .LBB201_16
; %bb.15:
	global_load_dword v6, v10, s[22:23] offset:20
	s_waitcnt vmcnt(0)
	v_add_f32_e32 v5, v5, v6
.LBB201_16:
	v_cvt_f32_f16_e32 v6, v7
	v_mov_b32_e32 v13, 0x4f800000
	s_mov_b32 s7, 0x3f317217
	s_movk_i32 s6, 0x4d00
	v_mul_f32_e32 v11, 0x3fb8aa3b, v6
	v_exp_f32_e32 v11, v11
	s_nop 0
	v_add_f32_e32 v11, 1.0, v11
	v_cmp_gt_f32_e32 vcc, s8, v11
	s_nop 1
	v_cndmask_b32_e32 v14, 1.0, v13, vcc
	v_mul_f32_e32 v11, v11, v14
	v_log_f32_e32 v11, v11
	v_mov_b32_e32 v14, 0x41b17218
	v_cndmask_b32_e32 v15, 0, v14, vcc
	v_mul_f32_e32 v16, 0x3f317217, v11
	v_fma_f32 v16, v11, s7, -v16
	v_fmac_f32_e32 v16, 0x3377d1cf, v11
	v_fmac_f32_e32 v16, 0x3f317217, v11
	v_cmp_lt_f32_e64 vcc, |v11|, s9
	s_nop 1
	v_cndmask_b32_e32 v11, v11, v16, vcc
	v_sub_f32_e32 v11, v11, v15
	v_cmp_lt_f16_e32 vcc, s6, v7
	s_nop 1
	v_cndmask_b32_e32 v6, v11, v6, vcc
	v_mul_f32_e32 v11, 0x4f800000, v6
	v_cmp_gt_f32_e32 vcc, s10, v6
	s_nop 1
	v_cndmask_b32_e32 v6, v6, v11, vcc
	v_sqrt_f32_e32 v11, v6
	s_nop 0
	v_add_u32_e32 v15, -1, v11
	v_fma_f32 v16, -v15, v11, v6
	v_cmp_ge_f32_e64 s[4:5], 0, v16
	v_add_u32_e32 v16, 1, v11
	s_nop 0
	v_cndmask_b32_e64 v15, v11, v15, s[4:5]
	v_fma_f32 v11, -v16, v11, v6
	v_cmp_lt_f32_e64 s[4:5], 0, v11
	s_nop 1
	v_cndmask_b32_e64 v11, v15, v16, s[4:5]
	v_mul_f32_e32 v15, 0x37800000, v11
	v_cndmask_b32_e32 v15, v11, v15, vcc
	v_mov_b32_e32 v11, 0x260
	v_cmp_class_f32_e64 s[4:5], v6, v11
	s_and_b64 vcc, exec, s[2:3]
	s_nop 0
	v_cndmask_b32_e64 v6, v15, v6, s[4:5]
	s_cbranch_vccnz .LBB201_18
; %bb.17:
	global_load_dword v15, v10, s[22:23] offset:24
	s_waitcnt vmcnt(0)
	v_add_f32_e32 v6, v6, v15
.LBB201_18:
	v_cvt_f32_f16_sdwa v15, v7 dst_sel:DWORD dst_unused:UNUSED_PAD src0_sel:WORD_1
	v_mul_f32_e32 v16, 0x3fb8aa3b, v15
	v_exp_f32_e32 v16, v16
	s_nop 0
	v_add_f32_e32 v16, 1.0, v16
	v_cmp_gt_f32_e32 vcc, s8, v16
	s_nop 1
	v_cndmask_b32_e32 v13, 1.0, v13, vcc
	v_mul_f32_e32 v13, v16, v13
	v_log_f32_e32 v13, v13
	v_cndmask_b32_e32 v14, 0, v14, vcc
	v_mul_f32_e32 v16, 0x3f317217, v13
	v_fma_f32 v16, v13, s7, -v16
	v_fmac_f32_e32 v16, 0x3377d1cf, v13
	v_fmac_f32_e32 v16, 0x3f317217, v13
	v_cmp_lt_f32_e64 vcc, |v13|, s9
	s_nop 1
	v_cndmask_b32_e32 v13, v13, v16, vcc
	v_sub_f32_e32 v13, v13, v14
	v_cmp_gt_f16_sdwa vcc, v7, s6 src0_sel:WORD_1 src1_sel:DWORD
	s_nop 1
	v_cndmask_b32_e32 v7, v13, v15, vcc
	v_mul_f32_e32 v13, 0x4f800000, v7
	v_cmp_gt_f32_e64 s[4:5], s10, v7
	s_and_b64 vcc, exec, s[2:3]
	s_nop 0
	v_cndmask_b32_e64 v7, v7, v13, s[4:5]
	v_sqrt_f32_e32 v13, v7
	s_nop 0
	v_add_u32_e32 v14, -1, v13
	v_add_u32_e32 v15, 1, v13
	v_fma_f32 v16, -v14, v13, v7
	v_fma_f32 v17, -v15, v13, v7
	v_cmp_ge_f32_e64 s[6:7], 0, v16
	s_nop 1
	v_cndmask_b32_e64 v13, v13, v14, s[6:7]
	v_cmp_lt_f32_e64 s[6:7], 0, v17
	s_nop 1
	v_cndmask_b32_e64 v13, v13, v15, s[6:7]
	v_mul_f32_e32 v14, 0x37800000, v13
	v_cndmask_b32_e64 v13, v13, v14, s[4:5]
	v_cmp_class_f32_e64 s[4:5], v7, v11
	s_nop 1
	v_cndmask_b32_e64 v7, v13, v7, s[4:5]
	s_cbranch_vccnz .LBB201_20
; %bb.19:
	global_load_dword v10, v10, s[22:23] offset:28
	s_waitcnt vmcnt(0)
	v_add_f32_e32 v7, v7, v10
.LBB201_20:
	s_load_dwordx4 s[24:27], s[0:1], 0x30
	s_mov_b32 s42, 0
	v_cmp_eq_u32_e64 s[6:7], 0, v9
	s_waitcnt lgkmcnt(0)
	s_bitcmp1_b32 s27, 0
	s_cselect_b64 s[4:5], -1, 0
	s_cmp_gt_i32 s24, 0
	s_cselect_b64 s[38:39], -1, 0
	s_and_b64 vcc, exec, s[38:39]
	s_cbranch_vccz .LBB201_39
; %bb.21:
	v_mbcnt_lo_u32_b32 v10, -1, 0
	v_mbcnt_hi_u32_b32 v10, -1, v10
	v_and_b32_e32 v11, 0x7c, v10
	v_add_u32_e32 v11, 4, v11
	v_xor_b32_e32 v13, 2, v10
	v_cmp_lt_i32_e32 vcc, v13, v11
	s_load_dwordx4 s[28:31], s[0:1], 0x20
	v_mul_lo_u32 v14, v8, s24
	v_cndmask_b32_e32 v13, v10, v13, vcc
	v_lshlrev_b32_e32 v15, 2, v13
	v_xor_b32_e32 v13, 1, v10
	v_cmp_lt_i32_e32 vcc, v13, v11
	v_mov_b32_e32 v17, 0xc61c4000
	v_mov_b32_e32 v18, v8
	v_cndmask_b32_e32 v10, v10, v13, vcc
	v_lshlrev_b32_e32 v16, 2, v10
	v_mov_b32_e32 v13, 0
	s_branch .LBB201_24
.LBB201_22:                             ;   in Loop: Header=BB201_24 Depth=1
	s_or_b64 exec, exec, s[40:41]
.LBB201_23:                             ;   in Loop: Header=BB201_24 Depth=1
	s_cmp_eq_u32 s24, s42
	v_add_u32_e32 v18, s33, v18
	s_cbranch_scc1 .LBB201_40
.LBB201_24:                             ; =>This Inner Loop Header: Depth=1
	v_cmp_gt_f32_e32 vcc, v1, v0
	s_nop 1
	v_cndmask_b32_e32 v11, v0, v1, vcc
	v_cndmask_b32_e64 v10, 0, 1, vcc
	v_cmp_gt_f32_e32 vcc, v2, v11
	s_nop 1
	v_cndmask_b32_e32 v11, v11, v2, vcc
	v_cndmask_b32_e64 v10, v10, 2, vcc
	;; [unrolled: 4-line block ×6, first 2 shown]
	v_cmp_gt_f32_e32 vcc, v7, v11
	s_nop 1
	v_cndmask_b32_e64 v10, v10, 7, vcc
	v_cndmask_b32_e32 v19, v11, v7, vcc
	ds_bpermute_b32 v11, v15, v19
	v_or_b32_e32 v10, v12, v10
	s_waitcnt lgkmcnt(0)
	ds_bpermute_b32 v20, v15, v10
	s_waitcnt lgkmcnt(0)
	v_cmp_lt_f32_e64 s[8:9], v19, v11
	v_cmp_nlt_f32_e32 vcc, v19, v11
	s_and_saveexec_b64 s[10:11], vcc
; %bb.25:                               ;   in Loop: Header=BB201_24 Depth=1
	v_cmp_eq_f32_e32 vcc, v19, v11
	v_cmp_lt_i32_e64 s[0:1], v20, v10
	s_and_b64 s[0:1], vcc, s[0:1]
	s_andn2_b64 s[8:9], s[8:9], exec
	s_and_b64 s[0:1], s[0:1], exec
	s_or_b64 s[8:9], s[8:9], s[0:1]
; %bb.26:                               ;   in Loop: Header=BB201_24 Depth=1
	s_or_b64 exec, exec, s[10:11]
	s_and_saveexec_b64 s[0:1], s[8:9]
; %bb.27:                               ;   in Loop: Header=BB201_24 Depth=1
	v_mov_b32_e32 v19, v11
	v_mov_b32_e32 v10, v20
; %bb.28:                               ;   in Loop: Header=BB201_24 Depth=1
	s_or_b64 exec, exec, s[0:1]
	ds_bpermute_b32 v11, v16, v19
	ds_bpermute_b32 v20, v16, v10
	s_waitcnt lgkmcnt(1)
	v_cmp_lt_f32_e64 s[8:9], v19, v11
	v_cmp_nlt_f32_e32 vcc, v19, v11
	s_and_saveexec_b64 s[10:11], vcc
	s_cbranch_execnz .LBB201_32
; %bb.29:                               ;   in Loop: Header=BB201_24 Depth=1
	s_or_b64 exec, exec, s[10:11]
	s_and_saveexec_b64 s[0:1], s[8:9]
	s_cbranch_execnz .LBB201_33
.LBB201_30:                             ;   in Loop: Header=BB201_24 Depth=1
	s_or_b64 exec, exec, s[0:1]
	s_and_saveexec_b64 s[8:9], s[6:7]
	s_cbranch_execnz .LBB201_34
.LBB201_31:                             ;   in Loop: Header=BB201_24 Depth=1
	s_or_b64 exec, exec, s[8:9]
	s_add_i32 s42, s42, 1
	s_cmp_ge_i32 s42, s24
	s_cbranch_scc1 .LBB201_23
	s_branch .LBB201_37
.LBB201_32:                             ;   in Loop: Header=BB201_24 Depth=1
	v_cmp_eq_f32_e32 vcc, v19, v11
	s_waitcnt lgkmcnt(0)
	v_cmp_lt_i32_e64 s[0:1], v20, v10
	s_and_b64 s[0:1], vcc, s[0:1]
	s_andn2_b64 s[8:9], s[8:9], exec
	s_and_b64 s[0:1], s[0:1], exec
	s_or_b64 s[8:9], s[8:9], s[0:1]
	s_or_b64 exec, exec, s[10:11]
	s_and_saveexec_b64 s[0:1], s[8:9]
	s_cbranch_execz .LBB201_30
.LBB201_33:                             ;   in Loop: Header=BB201_24 Depth=1
	s_waitcnt lgkmcnt(0)
	v_mov_b32_e32 v10, v20
	v_mov_b32_e32 v19, v11
	s_or_b64 exec, exec, s[0:1]
	s_and_saveexec_b64 s[8:9], s[6:7]
	s_cbranch_execz .LBB201_31
.LBB201_34:                             ;   in Loop: Header=BB201_24 Depth=1
	s_and_b64 vcc, exec, s[2:3]
	s_cbranch_vccnz .LBB201_36
; %bb.35:                               ;   in Loop: Header=BB201_24 Depth=1
	v_ashrrev_i32_e32 v11, 31, v10
	s_waitcnt lgkmcnt(0)
	v_lshl_add_u64 v[20:21], v[10:11], 2, s[22:23]
	global_load_dword v11, v[20:21], off
	s_waitcnt vmcnt(0)
	v_sub_f32_e32 v19, v19, v11
.LBB201_36:                             ;   in Loop: Header=BB201_24 Depth=1
	s_waitcnt lgkmcnt(0)
	v_add_u32_e32 v20, s42, v14
	v_cmp_le_i32_e32 vcc, s25, v10
	v_cmp_gt_i32_e64 s[0:1], s26, v10
	v_ashrrev_i32_e32 v21, 31, v20
	s_and_b64 s[0:1], vcc, s[0:1]
	v_lshlrev_b64 v[20:21], 2, v[20:21]
	v_lshl_add_u64 v[22:23], s[34:35], 0, v[20:21]
	v_subrev_u32_e32 v11, s25, v10
	s_and_b64 vcc, s[36:37], s[0:1]
	global_store_dword v[22:23], v19, off
	v_cndmask_b32_e32 v11, 32, v11, vcc
	v_lshl_add_u64 v[22:23], s[28:29], 0, v[20:21]
	global_store_dword v[22:23], v11, off
	v_add_f32_e32 v11, v13, v19
	v_lshl_add_u64 v[20:21], s[30:31], 0, v[20:21]
	v_cndmask_b32_e64 v13, v13, v11, s[4:5]
	global_store_dword v[20:21], v18, off
	s_or_b64 exec, exec, s[8:9]
	s_add_i32 s42, s42, 1
	s_cmp_ge_i32 s42, s24
	s_cbranch_scc1 .LBB201_23
.LBB201_37:                             ;   in Loop: Header=BB201_24 Depth=1
	v_ashrrev_i32_e32 v19, 31, v10
	v_lshrrev_b32_e32 v11, 29, v19
	v_add_u32_e32 v11, v10, v11
	v_ashrrev_i32_e32 v11, 3, v11
	s_waitcnt lgkmcnt(0)
	v_lshrrev_b32_e32 v20, 30, v11
	v_add_u32_e32 v20, v11, v20
	v_and_b32_e32 v20, -4, v20
	v_sub_u32_e32 v20, v11, v20
	v_cmp_eq_u32_e32 vcc, v9, v20
	s_and_saveexec_b64 s[40:41], vcc
	s_cbranch_execz .LBB201_22
; %bb.38:                               ;   in Loop: Header=BB201_24 Depth=1
	v_lshrrev_b32_e32 v19, 27, v19
	v_add_u32_e32 v19, v10, v19
	v_lshlrev_b32_e32 v11, 3, v11
	v_sub_u32_e32 v10, v10, v11
	v_ashrrev_i32_e32 v11, 5, v19
	v_lshl_add_u32 v10, v11, 3, v10
	v_cmp_ne_u32_e32 vcc, 6, v10
	v_cmp_ne_u32_e64 s[0:1], 5, v10
	v_cmp_ne_u32_e64 s[8:9], 4, v10
	;; [unrolled: 1-line block ×7, first 2 shown]
	v_cndmask_b32_e32 v6, v17, v6, vcc
	v_cndmask_b32_e64 v5, v17, v5, s[0:1]
	v_cndmask_b32_e64 v7, v17, v7, s[18:19]
	v_cndmask_b32_e64 v4, v17, v4, s[8:9]
	v_cndmask_b32_e64 v3, v17, v3, s[10:11]
	v_cndmask_b32_e64 v2, v17, v2, s[12:13]
	v_cndmask_b32_e64 v1, v17, v1, s[14:15]
	v_cndmask_b32_e64 v0, v17, v0, s[16:17]
	s_branch .LBB201_22
.LBB201_39:
	v_mov_b32_e32 v13, 0
.LBB201_40:
	v_cmp_eq_u32_e32 vcc, 0, v9
	s_and_b64 exec, exec, vcc
	s_cbranch_execz .LBB201_53
; %bb.41:
	s_andn2_b64 vcc, exec, s[4:5]
	v_cvt_f32_f64_e32 v0, s[20:21]
	s_cbranch_vccnz .LBB201_43
; %bb.42:
	v_cmp_lt_f32_e32 vcc, 0, v13
	s_nop 1
	v_cndmask_b32_e32 v1, 1.0, v13, vcc
	v_div_scale_f32 v2, s[0:1], v1, v1, v0
	v_rcp_f32_e32 v3, v2
	s_nop 0
	v_fma_f32 v4, -v2, v3, 1.0
	v_fmac_f32_e32 v3, v4, v3
	v_div_scale_f32 v4, vcc, v0, v1, v0
	v_mul_f32_e32 v5, v4, v3
	v_fma_f32 v6, -v2, v5, v4
	v_fmac_f32_e32 v5, v6, v3
	v_fma_f32 v2, -v2, v5, v4
	v_div_fmas_f32 v2, v2, v3, v5
	v_div_fixup_f32 v0, v2, v1, v0
.LBB201_43:
	s_andn2_b64 vcc, exec, s[38:39]
	s_cbranch_vccnz .LBB201_53
; %bb.44:
	v_mul_lo_u32 v2, v8, s24
	s_cmp_gt_u32 s24, 3
	v_ashrrev_i32_e32 v3, 31, v2
	s_cbranch_scc0 .LBB201_48
; %bb.45:
	s_and_b32 s0, s24, 0x7ffffffc
	v_lshl_add_u64 v[4:5], v[2:3], 2, s[34:35]
	v_mov_b32_e32 v1, v0
	v_lshl_add_u64 v[4:5], v[4:5], 0, 8
	s_mov_b32 s1, s0
.LBB201_46:                             ; =>This Inner Loop Header: Depth=1
	global_load_dwordx4 v[6:9], v[4:5], off offset:-8
	s_add_i32 s1, s1, -4
	s_cmp_lg_u32 s1, 0
	s_waitcnt vmcnt(0)
	v_pk_mul_f32 v[6:7], v[0:1], v[6:7]
	v_pk_mul_f32 v[8:9], v[0:1], v[8:9]
	global_store_dwordx4 v[4:5], v[6:9], off offset:-8
	v_lshl_add_u64 v[4:5], v[4:5], 0, 16
	s_cbranch_scc1 .LBB201_46
; %bb.47:
	s_cmp_lg_u32 s0, s24
	s_cselect_b64 s[2:3], -1, 0
	s_branch .LBB201_50
.LBB201_48:
	s_mov_b64 s[2:3], 0
                                        ; implicit-def: $sgpr0
	s_cbranch_execz .LBB201_50
; %bb.49:
	s_mov_b64 s[2:3], -1
	s_mov_b32 s0, 0
.LBB201_50:
	s_andn2_b64 vcc, exec, s[2:3]
	s_cbranch_vccnz .LBB201_53
; %bb.51:
	s_mov_b32 s1, 0
	v_lshl_add_u64 v[2:3], v[2:3], 0, s[0:1]
	s_sub_i32 s2, s24, s0
	v_lshl_add_u64 v[2:3], v[2:3], 2, s[34:35]
.LBB201_52:                             ; =>This Inner Loop Header: Depth=1
	global_load_dword v1, v[2:3], off
	s_add_i32 s2, s2, -1
	s_cmp_lg_u32 s2, 0
	s_waitcnt vmcnt(0)
	v_mul_f32_e32 v1, v0, v1
	global_store_dword v[2:3], v1, off
	v_lshl_add_u64 v[2:3], v[2:3], 0, 4
	s_cbranch_scc1 .LBB201_52
.LBB201_53:
	s_endpgm
	.section	.rodata,"a",@progbits
	.p2align	6, 0x0
	.amdhsa_kernel _ZN4vllm3moe22topkGatingSoftplusSqrtILi8ELi32ELi4ELi16ELi64ELb0Ei6__halfEEvPKT6_PKbPfiPT5_PiiiibdPKfPKS9_SF_
		.amdhsa_group_segment_fixed_size 0
		.amdhsa_private_segment_fixed_size 0
		.amdhsa_kernarg_size 96
		.amdhsa_user_sgpr_count 2
		.amdhsa_user_sgpr_dispatch_ptr 0
		.amdhsa_user_sgpr_queue_ptr 0
		.amdhsa_user_sgpr_kernarg_segment_ptr 1
		.amdhsa_user_sgpr_dispatch_id 0
		.amdhsa_user_sgpr_kernarg_preload_length 0
		.amdhsa_user_sgpr_kernarg_preload_offset 0
		.amdhsa_user_sgpr_private_segment_size 0
		.amdhsa_uses_dynamic_stack 0
		.amdhsa_enable_private_segment 0
		.amdhsa_system_sgpr_workgroup_id_x 1
		.amdhsa_system_sgpr_workgroup_id_y 0
		.amdhsa_system_sgpr_workgroup_id_z 0
		.amdhsa_system_sgpr_workgroup_info 0
		.amdhsa_system_vgpr_workitem_id 1
		.amdhsa_next_free_vgpr 24
		.amdhsa_next_free_sgpr 43
		.amdhsa_accum_offset 24
		.amdhsa_reserve_vcc 1
		.amdhsa_float_round_mode_32 0
		.amdhsa_float_round_mode_16_64 0
		.amdhsa_float_denorm_mode_32 3
		.amdhsa_float_denorm_mode_16_64 3
		.amdhsa_dx10_clamp 1
		.amdhsa_ieee_mode 1
		.amdhsa_fp16_overflow 0
		.amdhsa_tg_split 0
		.amdhsa_exception_fp_ieee_invalid_op 0
		.amdhsa_exception_fp_denorm_src 0
		.amdhsa_exception_fp_ieee_div_zero 0
		.amdhsa_exception_fp_ieee_overflow 0
		.amdhsa_exception_fp_ieee_underflow 0
		.amdhsa_exception_fp_ieee_inexact 0
		.amdhsa_exception_int_div_zero 0
	.end_amdhsa_kernel
	.section	.text._ZN4vllm3moe22topkGatingSoftplusSqrtILi8ELi32ELi4ELi16ELi64ELb0Ei6__halfEEvPKT6_PKbPfiPT5_PiiiibdPKfPKS9_SF_,"axG",@progbits,_ZN4vllm3moe22topkGatingSoftplusSqrtILi8ELi32ELi4ELi16ELi64ELb0Ei6__halfEEvPKT6_PKbPfiPT5_PiiiibdPKfPKS9_SF_,comdat
.Lfunc_end201:
	.size	_ZN4vllm3moe22topkGatingSoftplusSqrtILi8ELi32ELi4ELi16ELi64ELb0Ei6__halfEEvPKT6_PKbPfiPT5_PiiiibdPKfPKS9_SF_, .Lfunc_end201-_ZN4vllm3moe22topkGatingSoftplusSqrtILi8ELi32ELi4ELi16ELi64ELb0Ei6__halfEEvPKT6_PKbPfiPT5_PiiiibdPKfPKS9_SF_
                                        ; -- End function
	.section	.AMDGPU.csdata,"",@progbits
; Kernel info:
; codeLenInByte = 3820
; NumSgprs: 49
; NumVgprs: 24
; NumAgprs: 0
; TotalNumVgprs: 24
; ScratchSize: 0
; MemoryBound: 0
; FloatMode: 240
; IeeeMode: 1
; LDSByteSize: 0 bytes/workgroup (compile time only)
; SGPRBlocks: 6
; VGPRBlocks: 2
; NumSGPRsForWavesPerEU: 49
; NumVGPRsForWavesPerEU: 24
; AccumOffset: 24
; Occupancy: 8
; WaveLimiterHint : 0
; COMPUTE_PGM_RSRC2:SCRATCH_EN: 0
; COMPUTE_PGM_RSRC2:USER_SGPR: 2
; COMPUTE_PGM_RSRC2:TRAP_HANDLER: 0
; COMPUTE_PGM_RSRC2:TGID_X_EN: 1
; COMPUTE_PGM_RSRC2:TGID_Y_EN: 0
; COMPUTE_PGM_RSRC2:TGID_Z_EN: 0
; COMPUTE_PGM_RSRC2:TIDIG_COMP_CNT: 1
; COMPUTE_PGM_RSRC3_GFX90A:ACCUM_OFFSET: 5
; COMPUTE_PGM_RSRC3_GFX90A:TG_SPLIT: 0
	.section	.text._ZN4vllm3moe22topkGatingSoftplusSqrtILi8ELi32ELi4ELi16ELi32ELb1Ei6__halfEEvPKT6_PKbPfiPT5_PiiiibdPKfPKS9_SF_,"axG",@progbits,_ZN4vllm3moe22topkGatingSoftplusSqrtILi8ELi32ELi4ELi16ELi32ELb1Ei6__halfEEvPKT6_PKbPfiPT5_PiiiibdPKfPKS9_SF_,comdat
	.protected	_ZN4vllm3moe22topkGatingSoftplusSqrtILi8ELi32ELi4ELi16ELi32ELb1Ei6__halfEEvPKT6_PKbPfiPT5_PiiiibdPKfPKS9_SF_ ; -- Begin function _ZN4vllm3moe22topkGatingSoftplusSqrtILi8ELi32ELi4ELi16ELi32ELb1Ei6__halfEEvPKT6_PKbPfiPT5_PiiiibdPKfPKS9_SF_
	.globl	_ZN4vllm3moe22topkGatingSoftplusSqrtILi8ELi32ELi4ELi16ELi32ELb1Ei6__halfEEvPKT6_PKbPfiPT5_PiiiibdPKfPKS9_SF_
	.p2align	8
	.type	_ZN4vllm3moe22topkGatingSoftplusSqrtILi8ELi32ELi4ELi16ELi32ELb1Ei6__halfEEvPKT6_PKbPfiPT5_PiiiibdPKfPKS9_SF_,@function
_ZN4vllm3moe22topkGatingSoftplusSqrtILi8ELi32ELi4ELi16ELi32ELb1Ei6__halfEEvPKT6_PKbPfiPT5_PiiiibdPKfPKS9_SF_: ; @_ZN4vllm3moe22topkGatingSoftplusSqrtILi8ELi32ELi4ELi16ELi32ELb1Ei6__halfEEvPKT6_PKbPfiPT5_PiiiibdPKfPKS9_SF_
; %bb.0:
	s_load_dword s3, s[0:1], 0x18
	v_bfe_u32 v1, v0, 10, 10
	v_and_b32_e32 v11, 0x3ff, v0
	s_lshl_b32 s2, s2, 5
	v_lshlrev_b32_e32 v1, 3, v1
	v_lshrrev_b32_e32 v0, 2, v11
	v_add3_u32 v6, s2, v1, v0
	s_waitcnt lgkmcnt(0)
	v_cmp_gt_i32_e32 vcc, s3, v6
	s_and_saveexec_b64 s[2:3], vcc
	s_cbranch_execz .LBB202_31
; %bb.1:
	s_load_dwordx2 s[2:3], s[0:1], 0x0
	s_load_dword s33, s[0:1], 0x30
	v_lshlrev_b32_e32 v0, 5, v6
	v_lshlrev_b32_e32 v2, 3, v11
	v_ashrrev_i32_e32 v1, 31, v0
	v_and_b32_e32 v10, 24, v2
	s_waitcnt lgkmcnt(0)
	v_lshl_add_u64 v[0:1], v[0:1], 1, s[2:3]
	v_lshlrev_b32_e32 v4, 1, v10
	v_mov_b32_e32 v5, 0
	v_lshl_add_u64 v[0:1], v[0:1], 0, v[4:5]
	global_load_dwordx4 v[0:3], v[0:1], off
	s_load_dwordx4 s[8:11], s[0:1], 0x50
	v_ashrrev_i32_e32 v7, 31, v6
	s_mov_b32 s15, 0x800000
	s_mov_b32 s13, 0x3f317217
	;; [unrolled: 1-line block ×3, first 2 shown]
	s_waitcnt lgkmcnt(0)
	v_mov_b32_e32 v8, s8
	v_mov_b32_e32 v9, s9
	v_lshl_add_u64 v[8:9], v[6:7], 2, v[8:9]
	global_load_dword v4, v[8:9], off
	v_mov_b32_e32 v7, 0x4f800000
	v_mov_b32_e32 v16, 0x41b17218
	s_movk_i32 s9, 0x4d00
	s_mov_b32 s12, 0xf800000
	v_mov_b32_e32 v17, 0x260
	s_cmp_gt_i32 s33, 0
	s_mov_b32 s8, 0
	s_waitcnt vmcnt(1)
	v_cvt_f32_f16_e32 v18, v0
	v_cvt_f32_f16_sdwa v19, v0 dst_sel:DWORD dst_unused:UNUSED_PAD src0_sel:WORD_1
	v_cvt_f32_f16_e32 v20, v1
	v_cvt_f32_f16_sdwa v21, v1 dst_sel:DWORD dst_unused:UNUSED_PAD src0_sel:WORD_1
	v_mul_f32_e32 v8, 0x3fb8aa3b, v18
	v_mul_f32_e32 v9, 0x3fb8aa3b, v19
	v_exp_f32_e32 v12, v8
	v_exp_f32_e32 v13, v9
	v_mul_f32_e32 v14, 0x3fb8aa3b, v20
	v_mul_f32_e32 v15, 0x3fb8aa3b, v21
	v_exp_f32_e32 v14, v14
	v_exp_f32_e32 v15, v15
	v_pk_add_f32 v[12:13], v[12:13], 1.0 op_sel_hi:[1,0]
	s_waitcnt vmcnt(0)
	v_mul_lo_u32 v8, v4, s33
	v_cmp_gt_f32_e32 vcc, s15, v13
	v_pk_add_f32 v[14:15], v[14:15], 1.0 op_sel_hi:[1,0]
	v_cmp_gt_f32_e64 s[2:3], s15, v12
	v_cndmask_b32_e32 v4, 1.0, v7, vcc
	v_cmp_gt_f32_e64 s[4:5], s15, v15
	v_cndmask_b32_e64 v22, 1.0, v7, s[2:3]
	v_mul_f32_e32 v4, v13, v4
	v_cndmask_b32_e64 v23, 1.0, v7, s[4:5]
	v_mul_f32_e32 v12, v12, v22
	v_log_f32_e32 v4, v4
	v_mul_f32_e32 v15, v15, v23
	v_log_f32_e32 v12, v12
	v_cmp_gt_f32_e64 s[6:7], s15, v14
	v_log_f32_e32 v15, v15
	v_cndmask_b32_e32 v13, 0, v16, vcc
	v_cndmask_b32_e64 v24, 1.0, v7, s[6:7]
	v_mul_f32_e32 v14, v14, v24
	v_mul_f32_e32 v24, 0x3f317217, v4
	;; [unrolled: 1-line block ×3, first 2 shown]
	v_fma_f32 v24, v4, s13, -v24
	v_mul_f32_e32 v26, 0x3f317217, v15
	v_fma_f32 v25, v12, s13, -v25
	v_fmac_f32_e32 v24, 0x3377d1cf, v4
	v_fma_f32 v26, v15, s13, -v26
	v_fmac_f32_e32 v25, 0x3377d1cf, v12
	v_fmac_f32_e32 v24, 0x3f317217, v4
	v_cmp_lt_f32_e64 vcc, |v4|, s14
	v_fmac_f32_e32 v26, 0x3377d1cf, v15
	v_fmac_f32_e32 v25, 0x3f317217, v12
	v_cndmask_b32_e32 v4, v4, v24, vcc
	v_cmp_lt_f32_e64 vcc, |v12|, s14
	v_cndmask_b32_e64 v22, 0, v16, s[2:3]
	v_fmac_f32_e32 v26, 0x3f317217, v15
	v_cndmask_b32_e32 v12, v12, v25, vcc
	v_cmp_lt_f32_e64 vcc, |v15|, s14
	v_sub_f32_e32 v12, v12, v22
	v_sub_f32_e32 v4, v4, v13
	v_cndmask_b32_e32 v15, v15, v26, vcc
	v_cmp_lt_f16_e32 vcc, s9, v0
	v_cndmask_b32_e64 v23, 0, v16, s[4:5]
	v_log_f32_e32 v14, v14
	v_cndmask_b32_e32 v12, v12, v18, vcc
	v_cmp_gt_f16_sdwa vcc, v0, s9 src0_sel:WORD_1 src1_sel:DWORD
	v_mul_f32_e32 v13, 0x4f800000, v12
	v_cmp_gt_f32_e64 s[2:3], s12, v12
	v_cndmask_b32_e32 v0, v4, v19, vcc
	v_mul_f32_e32 v4, 0x4f800000, v0
	v_cmp_gt_f32_e32 vcc, s12, v0
	v_cndmask_b32_e64 v12, v12, v13, s[2:3]
	v_sqrt_f32_e32 v13, v12
	v_cndmask_b32_e32 v0, v0, v4, vcc
	v_sqrt_f32_e32 v4, v0
	v_sub_f32_e32 v15, v15, v23
	v_add_u32_e32 v22, -1, v13
	v_fma_f32 v26, -v22, v13, v12
	v_add_u32_e32 v18, -1, v4
	v_fma_f32 v24, -v18, v4, v0
	v_add_u32_e32 v19, 1, v4
	v_cmp_ge_f32_e64 s[4:5], 0, v24
	v_add_u32_e32 v23, 1, v13
	v_fma_f32 v25, -v19, v4, v0
	v_cndmask_b32_e64 v4, v4, v18, s[4:5]
	v_cmp_ge_f32_e64 s[4:5], 0, v26
	v_fma_f32 v28, -v23, v13, v12
	v_mul_f32_e32 v27, 0x3f317217, v14
	v_cndmask_b32_e64 v13, v13, v22, s[4:5]
	v_cmp_lt_f32_e64 s[4:5], 0, v25
	v_fma_f32 v27, v14, s13, -v27
	v_fmac_f32_e32 v27, 0x3377d1cf, v14
	v_cndmask_b32_e64 v4, v4, v19, s[4:5]
	v_cmp_lt_f32_e64 s[4:5], 0, v28
	v_mul_f32_e32 v18, 0x37800000, v4
	v_cndmask_b32_e32 v4, v4, v18, vcc
	v_cndmask_b32_e64 v13, v13, v23, s[4:5]
	v_mul_f32_e32 v19, 0x37800000, v13
	v_cmp_class_f32_e32 vcc, v0, v17
	v_cndmask_b32_e64 v18, v13, v19, s[2:3]
	v_fmac_f32_e32 v27, 0x3f317217, v14
	v_cndmask_b32_e32 v13, v4, v0, vcc
	v_cmp_class_f32_e32 vcc, v12, v17
	v_cndmask_b32_e64 v4, 0, v16, s[6:7]
	v_cmp_lt_f16_e64 s[2:3], s9, v1
	v_cndmask_b32_e32 v12, v18, v12, vcc
	v_cmp_lt_f32_e64 vcc, |v14|, s14
	v_cvt_f32_f16_e32 v19, v2
	v_ashrrev_i32_e32 v9, 31, v8
	v_cndmask_b32_e32 v0, v14, v27, vcc
	v_cmp_gt_f16_sdwa vcc, v1, s9 src0_sel:WORD_1 src1_sel:DWORD
	v_sub_f32_e32 v0, v0, v4
	v_cndmask_b32_e64 v0, v0, v20, s[2:3]
	v_cndmask_b32_e32 v14, v15, v21, vcc
	v_mul_f32_e32 v15, 0x4f800000, v14
	v_cmp_gt_f32_e32 vcc, s12, v14
	v_cvt_f32_f16_sdwa v20, v2 dst_sel:DWORD dst_unused:UNUSED_PAD src0_sel:WORD_1
	s_nop 0
	v_cndmask_b32_e32 v14, v14, v15, vcc
	v_sqrt_f32_e32 v15, v14
	s_nop 0
	v_add_u32_e32 v1, -1, v15
	v_fma_f32 v4, -v1, v15, v14
	v_cmp_ge_f32_e64 s[2:3], 0, v4
	v_add_u32_e32 v4, 1, v15
	s_nop 0
	v_cndmask_b32_e64 v1, v15, v1, s[2:3]
	v_fma_f32 v15, -v4, v15, v14
	v_cmp_lt_f32_e64 s[2:3], 0, v15
	v_mul_f32_e32 v15, 0x4f800000, v0
	s_nop 0
	v_cndmask_b32_e64 v1, v1, v4, s[2:3]
	v_cmp_gt_f32_e64 s[2:3], s12, v0
	v_mul_f32_e32 v4, 0x37800000, v1
	v_cndmask_b32_e32 v1, v1, v4, vcc
	v_cndmask_b32_e64 v18, v0, v15, s[2:3]
	v_sqrt_f32_e32 v0, v18
	v_cmp_class_f32_e32 vcc, v14, v17
	s_nop 1
	v_cndmask_b32_e32 v15, v1, v14, vcc
	v_add_u32_e32 v1, -1, v0
	v_fma_f32 v4, -v1, v0, v18
	v_cmp_ge_f32_e32 vcc, 0, v4
	v_add_u32_e32 v14, 1, v0
	v_fma_f32 v21, -v14, v0, v18
	v_cndmask_b32_e32 v4, v0, v1, vcc
	v_mul_f32_e32 v0, 0x3fb8aa3b, v19
	v_mul_f32_e32 v1, 0x3fb8aa3b, v20
	v_exp_f32_e32 v0, v0
	v_exp_f32_e32 v1, v1
	v_cmp_lt_f32_e32 vcc, 0, v21
	v_pk_add_f32 v[0:1], v[0:1], 1.0 op_sel_hi:[1,0]
	s_nop 0
	v_cndmask_b32_e32 v4, v4, v14, vcc
	v_mul_f32_e32 v14, 0x37800000, v4
	v_cmp_gt_f32_e32 vcc, s15, v1
	v_cndmask_b32_e64 v4, v4, v14, s[2:3]
	v_cmp_class_f32_e64 s[2:3], v18, v17
	v_cndmask_b32_e32 v14, 1.0, v7, vcc
	v_mul_f32_e32 v1, v1, v14
	v_log_f32_e32 v1, v1
	v_cndmask_b32_e64 v14, v4, v18, s[2:3]
	v_cmp_gt_f32_e64 s[2:3], s15, v0
	scratch_store_dwordx4 off, v[12:15], off
	v_mul_f32_e32 v4, 0x3f317217, v1
	v_fma_f32 v4, v1, s13, -v4
	v_cndmask_b32_e64 v12, 1.0, v7, s[2:3]
	v_mul_f32_e32 v0, v0, v12
	v_log_f32_e32 v0, v0
	v_fmac_f32_e32 v4, 0x3377d1cf, v1
	v_fmac_f32_e32 v4, 0x3f317217, v1
	v_cmp_lt_f32_e64 s[4:5], |v1|, s14
	v_cvt_f32_f16_sdwa v15, v3 dst_sel:DWORD dst_unused:UNUSED_PAD src0_sel:WORD_1
	v_mul_f32_e32 v13, 0x3fb8aa3b, v15
	v_cndmask_b32_e64 v1, v1, v4, s[4:5]
	v_cndmask_b32_e32 v4, 0, v16, vcc
	v_sub_f32_e32 v1, v1, v4
	v_mul_f32_e32 v4, 0x3f317217, v0
	v_fma_f32 v4, v0, s13, -v4
	v_fmac_f32_e32 v4, 0x3377d1cf, v0
	v_fmac_f32_e32 v4, 0x3f317217, v0
	v_cmp_lt_f32_e64 vcc, |v0|, s14
	v_exp_f32_e32 v13, v13
	s_nop 0
	v_cndmask_b32_e32 v0, v0, v4, vcc
	v_cmp_gt_f16_sdwa vcc, v2, s9 src0_sel:WORD_1 src1_sel:DWORD
	v_cndmask_b32_e64 v4, 0, v16, s[2:3]
	v_cmp_lt_f16_e64 s[2:3], s9, v2
	v_cndmask_b32_e32 v1, v1, v20, vcc
	v_mul_f32_e32 v12, 0x4f800000, v1
	v_cmp_gt_f32_e32 vcc, s12, v1
	v_sub_f32_e32 v0, v0, v4
	v_cndmask_b32_e64 v0, v0, v19, s[2:3]
	v_cndmask_b32_e32 v1, v1, v12, vcc
	v_sqrt_f32_e32 v12, v1
	s_nop 0
	v_add_u32_e32 v2, -1, v12
	v_fma_f32 v4, -v2, v12, v1
	v_cmp_ge_f32_e64 s[2:3], 0, v4
	v_add_u32_e32 v4, 1, v12
	s_nop 0
	v_cndmask_b32_e64 v2, v12, v2, s[2:3]
	v_fma_f32 v12, -v4, v12, v1
	v_cmp_lt_f32_e64 s[2:3], 0, v12
	v_mul_f32_e32 v12, 0x4f800000, v0
	s_nop 0
	v_cndmask_b32_e64 v2, v2, v4, s[2:3]
	v_cmp_gt_f32_e64 s[2:3], s12, v0
	v_mul_f32_e32 v4, 0x37800000, v2
	v_cndmask_b32_e32 v2, v2, v4, vcc
	v_cndmask_b32_e64 v0, v0, v12, s[2:3]
	v_sqrt_f32_e32 v12, v0
	v_cmp_class_f32_e32 vcc, v1, v17
	v_add_u32_e32 v14, 1, v12
	s_nop 0
	v_cndmask_b32_e32 v1, v2, v1, vcc
	v_add_u32_e32 v2, -1, v12
	v_fma_f32 v4, -v2, v12, v0
	v_cmp_ge_f32_e32 vcc, 0, v4
	v_cvt_f32_f16_e32 v4, v3
	v_fma_f32 v18, -v14, v12, v0
	v_cndmask_b32_e32 v2, v12, v2, vcc
	v_cmp_lt_f32_e32 vcc, 0, v18
	v_mul_f32_e32 v12, 0x3fb8aa3b, v4
	v_exp_f32_e32 v12, v12
	v_cndmask_b32_e32 v2, v2, v14, vcc
	v_mul_f32_e32 v14, 0x37800000, v2
	v_cndmask_b32_e64 v2, v2, v14, s[2:3]
	v_pk_add_f32 v[12:13], v[12:13], 1.0 op_sel_hi:[1,0]
	v_cmp_class_f32_e64 s[2:3], v0, v17
	v_cmp_gt_f32_e32 vcc, s15, v13
	s_nop 0
	v_cndmask_b32_e64 v0, v2, v0, s[2:3]
	v_cndmask_b32_e32 v18, 1.0, v7, vcc
	v_mul_f32_e32 v13, v13, v18
	v_log_f32_e32 v13, v13
	v_cmp_gt_f32_e64 s[2:3], s15, v12
	v_mul_f32_e32 v2, 0x3f317217, v13
	s_nop 0
	v_cndmask_b32_e64 v7, 1.0, v7, s[2:3]
	v_mul_f32_e32 v7, v12, v7
	v_fma_f32 v2, v13, s13, -v2
	v_log_f32_e32 v7, v7
	v_fmac_f32_e32 v2, 0x3377d1cf, v13
	v_fmac_f32_e32 v2, 0x3f317217, v13
	v_cmp_lt_f32_e64 s[4:5], |v13|, s14
	v_cndmask_b32_e32 v12, 0, v16, vcc
	v_cmp_lt_f32_e64 vcc, |v7|, s14
	v_cndmask_b32_e64 v2, v13, v2, s[4:5]
	v_sub_f32_e32 v2, v2, v12
	v_mul_f32_e32 v12, 0x3f317217, v7
	v_fma_f32 v12, v7, s13, -v12
	v_fmac_f32_e32 v12, 0x3377d1cf, v7
	v_fmac_f32_e32 v12, 0x3f317217, v7
	v_cndmask_b32_e32 v7, v7, v12, vcc
	v_cmp_gt_f16_sdwa vcc, v3, s9 src0_sel:WORD_1 src1_sel:DWORD
	v_cndmask_b32_e64 v12, 0, v16, s[2:3]
	v_sub_f32_e32 v7, v7, v12
	v_cndmask_b32_e32 v2, v2, v15, vcc
	v_mul_f32_e32 v13, 0x4f800000, v2
	v_cmp_gt_f32_e32 vcc, s12, v2
	v_cmp_lt_f16_e64 s[2:3], s9, v3
	s_cselect_b64 s[4:5], -1, 0
	v_cndmask_b32_e32 v2, v2, v13, vcc
	v_sqrt_f32_e32 v13, v2
	v_cndmask_b32_e64 v3, v7, v4, s[2:3]
	s_cmp_lt_i32 s33, 1
	v_add_u32_e32 v4, -1, v13
	v_fma_f32 v7, -v4, v13, v2
	v_cmp_ge_f32_e64 s[2:3], 0, v7
	v_add_u32_e32 v7, 1, v13
	v_fma_f32 v12, -v7, v13, v2
	v_cndmask_b32_e64 v4, v13, v4, s[2:3]
	v_cmp_lt_f32_e64 s[2:3], 0, v12
	v_mul_f32_e32 v12, 0x4f800000, v3
	s_nop 0
	v_cndmask_b32_e64 v4, v4, v7, s[2:3]
	v_cmp_gt_f32_e64 s[2:3], s12, v3
	v_mul_f32_e32 v7, 0x37800000, v4
	s_nop 0
	v_cndmask_b32_e64 v12, v3, v12, s[2:3]
	v_sqrt_f32_e32 v13, v12
	v_cndmask_b32_e32 v3, v4, v7, vcc
	v_cmp_class_f32_e32 vcc, v2, v17
	s_nop 1
	v_cndmask_b32_e32 v3, v3, v2, vcc
	v_add_u32_e32 v2, -1, v13
	v_fma_f32 v4, -v2, v13, v12
	v_cmp_ge_f32_e32 vcc, 0, v4
	v_add_u32_e32 v4, 1, v13
	v_fma_f32 v7, -v4, v13, v12
	v_cndmask_b32_e32 v2, v13, v2, vcc
	v_cmp_lt_f32_e32 vcc, 0, v7
	s_nop 1
	v_cndmask_b32_e32 v2, v2, v4, vcc
	v_mul_f32_e32 v4, 0x37800000, v2
	v_cndmask_b32_e64 v2, v2, v4, s[2:3]
	v_cmp_class_f32_e32 vcc, v12, v17
	s_nop 1
	v_cndmask_b32_e32 v2, v2, v12, vcc
	scratch_store_dwordx4 off, v[0:3], off offset:16
	s_nop 1
	v_lshl_add_u64 v[2:3], v[8:9], 2, s[10:11]
	v_mul_lo_u32 v0, v6, s33
	s_cbranch_scc1 .LBB202_28
; %bb.2:
	s_load_dwordx2 s[6:7], s[0:1], 0x20
	s_cmp_lt_u32 s33, 4
	v_and_b32_e32 v4, 3, v11
	s_cbranch_scc1 .LBB202_21
; %bb.3:
	v_lshlrev_b32_e32 v5, 3, v4
	s_mov_b32 s11, 0
	s_and_b32 s8, s33, 0x7ffffffc
	v_ashrrev_i32_e32 v1, 31, v0
	v_sub_u32_e32 v11, 0, v5
	v_mov_b32_e32 v5, 0
	s_mov_b32 s10, s11
	s_branch .LBB202_5
.LBB202_4:                              ;   in Loop: Header=BB202_5 Depth=1
	s_or_b64 exec, exec, s[12:13]
	s_add_i32 s10, s10, 4
	s_cmp_eq_u32 s10, s8
	s_cbranch_scc1 .LBB202_21
.LBB202_5:                              ; =>This Loop Header: Depth=1
                                        ;     Child Loop BB202_7 Depth 2
                                        ;     Child Loop BB202_11 Depth 2
                                        ;     Child Loop BB202_15 Depth 2
                                        ;     Child Loop BB202_19 Depth 2
	v_lshl_add_u64 v[6:7], s[10:11], 2, v[2:3]
	global_load_dword v12, v[6:7], off
	v_add_u32_e32 v8, s10, v0
	v_ashrrev_i32_e32 v9, 31, v8
	v_mov_b32_e32 v13, 0
	s_mov_b64 s[12:13], 0
	s_waitcnt lgkmcnt(0)
	v_lshl_add_u64 v[8:9], v[8:9], 2, s[6:7]
	s_mov_b32 s9, 0
	s_waitcnt vmcnt(0)
	v_add_u32_e32 v14, v11, v12
	s_branch .LBB202_7
.LBB202_6:                              ;   in Loop: Header=BB202_7 Depth=2
	s_or_b64 exec, exec, s[14:15]
	s_add_i32 s16, s9, 1
	s_cmp_gt_u32 s9, 6
	s_cselect_b64 s[2:3], -1, 0
	s_xor_b64 s[14:15], vcc, -1
	s_or_b64 s[2:3], s[14:15], s[2:3]
	s_and_b64 s[2:3], exec, s[2:3]
	v_add_u32_e32 v13, 4, v13
	s_or_b64 s[12:13], s[2:3], s[12:13]
	s_mov_b32 s9, s16
	s_andn2_b64 exec, exec, s[12:13]
	s_cbranch_execz .LBB202_9
.LBB202_7:                              ;   Parent Loop BB202_5 Depth=1
                                        ; =>  This Inner Loop Header: Depth=2
	v_cmp_ne_u32_e32 vcc, s9, v14
	v_cmp_eq_u32_e64 s[2:3], s9, v14
	s_and_saveexec_b64 s[14:15], s[2:3]
	s_cbranch_execz .LBB202_6
; %bb.8:                                ;   in Loop: Header=BB202_7 Depth=2
	scratch_load_dword v15, v13, off
	s_waitcnt vmcnt(0)
	v_add_f32_e32 v5, v5, v15
	global_store_dword v[8:9], v12, off
	s_branch .LBB202_6
.LBB202_9:                              ;   in Loop: Header=BB202_5 Depth=1
	s_or_b64 exec, exec, s[12:13]
	global_load_dword v12, v[6:7], off offset:4
	s_ashr_i32 s3, s10, 31
	s_mov_b32 s2, s10
	v_lshl_add_u64 v[8:9], s[2:3], 0, v[0:1]
	v_mov_b32_e32 v13, 0
	s_mov_b32 s9, 0
	v_lshl_add_u64 v[8:9], v[8:9], 2, s[6:7]
	s_mov_b64 s[12:13], 0
	s_waitcnt vmcnt(0)
	v_add_u32_e32 v14, v11, v12
	s_branch .LBB202_11
.LBB202_10:                             ;   in Loop: Header=BB202_11 Depth=2
	s_or_b64 exec, exec, s[14:15]
	s_add_i32 s16, s9, 1
	s_cmp_gt_u32 s9, 6
	s_cselect_b64 s[2:3], -1, 0
	s_xor_b64 s[14:15], vcc, -1
	s_or_b64 s[2:3], s[14:15], s[2:3]
	s_and_b64 s[2:3], exec, s[2:3]
	v_add_u32_e32 v13, 4, v13
	s_or_b64 s[12:13], s[2:3], s[12:13]
	s_mov_b32 s9, s16
	s_andn2_b64 exec, exec, s[12:13]
	s_cbranch_execz .LBB202_13
.LBB202_11:                             ;   Parent Loop BB202_5 Depth=1
                                        ; =>  This Inner Loop Header: Depth=2
	v_cmp_ne_u32_e32 vcc, s9, v14
	v_cmp_eq_u32_e64 s[2:3], s9, v14
	s_and_saveexec_b64 s[14:15], s[2:3]
	s_cbranch_execz .LBB202_10
; %bb.12:                               ;   in Loop: Header=BB202_11 Depth=2
	scratch_load_dword v15, v13, off
	s_waitcnt vmcnt(0)
	v_add_f32_e32 v5, v5, v15
	global_store_dword v[8:9], v12, off offset:4
	s_branch .LBB202_10
.LBB202_13:                             ;   in Loop: Header=BB202_5 Depth=1
	s_or_b64 exec, exec, s[12:13]
	global_load_dword v12, v[6:7], off offset:8
	v_mov_b32_e32 v13, 0
	s_mov_b32 s9, 0
	s_mov_b64 s[12:13], 0
	s_waitcnt vmcnt(0)
	v_add_u32_e32 v14, v11, v12
	s_branch .LBB202_15
.LBB202_14:                             ;   in Loop: Header=BB202_15 Depth=2
	s_or_b64 exec, exec, s[14:15]
	s_add_i32 s16, s9, 1
	s_cmp_gt_u32 s9, 6
	s_cselect_b64 s[2:3], -1, 0
	s_xor_b64 s[14:15], vcc, -1
	s_or_b64 s[2:3], s[14:15], s[2:3]
	s_and_b64 s[2:3], exec, s[2:3]
	v_add_u32_e32 v13, 4, v13
	s_or_b64 s[12:13], s[2:3], s[12:13]
	s_mov_b32 s9, s16
	s_andn2_b64 exec, exec, s[12:13]
	s_cbranch_execz .LBB202_17
.LBB202_15:                             ;   Parent Loop BB202_5 Depth=1
                                        ; =>  This Inner Loop Header: Depth=2
	v_cmp_ne_u32_e32 vcc, s9, v14
	v_cmp_eq_u32_e64 s[2:3], s9, v14
	s_and_saveexec_b64 s[14:15], s[2:3]
	s_cbranch_execz .LBB202_14
; %bb.16:                               ;   in Loop: Header=BB202_15 Depth=2
	scratch_load_dword v15, v13, off
	s_waitcnt vmcnt(0)
	v_add_f32_e32 v5, v5, v15
	global_store_dword v[8:9], v12, off offset:8
	s_branch .LBB202_14
.LBB202_17:                             ;   in Loop: Header=BB202_5 Depth=1
	s_or_b64 exec, exec, s[12:13]
	global_load_dword v6, v[6:7], off offset:12
	v_mov_b32_e32 v7, 0
	s_mov_b32 s9, 0
	s_mov_b64 s[12:13], 0
	s_waitcnt vmcnt(0)
	v_add_u32_e32 v12, v11, v6
	s_branch .LBB202_19
.LBB202_18:                             ;   in Loop: Header=BB202_19 Depth=2
	s_or_b64 exec, exec, s[14:15]
	s_add_i32 s16, s9, 1
	s_cmp_gt_u32 s9, 6
	s_cselect_b64 s[2:3], -1, 0
	s_xor_b64 s[14:15], vcc, -1
	s_or_b64 s[2:3], s[14:15], s[2:3]
	s_and_b64 s[2:3], exec, s[2:3]
	v_add_u32_e32 v7, 4, v7
	s_or_b64 s[12:13], s[2:3], s[12:13]
	s_mov_b32 s9, s16
	s_andn2_b64 exec, exec, s[12:13]
	s_cbranch_execz .LBB202_4
.LBB202_19:                             ;   Parent Loop BB202_5 Depth=1
                                        ; =>  This Inner Loop Header: Depth=2
	v_cmp_ne_u32_e32 vcc, s9, v12
	v_cmp_eq_u32_e64 s[2:3], s9, v12
	s_and_saveexec_b64 s[14:15], s[2:3]
	s_cbranch_execz .LBB202_18
; %bb.20:                               ;   in Loop: Header=BB202_19 Depth=2
	scratch_load_dword v13, v7, off
	s_waitcnt vmcnt(0)
	v_add_f32_e32 v5, v5, v13
	global_store_dword v[8:9], v6, off offset:12
	s_branch .LBB202_18
.LBB202_21:
	s_and_b32 s14, s33, 3
	s_cmp_eq_u32 s14, 0
	s_mov_b32 s9, 0
	s_cbranch_scc1 .LBB202_28
; %bb.22:
	v_lshlrev_b32_e32 v1, 3, v4
	v_sub_u32_e32 v1, 0, v1
	s_mov_b32 s15, s9
	s_branch .LBB202_24
.LBB202_23:                             ;   in Loop: Header=BB202_24 Depth=1
	s_or_b64 exec, exec, s[10:11]
	s_add_i32 s8, s8, 1
	s_add_i32 s15, s15, 1
	s_cmp_lg_u32 s15, s14
	s_cbranch_scc0 .LBB202_28
.LBB202_24:                             ; =>This Loop Header: Depth=1
                                        ;     Child Loop BB202_26 Depth 2
	v_lshl_add_u64 v[6:7], s[8:9], 2, v[2:3]
	global_load_dword v4, v[6:7], off
	v_add_u32_e32 v6, s8, v0
	v_ashrrev_i32_e32 v7, 31, v6
	v_mov_b32_e32 v8, 0
	s_mov_b32 s16, 0
	s_waitcnt lgkmcnt(0)
	v_lshl_add_u64 v[6:7], v[6:7], 2, s[6:7]
	s_mov_b64 s[10:11], 0
	s_waitcnt vmcnt(0)
	v_add_u32_e32 v9, v1, v4
	s_branch .LBB202_26
.LBB202_25:                             ;   in Loop: Header=BB202_26 Depth=2
	s_or_b64 exec, exec, s[12:13]
	s_add_i32 s17, s16, 1
	s_cmp_gt_u32 s16, 6
	s_cselect_b64 s[2:3], -1, 0
	s_xor_b64 s[12:13], vcc, -1
	s_or_b64 s[2:3], s[12:13], s[2:3]
	s_and_b64 s[2:3], exec, s[2:3]
	v_add_u32_e32 v8, 4, v8
	s_or_b64 s[10:11], s[2:3], s[10:11]
	s_mov_b32 s16, s17
	s_andn2_b64 exec, exec, s[10:11]
	s_cbranch_execz .LBB202_23
.LBB202_26:                             ;   Parent Loop BB202_24 Depth=1
                                        ; =>  This Inner Loop Header: Depth=2
	v_cmp_ne_u32_e32 vcc, s16, v9
	v_cmp_eq_u32_e64 s[2:3], s16, v9
	s_and_saveexec_b64 s[12:13], s[2:3]
	s_cbranch_execz .LBB202_25
; %bb.27:                               ;   in Loop: Header=BB202_26 Depth=2
	scratch_load_dword v11, v8, off
	s_waitcnt vmcnt(0)
	v_add_f32_e32 v5, v5, v11
	global_store_dword v[6:7], v4, off
	s_branch .LBB202_25
.LBB202_28:
	s_waitcnt lgkmcnt(0)
	s_load_dword s6, s[0:1], 0x3c
	s_waitcnt lgkmcnt(0)
	s_bitcmp1_b32 s6, 0
	s_cselect_b64 s[2:3], -1, 0
	s_bitcmp0_b32 s6, 0
	s_cbranch_scc0 .LBB202_32
; %bb.29:
	s_load_dwordx2 s[6:7], s[0:1], 0x40
	s_andn2_b64 vcc, exec, s[2:3]
	s_waitcnt lgkmcnt(0)
	v_cvt_f32_f64_e32 v8, s[6:7]
	s_cbranch_vccz .LBB202_33
.LBB202_30:
	s_andn2_b64 vcc, exec, s[4:5]
	s_cbranch_vccz .LBB202_34
.LBB202_31:
	s_endpgm
.LBB202_32:
	v_mbcnt_lo_u32_b32 v1, -1, 0
	v_mbcnt_hi_u32_b32 v1, -1, v1
	v_and_b32_e32 v4, 0x7c, v1
	v_add_u32_e32 v4, 4, v4
	v_xor_b32_e32 v6, 2, v1
	v_cmp_lt_i32_e32 vcc, v6, v4
	v_xor_b32_e32 v7, 1, v1
	s_nop 0
	v_cndmask_b32_e32 v6, v1, v6, vcc
	v_lshlrev_b32_e32 v6, 2, v6
	ds_bpermute_b32 v6, v6, v5
	v_cmp_lt_i32_e32 vcc, v7, v4
	s_waitcnt lgkmcnt(0)
	v_add_f32_e32 v5, v5, v6
	v_cndmask_b32_e32 v1, v1, v7, vcc
	v_lshlrev_b32_e32 v1, 2, v1
	ds_bpermute_b32 v1, v1, v5
	s_waitcnt lgkmcnt(0)
	v_add_f32_e32 v5, v5, v1
	s_load_dwordx2 s[6:7], s[0:1], 0x40
	s_andn2_b64 vcc, exec, s[2:3]
	s_waitcnt lgkmcnt(0)
	v_cvt_f32_f64_e32 v8, s[6:7]
	s_cbranch_vccnz .LBB202_30
.LBB202_33:
	v_cmp_lt_f32_e32 vcc, 0, v5
	s_nop 1
	v_cndmask_b32_e32 v1, 1.0, v5, vcc
	v_div_scale_f32 v4, s[2:3], v1, v1, v8
	v_rcp_f32_e32 v5, v4
	s_nop 0
	v_fma_f32 v6, -v4, v5, 1.0
	v_fmac_f32_e32 v5, v6, v5
	v_div_scale_f32 v6, vcc, v8, v1, v8
	v_mul_f32_e32 v7, v6, v5
	v_fma_f32 v9, -v4, v7, v6
	v_fmac_f32_e32 v7, v9, v5
	v_fma_f32 v4, -v4, v7, v6
	v_div_fmas_f32 v4, v4, v5, v7
	v_div_fixup_f32 v8, v4, v1, v8
	s_andn2_b64 vcc, exec, s[4:5]
	s_cbranch_vccnz .LBB202_31
.LBB202_34:
	s_load_dwordx2 s[12:13], s[0:1], 0x10
	v_mov_b32_e32 v1, 0
	v_or_b32_e32 v20, 4, v1
	v_or_b32_e32 v18, 8, v1
	;; [unrolled: 1-line block ×3, first 2 shown]
	v_add_u32_e32 v14, 16, v1
	v_add_u32_e32 v12, 20, v1
	;; [unrolled: 1-line block ×4, first 2 shown]
	v_or_b32_e32 v23, 1, v10
	v_or_b32_e32 v22, 2, v10
	v_or_b32_e32 v21, 3, v10
	v_or_b32_e32 v19, 4, v10
	v_or_b32_e32 v17, 5, v10
	v_or_b32_e32 v15, 6, v10
	v_or_b32_e32 v13, 7, v10
	s_cmp_eq_u32 s33, 1
	s_mov_b32 s14, 0
	s_cbranch_scc1 .LBB202_69
; %bb.35:
	v_ashrrev_i32_e32 v1, 31, v0
	s_waitcnt lgkmcnt(0)
	v_lshl_add_u64 v[4:5], v[0:1], 2, s[12:13]
	s_and_b32 s14, s33, 0x7ffffffe
	v_lshl_add_u64 v[4:5], v[4:5], 0, 4
	v_lshl_add_u64 v[6:7], v[2:3], 0, 4
	s_mov_b32 s15, 0
	s_branch .LBB202_37
.LBB202_36:                             ;   in Loop: Header=BB202_37 Depth=1
	s_or_b64 exec, exec, s[0:1]
	s_add_i32 s15, s15, 2
	v_lshl_add_u64 v[4:5], v[4:5], 0, 8
	s_cmp_eq_u32 s14, s15
	v_lshl_add_u64 v[6:7], v[6:7], 0, 8
	s_cbranch_scc1 .LBB202_69
.LBB202_37:                             ; =>This Inner Loop Header: Depth=1
	global_load_dword v24, v[6:7], off offset:-4
	v_mov_b32_e32 v1, 0
	s_waitcnt vmcnt(0)
	v_cmp_eq_u32_e32 vcc, v24, v10
	v_cmp_ne_u32_e64 s[0:1], v24, v10
	s_and_saveexec_b64 s[16:17], s[0:1]
	s_cbranch_execz .LBB202_51
; %bb.38:                               ;   in Loop: Header=BB202_37 Depth=1
	v_cmp_eq_u32_e64 s[0:1], v24, v23
	v_cmp_ne_u32_e64 s[2:3], v24, v23
	v_mov_b32_e32 v1, v20
	s_and_saveexec_b64 s[18:19], s[2:3]
	s_cbranch_execz .LBB202_50
; %bb.39:                               ;   in Loop: Header=BB202_37 Depth=1
	v_cmp_eq_u32_e64 s[2:3], v24, v22
	v_cmp_ne_u32_e64 s[4:5], v24, v22
	v_mov_b32_e32 v1, v18
	;; [unrolled: 6-line block ×6, first 2 shown]
	s_and_saveexec_b64 s[30:31], s[10:11]
	s_xor_b64 s[30:31], exec, s[30:31]
; %bb.44:                               ;   in Loop: Header=BB202_37 Depth=1
	v_cmp_eq_u32_e64 s[10:11], v24, v13
	s_andn2_b64 s[28:29], s[28:29], exec
	s_and_b64 s[10:11], s[10:11], exec
	s_or_b64 s[28:29], s[28:29], s[10:11]
	v_mov_b32_e32 v1, v11
; %bb.45:                               ;   in Loop: Header=BB202_37 Depth=1
	s_or_b64 exec, exec, s[30:31]
	s_andn2_b64 s[8:9], s[8:9], exec
	s_and_b64 s[10:11], s[28:29], exec
	s_or_b64 s[8:9], s[8:9], s[10:11]
.LBB202_46:                             ;   in Loop: Header=BB202_37 Depth=1
	s_or_b64 exec, exec, s[26:27]
	s_andn2_b64 s[6:7], s[6:7], exec
	s_and_b64 s[8:9], s[8:9], exec
	s_or_b64 s[6:7], s[6:7], s[8:9]
.LBB202_47:                             ;   in Loop: Header=BB202_37 Depth=1
	s_or_b64 exec, exec, s[24:25]
	s_andn2_b64 s[4:5], s[4:5], exec
	s_and_b64 s[6:7], s[6:7], exec
	s_or_b64 s[4:5], s[4:5], s[6:7]
.LBB202_48:                             ;   in Loop: Header=BB202_37 Depth=1
	s_or_b64 exec, exec, s[22:23]
	s_andn2_b64 s[2:3], s[2:3], exec
	s_and_b64 s[4:5], s[4:5], exec
	s_or_b64 s[2:3], s[2:3], s[4:5]
.LBB202_49:                             ;   in Loop: Header=BB202_37 Depth=1
	s_or_b64 exec, exec, s[20:21]
	s_andn2_b64 s[0:1], s[0:1], exec
	s_and_b64 s[2:3], s[2:3], exec
	s_or_b64 s[0:1], s[0:1], s[2:3]
.LBB202_50:                             ;   in Loop: Header=BB202_37 Depth=1
	s_or_b64 exec, exec, s[18:19]
	s_andn2_b64 s[2:3], vcc, exec
	s_and_b64 s[0:1], s[0:1], exec
	s_or_b64 vcc, s[2:3], s[0:1]
.LBB202_51:                             ;   in Loop: Header=BB202_37 Depth=1
	s_or_b64 exec, exec, s[16:17]
	s_and_saveexec_b64 s[0:1], vcc
	s_cbranch_execz .LBB202_53
; %bb.52:                               ;   in Loop: Header=BB202_37 Depth=1
	scratch_load_dword v1, v1, off
	v_add_u32_e32 v24, s15, v0
	v_ashrrev_i32_e32 v25, 31, v24
	v_lshl_add_u64 v[24:25], v[24:25], 2, s[12:13]
	s_waitcnt vmcnt(0)
	v_mul_f32_e32 v1, v8, v1
	global_store_dword v[24:25], v1, off
.LBB202_53:                             ;   in Loop: Header=BB202_37 Depth=1
	s_or_b64 exec, exec, s[0:1]
	global_load_dword v24, v[6:7], off
	v_mov_b32_e32 v1, 0
	s_waitcnt vmcnt(0)
	v_cmp_eq_u32_e64 s[8:9], v24, v10
	v_cmp_ne_u32_e32 vcc, v24, v10
	s_and_saveexec_b64 s[10:11], vcc
	s_cbranch_execz .LBB202_67
; %bb.54:                               ;   in Loop: Header=BB202_37 Depth=1
	v_cmp_eq_u32_e32 vcc, v24, v23
	v_cmp_ne_u32_e64 s[0:1], v24, v23
	v_mov_b32_e32 v1, v20
	s_and_saveexec_b64 s[16:17], s[0:1]
	s_cbranch_execz .LBB202_66
; %bb.55:                               ;   in Loop: Header=BB202_37 Depth=1
	v_cmp_eq_u32_e64 s[0:1], v24, v22
	v_cmp_ne_u32_e64 s[2:3], v24, v22
	v_mov_b32_e32 v1, v18
	s_and_saveexec_b64 s[18:19], s[2:3]
	s_cbranch_execz .LBB202_65
; %bb.56:                               ;   in Loop: Header=BB202_37 Depth=1
	v_cmp_eq_u32_e64 s[2:3], v24, v21
	;; [unrolled: 6-line block ×5, first 2 shown]
	v_cmp_ne_u32_e64 s[6:7], v24, v15
	v_mov_b32_e32 v1, v9
	s_and_saveexec_b64 s[30:31], s[6:7]
; %bb.60:                               ;   in Loop: Header=BB202_37 Depth=1
	v_cmp_eq_u32_e64 s[6:7], v24, v13
	s_andn2_b64 s[28:29], s[28:29], exec
	s_and_b64 s[6:7], s[6:7], exec
	s_or_b64 s[28:29], s[28:29], s[6:7]
	v_mov_b32_e32 v1, v11
; %bb.61:                               ;   in Loop: Header=BB202_37 Depth=1
	s_or_b64 exec, exec, s[30:31]
	s_andn2_b64 s[6:7], s[24:25], exec
	s_and_b64 s[24:25], s[28:29], exec
	s_or_b64 s[24:25], s[6:7], s[24:25]
.LBB202_62:                             ;   in Loop: Header=BB202_37 Depth=1
	s_or_b64 exec, exec, s[26:27]
	s_andn2_b64 s[4:5], s[4:5], exec
	s_and_b64 s[6:7], s[24:25], exec
	s_or_b64 s[4:5], s[4:5], s[6:7]
.LBB202_63:                             ;   in Loop: Header=BB202_37 Depth=1
	s_or_b64 exec, exec, s[22:23]
	s_andn2_b64 s[2:3], s[2:3], exec
	s_and_b64 s[4:5], s[4:5], exec
	s_or_b64 s[2:3], s[2:3], s[4:5]
.LBB202_64:                             ;   in Loop: Header=BB202_37 Depth=1
	s_or_b64 exec, exec, s[20:21]
	s_andn2_b64 s[0:1], s[0:1], exec
	s_and_b64 s[2:3], s[2:3], exec
	s_or_b64 s[0:1], s[0:1], s[2:3]
.LBB202_65:                             ;   in Loop: Header=BB202_37 Depth=1
	s_or_b64 exec, exec, s[18:19]
	s_andn2_b64 s[2:3], vcc, exec
	s_and_b64 s[0:1], s[0:1], exec
	s_or_b64 vcc, s[2:3], s[0:1]
.LBB202_66:                             ;   in Loop: Header=BB202_37 Depth=1
	s_or_b64 exec, exec, s[16:17]
	s_andn2_b64 s[0:1], s[8:9], exec
	s_and_b64 s[2:3], vcc, exec
	s_or_b64 s[8:9], s[0:1], s[2:3]
.LBB202_67:                             ;   in Loop: Header=BB202_37 Depth=1
	s_or_b64 exec, exec, s[10:11]
	s_and_saveexec_b64 s[0:1], s[8:9]
	s_cbranch_execz .LBB202_36
; %bb.68:                               ;   in Loop: Header=BB202_37 Depth=1
	scratch_load_dword v1, v1, off
	s_waitcnt vmcnt(0)
	v_mul_f32_e32 v1, v8, v1
	global_store_dword v[4:5], v1, off
	s_branch .LBB202_36
.LBB202_69:
	s_bitcmp0_b32 s33, 0
	s_mov_b32 s15, 0
	s_cbranch_scc1 .LBB202_31
; %bb.70:
	v_lshl_add_u64 v[2:3], s[14:15], 2, v[2:3]
	global_load_dword v1, v[2:3], off
	v_mov_b32_e32 v2, 0
	s_waitcnt vmcnt(0)
	v_cmp_eq_u32_e64 s[8:9], v1, v10
	v_cmp_ne_u32_e32 vcc, v1, v10
	s_and_saveexec_b64 s[10:11], vcc
	s_cbranch_execz .LBB202_84
; %bb.71:
	v_cmp_eq_u32_e32 vcc, v1, v23
	v_cmp_ne_u32_e64 s[0:1], v1, v23
	s_and_saveexec_b64 s[16:17], s[0:1]
	s_cbranch_execz .LBB202_83
; %bb.72:
	v_cmp_eq_u32_e64 s[0:1], v1, v22
	v_cmp_ne_u32_e64 s[2:3], v1, v22
	s_and_saveexec_b64 s[18:19], s[2:3]
	s_cbranch_execz .LBB202_82
; %bb.73:
	v_cmp_eq_u32_e64 s[2:3], v1, v21
	;; [unrolled: 5-line block ×5, first 2 shown]
	v_cmp_ne_u32_e64 s[6:7], v1, v15
	s_and_saveexec_b64 s[30:31], s[6:7]
; %bb.77:
	v_cmp_eq_u32_e64 s[6:7], v1, v13
	s_andn2_b64 s[28:29], s[28:29], exec
	s_and_b64 s[6:7], s[6:7], exec
	s_or_b64 s[28:29], s[28:29], s[6:7]
	v_mov_b32_e32 v9, v11
; %bb.78:
	s_or_b64 exec, exec, s[30:31]
	s_andn2_b64 s[6:7], s[24:25], exec
	s_and_b64 s[24:25], s[28:29], exec
	s_or_b64 s[24:25], s[6:7], s[24:25]
	v_mov_b32_e32 v12, v9
.LBB202_79:
	s_or_b64 exec, exec, s[26:27]
	s_andn2_b64 s[4:5], s[4:5], exec
	s_and_b64 s[6:7], s[24:25], exec
	s_or_b64 s[4:5], s[4:5], s[6:7]
	v_mov_b32_e32 v14, v12
.LBB202_80:
	s_or_b64 exec, exec, s[22:23]
	s_andn2_b64 s[2:3], s[2:3], exec
	s_and_b64 s[4:5], s[4:5], exec
	s_or_b64 s[2:3], s[2:3], s[4:5]
	v_mov_b32_e32 v16, v14
.LBB202_81:
	s_or_b64 exec, exec, s[20:21]
	s_andn2_b64 s[0:1], s[0:1], exec
	s_and_b64 s[2:3], s[2:3], exec
	s_or_b64 s[0:1], s[0:1], s[2:3]
	v_mov_b32_e32 v18, v16
.LBB202_82:
	s_or_b64 exec, exec, s[18:19]
	s_andn2_b64 s[2:3], vcc, exec
	s_and_b64 s[0:1], s[0:1], exec
	s_or_b64 vcc, s[2:3], s[0:1]
	v_mov_b32_e32 v20, v18
.LBB202_83:
	s_or_b64 exec, exec, s[16:17]
	s_andn2_b64 s[0:1], s[8:9], exec
	s_and_b64 s[2:3], vcc, exec
	s_or_b64 s[8:9], s[0:1], s[2:3]
	v_mov_b32_e32 v2, v20
.LBB202_84:
	s_or_b64 exec, exec, s[10:11]
	s_and_b64 exec, exec, s[8:9]
	s_cbranch_execz .LBB202_31
; %bb.85:
	scratch_load_dword v2, v2, off
	v_add_u32_e32 v0, s14, v0
	v_ashrrev_i32_e32 v1, 31, v0
	s_waitcnt lgkmcnt(0)
	v_lshl_add_u64 v[0:1], v[0:1], 2, s[12:13]
	s_waitcnt vmcnt(0)
	v_mul_f32_e32 v2, v8, v2
	global_store_dword v[0:1], v2, off
	s_endpgm
	.section	.rodata,"a",@progbits
	.p2align	6, 0x0
	.amdhsa_kernel _ZN4vllm3moe22topkGatingSoftplusSqrtILi8ELi32ELi4ELi16ELi32ELb1Ei6__halfEEvPKT6_PKbPfiPT5_PiiiibdPKfPKS9_SF_
		.amdhsa_group_segment_fixed_size 0
		.amdhsa_private_segment_fixed_size 48
		.amdhsa_kernarg_size 96
		.amdhsa_user_sgpr_count 2
		.amdhsa_user_sgpr_dispatch_ptr 0
		.amdhsa_user_sgpr_queue_ptr 0
		.amdhsa_user_sgpr_kernarg_segment_ptr 1
		.amdhsa_user_sgpr_dispatch_id 0
		.amdhsa_user_sgpr_kernarg_preload_length 0
		.amdhsa_user_sgpr_kernarg_preload_offset 0
		.amdhsa_user_sgpr_private_segment_size 0
		.amdhsa_uses_dynamic_stack 0
		.amdhsa_enable_private_segment 1
		.amdhsa_system_sgpr_workgroup_id_x 1
		.amdhsa_system_sgpr_workgroup_id_y 0
		.amdhsa_system_sgpr_workgroup_id_z 0
		.amdhsa_system_sgpr_workgroup_info 0
		.amdhsa_system_vgpr_workitem_id 1
		.amdhsa_next_free_vgpr 29
		.amdhsa_next_free_sgpr 34
		.amdhsa_accum_offset 32
		.amdhsa_reserve_vcc 1
		.amdhsa_float_round_mode_32 0
		.amdhsa_float_round_mode_16_64 0
		.amdhsa_float_denorm_mode_32 3
		.amdhsa_float_denorm_mode_16_64 3
		.amdhsa_dx10_clamp 1
		.amdhsa_ieee_mode 1
		.amdhsa_fp16_overflow 0
		.amdhsa_tg_split 0
		.amdhsa_exception_fp_ieee_invalid_op 0
		.amdhsa_exception_fp_denorm_src 0
		.amdhsa_exception_fp_ieee_div_zero 0
		.amdhsa_exception_fp_ieee_overflow 0
		.amdhsa_exception_fp_ieee_underflow 0
		.amdhsa_exception_fp_ieee_inexact 0
		.amdhsa_exception_int_div_zero 0
	.end_amdhsa_kernel
	.section	.text._ZN4vllm3moe22topkGatingSoftplusSqrtILi8ELi32ELi4ELi16ELi32ELb1Ei6__halfEEvPKT6_PKbPfiPT5_PiiiibdPKfPKS9_SF_,"axG",@progbits,_ZN4vllm3moe22topkGatingSoftplusSqrtILi8ELi32ELi4ELi16ELi32ELb1Ei6__halfEEvPKT6_PKbPfiPT5_PiiiibdPKfPKS9_SF_,comdat
.Lfunc_end202:
	.size	_ZN4vllm3moe22topkGatingSoftplusSqrtILi8ELi32ELi4ELi16ELi32ELb1Ei6__halfEEvPKT6_PKbPfiPT5_PiiiibdPKfPKS9_SF_, .Lfunc_end202-_ZN4vllm3moe22topkGatingSoftplusSqrtILi8ELi32ELi4ELi16ELi32ELb1Ei6__halfEEvPKT6_PKbPfiPT5_PiiiibdPKfPKS9_SF_
                                        ; -- End function
	.section	.AMDGPU.csdata,"",@progbits
; Kernel info:
; codeLenInByte = 4484
; NumSgprs: 40
; NumVgprs: 29
; NumAgprs: 0
; TotalNumVgprs: 29
; ScratchSize: 48
; MemoryBound: 0
; FloatMode: 240
; IeeeMode: 1
; LDSByteSize: 0 bytes/workgroup (compile time only)
; SGPRBlocks: 4
; VGPRBlocks: 3
; NumSGPRsForWavesPerEU: 40
; NumVGPRsForWavesPerEU: 29
; AccumOffset: 32
; Occupancy: 8
; WaveLimiterHint : 1
; COMPUTE_PGM_RSRC2:SCRATCH_EN: 1
; COMPUTE_PGM_RSRC2:USER_SGPR: 2
; COMPUTE_PGM_RSRC2:TRAP_HANDLER: 0
; COMPUTE_PGM_RSRC2:TGID_X_EN: 1
; COMPUTE_PGM_RSRC2:TGID_Y_EN: 0
; COMPUTE_PGM_RSRC2:TGID_Z_EN: 0
; COMPUTE_PGM_RSRC2:TIDIG_COMP_CNT: 1
; COMPUTE_PGM_RSRC3_GFX90A:ACCUM_OFFSET: 7
; COMPUTE_PGM_RSRC3_GFX90A:TG_SPLIT: 0
	.section	.text._ZN4vllm3moe22topkGatingSoftplusSqrtILi8ELi32ELi4ELi16ELi32ELb0Ei6__halfEEvPKT6_PKbPfiPT5_PiiiibdPKfPKS9_SF_,"axG",@progbits,_ZN4vllm3moe22topkGatingSoftplusSqrtILi8ELi32ELi4ELi16ELi32ELb0Ei6__halfEEvPKT6_PKbPfiPT5_PiiiibdPKfPKS9_SF_,comdat
	.protected	_ZN4vllm3moe22topkGatingSoftplusSqrtILi8ELi32ELi4ELi16ELi32ELb0Ei6__halfEEvPKT6_PKbPfiPT5_PiiiibdPKfPKS9_SF_ ; -- Begin function _ZN4vllm3moe22topkGatingSoftplusSqrtILi8ELi32ELi4ELi16ELi32ELb0Ei6__halfEEvPKT6_PKbPfiPT5_PiiiibdPKfPKS9_SF_
	.globl	_ZN4vllm3moe22topkGatingSoftplusSqrtILi8ELi32ELi4ELi16ELi32ELb0Ei6__halfEEvPKT6_PKbPfiPT5_PiiiibdPKfPKS9_SF_
	.p2align	8
	.type	_ZN4vllm3moe22topkGatingSoftplusSqrtILi8ELi32ELi4ELi16ELi32ELb0Ei6__halfEEvPKT6_PKbPfiPT5_PiiiibdPKfPKS9_SF_,@function
_ZN4vllm3moe22topkGatingSoftplusSqrtILi8ELi32ELi4ELi16ELi32ELb0Ei6__halfEEvPKT6_PKbPfiPT5_PiiiibdPKfPKS9_SF_: ; @_ZN4vllm3moe22topkGatingSoftplusSqrtILi8ELi32ELi4ELi16ELi32ELb0Ei6__halfEEvPKT6_PKbPfiPT5_PiiiibdPKfPKS9_SF_
; %bb.0:
	s_load_dword s33, s[0:1], 0x18
	v_bfe_u32 v1, v0, 10, 10
	v_and_b32_e32 v0, 0x3ff, v0
	s_lshl_b32 s2, s2, 5
	v_lshlrev_b32_e32 v1, 3, v1
	v_lshrrev_b32_e32 v2, 2, v0
	v_add3_u32 v8, s2, v1, v2
	s_waitcnt lgkmcnt(0)
	v_cmp_gt_i32_e32 vcc, s33, v8
	s_and_saveexec_b64 s[2:3], vcc
	s_cbranch_execz .LBB203_53
; %bb.1:
	s_load_dwordx4 s[4:7], s[0:1], 0x0
	s_load_dwordx2 s[34:35], s[0:1], 0x10
	s_waitcnt lgkmcnt(0)
	s_cmp_eq_u64 s[6:7], 0
	s_cbranch_scc1 .LBB203_3
; %bb.2:
	v_ashrrev_i32_e32 v9, 31, v8
	v_lshl_add_u64 v[2:3], s[6:7], 0, v[8:9]
	global_load_ubyte v1, v[2:3], off
	s_waitcnt vmcnt(0)
	v_and_b32_e32 v1, 1, v1
	v_cmp_eq_u32_e32 vcc, 1, v1
	s_xor_b64 s[2:3], vcc, -1
	s_orn2_b64 s[36:37], s[2:3], exec
	s_branch .LBB203_4
.LBB203_3:
	s_mov_b64 s[36:37], -1
.LBB203_4:
	v_lshlrev_b32_e32 v4, 5, v8
	v_mov_b32_e32 v2, s4
	v_mov_b32_e32 v3, s5
	v_ashrrev_i32_e32 v5, 31, v4
	v_and_b32_e32 v9, 3, v0
	v_lshl_add_u64 v[2:3], v[4:5], 1, v[2:3]
	v_mov_b32_e32 v1, 0
	v_lshlrev_b32_e32 v0, 4, v9
	v_lshl_add_u64 v[0:1], v[2:3], 0, v[0:1]
	global_load_dwordx4 v[4:7], v[0:1], off
	s_mov_b32 s12, 0x800000
	v_mov_b32_e32 v2, 0x4f800000
	s_mov_b32 s9, 0x3f317217
	s_mov_b32 s10, 0x7f800000
	v_mov_b32_e32 v3, 0x41b17218
	s_movk_i32 s8, 0x4d00
	s_mov_b32 s11, 0xf800000
	s_load_dwordx4 s[20:23], s[0:1], 0x40
	v_lshlrev_b32_e32 v12, 3, v9
	s_waitcnt lgkmcnt(0)
	s_cmp_lg_u64 s[22:23], 0
	s_cselect_b64 s[6:7], -1, 0
	s_and_b64 s[2:3], exec, s[6:7]
	s_waitcnt vmcnt(0)
	v_cvt_f32_f16_e32 v0, v4
	v_mul_f32_e32 v1, 0x3fb8aa3b, v0
	v_exp_f32_e32 v10, v1
	v_mov_b32_e32 v1, 0x260
	v_add_f32_e32 v10, 1.0, v10
	v_cmp_gt_f32_e32 vcc, s12, v10
	s_nop 1
	v_cndmask_b32_e32 v11, 1.0, v2, vcc
	v_mul_f32_e32 v10, v10, v11
	v_log_f32_e32 v11, v10
	v_cndmask_b32_e32 v13, 0, v3, vcc
	v_lshlrev_b32_e32 v10, 2, v12
	v_mul_f32_e32 v14, 0x3f317217, v11
	v_fma_f32 v14, v11, s9, -v14
	v_fmac_f32_e32 v14, 0x3377d1cf, v11
	v_fmac_f32_e32 v14, 0x3f317217, v11
	v_cmp_lt_f32_e64 vcc, |v11|, s10
	s_nop 1
	v_cndmask_b32_e32 v11, v11, v14, vcc
	v_sub_f32_e32 v11, v11, v13
	v_cmp_lt_f16_e32 vcc, s8, v4
	s_nop 1
	v_cndmask_b32_e32 v0, v11, v0, vcc
	v_mul_f32_e32 v11, 0x4f800000, v0
	v_cmp_gt_f32_e32 vcc, s11, v0
	s_nop 1
	v_cndmask_b32_e32 v0, v0, v11, vcc
	v_sqrt_f32_e32 v11, v0
	s_nop 0
	v_add_u32_e32 v13, -1, v11
	v_add_u32_e32 v14, 1, v11
	v_fma_f32 v15, -v13, v11, v0
	v_fma_f32 v16, -v14, v11, v0
	v_cmp_ge_f32_e64 s[4:5], 0, v15
	s_nop 1
	v_cndmask_b32_e64 v11, v11, v13, s[4:5]
	v_cmp_lt_f32_e64 s[4:5], 0, v16
	s_nop 1
	v_cndmask_b32_e64 v11, v11, v14, s[4:5]
	v_mul_f32_e32 v13, 0x37800000, v11
	v_cndmask_b32_e32 v11, v11, v13, vcc
	v_cmp_class_f32_e32 vcc, v0, v1
	s_nop 1
	v_cndmask_b32_e32 v0, v11, v0, vcc
	s_mov_b64 vcc, s[2:3]
	s_cbranch_vccz .LBB203_6
; %bb.5:
	global_load_dword v11, v10, s[22:23]
	s_waitcnt vmcnt(0)
	v_add_f32_e32 v0, v0, v11
.LBB203_6:
	v_cvt_f32_f16_sdwa v11, v4 dst_sel:DWORD dst_unused:UNUSED_PAD src0_sel:WORD_1
	v_mul_f32_e32 v13, 0x3fb8aa3b, v11
	v_exp_f32_e32 v13, v13
	s_nop 0
	v_add_f32_e32 v13, 1.0, v13
	v_cmp_gt_f32_e32 vcc, s12, v13
	s_nop 1
	v_cndmask_b32_e32 v2, 1.0, v2, vcc
	v_mul_f32_e32 v2, v13, v2
	v_log_f32_e32 v2, v2
	v_cndmask_b32_e32 v3, 0, v3, vcc
	v_mul_f32_e32 v13, 0x3f317217, v2
	v_fma_f32 v13, v2, s9, -v13
	v_fmac_f32_e32 v13, 0x3377d1cf, v2
	v_fmac_f32_e32 v13, 0x3f317217, v2
	v_cmp_lt_f32_e64 vcc, |v2|, s10
	s_nop 1
	v_cndmask_b32_e32 v2, v2, v13, vcc
	v_sub_f32_e32 v2, v2, v3
	v_cmp_gt_f16_sdwa vcc, v4, s8 src0_sel:WORD_1 src1_sel:DWORD
	v_cndmask_b32_e64 v4, 0, 1, s[6:7]
	v_cmp_ne_u32_e64 s[2:3], 1, v4
	v_cndmask_b32_e32 v2, v2, v11, vcc
	v_mul_f32_e32 v3, 0x4f800000, v2
	v_cmp_gt_f32_e64 s[4:5], s11, v2
	s_andn2_b64 vcc, exec, s[6:7]
	s_nop 0
	v_cndmask_b32_e64 v2, v2, v3, s[4:5]
	v_sqrt_f32_e32 v3, v2
	s_nop 0
	v_add_u32_e32 v4, -1, v3
	v_add_u32_e32 v11, 1, v3
	v_fma_f32 v13, -v4, v3, v2
	v_fma_f32 v14, -v11, v3, v2
	v_cmp_ge_f32_e64 s[6:7], 0, v13
	s_nop 1
	v_cndmask_b32_e64 v3, v3, v4, s[6:7]
	v_cmp_lt_f32_e64 s[6:7], 0, v14
	s_nop 1
	v_cndmask_b32_e64 v3, v3, v11, s[6:7]
	v_mul_f32_e32 v4, 0x37800000, v3
	v_cndmask_b32_e64 v3, v3, v4, s[4:5]
	v_cmp_class_f32_e64 s[4:5], v2, v1
	s_nop 1
	v_cndmask_b32_e64 v1, v3, v2, s[4:5]
	s_cbranch_vccnz .LBB203_8
; %bb.7:
	global_load_dword v2, v10, s[22:23] offset:4
	s_waitcnt vmcnt(0)
	v_add_f32_e32 v1, v1, v2
.LBB203_8:
	v_cvt_f32_f16_e32 v2, v5
	s_mov_b32 s8, 0x800000
	v_mov_b32_e32 v4, 0x4f800000
	s_mov_b32 s7, 0x3f317217
	v_mul_f32_e32 v3, 0x3fb8aa3b, v2
	v_exp_f32_e32 v3, v3
	s_mov_b32 s9, 0x7f800000
	s_movk_i32 s6, 0x4d00
	s_mov_b32 s10, 0xf800000
	v_add_f32_e32 v3, 1.0, v3
	v_cmp_gt_f32_e32 vcc, s8, v3
	s_nop 1
	v_cndmask_b32_e32 v11, 1.0, v4, vcc
	v_mul_f32_e32 v3, v3, v11
	v_log_f32_e32 v3, v3
	v_mov_b32_e32 v11, 0x41b17218
	v_cndmask_b32_e32 v13, 0, v11, vcc
	v_mul_f32_e32 v14, 0x3f317217, v3
	v_fma_f32 v14, v3, s7, -v14
	v_fmac_f32_e32 v14, 0x3377d1cf, v3
	v_fmac_f32_e32 v14, 0x3f317217, v3
	v_cmp_lt_f32_e64 vcc, |v3|, s9
	s_nop 1
	v_cndmask_b32_e32 v3, v3, v14, vcc
	v_sub_f32_e32 v3, v3, v13
	v_cmp_lt_f16_e32 vcc, s6, v5
	s_nop 1
	v_cndmask_b32_e32 v2, v3, v2, vcc
	v_mul_f32_e32 v3, 0x4f800000, v2
	v_cmp_gt_f32_e32 vcc, s10, v2
	s_nop 1
	v_cndmask_b32_e32 v2, v2, v3, vcc
	v_sqrt_f32_e32 v3, v2
	s_nop 0
	v_add_u32_e32 v13, -1, v3
	v_fma_f32 v14, -v13, v3, v2
	v_cmp_ge_f32_e64 s[4:5], 0, v14
	v_add_u32_e32 v14, 1, v3
	s_nop 0
	v_cndmask_b32_e64 v13, v3, v13, s[4:5]
	v_fma_f32 v3, -v14, v3, v2
	v_cmp_lt_f32_e64 s[4:5], 0, v3
	s_nop 1
	v_cndmask_b32_e64 v3, v13, v14, s[4:5]
	v_mul_f32_e32 v13, 0x37800000, v3
	v_cndmask_b32_e32 v13, v3, v13, vcc
	v_mov_b32_e32 v3, 0x260
	v_cmp_class_f32_e64 s[4:5], v2, v3
	s_and_b64 vcc, exec, s[2:3]
	s_nop 0
	v_cndmask_b32_e64 v2, v13, v2, s[4:5]
	s_cbranch_vccnz .LBB203_10
; %bb.9:
	global_load_dword v13, v10, s[22:23] offset:8
	s_waitcnt vmcnt(0)
	v_add_f32_e32 v2, v2, v13
.LBB203_10:
	v_cvt_f32_f16_sdwa v13, v5 dst_sel:DWORD dst_unused:UNUSED_PAD src0_sel:WORD_1
	v_mul_f32_e32 v14, 0x3fb8aa3b, v13
	v_exp_f32_e32 v14, v14
	s_nop 0
	v_add_f32_e32 v14, 1.0, v14
	v_cmp_gt_f32_e32 vcc, s8, v14
	s_nop 1
	v_cndmask_b32_e32 v4, 1.0, v4, vcc
	v_mul_f32_e32 v4, v14, v4
	v_log_f32_e32 v4, v4
	v_cndmask_b32_e32 v11, 0, v11, vcc
	v_mul_f32_e32 v14, 0x3f317217, v4
	v_fma_f32 v14, v4, s7, -v14
	v_fmac_f32_e32 v14, 0x3377d1cf, v4
	v_fmac_f32_e32 v14, 0x3f317217, v4
	v_cmp_lt_f32_e64 vcc, |v4|, s9
	s_nop 1
	v_cndmask_b32_e32 v4, v4, v14, vcc
	v_sub_f32_e32 v4, v4, v11
	v_cmp_gt_f16_sdwa vcc, v5, s6 src0_sel:WORD_1 src1_sel:DWORD
	s_nop 1
	v_cndmask_b32_e32 v4, v4, v13, vcc
	v_mul_f32_e32 v5, 0x4f800000, v4
	v_cmp_gt_f32_e64 s[4:5], s10, v4
	s_and_b64 vcc, exec, s[2:3]
	s_nop 0
	v_cndmask_b32_e64 v4, v4, v5, s[4:5]
	v_sqrt_f32_e32 v5, v4
	s_nop 0
	v_add_u32_e32 v11, -1, v5
	v_add_u32_e32 v13, 1, v5
	v_fma_f32 v14, -v11, v5, v4
	v_fma_f32 v15, -v13, v5, v4
	v_cmp_ge_f32_e64 s[6:7], 0, v14
	s_nop 1
	v_cndmask_b32_e64 v5, v5, v11, s[6:7]
	v_cmp_lt_f32_e64 s[6:7], 0, v15
	s_nop 1
	v_cndmask_b32_e64 v5, v5, v13, s[6:7]
	v_mul_f32_e32 v11, 0x37800000, v5
	v_cndmask_b32_e64 v5, v5, v11, s[4:5]
	v_cmp_class_f32_e64 s[4:5], v4, v3
	s_nop 1
	v_cndmask_b32_e64 v3, v5, v4, s[4:5]
	s_cbranch_vccnz .LBB203_12
; %bb.11:
	global_load_dword v4, v10, s[22:23] offset:12
	s_waitcnt vmcnt(0)
	v_add_f32_e32 v3, v3, v4
.LBB203_12:
	v_cvt_f32_f16_e32 v4, v6
	v_mov_b32_e32 v11, 0x4f800000
	s_mov_b32 s7, 0x3f317217
	s_movk_i32 s6, 0x4d00
	v_mul_f32_e32 v5, 0x3fb8aa3b, v4
	v_exp_f32_e32 v5, v5
	s_nop 0
	v_add_f32_e32 v5, 1.0, v5
	v_cmp_gt_f32_e32 vcc, s8, v5
	s_nop 1
	v_cndmask_b32_e32 v13, 1.0, v11, vcc
	v_mul_f32_e32 v5, v5, v13
	v_log_f32_e32 v5, v5
	v_mov_b32_e32 v13, 0x41b17218
	v_cndmask_b32_e32 v14, 0, v13, vcc
	v_mul_f32_e32 v15, 0x3f317217, v5
	v_fma_f32 v15, v5, s7, -v15
	v_fmac_f32_e32 v15, 0x3377d1cf, v5
	v_fmac_f32_e32 v15, 0x3f317217, v5
	v_cmp_lt_f32_e64 vcc, |v5|, s9
	s_nop 1
	v_cndmask_b32_e32 v5, v5, v15, vcc
	v_sub_f32_e32 v5, v5, v14
	v_cmp_lt_f16_e32 vcc, s6, v6
	s_nop 1
	v_cndmask_b32_e32 v4, v5, v4, vcc
	v_mul_f32_e32 v5, 0x4f800000, v4
	v_cmp_gt_f32_e32 vcc, s10, v4
	s_nop 1
	v_cndmask_b32_e32 v4, v4, v5, vcc
	v_sqrt_f32_e32 v5, v4
	s_nop 0
	v_add_u32_e32 v14, -1, v5
	v_fma_f32 v15, -v14, v5, v4
	v_cmp_ge_f32_e64 s[4:5], 0, v15
	v_add_u32_e32 v15, 1, v5
	s_nop 0
	v_cndmask_b32_e64 v14, v5, v14, s[4:5]
	v_fma_f32 v5, -v15, v5, v4
	v_cmp_lt_f32_e64 s[4:5], 0, v5
	s_nop 1
	v_cndmask_b32_e64 v5, v14, v15, s[4:5]
	v_mul_f32_e32 v14, 0x37800000, v5
	v_cndmask_b32_e32 v14, v5, v14, vcc
	v_mov_b32_e32 v5, 0x260
	v_cmp_class_f32_e64 s[4:5], v4, v5
	s_and_b64 vcc, exec, s[2:3]
	s_nop 0
	v_cndmask_b32_e64 v4, v14, v4, s[4:5]
	s_cbranch_vccnz .LBB203_14
; %bb.13:
	global_load_dword v14, v10, s[22:23] offset:16
	s_waitcnt vmcnt(0)
	v_add_f32_e32 v4, v4, v14
.LBB203_14:
	v_cvt_f32_f16_sdwa v14, v6 dst_sel:DWORD dst_unused:UNUSED_PAD src0_sel:WORD_1
	v_mul_f32_e32 v15, 0x3fb8aa3b, v14
	v_exp_f32_e32 v15, v15
	s_nop 0
	v_add_f32_e32 v15, 1.0, v15
	v_cmp_gt_f32_e32 vcc, s8, v15
	s_nop 1
	v_cndmask_b32_e32 v11, 1.0, v11, vcc
	v_mul_f32_e32 v11, v15, v11
	v_log_f32_e32 v11, v11
	v_cndmask_b32_e32 v13, 0, v13, vcc
	v_mul_f32_e32 v15, 0x3f317217, v11
	v_fma_f32 v15, v11, s7, -v15
	v_fmac_f32_e32 v15, 0x3377d1cf, v11
	v_fmac_f32_e32 v15, 0x3f317217, v11
	v_cmp_lt_f32_e64 vcc, |v11|, s9
	s_nop 1
	v_cndmask_b32_e32 v11, v11, v15, vcc
	v_sub_f32_e32 v11, v11, v13
	v_cmp_gt_f16_sdwa vcc, v6, s6 src0_sel:WORD_1 src1_sel:DWORD
	s_nop 1
	v_cndmask_b32_e32 v6, v11, v14, vcc
	v_mul_f32_e32 v11, 0x4f800000, v6
	v_cmp_gt_f32_e64 s[4:5], s10, v6
	s_and_b64 vcc, exec, s[2:3]
	s_nop 0
	v_cndmask_b32_e64 v6, v6, v11, s[4:5]
	v_sqrt_f32_e32 v11, v6
	s_nop 0
	v_add_u32_e32 v13, -1, v11
	v_add_u32_e32 v14, 1, v11
	v_fma_f32 v15, -v13, v11, v6
	v_fma_f32 v16, -v14, v11, v6
	v_cmp_ge_f32_e64 s[6:7], 0, v15
	s_nop 1
	v_cndmask_b32_e64 v11, v11, v13, s[6:7]
	v_cmp_lt_f32_e64 s[6:7], 0, v16
	s_nop 1
	v_cndmask_b32_e64 v11, v11, v14, s[6:7]
	v_mul_f32_e32 v13, 0x37800000, v11
	v_cndmask_b32_e64 v11, v11, v13, s[4:5]
	v_cmp_class_f32_e64 s[4:5], v6, v5
	s_nop 1
	v_cndmask_b32_e64 v5, v11, v6, s[4:5]
	s_cbranch_vccnz .LBB203_16
; %bb.15:
	global_load_dword v6, v10, s[22:23] offset:20
	s_waitcnt vmcnt(0)
	v_add_f32_e32 v5, v5, v6
.LBB203_16:
	v_cvt_f32_f16_e32 v6, v7
	v_mov_b32_e32 v13, 0x4f800000
	s_mov_b32 s7, 0x3f317217
	s_movk_i32 s6, 0x4d00
	v_mul_f32_e32 v11, 0x3fb8aa3b, v6
	v_exp_f32_e32 v11, v11
	s_nop 0
	v_add_f32_e32 v11, 1.0, v11
	v_cmp_gt_f32_e32 vcc, s8, v11
	s_nop 1
	v_cndmask_b32_e32 v14, 1.0, v13, vcc
	v_mul_f32_e32 v11, v11, v14
	v_log_f32_e32 v11, v11
	v_mov_b32_e32 v14, 0x41b17218
	v_cndmask_b32_e32 v15, 0, v14, vcc
	v_mul_f32_e32 v16, 0x3f317217, v11
	v_fma_f32 v16, v11, s7, -v16
	v_fmac_f32_e32 v16, 0x3377d1cf, v11
	v_fmac_f32_e32 v16, 0x3f317217, v11
	v_cmp_lt_f32_e64 vcc, |v11|, s9
	s_nop 1
	v_cndmask_b32_e32 v11, v11, v16, vcc
	v_sub_f32_e32 v11, v11, v15
	v_cmp_lt_f16_e32 vcc, s6, v7
	s_nop 1
	v_cndmask_b32_e32 v6, v11, v6, vcc
	v_mul_f32_e32 v11, 0x4f800000, v6
	v_cmp_gt_f32_e32 vcc, s10, v6
	s_nop 1
	v_cndmask_b32_e32 v6, v6, v11, vcc
	v_sqrt_f32_e32 v11, v6
	s_nop 0
	v_add_u32_e32 v15, -1, v11
	v_fma_f32 v16, -v15, v11, v6
	v_cmp_ge_f32_e64 s[4:5], 0, v16
	v_add_u32_e32 v16, 1, v11
	s_nop 0
	v_cndmask_b32_e64 v15, v11, v15, s[4:5]
	v_fma_f32 v11, -v16, v11, v6
	v_cmp_lt_f32_e64 s[4:5], 0, v11
	s_nop 1
	v_cndmask_b32_e64 v11, v15, v16, s[4:5]
	v_mul_f32_e32 v15, 0x37800000, v11
	v_cndmask_b32_e32 v15, v11, v15, vcc
	v_mov_b32_e32 v11, 0x260
	v_cmp_class_f32_e64 s[4:5], v6, v11
	s_and_b64 vcc, exec, s[2:3]
	s_nop 0
	v_cndmask_b32_e64 v6, v15, v6, s[4:5]
	s_cbranch_vccnz .LBB203_18
; %bb.17:
	global_load_dword v15, v10, s[22:23] offset:24
	s_waitcnt vmcnt(0)
	v_add_f32_e32 v6, v6, v15
.LBB203_18:
	v_cvt_f32_f16_sdwa v15, v7 dst_sel:DWORD dst_unused:UNUSED_PAD src0_sel:WORD_1
	v_mul_f32_e32 v16, 0x3fb8aa3b, v15
	v_exp_f32_e32 v16, v16
	s_nop 0
	v_add_f32_e32 v16, 1.0, v16
	v_cmp_gt_f32_e32 vcc, s8, v16
	s_nop 1
	v_cndmask_b32_e32 v13, 1.0, v13, vcc
	v_mul_f32_e32 v13, v16, v13
	v_log_f32_e32 v13, v13
	v_cndmask_b32_e32 v14, 0, v14, vcc
	v_mul_f32_e32 v16, 0x3f317217, v13
	v_fma_f32 v16, v13, s7, -v16
	v_fmac_f32_e32 v16, 0x3377d1cf, v13
	v_fmac_f32_e32 v16, 0x3f317217, v13
	v_cmp_lt_f32_e64 vcc, |v13|, s9
	s_nop 1
	v_cndmask_b32_e32 v13, v13, v16, vcc
	v_sub_f32_e32 v13, v13, v14
	v_cmp_gt_f16_sdwa vcc, v7, s6 src0_sel:WORD_1 src1_sel:DWORD
	s_nop 1
	v_cndmask_b32_e32 v7, v13, v15, vcc
	v_mul_f32_e32 v13, 0x4f800000, v7
	v_cmp_gt_f32_e64 s[4:5], s10, v7
	s_and_b64 vcc, exec, s[2:3]
	s_nop 0
	v_cndmask_b32_e64 v7, v7, v13, s[4:5]
	v_sqrt_f32_e32 v13, v7
	s_nop 0
	v_add_u32_e32 v14, -1, v13
	v_add_u32_e32 v15, 1, v13
	v_fma_f32 v16, -v14, v13, v7
	v_fma_f32 v17, -v15, v13, v7
	v_cmp_ge_f32_e64 s[6:7], 0, v16
	s_nop 1
	v_cndmask_b32_e64 v13, v13, v14, s[6:7]
	v_cmp_lt_f32_e64 s[6:7], 0, v17
	s_nop 1
	v_cndmask_b32_e64 v13, v13, v15, s[6:7]
	v_mul_f32_e32 v14, 0x37800000, v13
	v_cndmask_b32_e64 v13, v13, v14, s[4:5]
	v_cmp_class_f32_e64 s[4:5], v7, v11
	s_nop 1
	v_cndmask_b32_e64 v7, v13, v7, s[4:5]
	s_cbranch_vccnz .LBB203_20
; %bb.19:
	global_load_dword v10, v10, s[22:23] offset:28
	s_waitcnt vmcnt(0)
	v_add_f32_e32 v7, v7, v10
.LBB203_20:
	s_load_dwordx4 s[24:27], s[0:1], 0x30
	s_mov_b32 s42, 0
	v_cmp_eq_u32_e64 s[6:7], 0, v9
	s_waitcnt lgkmcnt(0)
	s_bitcmp1_b32 s27, 0
	s_cselect_b64 s[4:5], -1, 0
	s_cmp_gt_i32 s24, 0
	s_cselect_b64 s[38:39], -1, 0
	s_and_b64 vcc, exec, s[38:39]
	s_cbranch_vccz .LBB203_39
; %bb.21:
	v_mbcnt_lo_u32_b32 v10, -1, 0
	v_mbcnt_hi_u32_b32 v10, -1, v10
	v_and_b32_e32 v11, 0x7c, v10
	v_add_u32_e32 v11, 4, v11
	v_xor_b32_e32 v13, 2, v10
	v_cmp_lt_i32_e32 vcc, v13, v11
	s_load_dwordx4 s[28:31], s[0:1], 0x20
	v_mul_lo_u32 v14, v8, s24
	v_cndmask_b32_e32 v13, v10, v13, vcc
	v_lshlrev_b32_e32 v15, 2, v13
	v_xor_b32_e32 v13, 1, v10
	v_cmp_lt_i32_e32 vcc, v13, v11
	v_mov_b32_e32 v17, 0xc61c4000
	v_mov_b32_e32 v18, v8
	v_cndmask_b32_e32 v10, v10, v13, vcc
	v_lshlrev_b32_e32 v16, 2, v10
	v_mov_b32_e32 v13, 0
	s_branch .LBB203_24
.LBB203_22:                             ;   in Loop: Header=BB203_24 Depth=1
	s_or_b64 exec, exec, s[40:41]
.LBB203_23:                             ;   in Loop: Header=BB203_24 Depth=1
	s_cmp_eq_u32 s24, s42
	v_add_u32_e32 v18, s33, v18
	s_cbranch_scc1 .LBB203_40
.LBB203_24:                             ; =>This Inner Loop Header: Depth=1
	v_cmp_gt_f32_e32 vcc, v1, v0
	s_nop 1
	v_cndmask_b32_e32 v11, v0, v1, vcc
	v_cndmask_b32_e64 v10, 0, 1, vcc
	v_cmp_gt_f32_e32 vcc, v2, v11
	s_nop 1
	v_cndmask_b32_e32 v11, v11, v2, vcc
	v_cndmask_b32_e64 v10, v10, 2, vcc
	;; [unrolled: 4-line block ×6, first 2 shown]
	v_cmp_gt_f32_e32 vcc, v7, v11
	s_nop 1
	v_cndmask_b32_e64 v10, v10, 7, vcc
	v_cndmask_b32_e32 v19, v11, v7, vcc
	ds_bpermute_b32 v11, v15, v19
	v_or_b32_e32 v10, v12, v10
	s_waitcnt lgkmcnt(0)
	ds_bpermute_b32 v20, v15, v10
	s_waitcnt lgkmcnt(0)
	v_cmp_lt_f32_e64 s[8:9], v19, v11
	v_cmp_nlt_f32_e32 vcc, v19, v11
	s_and_saveexec_b64 s[10:11], vcc
; %bb.25:                               ;   in Loop: Header=BB203_24 Depth=1
	v_cmp_eq_f32_e32 vcc, v19, v11
	v_cmp_lt_i32_e64 s[0:1], v20, v10
	s_and_b64 s[0:1], vcc, s[0:1]
	s_andn2_b64 s[8:9], s[8:9], exec
	s_and_b64 s[0:1], s[0:1], exec
	s_or_b64 s[8:9], s[8:9], s[0:1]
; %bb.26:                               ;   in Loop: Header=BB203_24 Depth=1
	s_or_b64 exec, exec, s[10:11]
	s_and_saveexec_b64 s[0:1], s[8:9]
; %bb.27:                               ;   in Loop: Header=BB203_24 Depth=1
	v_mov_b32_e32 v19, v11
	v_mov_b32_e32 v10, v20
; %bb.28:                               ;   in Loop: Header=BB203_24 Depth=1
	s_or_b64 exec, exec, s[0:1]
	ds_bpermute_b32 v11, v16, v19
	ds_bpermute_b32 v20, v16, v10
	s_waitcnt lgkmcnt(1)
	v_cmp_lt_f32_e64 s[8:9], v19, v11
	v_cmp_nlt_f32_e32 vcc, v19, v11
	s_and_saveexec_b64 s[10:11], vcc
	s_cbranch_execnz .LBB203_32
; %bb.29:                               ;   in Loop: Header=BB203_24 Depth=1
	s_or_b64 exec, exec, s[10:11]
	s_and_saveexec_b64 s[0:1], s[8:9]
	s_cbranch_execnz .LBB203_33
.LBB203_30:                             ;   in Loop: Header=BB203_24 Depth=1
	s_or_b64 exec, exec, s[0:1]
	s_and_saveexec_b64 s[8:9], s[6:7]
	s_cbranch_execnz .LBB203_34
.LBB203_31:                             ;   in Loop: Header=BB203_24 Depth=1
	s_or_b64 exec, exec, s[8:9]
	s_add_i32 s42, s42, 1
	s_cmp_ge_i32 s42, s24
	s_cbranch_scc1 .LBB203_23
	s_branch .LBB203_37
.LBB203_32:                             ;   in Loop: Header=BB203_24 Depth=1
	v_cmp_eq_f32_e32 vcc, v19, v11
	s_waitcnt lgkmcnt(0)
	v_cmp_lt_i32_e64 s[0:1], v20, v10
	s_and_b64 s[0:1], vcc, s[0:1]
	s_andn2_b64 s[8:9], s[8:9], exec
	s_and_b64 s[0:1], s[0:1], exec
	s_or_b64 s[8:9], s[8:9], s[0:1]
	s_or_b64 exec, exec, s[10:11]
	s_and_saveexec_b64 s[0:1], s[8:9]
	s_cbranch_execz .LBB203_30
.LBB203_33:                             ;   in Loop: Header=BB203_24 Depth=1
	s_waitcnt lgkmcnt(0)
	v_mov_b32_e32 v10, v20
	v_mov_b32_e32 v19, v11
	s_or_b64 exec, exec, s[0:1]
	s_and_saveexec_b64 s[8:9], s[6:7]
	s_cbranch_execz .LBB203_31
.LBB203_34:                             ;   in Loop: Header=BB203_24 Depth=1
	s_and_b64 vcc, exec, s[2:3]
	s_cbranch_vccnz .LBB203_36
; %bb.35:                               ;   in Loop: Header=BB203_24 Depth=1
	v_ashrrev_i32_e32 v11, 31, v10
	s_waitcnt lgkmcnt(0)
	v_lshl_add_u64 v[20:21], v[10:11], 2, s[22:23]
	global_load_dword v11, v[20:21], off
	s_waitcnt vmcnt(0)
	v_sub_f32_e32 v19, v19, v11
.LBB203_36:                             ;   in Loop: Header=BB203_24 Depth=1
	s_waitcnt lgkmcnt(0)
	v_add_u32_e32 v20, s42, v14
	v_cmp_le_i32_e32 vcc, s25, v10
	v_cmp_gt_i32_e64 s[0:1], s26, v10
	v_ashrrev_i32_e32 v21, 31, v20
	s_and_b64 s[0:1], vcc, s[0:1]
	v_lshlrev_b64 v[20:21], 2, v[20:21]
	v_lshl_add_u64 v[22:23], s[34:35], 0, v[20:21]
	v_subrev_u32_e32 v11, s25, v10
	s_and_b64 vcc, s[36:37], s[0:1]
	global_store_dword v[22:23], v19, off
	v_cndmask_b32_e32 v11, 32, v11, vcc
	v_lshl_add_u64 v[22:23], s[28:29], 0, v[20:21]
	global_store_dword v[22:23], v11, off
	v_add_f32_e32 v11, v13, v19
	v_lshl_add_u64 v[20:21], s[30:31], 0, v[20:21]
	v_cndmask_b32_e64 v13, v13, v11, s[4:5]
	global_store_dword v[20:21], v18, off
	s_or_b64 exec, exec, s[8:9]
	s_add_i32 s42, s42, 1
	s_cmp_ge_i32 s42, s24
	s_cbranch_scc1 .LBB203_23
.LBB203_37:                             ;   in Loop: Header=BB203_24 Depth=1
	v_ashrrev_i32_e32 v19, 31, v10
	v_lshrrev_b32_e32 v11, 29, v19
	v_add_u32_e32 v11, v10, v11
	v_ashrrev_i32_e32 v11, 3, v11
	s_waitcnt lgkmcnt(0)
	v_lshrrev_b32_e32 v20, 30, v11
	v_add_u32_e32 v20, v11, v20
	v_and_b32_e32 v20, -4, v20
	v_sub_u32_e32 v20, v11, v20
	v_cmp_eq_u32_e32 vcc, v9, v20
	s_and_saveexec_b64 s[40:41], vcc
	s_cbranch_execz .LBB203_22
; %bb.38:                               ;   in Loop: Header=BB203_24 Depth=1
	v_lshrrev_b32_e32 v19, 27, v19
	v_add_u32_e32 v19, v10, v19
	v_lshlrev_b32_e32 v11, 3, v11
	v_sub_u32_e32 v10, v10, v11
	v_ashrrev_i32_e32 v11, 5, v19
	v_lshl_add_u32 v10, v11, 3, v10
	v_cmp_ne_u32_e32 vcc, 6, v10
	v_cmp_ne_u32_e64 s[0:1], 5, v10
	v_cmp_ne_u32_e64 s[8:9], 4, v10
	;; [unrolled: 1-line block ×7, first 2 shown]
	v_cndmask_b32_e32 v6, v17, v6, vcc
	v_cndmask_b32_e64 v5, v17, v5, s[0:1]
	v_cndmask_b32_e64 v7, v17, v7, s[18:19]
	;; [unrolled: 1-line block ×7, first 2 shown]
	s_branch .LBB203_22
.LBB203_39:
	v_mov_b32_e32 v13, 0
.LBB203_40:
	v_cmp_eq_u32_e32 vcc, 0, v9
	s_and_b64 exec, exec, vcc
	s_cbranch_execz .LBB203_53
; %bb.41:
	s_andn2_b64 vcc, exec, s[4:5]
	v_cvt_f32_f64_e32 v0, s[20:21]
	s_cbranch_vccnz .LBB203_43
; %bb.42:
	v_cmp_lt_f32_e32 vcc, 0, v13
	s_nop 1
	v_cndmask_b32_e32 v1, 1.0, v13, vcc
	v_div_scale_f32 v2, s[0:1], v1, v1, v0
	v_rcp_f32_e32 v3, v2
	s_nop 0
	v_fma_f32 v4, -v2, v3, 1.0
	v_fmac_f32_e32 v3, v4, v3
	v_div_scale_f32 v4, vcc, v0, v1, v0
	v_mul_f32_e32 v5, v4, v3
	v_fma_f32 v6, -v2, v5, v4
	v_fmac_f32_e32 v5, v6, v3
	v_fma_f32 v2, -v2, v5, v4
	v_div_fmas_f32 v2, v2, v3, v5
	v_div_fixup_f32 v0, v2, v1, v0
.LBB203_43:
	s_andn2_b64 vcc, exec, s[38:39]
	s_cbranch_vccnz .LBB203_53
; %bb.44:
	v_mul_lo_u32 v2, v8, s24
	s_cmp_gt_u32 s24, 3
	v_ashrrev_i32_e32 v3, 31, v2
	s_cbranch_scc0 .LBB203_48
; %bb.45:
	s_and_b32 s0, s24, 0x7ffffffc
	v_lshl_add_u64 v[4:5], v[2:3], 2, s[34:35]
	v_mov_b32_e32 v1, v0
	v_lshl_add_u64 v[4:5], v[4:5], 0, 8
	s_mov_b32 s1, s0
.LBB203_46:                             ; =>This Inner Loop Header: Depth=1
	global_load_dwordx4 v[6:9], v[4:5], off offset:-8
	s_add_i32 s1, s1, -4
	s_cmp_lg_u32 s1, 0
	s_waitcnt vmcnt(0)
	v_pk_mul_f32 v[6:7], v[0:1], v[6:7]
	v_pk_mul_f32 v[8:9], v[0:1], v[8:9]
	global_store_dwordx4 v[4:5], v[6:9], off offset:-8
	v_lshl_add_u64 v[4:5], v[4:5], 0, 16
	s_cbranch_scc1 .LBB203_46
; %bb.47:
	s_cmp_lg_u32 s0, s24
	s_cselect_b64 s[2:3], -1, 0
	s_branch .LBB203_50
.LBB203_48:
	s_mov_b64 s[2:3], 0
                                        ; implicit-def: $sgpr0
	s_cbranch_execz .LBB203_50
; %bb.49:
	s_mov_b64 s[2:3], -1
	s_mov_b32 s0, 0
.LBB203_50:
	s_andn2_b64 vcc, exec, s[2:3]
	s_cbranch_vccnz .LBB203_53
; %bb.51:
	s_mov_b32 s1, 0
	v_lshl_add_u64 v[2:3], v[2:3], 0, s[0:1]
	s_sub_i32 s2, s24, s0
	v_lshl_add_u64 v[2:3], v[2:3], 2, s[34:35]
.LBB203_52:                             ; =>This Inner Loop Header: Depth=1
	global_load_dword v1, v[2:3], off
	s_add_i32 s2, s2, -1
	s_cmp_lg_u32 s2, 0
	s_waitcnt vmcnt(0)
	v_mul_f32_e32 v1, v0, v1
	global_store_dword v[2:3], v1, off
	v_lshl_add_u64 v[2:3], v[2:3], 0, 4
	s_cbranch_scc1 .LBB203_52
.LBB203_53:
	s_endpgm
	.section	.rodata,"a",@progbits
	.p2align	6, 0x0
	.amdhsa_kernel _ZN4vllm3moe22topkGatingSoftplusSqrtILi8ELi32ELi4ELi16ELi32ELb0Ei6__halfEEvPKT6_PKbPfiPT5_PiiiibdPKfPKS9_SF_
		.amdhsa_group_segment_fixed_size 0
		.amdhsa_private_segment_fixed_size 0
		.amdhsa_kernarg_size 96
		.amdhsa_user_sgpr_count 2
		.amdhsa_user_sgpr_dispatch_ptr 0
		.amdhsa_user_sgpr_queue_ptr 0
		.amdhsa_user_sgpr_kernarg_segment_ptr 1
		.amdhsa_user_sgpr_dispatch_id 0
		.amdhsa_user_sgpr_kernarg_preload_length 0
		.amdhsa_user_sgpr_kernarg_preload_offset 0
		.amdhsa_user_sgpr_private_segment_size 0
		.amdhsa_uses_dynamic_stack 0
		.amdhsa_enable_private_segment 0
		.amdhsa_system_sgpr_workgroup_id_x 1
		.amdhsa_system_sgpr_workgroup_id_y 0
		.amdhsa_system_sgpr_workgroup_id_z 0
		.amdhsa_system_sgpr_workgroup_info 0
		.amdhsa_system_vgpr_workitem_id 1
		.amdhsa_next_free_vgpr 24
		.amdhsa_next_free_sgpr 43
		.amdhsa_accum_offset 24
		.amdhsa_reserve_vcc 1
		.amdhsa_float_round_mode_32 0
		.amdhsa_float_round_mode_16_64 0
		.amdhsa_float_denorm_mode_32 3
		.amdhsa_float_denorm_mode_16_64 3
		.amdhsa_dx10_clamp 1
		.amdhsa_ieee_mode 1
		.amdhsa_fp16_overflow 0
		.amdhsa_tg_split 0
		.amdhsa_exception_fp_ieee_invalid_op 0
		.amdhsa_exception_fp_denorm_src 0
		.amdhsa_exception_fp_ieee_div_zero 0
		.amdhsa_exception_fp_ieee_overflow 0
		.amdhsa_exception_fp_ieee_underflow 0
		.amdhsa_exception_fp_ieee_inexact 0
		.amdhsa_exception_int_div_zero 0
	.end_amdhsa_kernel
	.section	.text._ZN4vllm3moe22topkGatingSoftplusSqrtILi8ELi32ELi4ELi16ELi32ELb0Ei6__halfEEvPKT6_PKbPfiPT5_PiiiibdPKfPKS9_SF_,"axG",@progbits,_ZN4vllm3moe22topkGatingSoftplusSqrtILi8ELi32ELi4ELi16ELi32ELb0Ei6__halfEEvPKT6_PKbPfiPT5_PiiiibdPKfPKS9_SF_,comdat
.Lfunc_end203:
	.size	_ZN4vllm3moe22topkGatingSoftplusSqrtILi8ELi32ELi4ELi16ELi32ELb0Ei6__halfEEvPKT6_PKbPfiPT5_PiiiibdPKfPKS9_SF_, .Lfunc_end203-_ZN4vllm3moe22topkGatingSoftplusSqrtILi8ELi32ELi4ELi16ELi32ELb0Ei6__halfEEvPKT6_PKbPfiPT5_PiiiibdPKfPKS9_SF_
                                        ; -- End function
	.section	.AMDGPU.csdata,"",@progbits
; Kernel info:
; codeLenInByte = 3820
; NumSgprs: 49
; NumVgprs: 24
; NumAgprs: 0
; TotalNumVgprs: 24
; ScratchSize: 0
; MemoryBound: 0
; FloatMode: 240
; IeeeMode: 1
; LDSByteSize: 0 bytes/workgroup (compile time only)
; SGPRBlocks: 6
; VGPRBlocks: 2
; NumSGPRsForWavesPerEU: 49
; NumVGPRsForWavesPerEU: 24
; AccumOffset: 24
; Occupancy: 8
; WaveLimiterHint : 0
; COMPUTE_PGM_RSRC2:SCRATCH_EN: 0
; COMPUTE_PGM_RSRC2:USER_SGPR: 2
; COMPUTE_PGM_RSRC2:TRAP_HANDLER: 0
; COMPUTE_PGM_RSRC2:TGID_X_EN: 1
; COMPUTE_PGM_RSRC2:TGID_Y_EN: 0
; COMPUTE_PGM_RSRC2:TGID_Z_EN: 0
; COMPUTE_PGM_RSRC2:TIDIG_COMP_CNT: 1
; COMPUTE_PGM_RSRC3_GFX90A:ACCUM_OFFSET: 5
; COMPUTE_PGM_RSRC3_GFX90A:TG_SPLIT: 0
	.section	.text._ZN4vllm3moe22topkGatingSoftplusSqrtILi8ELi64ELi4ELi16ELi64ELb1Ei6__halfEEvPKT6_PKbPfiPT5_PiiiibdPKfPKS9_SF_,"axG",@progbits,_ZN4vllm3moe22topkGatingSoftplusSqrtILi8ELi64ELi4ELi16ELi64ELb1Ei6__halfEEvPKT6_PKbPfiPT5_PiiiibdPKfPKS9_SF_,comdat
	.protected	_ZN4vllm3moe22topkGatingSoftplusSqrtILi8ELi64ELi4ELi16ELi64ELb1Ei6__halfEEvPKT6_PKbPfiPT5_PiiiibdPKfPKS9_SF_ ; -- Begin function _ZN4vllm3moe22topkGatingSoftplusSqrtILi8ELi64ELi4ELi16ELi64ELb1Ei6__halfEEvPKT6_PKbPfiPT5_PiiiibdPKfPKS9_SF_
	.globl	_ZN4vllm3moe22topkGatingSoftplusSqrtILi8ELi64ELi4ELi16ELi64ELb1Ei6__halfEEvPKT6_PKbPfiPT5_PiiiibdPKfPKS9_SF_
	.p2align	8
	.type	_ZN4vllm3moe22topkGatingSoftplusSqrtILi8ELi64ELi4ELi16ELi64ELb1Ei6__halfEEvPKT6_PKbPfiPT5_PiiiibdPKfPKS9_SF_,@function
_ZN4vllm3moe22topkGatingSoftplusSqrtILi8ELi64ELi4ELi16ELi64ELb1Ei6__halfEEvPKT6_PKbPfiPT5_PiiiibdPKfPKS9_SF_: ; @_ZN4vllm3moe22topkGatingSoftplusSqrtILi8ELi64ELi4ELi16ELi64ELb1Ei6__halfEEvPKT6_PKbPfiPT5_PiiiibdPKfPKS9_SF_
; %bb.0:
	s_load_dword s3, s[0:1], 0x18
	v_bfe_u32 v1, v0, 10, 10
	v_and_b32_e32 v11, 0x3ff, v0
	s_lshl_b32 s2, s2, 5
	v_lshlrev_b32_e32 v1, 3, v1
	v_lshrrev_b32_e32 v0, 3, v11
	v_add3_u32 v6, s2, v1, v0
	s_waitcnt lgkmcnt(0)
	v_cmp_gt_i32_e32 vcc, s3, v6
	s_and_saveexec_b64 s[2:3], vcc
	s_cbranch_execz .LBB204_31
; %bb.1:
	s_load_dwordx2 s[2:3], s[0:1], 0x0
	s_load_dword s33, s[0:1], 0x30
	v_lshlrev_b32_e32 v0, 6, v6
	v_lshlrev_b32_e32 v2, 3, v11
	v_ashrrev_i32_e32 v1, 31, v0
	v_and_b32_e32 v10, 56, v2
	s_waitcnt lgkmcnt(0)
	v_lshl_add_u64 v[0:1], v[0:1], 1, s[2:3]
	v_lshlrev_b32_e32 v4, 1, v10
	v_mov_b32_e32 v5, 0
	v_lshl_add_u64 v[0:1], v[0:1], 0, v[4:5]
	global_load_dwordx4 v[0:3], v[0:1], off
	s_load_dwordx4 s[8:11], s[0:1], 0x50
	v_ashrrev_i32_e32 v7, 31, v6
	s_mov_b32 s15, 0x800000
	s_mov_b32 s13, 0x3f317217
	;; [unrolled: 1-line block ×3, first 2 shown]
	s_waitcnt lgkmcnt(0)
	v_mov_b32_e32 v8, s8
	v_mov_b32_e32 v9, s9
	v_lshl_add_u64 v[8:9], v[6:7], 2, v[8:9]
	global_load_dword v4, v[8:9], off
	v_mov_b32_e32 v7, 0x4f800000
	v_mov_b32_e32 v16, 0x41b17218
	s_movk_i32 s9, 0x4d00
	s_mov_b32 s12, 0xf800000
	v_mov_b32_e32 v17, 0x260
	s_cmp_gt_i32 s33, 0
	s_mov_b32 s8, 0
	s_waitcnt vmcnt(1)
	v_cvt_f32_f16_e32 v18, v0
	v_cvt_f32_f16_sdwa v19, v0 dst_sel:DWORD dst_unused:UNUSED_PAD src0_sel:WORD_1
	v_cvt_f32_f16_e32 v20, v1
	v_cvt_f32_f16_sdwa v21, v1 dst_sel:DWORD dst_unused:UNUSED_PAD src0_sel:WORD_1
	v_mul_f32_e32 v8, 0x3fb8aa3b, v18
	v_mul_f32_e32 v9, 0x3fb8aa3b, v19
	v_exp_f32_e32 v12, v8
	v_exp_f32_e32 v13, v9
	v_mul_f32_e32 v14, 0x3fb8aa3b, v20
	v_mul_f32_e32 v15, 0x3fb8aa3b, v21
	v_exp_f32_e32 v14, v14
	v_exp_f32_e32 v15, v15
	v_pk_add_f32 v[12:13], v[12:13], 1.0 op_sel_hi:[1,0]
	s_waitcnt vmcnt(0)
	v_mul_lo_u32 v8, v4, s33
	v_cmp_gt_f32_e32 vcc, s15, v13
	v_pk_add_f32 v[14:15], v[14:15], 1.0 op_sel_hi:[1,0]
	v_cmp_gt_f32_e64 s[2:3], s15, v12
	v_cndmask_b32_e32 v4, 1.0, v7, vcc
	v_cmp_gt_f32_e64 s[4:5], s15, v15
	v_cndmask_b32_e64 v22, 1.0, v7, s[2:3]
	v_mul_f32_e32 v4, v13, v4
	v_cndmask_b32_e64 v23, 1.0, v7, s[4:5]
	v_mul_f32_e32 v12, v12, v22
	v_log_f32_e32 v4, v4
	v_mul_f32_e32 v15, v15, v23
	v_log_f32_e32 v12, v12
	v_cmp_gt_f32_e64 s[6:7], s15, v14
	v_log_f32_e32 v15, v15
	v_cndmask_b32_e32 v13, 0, v16, vcc
	v_cndmask_b32_e64 v24, 1.0, v7, s[6:7]
	v_mul_f32_e32 v14, v14, v24
	v_mul_f32_e32 v24, 0x3f317217, v4
	;; [unrolled: 1-line block ×3, first 2 shown]
	v_fma_f32 v24, v4, s13, -v24
	v_mul_f32_e32 v26, 0x3f317217, v15
	v_fma_f32 v25, v12, s13, -v25
	v_fmac_f32_e32 v24, 0x3377d1cf, v4
	v_fma_f32 v26, v15, s13, -v26
	v_fmac_f32_e32 v25, 0x3377d1cf, v12
	v_fmac_f32_e32 v24, 0x3f317217, v4
	v_cmp_lt_f32_e64 vcc, |v4|, s14
	v_fmac_f32_e32 v26, 0x3377d1cf, v15
	v_fmac_f32_e32 v25, 0x3f317217, v12
	v_cndmask_b32_e32 v4, v4, v24, vcc
	v_cmp_lt_f32_e64 vcc, |v12|, s14
	v_cndmask_b32_e64 v22, 0, v16, s[2:3]
	v_fmac_f32_e32 v26, 0x3f317217, v15
	v_cndmask_b32_e32 v12, v12, v25, vcc
	v_cmp_lt_f32_e64 vcc, |v15|, s14
	v_sub_f32_e32 v12, v12, v22
	v_sub_f32_e32 v4, v4, v13
	v_cndmask_b32_e32 v15, v15, v26, vcc
	v_cmp_lt_f16_e32 vcc, s9, v0
	v_cndmask_b32_e64 v23, 0, v16, s[4:5]
	v_log_f32_e32 v14, v14
	v_cndmask_b32_e32 v12, v12, v18, vcc
	v_cmp_gt_f16_sdwa vcc, v0, s9 src0_sel:WORD_1 src1_sel:DWORD
	v_mul_f32_e32 v13, 0x4f800000, v12
	v_cmp_gt_f32_e64 s[2:3], s12, v12
	v_cndmask_b32_e32 v0, v4, v19, vcc
	v_mul_f32_e32 v4, 0x4f800000, v0
	v_cmp_gt_f32_e32 vcc, s12, v0
	v_cndmask_b32_e64 v12, v12, v13, s[2:3]
	v_sqrt_f32_e32 v13, v12
	v_cndmask_b32_e32 v0, v0, v4, vcc
	v_sqrt_f32_e32 v4, v0
	v_sub_f32_e32 v15, v15, v23
	v_add_u32_e32 v22, -1, v13
	v_fma_f32 v26, -v22, v13, v12
	v_add_u32_e32 v18, -1, v4
	v_fma_f32 v24, -v18, v4, v0
	v_add_u32_e32 v19, 1, v4
	v_cmp_ge_f32_e64 s[4:5], 0, v24
	v_add_u32_e32 v23, 1, v13
	v_fma_f32 v25, -v19, v4, v0
	v_cndmask_b32_e64 v4, v4, v18, s[4:5]
	v_cmp_ge_f32_e64 s[4:5], 0, v26
	v_fma_f32 v28, -v23, v13, v12
	v_mul_f32_e32 v27, 0x3f317217, v14
	v_cndmask_b32_e64 v13, v13, v22, s[4:5]
	v_cmp_lt_f32_e64 s[4:5], 0, v25
	v_fma_f32 v27, v14, s13, -v27
	v_fmac_f32_e32 v27, 0x3377d1cf, v14
	v_cndmask_b32_e64 v4, v4, v19, s[4:5]
	v_cmp_lt_f32_e64 s[4:5], 0, v28
	v_mul_f32_e32 v18, 0x37800000, v4
	v_cndmask_b32_e32 v4, v4, v18, vcc
	v_cndmask_b32_e64 v13, v13, v23, s[4:5]
	v_mul_f32_e32 v19, 0x37800000, v13
	v_cmp_class_f32_e32 vcc, v0, v17
	v_cndmask_b32_e64 v18, v13, v19, s[2:3]
	v_fmac_f32_e32 v27, 0x3f317217, v14
	v_cndmask_b32_e32 v13, v4, v0, vcc
	v_cmp_class_f32_e32 vcc, v12, v17
	v_cndmask_b32_e64 v4, 0, v16, s[6:7]
	v_cmp_lt_f16_e64 s[2:3], s9, v1
	v_cndmask_b32_e32 v12, v18, v12, vcc
	v_cmp_lt_f32_e64 vcc, |v14|, s14
	v_cvt_f32_f16_e32 v19, v2
	v_ashrrev_i32_e32 v9, 31, v8
	v_cndmask_b32_e32 v0, v14, v27, vcc
	v_cmp_gt_f16_sdwa vcc, v1, s9 src0_sel:WORD_1 src1_sel:DWORD
	v_sub_f32_e32 v0, v0, v4
	v_cndmask_b32_e64 v0, v0, v20, s[2:3]
	v_cndmask_b32_e32 v14, v15, v21, vcc
	v_mul_f32_e32 v15, 0x4f800000, v14
	v_cmp_gt_f32_e32 vcc, s12, v14
	v_cvt_f32_f16_sdwa v20, v2 dst_sel:DWORD dst_unused:UNUSED_PAD src0_sel:WORD_1
	s_nop 0
	v_cndmask_b32_e32 v14, v14, v15, vcc
	v_sqrt_f32_e32 v15, v14
	s_nop 0
	v_add_u32_e32 v1, -1, v15
	v_fma_f32 v4, -v1, v15, v14
	v_cmp_ge_f32_e64 s[2:3], 0, v4
	v_add_u32_e32 v4, 1, v15
	s_nop 0
	v_cndmask_b32_e64 v1, v15, v1, s[2:3]
	v_fma_f32 v15, -v4, v15, v14
	v_cmp_lt_f32_e64 s[2:3], 0, v15
	v_mul_f32_e32 v15, 0x4f800000, v0
	s_nop 0
	v_cndmask_b32_e64 v1, v1, v4, s[2:3]
	v_cmp_gt_f32_e64 s[2:3], s12, v0
	v_mul_f32_e32 v4, 0x37800000, v1
	v_cndmask_b32_e32 v1, v1, v4, vcc
	v_cndmask_b32_e64 v18, v0, v15, s[2:3]
	v_sqrt_f32_e32 v0, v18
	v_cmp_class_f32_e32 vcc, v14, v17
	s_nop 1
	v_cndmask_b32_e32 v15, v1, v14, vcc
	v_add_u32_e32 v1, -1, v0
	v_fma_f32 v4, -v1, v0, v18
	v_cmp_ge_f32_e32 vcc, 0, v4
	v_add_u32_e32 v14, 1, v0
	v_fma_f32 v21, -v14, v0, v18
	v_cndmask_b32_e32 v4, v0, v1, vcc
	v_mul_f32_e32 v0, 0x3fb8aa3b, v19
	v_mul_f32_e32 v1, 0x3fb8aa3b, v20
	v_exp_f32_e32 v0, v0
	v_exp_f32_e32 v1, v1
	v_cmp_lt_f32_e32 vcc, 0, v21
	v_pk_add_f32 v[0:1], v[0:1], 1.0 op_sel_hi:[1,0]
	s_nop 0
	v_cndmask_b32_e32 v4, v4, v14, vcc
	v_mul_f32_e32 v14, 0x37800000, v4
	v_cmp_gt_f32_e32 vcc, s15, v1
	v_cndmask_b32_e64 v4, v4, v14, s[2:3]
	v_cmp_class_f32_e64 s[2:3], v18, v17
	v_cndmask_b32_e32 v14, 1.0, v7, vcc
	v_mul_f32_e32 v1, v1, v14
	v_log_f32_e32 v1, v1
	v_cndmask_b32_e64 v14, v4, v18, s[2:3]
	v_cmp_gt_f32_e64 s[2:3], s15, v0
	scratch_store_dwordx4 off, v[12:15], off
	v_mul_f32_e32 v4, 0x3f317217, v1
	v_fma_f32 v4, v1, s13, -v4
	v_cndmask_b32_e64 v12, 1.0, v7, s[2:3]
	v_mul_f32_e32 v0, v0, v12
	v_log_f32_e32 v0, v0
	v_fmac_f32_e32 v4, 0x3377d1cf, v1
	v_fmac_f32_e32 v4, 0x3f317217, v1
	v_cmp_lt_f32_e64 s[4:5], |v1|, s14
	v_cvt_f32_f16_sdwa v15, v3 dst_sel:DWORD dst_unused:UNUSED_PAD src0_sel:WORD_1
	v_mul_f32_e32 v13, 0x3fb8aa3b, v15
	v_cndmask_b32_e64 v1, v1, v4, s[4:5]
	v_cndmask_b32_e32 v4, 0, v16, vcc
	v_sub_f32_e32 v1, v1, v4
	v_mul_f32_e32 v4, 0x3f317217, v0
	v_fma_f32 v4, v0, s13, -v4
	v_fmac_f32_e32 v4, 0x3377d1cf, v0
	v_fmac_f32_e32 v4, 0x3f317217, v0
	v_cmp_lt_f32_e64 vcc, |v0|, s14
	v_exp_f32_e32 v13, v13
	s_nop 0
	v_cndmask_b32_e32 v0, v0, v4, vcc
	v_cmp_gt_f16_sdwa vcc, v2, s9 src0_sel:WORD_1 src1_sel:DWORD
	v_cndmask_b32_e64 v4, 0, v16, s[2:3]
	v_cmp_lt_f16_e64 s[2:3], s9, v2
	v_cndmask_b32_e32 v1, v1, v20, vcc
	v_mul_f32_e32 v12, 0x4f800000, v1
	v_cmp_gt_f32_e32 vcc, s12, v1
	v_sub_f32_e32 v0, v0, v4
	v_cndmask_b32_e64 v0, v0, v19, s[2:3]
	v_cndmask_b32_e32 v1, v1, v12, vcc
	v_sqrt_f32_e32 v12, v1
	s_nop 0
	v_add_u32_e32 v2, -1, v12
	v_fma_f32 v4, -v2, v12, v1
	v_cmp_ge_f32_e64 s[2:3], 0, v4
	v_add_u32_e32 v4, 1, v12
	s_nop 0
	v_cndmask_b32_e64 v2, v12, v2, s[2:3]
	v_fma_f32 v12, -v4, v12, v1
	v_cmp_lt_f32_e64 s[2:3], 0, v12
	v_mul_f32_e32 v12, 0x4f800000, v0
	s_nop 0
	v_cndmask_b32_e64 v2, v2, v4, s[2:3]
	v_cmp_gt_f32_e64 s[2:3], s12, v0
	v_mul_f32_e32 v4, 0x37800000, v2
	v_cndmask_b32_e32 v2, v2, v4, vcc
	v_cndmask_b32_e64 v0, v0, v12, s[2:3]
	v_sqrt_f32_e32 v12, v0
	v_cmp_class_f32_e32 vcc, v1, v17
	v_add_u32_e32 v14, 1, v12
	s_nop 0
	v_cndmask_b32_e32 v1, v2, v1, vcc
	v_add_u32_e32 v2, -1, v12
	v_fma_f32 v4, -v2, v12, v0
	v_cmp_ge_f32_e32 vcc, 0, v4
	v_cvt_f32_f16_e32 v4, v3
	v_fma_f32 v18, -v14, v12, v0
	v_cndmask_b32_e32 v2, v12, v2, vcc
	v_cmp_lt_f32_e32 vcc, 0, v18
	v_mul_f32_e32 v12, 0x3fb8aa3b, v4
	v_exp_f32_e32 v12, v12
	v_cndmask_b32_e32 v2, v2, v14, vcc
	v_mul_f32_e32 v14, 0x37800000, v2
	v_cndmask_b32_e64 v2, v2, v14, s[2:3]
	v_pk_add_f32 v[12:13], v[12:13], 1.0 op_sel_hi:[1,0]
	v_cmp_class_f32_e64 s[2:3], v0, v17
	v_cmp_gt_f32_e32 vcc, s15, v13
	s_nop 0
	v_cndmask_b32_e64 v0, v2, v0, s[2:3]
	v_cndmask_b32_e32 v18, 1.0, v7, vcc
	v_mul_f32_e32 v13, v13, v18
	v_log_f32_e32 v13, v13
	v_cmp_gt_f32_e64 s[2:3], s15, v12
	v_mul_f32_e32 v2, 0x3f317217, v13
	s_nop 0
	v_cndmask_b32_e64 v7, 1.0, v7, s[2:3]
	v_mul_f32_e32 v7, v12, v7
	v_fma_f32 v2, v13, s13, -v2
	v_log_f32_e32 v7, v7
	v_fmac_f32_e32 v2, 0x3377d1cf, v13
	v_fmac_f32_e32 v2, 0x3f317217, v13
	v_cmp_lt_f32_e64 s[4:5], |v13|, s14
	v_cndmask_b32_e32 v12, 0, v16, vcc
	v_cmp_lt_f32_e64 vcc, |v7|, s14
	v_cndmask_b32_e64 v2, v13, v2, s[4:5]
	v_sub_f32_e32 v2, v2, v12
	v_mul_f32_e32 v12, 0x3f317217, v7
	v_fma_f32 v12, v7, s13, -v12
	v_fmac_f32_e32 v12, 0x3377d1cf, v7
	v_fmac_f32_e32 v12, 0x3f317217, v7
	v_cndmask_b32_e32 v7, v7, v12, vcc
	v_cmp_gt_f16_sdwa vcc, v3, s9 src0_sel:WORD_1 src1_sel:DWORD
	v_cndmask_b32_e64 v12, 0, v16, s[2:3]
	v_sub_f32_e32 v7, v7, v12
	v_cndmask_b32_e32 v2, v2, v15, vcc
	v_mul_f32_e32 v13, 0x4f800000, v2
	v_cmp_gt_f32_e32 vcc, s12, v2
	v_cmp_lt_f16_e64 s[2:3], s9, v3
	s_cselect_b64 s[4:5], -1, 0
	v_cndmask_b32_e32 v2, v2, v13, vcc
	v_sqrt_f32_e32 v13, v2
	v_cndmask_b32_e64 v3, v7, v4, s[2:3]
	s_cmp_lt_i32 s33, 1
	v_add_u32_e32 v4, -1, v13
	v_fma_f32 v7, -v4, v13, v2
	v_cmp_ge_f32_e64 s[2:3], 0, v7
	v_add_u32_e32 v7, 1, v13
	v_fma_f32 v12, -v7, v13, v2
	v_cndmask_b32_e64 v4, v13, v4, s[2:3]
	v_cmp_lt_f32_e64 s[2:3], 0, v12
	v_mul_f32_e32 v12, 0x4f800000, v3
	s_nop 0
	v_cndmask_b32_e64 v4, v4, v7, s[2:3]
	v_cmp_gt_f32_e64 s[2:3], s12, v3
	v_mul_f32_e32 v7, 0x37800000, v4
	s_nop 0
	v_cndmask_b32_e64 v12, v3, v12, s[2:3]
	v_sqrt_f32_e32 v13, v12
	v_cndmask_b32_e32 v3, v4, v7, vcc
	v_cmp_class_f32_e32 vcc, v2, v17
	s_nop 1
	v_cndmask_b32_e32 v3, v3, v2, vcc
	v_add_u32_e32 v2, -1, v13
	v_fma_f32 v4, -v2, v13, v12
	v_cmp_ge_f32_e32 vcc, 0, v4
	v_add_u32_e32 v4, 1, v13
	v_fma_f32 v7, -v4, v13, v12
	v_cndmask_b32_e32 v2, v13, v2, vcc
	v_cmp_lt_f32_e32 vcc, 0, v7
	s_nop 1
	v_cndmask_b32_e32 v2, v2, v4, vcc
	v_mul_f32_e32 v4, 0x37800000, v2
	v_cndmask_b32_e64 v2, v2, v4, s[2:3]
	v_cmp_class_f32_e32 vcc, v12, v17
	s_nop 1
	v_cndmask_b32_e32 v2, v2, v12, vcc
	scratch_store_dwordx4 off, v[0:3], off offset:16
	s_nop 1
	v_lshl_add_u64 v[2:3], v[8:9], 2, s[10:11]
	v_mul_lo_u32 v0, v6, s33
	s_cbranch_scc1 .LBB204_28
; %bb.2:
	s_load_dwordx2 s[6:7], s[0:1], 0x20
	s_cmp_lt_u32 s33, 4
	v_and_b32_e32 v4, 7, v11
	s_cbranch_scc1 .LBB204_21
; %bb.3:
	v_lshlrev_b32_e32 v5, 3, v4
	s_mov_b32 s11, 0
	s_and_b32 s8, s33, 0x7ffffffc
	v_ashrrev_i32_e32 v1, 31, v0
	v_sub_u32_e32 v11, 0, v5
	v_mov_b32_e32 v5, 0
	s_mov_b32 s10, s11
	s_branch .LBB204_5
.LBB204_4:                              ;   in Loop: Header=BB204_5 Depth=1
	s_or_b64 exec, exec, s[12:13]
	s_add_i32 s10, s10, 4
	s_cmp_eq_u32 s10, s8
	s_cbranch_scc1 .LBB204_21
.LBB204_5:                              ; =>This Loop Header: Depth=1
                                        ;     Child Loop BB204_7 Depth 2
                                        ;     Child Loop BB204_11 Depth 2
	;; [unrolled: 1-line block ×4, first 2 shown]
	v_lshl_add_u64 v[6:7], s[10:11], 2, v[2:3]
	global_load_dword v12, v[6:7], off
	v_add_u32_e32 v8, s10, v0
	v_ashrrev_i32_e32 v9, 31, v8
	v_mov_b32_e32 v13, 0
	s_mov_b64 s[12:13], 0
	s_waitcnt lgkmcnt(0)
	v_lshl_add_u64 v[8:9], v[8:9], 2, s[6:7]
	s_mov_b32 s9, 0
	s_waitcnt vmcnt(0)
	v_add_u32_e32 v14, v11, v12
	s_branch .LBB204_7
.LBB204_6:                              ;   in Loop: Header=BB204_7 Depth=2
	s_or_b64 exec, exec, s[14:15]
	s_add_i32 s16, s9, 1
	s_cmp_gt_u32 s9, 6
	s_cselect_b64 s[2:3], -1, 0
	s_xor_b64 s[14:15], vcc, -1
	s_or_b64 s[2:3], s[14:15], s[2:3]
	s_and_b64 s[2:3], exec, s[2:3]
	v_add_u32_e32 v13, 4, v13
	s_or_b64 s[12:13], s[2:3], s[12:13]
	s_mov_b32 s9, s16
	s_andn2_b64 exec, exec, s[12:13]
	s_cbranch_execz .LBB204_9
.LBB204_7:                              ;   Parent Loop BB204_5 Depth=1
                                        ; =>  This Inner Loop Header: Depth=2
	v_cmp_ne_u32_e32 vcc, s9, v14
	v_cmp_eq_u32_e64 s[2:3], s9, v14
	s_and_saveexec_b64 s[14:15], s[2:3]
	s_cbranch_execz .LBB204_6
; %bb.8:                                ;   in Loop: Header=BB204_7 Depth=2
	scratch_load_dword v15, v13, off
	s_waitcnt vmcnt(0)
	v_add_f32_e32 v5, v5, v15
	global_store_dword v[8:9], v12, off
	s_branch .LBB204_6
.LBB204_9:                              ;   in Loop: Header=BB204_5 Depth=1
	s_or_b64 exec, exec, s[12:13]
	global_load_dword v12, v[6:7], off offset:4
	s_ashr_i32 s3, s10, 31
	s_mov_b32 s2, s10
	v_lshl_add_u64 v[8:9], s[2:3], 0, v[0:1]
	v_mov_b32_e32 v13, 0
	s_mov_b32 s9, 0
	v_lshl_add_u64 v[8:9], v[8:9], 2, s[6:7]
	s_mov_b64 s[12:13], 0
	s_waitcnt vmcnt(0)
	v_add_u32_e32 v14, v11, v12
	s_branch .LBB204_11
.LBB204_10:                             ;   in Loop: Header=BB204_11 Depth=2
	s_or_b64 exec, exec, s[14:15]
	s_add_i32 s16, s9, 1
	s_cmp_gt_u32 s9, 6
	s_cselect_b64 s[2:3], -1, 0
	s_xor_b64 s[14:15], vcc, -1
	s_or_b64 s[2:3], s[14:15], s[2:3]
	s_and_b64 s[2:3], exec, s[2:3]
	v_add_u32_e32 v13, 4, v13
	s_or_b64 s[12:13], s[2:3], s[12:13]
	s_mov_b32 s9, s16
	s_andn2_b64 exec, exec, s[12:13]
	s_cbranch_execz .LBB204_13
.LBB204_11:                             ;   Parent Loop BB204_5 Depth=1
                                        ; =>  This Inner Loop Header: Depth=2
	v_cmp_ne_u32_e32 vcc, s9, v14
	v_cmp_eq_u32_e64 s[2:3], s9, v14
	s_and_saveexec_b64 s[14:15], s[2:3]
	s_cbranch_execz .LBB204_10
; %bb.12:                               ;   in Loop: Header=BB204_11 Depth=2
	scratch_load_dword v15, v13, off
	s_waitcnt vmcnt(0)
	v_add_f32_e32 v5, v5, v15
	global_store_dword v[8:9], v12, off offset:4
	s_branch .LBB204_10
.LBB204_13:                             ;   in Loop: Header=BB204_5 Depth=1
	s_or_b64 exec, exec, s[12:13]
	global_load_dword v12, v[6:7], off offset:8
	v_mov_b32_e32 v13, 0
	s_mov_b32 s9, 0
	s_mov_b64 s[12:13], 0
	s_waitcnt vmcnt(0)
	v_add_u32_e32 v14, v11, v12
	s_branch .LBB204_15
.LBB204_14:                             ;   in Loop: Header=BB204_15 Depth=2
	s_or_b64 exec, exec, s[14:15]
	s_add_i32 s16, s9, 1
	s_cmp_gt_u32 s9, 6
	s_cselect_b64 s[2:3], -1, 0
	s_xor_b64 s[14:15], vcc, -1
	s_or_b64 s[2:3], s[14:15], s[2:3]
	s_and_b64 s[2:3], exec, s[2:3]
	v_add_u32_e32 v13, 4, v13
	s_or_b64 s[12:13], s[2:3], s[12:13]
	s_mov_b32 s9, s16
	s_andn2_b64 exec, exec, s[12:13]
	s_cbranch_execz .LBB204_17
.LBB204_15:                             ;   Parent Loop BB204_5 Depth=1
                                        ; =>  This Inner Loop Header: Depth=2
	v_cmp_ne_u32_e32 vcc, s9, v14
	v_cmp_eq_u32_e64 s[2:3], s9, v14
	s_and_saveexec_b64 s[14:15], s[2:3]
	s_cbranch_execz .LBB204_14
; %bb.16:                               ;   in Loop: Header=BB204_15 Depth=2
	scratch_load_dword v15, v13, off
	s_waitcnt vmcnt(0)
	v_add_f32_e32 v5, v5, v15
	global_store_dword v[8:9], v12, off offset:8
	s_branch .LBB204_14
.LBB204_17:                             ;   in Loop: Header=BB204_5 Depth=1
	s_or_b64 exec, exec, s[12:13]
	global_load_dword v6, v[6:7], off offset:12
	v_mov_b32_e32 v7, 0
	s_mov_b32 s9, 0
	s_mov_b64 s[12:13], 0
	s_waitcnt vmcnt(0)
	v_add_u32_e32 v12, v11, v6
	s_branch .LBB204_19
.LBB204_18:                             ;   in Loop: Header=BB204_19 Depth=2
	s_or_b64 exec, exec, s[14:15]
	s_add_i32 s16, s9, 1
	s_cmp_gt_u32 s9, 6
	s_cselect_b64 s[2:3], -1, 0
	s_xor_b64 s[14:15], vcc, -1
	s_or_b64 s[2:3], s[14:15], s[2:3]
	s_and_b64 s[2:3], exec, s[2:3]
	v_add_u32_e32 v7, 4, v7
	s_or_b64 s[12:13], s[2:3], s[12:13]
	s_mov_b32 s9, s16
	s_andn2_b64 exec, exec, s[12:13]
	s_cbranch_execz .LBB204_4
.LBB204_19:                             ;   Parent Loop BB204_5 Depth=1
                                        ; =>  This Inner Loop Header: Depth=2
	v_cmp_ne_u32_e32 vcc, s9, v12
	v_cmp_eq_u32_e64 s[2:3], s9, v12
	s_and_saveexec_b64 s[14:15], s[2:3]
	s_cbranch_execz .LBB204_18
; %bb.20:                               ;   in Loop: Header=BB204_19 Depth=2
	scratch_load_dword v13, v7, off
	s_waitcnt vmcnt(0)
	v_add_f32_e32 v5, v5, v13
	global_store_dword v[8:9], v6, off offset:12
	s_branch .LBB204_18
.LBB204_21:
	s_and_b32 s14, s33, 3
	s_cmp_eq_u32 s14, 0
	s_mov_b32 s9, 0
	s_cbranch_scc1 .LBB204_28
; %bb.22:
	v_lshlrev_b32_e32 v1, 3, v4
	v_sub_u32_e32 v1, 0, v1
	s_mov_b32 s15, s9
	s_branch .LBB204_24
.LBB204_23:                             ;   in Loop: Header=BB204_24 Depth=1
	s_or_b64 exec, exec, s[10:11]
	s_add_i32 s8, s8, 1
	s_add_i32 s15, s15, 1
	s_cmp_lg_u32 s15, s14
	s_cbranch_scc0 .LBB204_28
.LBB204_24:                             ; =>This Loop Header: Depth=1
                                        ;     Child Loop BB204_26 Depth 2
	v_lshl_add_u64 v[6:7], s[8:9], 2, v[2:3]
	global_load_dword v4, v[6:7], off
	v_add_u32_e32 v6, s8, v0
	v_ashrrev_i32_e32 v7, 31, v6
	v_mov_b32_e32 v8, 0
	s_mov_b32 s16, 0
	s_waitcnt lgkmcnt(0)
	v_lshl_add_u64 v[6:7], v[6:7], 2, s[6:7]
	s_mov_b64 s[10:11], 0
	s_waitcnt vmcnt(0)
	v_add_u32_e32 v9, v1, v4
	s_branch .LBB204_26
.LBB204_25:                             ;   in Loop: Header=BB204_26 Depth=2
	s_or_b64 exec, exec, s[12:13]
	s_add_i32 s17, s16, 1
	s_cmp_gt_u32 s16, 6
	s_cselect_b64 s[2:3], -1, 0
	s_xor_b64 s[12:13], vcc, -1
	s_or_b64 s[2:3], s[12:13], s[2:3]
	s_and_b64 s[2:3], exec, s[2:3]
	v_add_u32_e32 v8, 4, v8
	s_or_b64 s[10:11], s[2:3], s[10:11]
	s_mov_b32 s16, s17
	s_andn2_b64 exec, exec, s[10:11]
	s_cbranch_execz .LBB204_23
.LBB204_26:                             ;   Parent Loop BB204_24 Depth=1
                                        ; =>  This Inner Loop Header: Depth=2
	v_cmp_ne_u32_e32 vcc, s16, v9
	v_cmp_eq_u32_e64 s[2:3], s16, v9
	s_and_saveexec_b64 s[12:13], s[2:3]
	s_cbranch_execz .LBB204_25
; %bb.27:                               ;   in Loop: Header=BB204_26 Depth=2
	scratch_load_dword v11, v8, off
	s_waitcnt vmcnt(0)
	v_add_f32_e32 v5, v5, v11
	global_store_dword v[6:7], v4, off
	s_branch .LBB204_25
.LBB204_28:
	s_waitcnt lgkmcnt(0)
	s_load_dword s6, s[0:1], 0x3c
	s_waitcnt lgkmcnt(0)
	s_bitcmp1_b32 s6, 0
	s_cselect_b64 s[2:3], -1, 0
	s_bitcmp0_b32 s6, 0
	s_cbranch_scc0 .LBB204_32
; %bb.29:
	s_load_dwordx2 s[6:7], s[0:1], 0x40
	s_andn2_b64 vcc, exec, s[2:3]
	s_waitcnt lgkmcnt(0)
	v_cvt_f32_f64_e32 v8, s[6:7]
	s_cbranch_vccz .LBB204_33
.LBB204_30:
	s_andn2_b64 vcc, exec, s[4:5]
	s_cbranch_vccz .LBB204_34
.LBB204_31:
	s_endpgm
.LBB204_32:
	v_mbcnt_lo_u32_b32 v1, -1, 0
	v_mbcnt_hi_u32_b32 v1, -1, v1
	v_and_b32_e32 v4, 0x78, v1
	v_add_u32_e32 v4, 8, v4
	v_xor_b32_e32 v6, 4, v1
	v_cmp_lt_i32_e32 vcc, v6, v4
	v_xor_b32_e32 v7, 2, v1
	s_nop 0
	v_cndmask_b32_e32 v6, v1, v6, vcc
	v_lshlrev_b32_e32 v6, 2, v6
	ds_bpermute_b32 v6, v6, v5
	v_cmp_lt_i32_e32 vcc, v7, v4
	s_waitcnt lgkmcnt(0)
	v_add_f32_e32 v5, v5, v6
	v_cndmask_b32_e32 v6, v1, v7, vcc
	v_lshlrev_b32_e32 v6, 2, v6
	ds_bpermute_b32 v6, v6, v5
	v_xor_b32_e32 v7, 1, v1
	v_cmp_lt_i32_e32 vcc, v7, v4
	s_waitcnt lgkmcnt(0)
	v_add_f32_e32 v5, v5, v6
	v_cndmask_b32_e32 v1, v1, v7, vcc
	v_lshlrev_b32_e32 v1, 2, v1
	ds_bpermute_b32 v1, v1, v5
	s_waitcnt lgkmcnt(0)
	v_add_f32_e32 v5, v5, v1
	s_load_dwordx2 s[6:7], s[0:1], 0x40
	s_andn2_b64 vcc, exec, s[2:3]
	s_waitcnt lgkmcnt(0)
	v_cvt_f32_f64_e32 v8, s[6:7]
	s_cbranch_vccnz .LBB204_30
.LBB204_33:
	v_cmp_lt_f32_e32 vcc, 0, v5
	s_nop 1
	v_cndmask_b32_e32 v1, 1.0, v5, vcc
	v_div_scale_f32 v4, s[2:3], v1, v1, v8
	v_rcp_f32_e32 v5, v4
	s_nop 0
	v_fma_f32 v6, -v4, v5, 1.0
	v_fmac_f32_e32 v5, v6, v5
	v_div_scale_f32 v6, vcc, v8, v1, v8
	v_mul_f32_e32 v7, v6, v5
	v_fma_f32 v9, -v4, v7, v6
	v_fmac_f32_e32 v7, v9, v5
	v_fma_f32 v4, -v4, v7, v6
	v_div_fmas_f32 v4, v4, v5, v7
	v_div_fixup_f32 v8, v4, v1, v8
	s_andn2_b64 vcc, exec, s[4:5]
	s_cbranch_vccnz .LBB204_31
.LBB204_34:
	s_load_dwordx2 s[12:13], s[0:1], 0x10
	v_mov_b32_e32 v1, 0
	v_or_b32_e32 v20, 4, v1
	v_or_b32_e32 v18, 8, v1
	;; [unrolled: 1-line block ×3, first 2 shown]
	v_add_u32_e32 v14, 16, v1
	v_add_u32_e32 v12, 20, v1
	;; [unrolled: 1-line block ×4, first 2 shown]
	v_or_b32_e32 v23, 1, v10
	v_or_b32_e32 v22, 2, v10
	v_or_b32_e32 v21, 3, v10
	v_or_b32_e32 v19, 4, v10
	v_or_b32_e32 v17, 5, v10
	v_or_b32_e32 v15, 6, v10
	v_or_b32_e32 v13, 7, v10
	s_cmp_eq_u32 s33, 1
	s_mov_b32 s14, 0
	s_cbranch_scc1 .LBB204_69
; %bb.35:
	v_ashrrev_i32_e32 v1, 31, v0
	s_waitcnt lgkmcnt(0)
	v_lshl_add_u64 v[4:5], v[0:1], 2, s[12:13]
	s_and_b32 s14, s33, 0x7ffffffe
	v_lshl_add_u64 v[4:5], v[4:5], 0, 4
	v_lshl_add_u64 v[6:7], v[2:3], 0, 4
	s_mov_b32 s15, 0
	s_branch .LBB204_37
.LBB204_36:                             ;   in Loop: Header=BB204_37 Depth=1
	s_or_b64 exec, exec, s[0:1]
	s_add_i32 s15, s15, 2
	v_lshl_add_u64 v[4:5], v[4:5], 0, 8
	s_cmp_eq_u32 s14, s15
	v_lshl_add_u64 v[6:7], v[6:7], 0, 8
	s_cbranch_scc1 .LBB204_69
.LBB204_37:                             ; =>This Inner Loop Header: Depth=1
	global_load_dword v24, v[6:7], off offset:-4
	v_mov_b32_e32 v1, 0
	s_waitcnt vmcnt(0)
	v_cmp_eq_u32_e32 vcc, v24, v10
	v_cmp_ne_u32_e64 s[0:1], v24, v10
	s_and_saveexec_b64 s[16:17], s[0:1]
	s_cbranch_execz .LBB204_51
; %bb.38:                               ;   in Loop: Header=BB204_37 Depth=1
	v_cmp_eq_u32_e64 s[0:1], v24, v23
	v_cmp_ne_u32_e64 s[2:3], v24, v23
	v_mov_b32_e32 v1, v20
	s_and_saveexec_b64 s[18:19], s[2:3]
	s_cbranch_execz .LBB204_50
; %bb.39:                               ;   in Loop: Header=BB204_37 Depth=1
	v_cmp_eq_u32_e64 s[2:3], v24, v22
	v_cmp_ne_u32_e64 s[4:5], v24, v22
	v_mov_b32_e32 v1, v18
	;; [unrolled: 6-line block ×6, first 2 shown]
	s_and_saveexec_b64 s[30:31], s[10:11]
	s_xor_b64 s[30:31], exec, s[30:31]
; %bb.44:                               ;   in Loop: Header=BB204_37 Depth=1
	v_cmp_eq_u32_e64 s[10:11], v24, v13
	s_andn2_b64 s[28:29], s[28:29], exec
	s_and_b64 s[10:11], s[10:11], exec
	s_or_b64 s[28:29], s[28:29], s[10:11]
	v_mov_b32_e32 v1, v11
; %bb.45:                               ;   in Loop: Header=BB204_37 Depth=1
	s_or_b64 exec, exec, s[30:31]
	s_andn2_b64 s[8:9], s[8:9], exec
	s_and_b64 s[10:11], s[28:29], exec
	s_or_b64 s[8:9], s[8:9], s[10:11]
.LBB204_46:                             ;   in Loop: Header=BB204_37 Depth=1
	s_or_b64 exec, exec, s[26:27]
	s_andn2_b64 s[6:7], s[6:7], exec
	s_and_b64 s[8:9], s[8:9], exec
	s_or_b64 s[6:7], s[6:7], s[8:9]
.LBB204_47:                             ;   in Loop: Header=BB204_37 Depth=1
	s_or_b64 exec, exec, s[24:25]
	s_andn2_b64 s[4:5], s[4:5], exec
	s_and_b64 s[6:7], s[6:7], exec
	s_or_b64 s[4:5], s[4:5], s[6:7]
.LBB204_48:                             ;   in Loop: Header=BB204_37 Depth=1
	s_or_b64 exec, exec, s[22:23]
	s_andn2_b64 s[2:3], s[2:3], exec
	s_and_b64 s[4:5], s[4:5], exec
	s_or_b64 s[2:3], s[2:3], s[4:5]
.LBB204_49:                             ;   in Loop: Header=BB204_37 Depth=1
	s_or_b64 exec, exec, s[20:21]
	s_andn2_b64 s[0:1], s[0:1], exec
	s_and_b64 s[2:3], s[2:3], exec
	s_or_b64 s[0:1], s[0:1], s[2:3]
.LBB204_50:                             ;   in Loop: Header=BB204_37 Depth=1
	s_or_b64 exec, exec, s[18:19]
	s_andn2_b64 s[2:3], vcc, exec
	s_and_b64 s[0:1], s[0:1], exec
	s_or_b64 vcc, s[2:3], s[0:1]
.LBB204_51:                             ;   in Loop: Header=BB204_37 Depth=1
	s_or_b64 exec, exec, s[16:17]
	s_and_saveexec_b64 s[0:1], vcc
	s_cbranch_execz .LBB204_53
; %bb.52:                               ;   in Loop: Header=BB204_37 Depth=1
	scratch_load_dword v1, v1, off
	v_add_u32_e32 v24, s15, v0
	v_ashrrev_i32_e32 v25, 31, v24
	v_lshl_add_u64 v[24:25], v[24:25], 2, s[12:13]
	s_waitcnt vmcnt(0)
	v_mul_f32_e32 v1, v8, v1
	global_store_dword v[24:25], v1, off
.LBB204_53:                             ;   in Loop: Header=BB204_37 Depth=1
	s_or_b64 exec, exec, s[0:1]
	global_load_dword v24, v[6:7], off
	v_mov_b32_e32 v1, 0
	s_waitcnt vmcnt(0)
	v_cmp_eq_u32_e64 s[8:9], v24, v10
	v_cmp_ne_u32_e32 vcc, v24, v10
	s_and_saveexec_b64 s[10:11], vcc
	s_cbranch_execz .LBB204_67
; %bb.54:                               ;   in Loop: Header=BB204_37 Depth=1
	v_cmp_eq_u32_e32 vcc, v24, v23
	v_cmp_ne_u32_e64 s[0:1], v24, v23
	v_mov_b32_e32 v1, v20
	s_and_saveexec_b64 s[16:17], s[0:1]
	s_cbranch_execz .LBB204_66
; %bb.55:                               ;   in Loop: Header=BB204_37 Depth=1
	v_cmp_eq_u32_e64 s[0:1], v24, v22
	v_cmp_ne_u32_e64 s[2:3], v24, v22
	v_mov_b32_e32 v1, v18
	s_and_saveexec_b64 s[18:19], s[2:3]
	s_cbranch_execz .LBB204_65
; %bb.56:                               ;   in Loop: Header=BB204_37 Depth=1
	v_cmp_eq_u32_e64 s[2:3], v24, v21
	;; [unrolled: 6-line block ×5, first 2 shown]
	v_cmp_ne_u32_e64 s[6:7], v24, v15
	v_mov_b32_e32 v1, v9
	s_and_saveexec_b64 s[30:31], s[6:7]
; %bb.60:                               ;   in Loop: Header=BB204_37 Depth=1
	v_cmp_eq_u32_e64 s[6:7], v24, v13
	s_andn2_b64 s[28:29], s[28:29], exec
	s_and_b64 s[6:7], s[6:7], exec
	s_or_b64 s[28:29], s[28:29], s[6:7]
	v_mov_b32_e32 v1, v11
; %bb.61:                               ;   in Loop: Header=BB204_37 Depth=1
	s_or_b64 exec, exec, s[30:31]
	s_andn2_b64 s[6:7], s[24:25], exec
	s_and_b64 s[24:25], s[28:29], exec
	s_or_b64 s[24:25], s[6:7], s[24:25]
.LBB204_62:                             ;   in Loop: Header=BB204_37 Depth=1
	s_or_b64 exec, exec, s[26:27]
	s_andn2_b64 s[4:5], s[4:5], exec
	s_and_b64 s[6:7], s[24:25], exec
	s_or_b64 s[4:5], s[4:5], s[6:7]
.LBB204_63:                             ;   in Loop: Header=BB204_37 Depth=1
	s_or_b64 exec, exec, s[22:23]
	s_andn2_b64 s[2:3], s[2:3], exec
	s_and_b64 s[4:5], s[4:5], exec
	s_or_b64 s[2:3], s[2:3], s[4:5]
.LBB204_64:                             ;   in Loop: Header=BB204_37 Depth=1
	s_or_b64 exec, exec, s[20:21]
	s_andn2_b64 s[0:1], s[0:1], exec
	s_and_b64 s[2:3], s[2:3], exec
	s_or_b64 s[0:1], s[0:1], s[2:3]
.LBB204_65:                             ;   in Loop: Header=BB204_37 Depth=1
	s_or_b64 exec, exec, s[18:19]
	s_andn2_b64 s[2:3], vcc, exec
	s_and_b64 s[0:1], s[0:1], exec
	s_or_b64 vcc, s[2:3], s[0:1]
.LBB204_66:                             ;   in Loop: Header=BB204_37 Depth=1
	s_or_b64 exec, exec, s[16:17]
	s_andn2_b64 s[0:1], s[8:9], exec
	s_and_b64 s[2:3], vcc, exec
	s_or_b64 s[8:9], s[0:1], s[2:3]
.LBB204_67:                             ;   in Loop: Header=BB204_37 Depth=1
	s_or_b64 exec, exec, s[10:11]
	s_and_saveexec_b64 s[0:1], s[8:9]
	s_cbranch_execz .LBB204_36
; %bb.68:                               ;   in Loop: Header=BB204_37 Depth=1
	scratch_load_dword v1, v1, off
	s_waitcnt vmcnt(0)
	v_mul_f32_e32 v1, v8, v1
	global_store_dword v[4:5], v1, off
	s_branch .LBB204_36
.LBB204_69:
	s_bitcmp0_b32 s33, 0
	s_mov_b32 s15, 0
	s_cbranch_scc1 .LBB204_31
; %bb.70:
	v_lshl_add_u64 v[2:3], s[14:15], 2, v[2:3]
	global_load_dword v1, v[2:3], off
	v_mov_b32_e32 v2, 0
	s_waitcnt vmcnt(0)
	v_cmp_eq_u32_e64 s[8:9], v1, v10
	v_cmp_ne_u32_e32 vcc, v1, v10
	s_and_saveexec_b64 s[10:11], vcc
	s_cbranch_execz .LBB204_84
; %bb.71:
	v_cmp_eq_u32_e32 vcc, v1, v23
	v_cmp_ne_u32_e64 s[0:1], v1, v23
	s_and_saveexec_b64 s[16:17], s[0:1]
	s_cbranch_execz .LBB204_83
; %bb.72:
	v_cmp_eq_u32_e64 s[0:1], v1, v22
	v_cmp_ne_u32_e64 s[2:3], v1, v22
	s_and_saveexec_b64 s[18:19], s[2:3]
	s_cbranch_execz .LBB204_82
; %bb.73:
	v_cmp_eq_u32_e64 s[2:3], v1, v21
	;; [unrolled: 5-line block ×5, first 2 shown]
	v_cmp_ne_u32_e64 s[6:7], v1, v15
	s_and_saveexec_b64 s[30:31], s[6:7]
; %bb.77:
	v_cmp_eq_u32_e64 s[6:7], v1, v13
	s_andn2_b64 s[28:29], s[28:29], exec
	s_and_b64 s[6:7], s[6:7], exec
	s_or_b64 s[28:29], s[28:29], s[6:7]
	v_mov_b32_e32 v9, v11
; %bb.78:
	s_or_b64 exec, exec, s[30:31]
	s_andn2_b64 s[6:7], s[24:25], exec
	s_and_b64 s[24:25], s[28:29], exec
	s_or_b64 s[24:25], s[6:7], s[24:25]
	v_mov_b32_e32 v12, v9
.LBB204_79:
	s_or_b64 exec, exec, s[26:27]
	s_andn2_b64 s[4:5], s[4:5], exec
	s_and_b64 s[6:7], s[24:25], exec
	s_or_b64 s[4:5], s[4:5], s[6:7]
	v_mov_b32_e32 v14, v12
.LBB204_80:
	s_or_b64 exec, exec, s[22:23]
	s_andn2_b64 s[2:3], s[2:3], exec
	s_and_b64 s[4:5], s[4:5], exec
	s_or_b64 s[2:3], s[2:3], s[4:5]
	v_mov_b32_e32 v16, v14
.LBB204_81:
	s_or_b64 exec, exec, s[20:21]
	s_andn2_b64 s[0:1], s[0:1], exec
	s_and_b64 s[2:3], s[2:3], exec
	s_or_b64 s[0:1], s[0:1], s[2:3]
	v_mov_b32_e32 v18, v16
.LBB204_82:
	s_or_b64 exec, exec, s[18:19]
	s_andn2_b64 s[2:3], vcc, exec
	s_and_b64 s[0:1], s[0:1], exec
	s_or_b64 vcc, s[2:3], s[0:1]
	v_mov_b32_e32 v20, v18
.LBB204_83:
	s_or_b64 exec, exec, s[16:17]
	s_andn2_b64 s[0:1], s[8:9], exec
	s_and_b64 s[2:3], vcc, exec
	s_or_b64 s[8:9], s[0:1], s[2:3]
	v_mov_b32_e32 v2, v20
.LBB204_84:
	s_or_b64 exec, exec, s[10:11]
	s_and_b64 exec, exec, s[8:9]
	s_cbranch_execz .LBB204_31
; %bb.85:
	scratch_load_dword v2, v2, off
	v_add_u32_e32 v0, s14, v0
	v_ashrrev_i32_e32 v1, 31, v0
	s_waitcnt lgkmcnt(0)
	v_lshl_add_u64 v[0:1], v[0:1], 2, s[12:13]
	s_waitcnt vmcnt(0)
	v_mul_f32_e32 v2, v8, v2
	global_store_dword v[0:1], v2, off
	s_endpgm
	.section	.rodata,"a",@progbits
	.p2align	6, 0x0
	.amdhsa_kernel _ZN4vllm3moe22topkGatingSoftplusSqrtILi8ELi64ELi4ELi16ELi64ELb1Ei6__halfEEvPKT6_PKbPfiPT5_PiiiibdPKfPKS9_SF_
		.amdhsa_group_segment_fixed_size 0
		.amdhsa_private_segment_fixed_size 48
		.amdhsa_kernarg_size 96
		.amdhsa_user_sgpr_count 2
		.amdhsa_user_sgpr_dispatch_ptr 0
		.amdhsa_user_sgpr_queue_ptr 0
		.amdhsa_user_sgpr_kernarg_segment_ptr 1
		.amdhsa_user_sgpr_dispatch_id 0
		.amdhsa_user_sgpr_kernarg_preload_length 0
		.amdhsa_user_sgpr_kernarg_preload_offset 0
		.amdhsa_user_sgpr_private_segment_size 0
		.amdhsa_uses_dynamic_stack 0
		.amdhsa_enable_private_segment 1
		.amdhsa_system_sgpr_workgroup_id_x 1
		.amdhsa_system_sgpr_workgroup_id_y 0
		.amdhsa_system_sgpr_workgroup_id_z 0
		.amdhsa_system_sgpr_workgroup_info 0
		.amdhsa_system_vgpr_workitem_id 1
		.amdhsa_next_free_vgpr 29
		.amdhsa_next_free_sgpr 34
		.amdhsa_accum_offset 32
		.amdhsa_reserve_vcc 1
		.amdhsa_float_round_mode_32 0
		.amdhsa_float_round_mode_16_64 0
		.amdhsa_float_denorm_mode_32 3
		.amdhsa_float_denorm_mode_16_64 3
		.amdhsa_dx10_clamp 1
		.amdhsa_ieee_mode 1
		.amdhsa_fp16_overflow 0
		.amdhsa_tg_split 0
		.amdhsa_exception_fp_ieee_invalid_op 0
		.amdhsa_exception_fp_denorm_src 0
		.amdhsa_exception_fp_ieee_div_zero 0
		.amdhsa_exception_fp_ieee_overflow 0
		.amdhsa_exception_fp_ieee_underflow 0
		.amdhsa_exception_fp_ieee_inexact 0
		.amdhsa_exception_int_div_zero 0
	.end_amdhsa_kernel
	.section	.text._ZN4vllm3moe22topkGatingSoftplusSqrtILi8ELi64ELi4ELi16ELi64ELb1Ei6__halfEEvPKT6_PKbPfiPT5_PiiiibdPKfPKS9_SF_,"axG",@progbits,_ZN4vllm3moe22topkGatingSoftplusSqrtILi8ELi64ELi4ELi16ELi64ELb1Ei6__halfEEvPKT6_PKbPfiPT5_PiiiibdPKfPKS9_SF_,comdat
.Lfunc_end204:
	.size	_ZN4vllm3moe22topkGatingSoftplusSqrtILi8ELi64ELi4ELi16ELi64ELb1Ei6__halfEEvPKT6_PKbPfiPT5_PiiiibdPKfPKS9_SF_, .Lfunc_end204-_ZN4vllm3moe22topkGatingSoftplusSqrtILi8ELi64ELi4ELi16ELi64ELb1Ei6__halfEEvPKT6_PKbPfiPT5_PiiiibdPKfPKS9_SF_
                                        ; -- End function
	.section	.AMDGPU.csdata,"",@progbits
; Kernel info:
; codeLenInByte = 4516
; NumSgprs: 40
; NumVgprs: 29
; NumAgprs: 0
; TotalNumVgprs: 29
; ScratchSize: 48
; MemoryBound: 0
; FloatMode: 240
; IeeeMode: 1
; LDSByteSize: 0 bytes/workgroup (compile time only)
; SGPRBlocks: 4
; VGPRBlocks: 3
; NumSGPRsForWavesPerEU: 40
; NumVGPRsForWavesPerEU: 29
; AccumOffset: 32
; Occupancy: 8
; WaveLimiterHint : 1
; COMPUTE_PGM_RSRC2:SCRATCH_EN: 1
; COMPUTE_PGM_RSRC2:USER_SGPR: 2
; COMPUTE_PGM_RSRC2:TRAP_HANDLER: 0
; COMPUTE_PGM_RSRC2:TGID_X_EN: 1
; COMPUTE_PGM_RSRC2:TGID_Y_EN: 0
; COMPUTE_PGM_RSRC2:TGID_Z_EN: 0
; COMPUTE_PGM_RSRC2:TIDIG_COMP_CNT: 1
; COMPUTE_PGM_RSRC3_GFX90A:ACCUM_OFFSET: 7
; COMPUTE_PGM_RSRC3_GFX90A:TG_SPLIT: 0
	.section	.text._ZN4vllm3moe22topkGatingSoftplusSqrtILi8ELi64ELi4ELi16ELi64ELb0Ei6__halfEEvPKT6_PKbPfiPT5_PiiiibdPKfPKS9_SF_,"axG",@progbits,_ZN4vllm3moe22topkGatingSoftplusSqrtILi8ELi64ELi4ELi16ELi64ELb0Ei6__halfEEvPKT6_PKbPfiPT5_PiiiibdPKfPKS9_SF_,comdat
	.protected	_ZN4vllm3moe22topkGatingSoftplusSqrtILi8ELi64ELi4ELi16ELi64ELb0Ei6__halfEEvPKT6_PKbPfiPT5_PiiiibdPKfPKS9_SF_ ; -- Begin function _ZN4vllm3moe22topkGatingSoftplusSqrtILi8ELi64ELi4ELi16ELi64ELb0Ei6__halfEEvPKT6_PKbPfiPT5_PiiiibdPKfPKS9_SF_
	.globl	_ZN4vllm3moe22topkGatingSoftplusSqrtILi8ELi64ELi4ELi16ELi64ELb0Ei6__halfEEvPKT6_PKbPfiPT5_PiiiibdPKfPKS9_SF_
	.p2align	8
	.type	_ZN4vllm3moe22topkGatingSoftplusSqrtILi8ELi64ELi4ELi16ELi64ELb0Ei6__halfEEvPKT6_PKbPfiPT5_PiiiibdPKfPKS9_SF_,@function
_ZN4vllm3moe22topkGatingSoftplusSqrtILi8ELi64ELi4ELi16ELi64ELb0Ei6__halfEEvPKT6_PKbPfiPT5_PiiiibdPKfPKS9_SF_: ; @_ZN4vllm3moe22topkGatingSoftplusSqrtILi8ELi64ELi4ELi16ELi64ELb0Ei6__halfEEvPKT6_PKbPfiPT5_PiiiibdPKfPKS9_SF_
; %bb.0:
	s_load_dword s33, s[0:1], 0x18
	v_bfe_u32 v1, v0, 10, 10
	v_and_b32_e32 v0, 0x3ff, v0
	s_lshl_b32 s2, s2, 5
	v_lshlrev_b32_e32 v1, 3, v1
	v_lshrrev_b32_e32 v2, 3, v0
	v_add3_u32 v8, s2, v1, v2
	s_waitcnt lgkmcnt(0)
	v_cmp_gt_i32_e32 vcc, s33, v8
	s_and_saveexec_b64 s[2:3], vcc
	s_cbranch_execz .LBB205_57
; %bb.1:
	s_load_dwordx4 s[4:7], s[0:1], 0x0
	s_load_dwordx2 s[34:35], s[0:1], 0x10
	s_waitcnt lgkmcnt(0)
	s_cmp_eq_u64 s[6:7], 0
	s_cbranch_scc1 .LBB205_3
; %bb.2:
	v_ashrrev_i32_e32 v9, 31, v8
	v_lshl_add_u64 v[2:3], s[6:7], 0, v[8:9]
	global_load_ubyte v1, v[2:3], off
	s_waitcnt vmcnt(0)
	v_and_b32_e32 v1, 1, v1
	v_cmp_eq_u32_e32 vcc, 1, v1
	s_xor_b64 s[2:3], vcc, -1
	s_orn2_b64 s[36:37], s[2:3], exec
	s_branch .LBB205_4
.LBB205_3:
	s_mov_b64 s[36:37], -1
.LBB205_4:
	v_lshlrev_b32_e32 v4, 6, v8
	v_mov_b32_e32 v2, s4
	v_mov_b32_e32 v3, s5
	v_ashrrev_i32_e32 v5, 31, v4
	v_and_b32_e32 v9, 7, v0
	v_lshl_add_u64 v[2:3], v[4:5], 1, v[2:3]
	v_mov_b32_e32 v1, 0
	v_lshlrev_b32_e32 v0, 4, v9
	v_lshl_add_u64 v[0:1], v[2:3], 0, v[0:1]
	global_load_dwordx4 v[4:7], v[0:1], off
	s_mov_b32 s12, 0x800000
	v_mov_b32_e32 v2, 0x4f800000
	s_mov_b32 s9, 0x3f317217
	s_mov_b32 s10, 0x7f800000
	v_mov_b32_e32 v3, 0x41b17218
	s_movk_i32 s8, 0x4d00
	s_mov_b32 s11, 0xf800000
	s_load_dwordx4 s[20:23], s[0:1], 0x40
	v_lshlrev_b32_e32 v12, 3, v9
	s_waitcnt lgkmcnt(0)
	s_cmp_lg_u64 s[22:23], 0
	s_cselect_b64 s[6:7], -1, 0
	s_and_b64 s[2:3], exec, s[6:7]
	s_waitcnt vmcnt(0)
	v_cvt_f32_f16_e32 v0, v4
	v_mul_f32_e32 v1, 0x3fb8aa3b, v0
	v_exp_f32_e32 v10, v1
	v_mov_b32_e32 v1, 0x260
	v_add_f32_e32 v10, 1.0, v10
	v_cmp_gt_f32_e32 vcc, s12, v10
	s_nop 1
	v_cndmask_b32_e32 v11, 1.0, v2, vcc
	v_mul_f32_e32 v10, v10, v11
	v_log_f32_e32 v11, v10
	v_cndmask_b32_e32 v13, 0, v3, vcc
	v_lshlrev_b32_e32 v10, 2, v12
	v_mul_f32_e32 v14, 0x3f317217, v11
	v_fma_f32 v14, v11, s9, -v14
	v_fmac_f32_e32 v14, 0x3377d1cf, v11
	v_fmac_f32_e32 v14, 0x3f317217, v11
	v_cmp_lt_f32_e64 vcc, |v11|, s10
	s_nop 1
	v_cndmask_b32_e32 v11, v11, v14, vcc
	v_sub_f32_e32 v11, v11, v13
	v_cmp_lt_f16_e32 vcc, s8, v4
	s_nop 1
	v_cndmask_b32_e32 v0, v11, v0, vcc
	v_mul_f32_e32 v11, 0x4f800000, v0
	v_cmp_gt_f32_e32 vcc, s11, v0
	s_nop 1
	v_cndmask_b32_e32 v0, v0, v11, vcc
	v_sqrt_f32_e32 v11, v0
	s_nop 0
	v_add_u32_e32 v13, -1, v11
	v_add_u32_e32 v14, 1, v11
	v_fma_f32 v15, -v13, v11, v0
	v_fma_f32 v16, -v14, v11, v0
	v_cmp_ge_f32_e64 s[4:5], 0, v15
	s_nop 1
	v_cndmask_b32_e64 v11, v11, v13, s[4:5]
	v_cmp_lt_f32_e64 s[4:5], 0, v16
	s_nop 1
	v_cndmask_b32_e64 v11, v11, v14, s[4:5]
	v_mul_f32_e32 v13, 0x37800000, v11
	v_cndmask_b32_e32 v11, v11, v13, vcc
	v_cmp_class_f32_e32 vcc, v0, v1
	s_nop 1
	v_cndmask_b32_e32 v0, v11, v0, vcc
	s_mov_b64 vcc, s[2:3]
	s_cbranch_vccz .LBB205_6
; %bb.5:
	global_load_dword v11, v10, s[22:23]
	s_waitcnt vmcnt(0)
	v_add_f32_e32 v0, v0, v11
.LBB205_6:
	v_cvt_f32_f16_sdwa v11, v4 dst_sel:DWORD dst_unused:UNUSED_PAD src0_sel:WORD_1
	v_mul_f32_e32 v13, 0x3fb8aa3b, v11
	v_exp_f32_e32 v13, v13
	s_nop 0
	v_add_f32_e32 v13, 1.0, v13
	v_cmp_gt_f32_e32 vcc, s12, v13
	s_nop 1
	v_cndmask_b32_e32 v2, 1.0, v2, vcc
	v_mul_f32_e32 v2, v13, v2
	v_log_f32_e32 v2, v2
	v_cndmask_b32_e32 v3, 0, v3, vcc
	v_mul_f32_e32 v13, 0x3f317217, v2
	v_fma_f32 v13, v2, s9, -v13
	v_fmac_f32_e32 v13, 0x3377d1cf, v2
	v_fmac_f32_e32 v13, 0x3f317217, v2
	v_cmp_lt_f32_e64 vcc, |v2|, s10
	s_nop 1
	v_cndmask_b32_e32 v2, v2, v13, vcc
	v_sub_f32_e32 v2, v2, v3
	v_cmp_gt_f16_sdwa vcc, v4, s8 src0_sel:WORD_1 src1_sel:DWORD
	v_cndmask_b32_e64 v4, 0, 1, s[6:7]
	v_cmp_ne_u32_e64 s[2:3], 1, v4
	v_cndmask_b32_e32 v2, v2, v11, vcc
	v_mul_f32_e32 v3, 0x4f800000, v2
	v_cmp_gt_f32_e64 s[4:5], s11, v2
	s_andn2_b64 vcc, exec, s[6:7]
	s_nop 0
	v_cndmask_b32_e64 v2, v2, v3, s[4:5]
	v_sqrt_f32_e32 v3, v2
	s_nop 0
	v_add_u32_e32 v4, -1, v3
	v_add_u32_e32 v11, 1, v3
	v_fma_f32 v13, -v4, v3, v2
	v_fma_f32 v14, -v11, v3, v2
	v_cmp_ge_f32_e64 s[6:7], 0, v13
	s_nop 1
	v_cndmask_b32_e64 v3, v3, v4, s[6:7]
	v_cmp_lt_f32_e64 s[6:7], 0, v14
	s_nop 1
	v_cndmask_b32_e64 v3, v3, v11, s[6:7]
	v_mul_f32_e32 v4, 0x37800000, v3
	v_cndmask_b32_e64 v3, v3, v4, s[4:5]
	v_cmp_class_f32_e64 s[4:5], v2, v1
	s_nop 1
	v_cndmask_b32_e64 v1, v3, v2, s[4:5]
	s_cbranch_vccnz .LBB205_8
; %bb.7:
	global_load_dword v2, v10, s[22:23] offset:4
	s_waitcnt vmcnt(0)
	v_add_f32_e32 v1, v1, v2
.LBB205_8:
	v_cvt_f32_f16_e32 v2, v5
	s_mov_b32 s8, 0x800000
	v_mov_b32_e32 v4, 0x4f800000
	s_mov_b32 s7, 0x3f317217
	v_mul_f32_e32 v3, 0x3fb8aa3b, v2
	v_exp_f32_e32 v3, v3
	s_mov_b32 s9, 0x7f800000
	s_movk_i32 s6, 0x4d00
	s_mov_b32 s10, 0xf800000
	v_add_f32_e32 v3, 1.0, v3
	v_cmp_gt_f32_e32 vcc, s8, v3
	s_nop 1
	v_cndmask_b32_e32 v11, 1.0, v4, vcc
	v_mul_f32_e32 v3, v3, v11
	v_log_f32_e32 v3, v3
	v_mov_b32_e32 v11, 0x41b17218
	v_cndmask_b32_e32 v13, 0, v11, vcc
	v_mul_f32_e32 v14, 0x3f317217, v3
	v_fma_f32 v14, v3, s7, -v14
	v_fmac_f32_e32 v14, 0x3377d1cf, v3
	v_fmac_f32_e32 v14, 0x3f317217, v3
	v_cmp_lt_f32_e64 vcc, |v3|, s9
	s_nop 1
	v_cndmask_b32_e32 v3, v3, v14, vcc
	v_sub_f32_e32 v3, v3, v13
	v_cmp_lt_f16_e32 vcc, s6, v5
	s_nop 1
	v_cndmask_b32_e32 v2, v3, v2, vcc
	v_mul_f32_e32 v3, 0x4f800000, v2
	v_cmp_gt_f32_e32 vcc, s10, v2
	s_nop 1
	v_cndmask_b32_e32 v2, v2, v3, vcc
	v_sqrt_f32_e32 v3, v2
	s_nop 0
	v_add_u32_e32 v13, -1, v3
	v_fma_f32 v14, -v13, v3, v2
	v_cmp_ge_f32_e64 s[4:5], 0, v14
	v_add_u32_e32 v14, 1, v3
	s_nop 0
	v_cndmask_b32_e64 v13, v3, v13, s[4:5]
	v_fma_f32 v3, -v14, v3, v2
	v_cmp_lt_f32_e64 s[4:5], 0, v3
	s_nop 1
	v_cndmask_b32_e64 v3, v13, v14, s[4:5]
	v_mul_f32_e32 v13, 0x37800000, v3
	v_cndmask_b32_e32 v13, v3, v13, vcc
	v_mov_b32_e32 v3, 0x260
	v_cmp_class_f32_e64 s[4:5], v2, v3
	s_and_b64 vcc, exec, s[2:3]
	s_nop 0
	v_cndmask_b32_e64 v2, v13, v2, s[4:5]
	s_cbranch_vccnz .LBB205_10
; %bb.9:
	global_load_dword v13, v10, s[22:23] offset:8
	s_waitcnt vmcnt(0)
	v_add_f32_e32 v2, v2, v13
.LBB205_10:
	v_cvt_f32_f16_sdwa v13, v5 dst_sel:DWORD dst_unused:UNUSED_PAD src0_sel:WORD_1
	v_mul_f32_e32 v14, 0x3fb8aa3b, v13
	v_exp_f32_e32 v14, v14
	s_nop 0
	v_add_f32_e32 v14, 1.0, v14
	v_cmp_gt_f32_e32 vcc, s8, v14
	s_nop 1
	v_cndmask_b32_e32 v4, 1.0, v4, vcc
	v_mul_f32_e32 v4, v14, v4
	v_log_f32_e32 v4, v4
	v_cndmask_b32_e32 v11, 0, v11, vcc
	v_mul_f32_e32 v14, 0x3f317217, v4
	v_fma_f32 v14, v4, s7, -v14
	v_fmac_f32_e32 v14, 0x3377d1cf, v4
	v_fmac_f32_e32 v14, 0x3f317217, v4
	v_cmp_lt_f32_e64 vcc, |v4|, s9
	s_nop 1
	v_cndmask_b32_e32 v4, v4, v14, vcc
	v_sub_f32_e32 v4, v4, v11
	v_cmp_gt_f16_sdwa vcc, v5, s6 src0_sel:WORD_1 src1_sel:DWORD
	s_nop 1
	v_cndmask_b32_e32 v4, v4, v13, vcc
	v_mul_f32_e32 v5, 0x4f800000, v4
	v_cmp_gt_f32_e64 s[4:5], s10, v4
	s_and_b64 vcc, exec, s[2:3]
	s_nop 0
	v_cndmask_b32_e64 v4, v4, v5, s[4:5]
	v_sqrt_f32_e32 v5, v4
	s_nop 0
	v_add_u32_e32 v11, -1, v5
	v_add_u32_e32 v13, 1, v5
	v_fma_f32 v14, -v11, v5, v4
	v_fma_f32 v15, -v13, v5, v4
	v_cmp_ge_f32_e64 s[6:7], 0, v14
	s_nop 1
	v_cndmask_b32_e64 v5, v5, v11, s[6:7]
	v_cmp_lt_f32_e64 s[6:7], 0, v15
	s_nop 1
	v_cndmask_b32_e64 v5, v5, v13, s[6:7]
	v_mul_f32_e32 v11, 0x37800000, v5
	v_cndmask_b32_e64 v5, v5, v11, s[4:5]
	v_cmp_class_f32_e64 s[4:5], v4, v3
	s_nop 1
	v_cndmask_b32_e64 v3, v5, v4, s[4:5]
	s_cbranch_vccnz .LBB205_12
; %bb.11:
	global_load_dword v4, v10, s[22:23] offset:12
	s_waitcnt vmcnt(0)
	v_add_f32_e32 v3, v3, v4
.LBB205_12:
	v_cvt_f32_f16_e32 v4, v6
	v_mov_b32_e32 v11, 0x4f800000
	s_mov_b32 s7, 0x3f317217
	s_movk_i32 s6, 0x4d00
	v_mul_f32_e32 v5, 0x3fb8aa3b, v4
	v_exp_f32_e32 v5, v5
	s_nop 0
	v_add_f32_e32 v5, 1.0, v5
	v_cmp_gt_f32_e32 vcc, s8, v5
	s_nop 1
	v_cndmask_b32_e32 v13, 1.0, v11, vcc
	v_mul_f32_e32 v5, v5, v13
	v_log_f32_e32 v5, v5
	v_mov_b32_e32 v13, 0x41b17218
	v_cndmask_b32_e32 v14, 0, v13, vcc
	v_mul_f32_e32 v15, 0x3f317217, v5
	v_fma_f32 v15, v5, s7, -v15
	v_fmac_f32_e32 v15, 0x3377d1cf, v5
	v_fmac_f32_e32 v15, 0x3f317217, v5
	v_cmp_lt_f32_e64 vcc, |v5|, s9
	s_nop 1
	v_cndmask_b32_e32 v5, v5, v15, vcc
	v_sub_f32_e32 v5, v5, v14
	v_cmp_lt_f16_e32 vcc, s6, v6
	s_nop 1
	v_cndmask_b32_e32 v4, v5, v4, vcc
	v_mul_f32_e32 v5, 0x4f800000, v4
	v_cmp_gt_f32_e32 vcc, s10, v4
	s_nop 1
	v_cndmask_b32_e32 v4, v4, v5, vcc
	v_sqrt_f32_e32 v5, v4
	s_nop 0
	v_add_u32_e32 v14, -1, v5
	v_fma_f32 v15, -v14, v5, v4
	v_cmp_ge_f32_e64 s[4:5], 0, v15
	v_add_u32_e32 v15, 1, v5
	s_nop 0
	v_cndmask_b32_e64 v14, v5, v14, s[4:5]
	v_fma_f32 v5, -v15, v5, v4
	v_cmp_lt_f32_e64 s[4:5], 0, v5
	s_nop 1
	v_cndmask_b32_e64 v5, v14, v15, s[4:5]
	v_mul_f32_e32 v14, 0x37800000, v5
	v_cndmask_b32_e32 v14, v5, v14, vcc
	v_mov_b32_e32 v5, 0x260
	v_cmp_class_f32_e64 s[4:5], v4, v5
	s_and_b64 vcc, exec, s[2:3]
	s_nop 0
	v_cndmask_b32_e64 v4, v14, v4, s[4:5]
	s_cbranch_vccnz .LBB205_14
; %bb.13:
	global_load_dword v14, v10, s[22:23] offset:16
	s_waitcnt vmcnt(0)
	v_add_f32_e32 v4, v4, v14
.LBB205_14:
	v_cvt_f32_f16_sdwa v14, v6 dst_sel:DWORD dst_unused:UNUSED_PAD src0_sel:WORD_1
	v_mul_f32_e32 v15, 0x3fb8aa3b, v14
	v_exp_f32_e32 v15, v15
	s_nop 0
	v_add_f32_e32 v15, 1.0, v15
	v_cmp_gt_f32_e32 vcc, s8, v15
	s_nop 1
	v_cndmask_b32_e32 v11, 1.0, v11, vcc
	v_mul_f32_e32 v11, v15, v11
	v_log_f32_e32 v11, v11
	v_cndmask_b32_e32 v13, 0, v13, vcc
	v_mul_f32_e32 v15, 0x3f317217, v11
	v_fma_f32 v15, v11, s7, -v15
	v_fmac_f32_e32 v15, 0x3377d1cf, v11
	v_fmac_f32_e32 v15, 0x3f317217, v11
	v_cmp_lt_f32_e64 vcc, |v11|, s9
	s_nop 1
	v_cndmask_b32_e32 v11, v11, v15, vcc
	v_sub_f32_e32 v11, v11, v13
	v_cmp_gt_f16_sdwa vcc, v6, s6 src0_sel:WORD_1 src1_sel:DWORD
	s_nop 1
	v_cndmask_b32_e32 v6, v11, v14, vcc
	v_mul_f32_e32 v11, 0x4f800000, v6
	v_cmp_gt_f32_e64 s[4:5], s10, v6
	s_and_b64 vcc, exec, s[2:3]
	s_nop 0
	v_cndmask_b32_e64 v6, v6, v11, s[4:5]
	v_sqrt_f32_e32 v11, v6
	s_nop 0
	v_add_u32_e32 v13, -1, v11
	v_add_u32_e32 v14, 1, v11
	v_fma_f32 v15, -v13, v11, v6
	v_fma_f32 v16, -v14, v11, v6
	v_cmp_ge_f32_e64 s[6:7], 0, v15
	s_nop 1
	v_cndmask_b32_e64 v11, v11, v13, s[6:7]
	v_cmp_lt_f32_e64 s[6:7], 0, v16
	s_nop 1
	v_cndmask_b32_e64 v11, v11, v14, s[6:7]
	v_mul_f32_e32 v13, 0x37800000, v11
	v_cndmask_b32_e64 v11, v11, v13, s[4:5]
	v_cmp_class_f32_e64 s[4:5], v6, v5
	s_nop 1
	v_cndmask_b32_e64 v5, v11, v6, s[4:5]
	s_cbranch_vccnz .LBB205_16
; %bb.15:
	global_load_dword v6, v10, s[22:23] offset:20
	s_waitcnt vmcnt(0)
	v_add_f32_e32 v5, v5, v6
.LBB205_16:
	v_cvt_f32_f16_e32 v6, v7
	v_mov_b32_e32 v13, 0x4f800000
	s_mov_b32 s7, 0x3f317217
	s_movk_i32 s6, 0x4d00
	v_mul_f32_e32 v11, 0x3fb8aa3b, v6
	v_exp_f32_e32 v11, v11
	s_nop 0
	v_add_f32_e32 v11, 1.0, v11
	v_cmp_gt_f32_e32 vcc, s8, v11
	s_nop 1
	v_cndmask_b32_e32 v14, 1.0, v13, vcc
	v_mul_f32_e32 v11, v11, v14
	v_log_f32_e32 v11, v11
	v_mov_b32_e32 v14, 0x41b17218
	v_cndmask_b32_e32 v15, 0, v14, vcc
	v_mul_f32_e32 v16, 0x3f317217, v11
	v_fma_f32 v16, v11, s7, -v16
	v_fmac_f32_e32 v16, 0x3377d1cf, v11
	v_fmac_f32_e32 v16, 0x3f317217, v11
	v_cmp_lt_f32_e64 vcc, |v11|, s9
	s_nop 1
	v_cndmask_b32_e32 v11, v11, v16, vcc
	v_sub_f32_e32 v11, v11, v15
	v_cmp_lt_f16_e32 vcc, s6, v7
	s_nop 1
	v_cndmask_b32_e32 v6, v11, v6, vcc
	v_mul_f32_e32 v11, 0x4f800000, v6
	v_cmp_gt_f32_e32 vcc, s10, v6
	s_nop 1
	v_cndmask_b32_e32 v6, v6, v11, vcc
	v_sqrt_f32_e32 v11, v6
	s_nop 0
	v_add_u32_e32 v15, -1, v11
	v_fma_f32 v16, -v15, v11, v6
	v_cmp_ge_f32_e64 s[4:5], 0, v16
	v_add_u32_e32 v16, 1, v11
	s_nop 0
	v_cndmask_b32_e64 v15, v11, v15, s[4:5]
	v_fma_f32 v11, -v16, v11, v6
	v_cmp_lt_f32_e64 s[4:5], 0, v11
	s_nop 1
	v_cndmask_b32_e64 v11, v15, v16, s[4:5]
	v_mul_f32_e32 v15, 0x37800000, v11
	v_cndmask_b32_e32 v15, v11, v15, vcc
	v_mov_b32_e32 v11, 0x260
	v_cmp_class_f32_e64 s[4:5], v6, v11
	s_and_b64 vcc, exec, s[2:3]
	s_nop 0
	v_cndmask_b32_e64 v6, v15, v6, s[4:5]
	s_cbranch_vccnz .LBB205_18
; %bb.17:
	global_load_dword v15, v10, s[22:23] offset:24
	s_waitcnt vmcnt(0)
	v_add_f32_e32 v6, v6, v15
.LBB205_18:
	v_cvt_f32_f16_sdwa v15, v7 dst_sel:DWORD dst_unused:UNUSED_PAD src0_sel:WORD_1
	v_mul_f32_e32 v16, 0x3fb8aa3b, v15
	v_exp_f32_e32 v16, v16
	s_nop 0
	v_add_f32_e32 v16, 1.0, v16
	v_cmp_gt_f32_e32 vcc, s8, v16
	s_nop 1
	v_cndmask_b32_e32 v13, 1.0, v13, vcc
	v_mul_f32_e32 v13, v16, v13
	v_log_f32_e32 v13, v13
	v_cndmask_b32_e32 v14, 0, v14, vcc
	v_mul_f32_e32 v16, 0x3f317217, v13
	v_fma_f32 v16, v13, s7, -v16
	v_fmac_f32_e32 v16, 0x3377d1cf, v13
	v_fmac_f32_e32 v16, 0x3f317217, v13
	v_cmp_lt_f32_e64 vcc, |v13|, s9
	s_nop 1
	v_cndmask_b32_e32 v13, v13, v16, vcc
	v_sub_f32_e32 v13, v13, v14
	v_cmp_gt_f16_sdwa vcc, v7, s6 src0_sel:WORD_1 src1_sel:DWORD
	s_nop 1
	v_cndmask_b32_e32 v7, v13, v15, vcc
	v_mul_f32_e32 v13, 0x4f800000, v7
	v_cmp_gt_f32_e64 s[4:5], s10, v7
	s_and_b64 vcc, exec, s[2:3]
	s_nop 0
	v_cndmask_b32_e64 v7, v7, v13, s[4:5]
	v_sqrt_f32_e32 v13, v7
	s_nop 0
	v_add_u32_e32 v14, -1, v13
	v_add_u32_e32 v15, 1, v13
	v_fma_f32 v16, -v14, v13, v7
	v_fma_f32 v17, -v15, v13, v7
	v_cmp_ge_f32_e64 s[6:7], 0, v16
	s_nop 1
	v_cndmask_b32_e64 v13, v13, v14, s[6:7]
	v_cmp_lt_f32_e64 s[6:7], 0, v17
	s_nop 1
	v_cndmask_b32_e64 v13, v13, v15, s[6:7]
	v_mul_f32_e32 v14, 0x37800000, v13
	v_cndmask_b32_e64 v13, v13, v14, s[4:5]
	v_cmp_class_f32_e64 s[4:5], v7, v11
	s_nop 1
	v_cndmask_b32_e64 v7, v13, v7, s[4:5]
	s_cbranch_vccnz .LBB205_20
; %bb.19:
	global_load_dword v10, v10, s[22:23] offset:28
	s_waitcnt vmcnt(0)
	v_add_f32_e32 v7, v7, v10
.LBB205_20:
	s_load_dwordx4 s[24:27], s[0:1], 0x30
	s_mov_b32 s42, 0
	v_cmp_eq_u32_e64 s[6:7], 0, v9
	s_waitcnt lgkmcnt(0)
	s_bitcmp1_b32 s27, 0
	s_cselect_b64 s[4:5], -1, 0
	s_cmp_gt_i32 s24, 0
	s_cselect_b64 s[38:39], -1, 0
	s_and_b64 vcc, exec, s[38:39]
	s_cbranch_vccz .LBB205_43
; %bb.21:
	v_mbcnt_lo_u32_b32 v10, -1, 0
	v_mbcnt_hi_u32_b32 v10, -1, v10
	v_and_b32_e32 v11, 0x78, v10
	v_add_u32_e32 v11, 8, v11
	v_xor_b32_e32 v13, 4, v10
	v_cmp_lt_i32_e32 vcc, v13, v11
	s_load_dwordx4 s[28:31], s[0:1], 0x20
	v_mul_lo_u32 v14, v8, s24
	v_cndmask_b32_e32 v13, v10, v13, vcc
	v_lshlrev_b32_e32 v15, 2, v13
	v_xor_b32_e32 v13, 2, v10
	v_cmp_lt_i32_e32 vcc, v13, v11
	v_mov_b32_e32 v18, 0xc61c4000
	v_mov_b32_e32 v19, v8
	v_cndmask_b32_e32 v13, v10, v13, vcc
	v_lshlrev_b32_e32 v16, 2, v13
	v_xor_b32_e32 v13, 1, v10
	v_cmp_lt_i32_e32 vcc, v13, v11
	s_nop 1
	v_cndmask_b32_e32 v10, v10, v13, vcc
	v_lshlrev_b32_e32 v17, 2, v10
	v_mov_b32_e32 v13, 0
	s_branch .LBB205_24
.LBB205_22:                             ;   in Loop: Header=BB205_24 Depth=1
	s_or_b64 exec, exec, s[40:41]
.LBB205_23:                             ;   in Loop: Header=BB205_24 Depth=1
	s_cmp_eq_u32 s24, s42
	v_add_u32_e32 v19, s33, v19
	s_cbranch_scc1 .LBB205_44
.LBB205_24:                             ; =>This Inner Loop Header: Depth=1
	v_cmp_gt_f32_e32 vcc, v1, v0
	s_nop 1
	v_cndmask_b32_e32 v11, v0, v1, vcc
	v_cndmask_b32_e64 v10, 0, 1, vcc
	v_cmp_gt_f32_e32 vcc, v2, v11
	s_nop 1
	v_cndmask_b32_e32 v11, v11, v2, vcc
	v_cndmask_b32_e64 v10, v10, 2, vcc
	;; [unrolled: 4-line block ×6, first 2 shown]
	v_cmp_gt_f32_e32 vcc, v7, v11
	s_nop 1
	v_cndmask_b32_e64 v10, v10, 7, vcc
	v_cndmask_b32_e32 v20, v11, v7, vcc
	ds_bpermute_b32 v11, v15, v20
	v_or_b32_e32 v10, v12, v10
	s_waitcnt lgkmcnt(0)
	ds_bpermute_b32 v21, v15, v10
	s_waitcnt lgkmcnt(0)
	v_cmp_lt_f32_e64 s[8:9], v20, v11
	v_cmp_nlt_f32_e32 vcc, v20, v11
	s_and_saveexec_b64 s[10:11], vcc
; %bb.25:                               ;   in Loop: Header=BB205_24 Depth=1
	v_cmp_eq_f32_e32 vcc, v20, v11
	v_cmp_lt_i32_e64 s[0:1], v21, v10
	s_and_b64 s[0:1], vcc, s[0:1]
	s_andn2_b64 s[8:9], s[8:9], exec
	s_and_b64 s[0:1], s[0:1], exec
	s_or_b64 s[8:9], s[8:9], s[0:1]
; %bb.26:                               ;   in Loop: Header=BB205_24 Depth=1
	s_or_b64 exec, exec, s[10:11]
	s_and_saveexec_b64 s[0:1], s[8:9]
; %bb.27:                               ;   in Loop: Header=BB205_24 Depth=1
	v_mov_b32_e32 v20, v11
	v_mov_b32_e32 v10, v21
; %bb.28:                               ;   in Loop: Header=BB205_24 Depth=1
	s_or_b64 exec, exec, s[0:1]
	ds_bpermute_b32 v11, v16, v20
	ds_bpermute_b32 v21, v16, v10
	s_waitcnt lgkmcnt(1)
	v_cmp_lt_f32_e64 s[8:9], v20, v11
	v_cmp_nlt_f32_e32 vcc, v20, v11
	s_and_saveexec_b64 s[10:11], vcc
	s_cbranch_execz .LBB205_30
; %bb.29:                               ;   in Loop: Header=BB205_24 Depth=1
	v_cmp_eq_f32_e32 vcc, v20, v11
	s_waitcnt lgkmcnt(0)
	v_cmp_lt_i32_e64 s[0:1], v21, v10
	s_and_b64 s[0:1], vcc, s[0:1]
	s_andn2_b64 s[8:9], s[8:9], exec
	s_and_b64 s[0:1], s[0:1], exec
	s_or_b64 s[8:9], s[8:9], s[0:1]
.LBB205_30:                             ;   in Loop: Header=BB205_24 Depth=1
	s_or_b64 exec, exec, s[10:11]
	s_and_saveexec_b64 s[0:1], s[8:9]
	s_cbranch_execz .LBB205_32
; %bb.31:                               ;   in Loop: Header=BB205_24 Depth=1
	v_mov_b32_e32 v20, v11
	s_waitcnt lgkmcnt(0)
	v_mov_b32_e32 v10, v21
.LBB205_32:                             ;   in Loop: Header=BB205_24 Depth=1
	s_or_b64 exec, exec, s[0:1]
	ds_bpermute_b32 v11, v17, v20
	s_waitcnt lgkmcnt(1)
	ds_bpermute_b32 v21, v17, v10
	s_waitcnt lgkmcnt(1)
	v_cmp_lt_f32_e64 s[8:9], v20, v11
	v_cmp_nlt_f32_e32 vcc, v20, v11
	s_and_saveexec_b64 s[10:11], vcc
	s_cbranch_execnz .LBB205_36
; %bb.33:                               ;   in Loop: Header=BB205_24 Depth=1
	s_or_b64 exec, exec, s[10:11]
	s_and_saveexec_b64 s[0:1], s[8:9]
	s_cbranch_execnz .LBB205_37
.LBB205_34:                             ;   in Loop: Header=BB205_24 Depth=1
	s_or_b64 exec, exec, s[0:1]
	s_and_saveexec_b64 s[8:9], s[6:7]
	s_cbranch_execnz .LBB205_38
.LBB205_35:                             ;   in Loop: Header=BB205_24 Depth=1
	s_or_b64 exec, exec, s[8:9]
	s_add_i32 s42, s42, 1
	s_cmp_ge_i32 s42, s24
	s_cbranch_scc1 .LBB205_23
	s_branch .LBB205_41
.LBB205_36:                             ;   in Loop: Header=BB205_24 Depth=1
	v_cmp_eq_f32_e32 vcc, v20, v11
	s_waitcnt lgkmcnt(0)
	v_cmp_lt_i32_e64 s[0:1], v21, v10
	s_and_b64 s[0:1], vcc, s[0:1]
	s_andn2_b64 s[8:9], s[8:9], exec
	s_and_b64 s[0:1], s[0:1], exec
	s_or_b64 s[8:9], s[8:9], s[0:1]
	s_or_b64 exec, exec, s[10:11]
	s_and_saveexec_b64 s[0:1], s[8:9]
	s_cbranch_execz .LBB205_34
.LBB205_37:                             ;   in Loop: Header=BB205_24 Depth=1
	s_waitcnt lgkmcnt(0)
	v_mov_b32_e32 v10, v21
	v_mov_b32_e32 v20, v11
	s_or_b64 exec, exec, s[0:1]
	s_and_saveexec_b64 s[8:9], s[6:7]
	s_cbranch_execz .LBB205_35
.LBB205_38:                             ;   in Loop: Header=BB205_24 Depth=1
	s_and_b64 vcc, exec, s[2:3]
	s_cbranch_vccnz .LBB205_40
; %bb.39:                               ;   in Loop: Header=BB205_24 Depth=1
	v_ashrrev_i32_e32 v11, 31, v10
	v_lshl_add_u64 v[22:23], v[10:11], 2, s[22:23]
	global_load_dword v11, v[22:23], off
	s_waitcnt vmcnt(0)
	v_sub_f32_e32 v20, v20, v11
.LBB205_40:                             ;   in Loop: Header=BB205_24 Depth=1
	v_add_u32_e32 v22, s42, v14
	v_cmp_le_i32_e32 vcc, s25, v10
	v_cmp_gt_i32_e64 s[0:1], s26, v10
	v_ashrrev_i32_e32 v23, 31, v22
	s_and_b64 s[0:1], vcc, s[0:1]
	v_lshlrev_b64 v[22:23], 2, v[22:23]
	v_lshl_add_u64 v[24:25], s[34:35], 0, v[22:23]
	v_subrev_u32_e32 v11, s25, v10
	s_and_b64 vcc, s[36:37], s[0:1]
	global_store_dword v[24:25], v20, off
	v_cndmask_b32_e32 v11, 64, v11, vcc
	v_lshl_add_u64 v[24:25], s[28:29], 0, v[22:23]
	global_store_dword v[24:25], v11, off
	v_add_f32_e32 v11, v13, v20
	v_lshl_add_u64 v[22:23], s[30:31], 0, v[22:23]
	v_cndmask_b32_e64 v13, v13, v11, s[4:5]
	global_store_dword v[22:23], v19, off
	s_or_b64 exec, exec, s[8:9]
	s_add_i32 s42, s42, 1
	s_cmp_ge_i32 s42, s24
	s_cbranch_scc1 .LBB205_23
.LBB205_41:                             ;   in Loop: Header=BB205_24 Depth=1
	v_ashrrev_i32_e32 v20, 31, v10
	v_lshrrev_b32_e32 v11, 29, v20
	v_add_u32_e32 v11, v10, v11
	v_ashrrev_i32_e32 v11, 3, v11
	s_waitcnt lgkmcnt(0)
	v_lshrrev_b32_e32 v21, 29, v11
	v_add_u32_e32 v21, v11, v21
	v_and_b32_e32 v21, -8, v21
	v_sub_u32_e32 v21, v11, v21
	v_cmp_eq_u32_e32 vcc, v9, v21
	s_and_saveexec_b64 s[40:41], vcc
	s_cbranch_execz .LBB205_22
; %bb.42:                               ;   in Loop: Header=BB205_24 Depth=1
	v_lshrrev_b32_e32 v20, 26, v20
	v_add_u32_e32 v20, v10, v20
	v_lshlrev_b32_e32 v11, 3, v11
	v_sub_u32_e32 v10, v10, v11
	v_ashrrev_i32_e32 v11, 6, v20
	v_lshl_add_u32 v10, v11, 3, v10
	v_cmp_ne_u32_e32 vcc, 6, v10
	v_cmp_ne_u32_e64 s[0:1], 5, v10
	v_cmp_ne_u32_e64 s[8:9], 4, v10
	v_cmp_ne_u32_e64 s[10:11], 3, v10
	v_cmp_ne_u32_e64 s[12:13], 2, v10
	v_cmp_ne_u32_e64 s[14:15], 1, v10
	v_cmp_ne_u32_e64 s[16:17], 0, v10
	v_cmp_ne_u32_e64 s[18:19], 7, v10
	v_cndmask_b32_e32 v6, v18, v6, vcc
	v_cndmask_b32_e64 v5, v18, v5, s[0:1]
	v_cndmask_b32_e64 v7, v18, v7, s[18:19]
	;; [unrolled: 1-line block ×7, first 2 shown]
	s_branch .LBB205_22
.LBB205_43:
	v_mov_b32_e32 v13, 0
.LBB205_44:
	v_cmp_eq_u32_e32 vcc, 0, v9
	s_and_b64 exec, exec, vcc
	s_cbranch_execz .LBB205_57
; %bb.45:
	s_andn2_b64 vcc, exec, s[4:5]
	v_cvt_f32_f64_e32 v0, s[20:21]
	s_cbranch_vccnz .LBB205_47
; %bb.46:
	v_cmp_lt_f32_e32 vcc, 0, v13
	s_nop 1
	v_cndmask_b32_e32 v1, 1.0, v13, vcc
	v_div_scale_f32 v2, s[0:1], v1, v1, v0
	v_rcp_f32_e32 v3, v2
	s_nop 0
	v_fma_f32 v4, -v2, v3, 1.0
	v_fmac_f32_e32 v3, v4, v3
	v_div_scale_f32 v4, vcc, v0, v1, v0
	v_mul_f32_e32 v5, v4, v3
	v_fma_f32 v6, -v2, v5, v4
	v_fmac_f32_e32 v5, v6, v3
	v_fma_f32 v2, -v2, v5, v4
	v_div_fmas_f32 v2, v2, v3, v5
	v_div_fixup_f32 v0, v2, v1, v0
.LBB205_47:
	s_andn2_b64 vcc, exec, s[38:39]
	s_cbranch_vccnz .LBB205_57
; %bb.48:
	v_mul_lo_u32 v2, v8, s24
	s_cmp_gt_u32 s24, 3
	v_ashrrev_i32_e32 v3, 31, v2
	s_cbranch_scc0 .LBB205_52
; %bb.49:
	s_and_b32 s0, s24, 0x7ffffffc
	v_lshl_add_u64 v[4:5], v[2:3], 2, s[34:35]
	v_mov_b32_e32 v1, v0
	v_lshl_add_u64 v[4:5], v[4:5], 0, 8
	s_mov_b32 s1, s0
.LBB205_50:                             ; =>This Inner Loop Header: Depth=1
	global_load_dwordx4 v[6:9], v[4:5], off offset:-8
	s_add_i32 s1, s1, -4
	s_cmp_lg_u32 s1, 0
	s_waitcnt vmcnt(0)
	v_pk_mul_f32 v[6:7], v[0:1], v[6:7]
	v_pk_mul_f32 v[8:9], v[0:1], v[8:9]
	global_store_dwordx4 v[4:5], v[6:9], off offset:-8
	v_lshl_add_u64 v[4:5], v[4:5], 0, 16
	s_cbranch_scc1 .LBB205_50
; %bb.51:
	s_cmp_lg_u32 s0, s24
	s_cselect_b64 s[2:3], -1, 0
	s_branch .LBB205_54
.LBB205_52:
	s_mov_b64 s[2:3], 0
                                        ; implicit-def: $sgpr0
	s_cbranch_execz .LBB205_54
; %bb.53:
	s_mov_b64 s[2:3], -1
	s_mov_b32 s0, 0
.LBB205_54:
	s_andn2_b64 vcc, exec, s[2:3]
	s_cbranch_vccnz .LBB205_57
; %bb.55:
	s_mov_b32 s1, 0
	v_lshl_add_u64 v[2:3], v[2:3], 0, s[0:1]
	s_sub_i32 s2, s24, s0
	v_lshl_add_u64 v[2:3], v[2:3], 2, s[34:35]
.LBB205_56:                             ; =>This Inner Loop Header: Depth=1
	global_load_dword v1, v[2:3], off
	s_add_i32 s2, s2, -1
	s_cmp_lg_u32 s2, 0
	s_waitcnt vmcnt(0)
	v_mul_f32_e32 v1, v0, v1
	global_store_dword v[2:3], v1, off
	v_lshl_add_u64 v[2:3], v[2:3], 0, 4
	s_cbranch_scc1 .LBB205_56
.LBB205_57:
	s_endpgm
	.section	.rodata,"a",@progbits
	.p2align	6, 0x0
	.amdhsa_kernel _ZN4vllm3moe22topkGatingSoftplusSqrtILi8ELi64ELi4ELi16ELi64ELb0Ei6__halfEEvPKT6_PKbPfiPT5_PiiiibdPKfPKS9_SF_
		.amdhsa_group_segment_fixed_size 0
		.amdhsa_private_segment_fixed_size 0
		.amdhsa_kernarg_size 96
		.amdhsa_user_sgpr_count 2
		.amdhsa_user_sgpr_dispatch_ptr 0
		.amdhsa_user_sgpr_queue_ptr 0
		.amdhsa_user_sgpr_kernarg_segment_ptr 1
		.amdhsa_user_sgpr_dispatch_id 0
		.amdhsa_user_sgpr_kernarg_preload_length 0
		.amdhsa_user_sgpr_kernarg_preload_offset 0
		.amdhsa_user_sgpr_private_segment_size 0
		.amdhsa_uses_dynamic_stack 0
		.amdhsa_enable_private_segment 0
		.amdhsa_system_sgpr_workgroup_id_x 1
		.amdhsa_system_sgpr_workgroup_id_y 0
		.amdhsa_system_sgpr_workgroup_id_z 0
		.amdhsa_system_sgpr_workgroup_info 0
		.amdhsa_system_vgpr_workitem_id 1
		.amdhsa_next_free_vgpr 26
		.amdhsa_next_free_sgpr 43
		.amdhsa_accum_offset 28
		.amdhsa_reserve_vcc 1
		.amdhsa_float_round_mode_32 0
		.amdhsa_float_round_mode_16_64 0
		.amdhsa_float_denorm_mode_32 3
		.amdhsa_float_denorm_mode_16_64 3
		.amdhsa_dx10_clamp 1
		.amdhsa_ieee_mode 1
		.amdhsa_fp16_overflow 0
		.amdhsa_tg_split 0
		.amdhsa_exception_fp_ieee_invalid_op 0
		.amdhsa_exception_fp_denorm_src 0
		.amdhsa_exception_fp_ieee_div_zero 0
		.amdhsa_exception_fp_ieee_overflow 0
		.amdhsa_exception_fp_ieee_underflow 0
		.amdhsa_exception_fp_ieee_inexact 0
		.amdhsa_exception_int_div_zero 0
	.end_amdhsa_kernel
	.section	.text._ZN4vllm3moe22topkGatingSoftplusSqrtILi8ELi64ELi4ELi16ELi64ELb0Ei6__halfEEvPKT6_PKbPfiPT5_PiiiibdPKfPKS9_SF_,"axG",@progbits,_ZN4vllm3moe22topkGatingSoftplusSqrtILi8ELi64ELi4ELi16ELi64ELb0Ei6__halfEEvPKT6_PKbPfiPT5_PiiiibdPKfPKS9_SF_,comdat
.Lfunc_end205:
	.size	_ZN4vllm3moe22topkGatingSoftplusSqrtILi8ELi64ELi4ELi16ELi64ELb0Ei6__halfEEvPKT6_PKbPfiPT5_PiiiibdPKfPKS9_SF_, .Lfunc_end205-_ZN4vllm3moe22topkGatingSoftplusSqrtILi8ELi64ELi4ELi16ELi64ELb0Ei6__halfEEvPKT6_PKbPfiPT5_PiiiibdPKfPKS9_SF_
                                        ; -- End function
	.section	.AMDGPU.csdata,"",@progbits
; Kernel info:
; codeLenInByte = 3936
; NumSgprs: 49
; NumVgprs: 26
; NumAgprs: 0
; TotalNumVgprs: 26
; ScratchSize: 0
; MemoryBound: 0
; FloatMode: 240
; IeeeMode: 1
; LDSByteSize: 0 bytes/workgroup (compile time only)
; SGPRBlocks: 6
; VGPRBlocks: 3
; NumSGPRsForWavesPerEU: 49
; NumVGPRsForWavesPerEU: 26
; AccumOffset: 28
; Occupancy: 8
; WaveLimiterHint : 0
; COMPUTE_PGM_RSRC2:SCRATCH_EN: 0
; COMPUTE_PGM_RSRC2:USER_SGPR: 2
; COMPUTE_PGM_RSRC2:TRAP_HANDLER: 0
; COMPUTE_PGM_RSRC2:TGID_X_EN: 1
; COMPUTE_PGM_RSRC2:TGID_Y_EN: 0
; COMPUTE_PGM_RSRC2:TGID_Z_EN: 0
; COMPUTE_PGM_RSRC2:TIDIG_COMP_CNT: 1
; COMPUTE_PGM_RSRC3_GFX90A:ACCUM_OFFSET: 6
; COMPUTE_PGM_RSRC3_GFX90A:TG_SPLIT: 0
	.section	.text._ZN4vllm3moe22topkGatingSoftplusSqrtILi8ELi64ELi4ELi16ELi32ELb1Ei6__halfEEvPKT6_PKbPfiPT5_PiiiibdPKfPKS9_SF_,"axG",@progbits,_ZN4vllm3moe22topkGatingSoftplusSqrtILi8ELi64ELi4ELi16ELi32ELb1Ei6__halfEEvPKT6_PKbPfiPT5_PiiiibdPKfPKS9_SF_,comdat
	.protected	_ZN4vllm3moe22topkGatingSoftplusSqrtILi8ELi64ELi4ELi16ELi32ELb1Ei6__halfEEvPKT6_PKbPfiPT5_PiiiibdPKfPKS9_SF_ ; -- Begin function _ZN4vllm3moe22topkGatingSoftplusSqrtILi8ELi64ELi4ELi16ELi32ELb1Ei6__halfEEvPKT6_PKbPfiPT5_PiiiibdPKfPKS9_SF_
	.globl	_ZN4vllm3moe22topkGatingSoftplusSqrtILi8ELi64ELi4ELi16ELi32ELb1Ei6__halfEEvPKT6_PKbPfiPT5_PiiiibdPKfPKS9_SF_
	.p2align	8
	.type	_ZN4vllm3moe22topkGatingSoftplusSqrtILi8ELi64ELi4ELi16ELi32ELb1Ei6__halfEEvPKT6_PKbPfiPT5_PiiiibdPKfPKS9_SF_,@function
_ZN4vllm3moe22topkGatingSoftplusSqrtILi8ELi64ELi4ELi16ELi32ELb1Ei6__halfEEvPKT6_PKbPfiPT5_PiiiibdPKfPKS9_SF_: ; @_ZN4vllm3moe22topkGatingSoftplusSqrtILi8ELi64ELi4ELi16ELi32ELb1Ei6__halfEEvPKT6_PKbPfiPT5_PiiiibdPKfPKS9_SF_
; %bb.0:
	s_load_dword s3, s[0:1], 0x18
	v_bfe_u32 v1, v0, 10, 10
	v_and_b32_e32 v11, 0x3ff, v0
	s_lshl_b32 s2, s2, 4
	v_lshlrev_b32_e32 v1, 2, v1
	v_lshrrev_b32_e32 v0, 3, v11
	v_add3_u32 v6, s2, v1, v0
	s_waitcnt lgkmcnt(0)
	v_cmp_gt_i32_e32 vcc, s3, v6
	s_and_saveexec_b64 s[2:3], vcc
	s_cbranch_execz .LBB206_31
; %bb.1:
	s_load_dwordx2 s[2:3], s[0:1], 0x0
	s_load_dword s33, s[0:1], 0x30
	v_lshlrev_b32_e32 v0, 6, v6
	v_lshlrev_b32_e32 v2, 3, v11
	v_ashrrev_i32_e32 v1, 31, v0
	v_and_b32_e32 v10, 56, v2
	s_waitcnt lgkmcnt(0)
	v_lshl_add_u64 v[0:1], v[0:1], 1, s[2:3]
	v_lshlrev_b32_e32 v4, 1, v10
	v_mov_b32_e32 v5, 0
	v_lshl_add_u64 v[0:1], v[0:1], 0, v[4:5]
	global_load_dwordx4 v[0:3], v[0:1], off
	s_load_dwordx4 s[8:11], s[0:1], 0x50
	v_ashrrev_i32_e32 v7, 31, v6
	s_mov_b32 s15, 0x800000
	s_mov_b32 s13, 0x3f317217
	;; [unrolled: 1-line block ×3, first 2 shown]
	s_waitcnt lgkmcnt(0)
	v_mov_b32_e32 v8, s8
	v_mov_b32_e32 v9, s9
	v_lshl_add_u64 v[8:9], v[6:7], 2, v[8:9]
	global_load_dword v4, v[8:9], off
	v_mov_b32_e32 v7, 0x4f800000
	v_mov_b32_e32 v16, 0x41b17218
	s_movk_i32 s9, 0x4d00
	s_mov_b32 s12, 0xf800000
	v_mov_b32_e32 v17, 0x260
	s_cmp_gt_i32 s33, 0
	s_mov_b32 s8, 0
	s_waitcnt vmcnt(1)
	v_cvt_f32_f16_e32 v18, v0
	v_cvt_f32_f16_sdwa v19, v0 dst_sel:DWORD dst_unused:UNUSED_PAD src0_sel:WORD_1
	v_cvt_f32_f16_e32 v20, v1
	v_cvt_f32_f16_sdwa v21, v1 dst_sel:DWORD dst_unused:UNUSED_PAD src0_sel:WORD_1
	v_mul_f32_e32 v8, 0x3fb8aa3b, v18
	v_mul_f32_e32 v9, 0x3fb8aa3b, v19
	v_exp_f32_e32 v12, v8
	v_exp_f32_e32 v13, v9
	v_mul_f32_e32 v14, 0x3fb8aa3b, v20
	v_mul_f32_e32 v15, 0x3fb8aa3b, v21
	v_exp_f32_e32 v14, v14
	v_exp_f32_e32 v15, v15
	v_pk_add_f32 v[12:13], v[12:13], 1.0 op_sel_hi:[1,0]
	s_waitcnt vmcnt(0)
	v_mul_lo_u32 v8, v4, s33
	v_cmp_gt_f32_e32 vcc, s15, v13
	v_pk_add_f32 v[14:15], v[14:15], 1.0 op_sel_hi:[1,0]
	v_cmp_gt_f32_e64 s[2:3], s15, v12
	v_cndmask_b32_e32 v4, 1.0, v7, vcc
	v_cmp_gt_f32_e64 s[4:5], s15, v15
	v_cndmask_b32_e64 v22, 1.0, v7, s[2:3]
	v_mul_f32_e32 v4, v13, v4
	v_cndmask_b32_e64 v23, 1.0, v7, s[4:5]
	v_mul_f32_e32 v12, v12, v22
	v_log_f32_e32 v4, v4
	v_mul_f32_e32 v15, v15, v23
	v_log_f32_e32 v12, v12
	v_cmp_gt_f32_e64 s[6:7], s15, v14
	v_log_f32_e32 v15, v15
	v_cndmask_b32_e32 v13, 0, v16, vcc
	v_cndmask_b32_e64 v24, 1.0, v7, s[6:7]
	v_mul_f32_e32 v14, v14, v24
	v_mul_f32_e32 v24, 0x3f317217, v4
	;; [unrolled: 1-line block ×3, first 2 shown]
	v_fma_f32 v24, v4, s13, -v24
	v_mul_f32_e32 v26, 0x3f317217, v15
	v_fma_f32 v25, v12, s13, -v25
	v_fmac_f32_e32 v24, 0x3377d1cf, v4
	v_fma_f32 v26, v15, s13, -v26
	v_fmac_f32_e32 v25, 0x3377d1cf, v12
	v_fmac_f32_e32 v24, 0x3f317217, v4
	v_cmp_lt_f32_e64 vcc, |v4|, s14
	v_fmac_f32_e32 v26, 0x3377d1cf, v15
	v_fmac_f32_e32 v25, 0x3f317217, v12
	v_cndmask_b32_e32 v4, v4, v24, vcc
	v_cmp_lt_f32_e64 vcc, |v12|, s14
	v_cndmask_b32_e64 v22, 0, v16, s[2:3]
	v_fmac_f32_e32 v26, 0x3f317217, v15
	v_cndmask_b32_e32 v12, v12, v25, vcc
	v_cmp_lt_f32_e64 vcc, |v15|, s14
	v_sub_f32_e32 v12, v12, v22
	v_sub_f32_e32 v4, v4, v13
	v_cndmask_b32_e32 v15, v15, v26, vcc
	v_cmp_lt_f16_e32 vcc, s9, v0
	v_cndmask_b32_e64 v23, 0, v16, s[4:5]
	v_log_f32_e32 v14, v14
	v_cndmask_b32_e32 v12, v12, v18, vcc
	v_cmp_gt_f16_sdwa vcc, v0, s9 src0_sel:WORD_1 src1_sel:DWORD
	v_mul_f32_e32 v13, 0x4f800000, v12
	v_cmp_gt_f32_e64 s[2:3], s12, v12
	v_cndmask_b32_e32 v0, v4, v19, vcc
	v_mul_f32_e32 v4, 0x4f800000, v0
	v_cmp_gt_f32_e32 vcc, s12, v0
	v_cndmask_b32_e64 v12, v12, v13, s[2:3]
	v_sqrt_f32_e32 v13, v12
	v_cndmask_b32_e32 v0, v0, v4, vcc
	v_sqrt_f32_e32 v4, v0
	v_sub_f32_e32 v15, v15, v23
	v_add_u32_e32 v22, -1, v13
	v_fma_f32 v26, -v22, v13, v12
	v_add_u32_e32 v18, -1, v4
	v_fma_f32 v24, -v18, v4, v0
	v_add_u32_e32 v19, 1, v4
	v_cmp_ge_f32_e64 s[4:5], 0, v24
	v_add_u32_e32 v23, 1, v13
	v_fma_f32 v25, -v19, v4, v0
	v_cndmask_b32_e64 v4, v4, v18, s[4:5]
	v_cmp_ge_f32_e64 s[4:5], 0, v26
	v_fma_f32 v28, -v23, v13, v12
	v_mul_f32_e32 v27, 0x3f317217, v14
	v_cndmask_b32_e64 v13, v13, v22, s[4:5]
	v_cmp_lt_f32_e64 s[4:5], 0, v25
	v_fma_f32 v27, v14, s13, -v27
	v_fmac_f32_e32 v27, 0x3377d1cf, v14
	v_cndmask_b32_e64 v4, v4, v19, s[4:5]
	v_cmp_lt_f32_e64 s[4:5], 0, v28
	v_mul_f32_e32 v18, 0x37800000, v4
	v_cndmask_b32_e32 v4, v4, v18, vcc
	v_cndmask_b32_e64 v13, v13, v23, s[4:5]
	v_mul_f32_e32 v19, 0x37800000, v13
	v_cmp_class_f32_e32 vcc, v0, v17
	v_cndmask_b32_e64 v18, v13, v19, s[2:3]
	v_fmac_f32_e32 v27, 0x3f317217, v14
	v_cndmask_b32_e32 v13, v4, v0, vcc
	v_cmp_class_f32_e32 vcc, v12, v17
	v_cndmask_b32_e64 v4, 0, v16, s[6:7]
	v_cmp_lt_f16_e64 s[2:3], s9, v1
	v_cndmask_b32_e32 v12, v18, v12, vcc
	v_cmp_lt_f32_e64 vcc, |v14|, s14
	v_cvt_f32_f16_e32 v19, v2
	v_ashrrev_i32_e32 v9, 31, v8
	v_cndmask_b32_e32 v0, v14, v27, vcc
	v_cmp_gt_f16_sdwa vcc, v1, s9 src0_sel:WORD_1 src1_sel:DWORD
	v_sub_f32_e32 v0, v0, v4
	v_cndmask_b32_e64 v0, v0, v20, s[2:3]
	v_cndmask_b32_e32 v14, v15, v21, vcc
	v_mul_f32_e32 v15, 0x4f800000, v14
	v_cmp_gt_f32_e32 vcc, s12, v14
	v_cvt_f32_f16_sdwa v20, v2 dst_sel:DWORD dst_unused:UNUSED_PAD src0_sel:WORD_1
	s_nop 0
	v_cndmask_b32_e32 v14, v14, v15, vcc
	v_sqrt_f32_e32 v15, v14
	s_nop 0
	v_add_u32_e32 v1, -1, v15
	v_fma_f32 v4, -v1, v15, v14
	v_cmp_ge_f32_e64 s[2:3], 0, v4
	v_add_u32_e32 v4, 1, v15
	s_nop 0
	v_cndmask_b32_e64 v1, v15, v1, s[2:3]
	v_fma_f32 v15, -v4, v15, v14
	v_cmp_lt_f32_e64 s[2:3], 0, v15
	v_mul_f32_e32 v15, 0x4f800000, v0
	s_nop 0
	v_cndmask_b32_e64 v1, v1, v4, s[2:3]
	v_cmp_gt_f32_e64 s[2:3], s12, v0
	v_mul_f32_e32 v4, 0x37800000, v1
	v_cndmask_b32_e32 v1, v1, v4, vcc
	v_cndmask_b32_e64 v18, v0, v15, s[2:3]
	v_sqrt_f32_e32 v0, v18
	v_cmp_class_f32_e32 vcc, v14, v17
	s_nop 1
	v_cndmask_b32_e32 v15, v1, v14, vcc
	v_add_u32_e32 v1, -1, v0
	v_fma_f32 v4, -v1, v0, v18
	v_cmp_ge_f32_e32 vcc, 0, v4
	v_add_u32_e32 v14, 1, v0
	v_fma_f32 v21, -v14, v0, v18
	v_cndmask_b32_e32 v4, v0, v1, vcc
	v_mul_f32_e32 v0, 0x3fb8aa3b, v19
	v_mul_f32_e32 v1, 0x3fb8aa3b, v20
	v_exp_f32_e32 v0, v0
	v_exp_f32_e32 v1, v1
	v_cmp_lt_f32_e32 vcc, 0, v21
	v_pk_add_f32 v[0:1], v[0:1], 1.0 op_sel_hi:[1,0]
	s_nop 0
	v_cndmask_b32_e32 v4, v4, v14, vcc
	v_mul_f32_e32 v14, 0x37800000, v4
	v_cmp_gt_f32_e32 vcc, s15, v1
	v_cndmask_b32_e64 v4, v4, v14, s[2:3]
	v_cmp_class_f32_e64 s[2:3], v18, v17
	v_cndmask_b32_e32 v14, 1.0, v7, vcc
	v_mul_f32_e32 v1, v1, v14
	v_log_f32_e32 v1, v1
	v_cndmask_b32_e64 v14, v4, v18, s[2:3]
	v_cmp_gt_f32_e64 s[2:3], s15, v0
	scratch_store_dwordx4 off, v[12:15], off
	v_mul_f32_e32 v4, 0x3f317217, v1
	v_fma_f32 v4, v1, s13, -v4
	v_cndmask_b32_e64 v12, 1.0, v7, s[2:3]
	v_mul_f32_e32 v0, v0, v12
	v_log_f32_e32 v0, v0
	v_fmac_f32_e32 v4, 0x3377d1cf, v1
	v_fmac_f32_e32 v4, 0x3f317217, v1
	v_cmp_lt_f32_e64 s[4:5], |v1|, s14
	v_cvt_f32_f16_sdwa v15, v3 dst_sel:DWORD dst_unused:UNUSED_PAD src0_sel:WORD_1
	v_mul_f32_e32 v13, 0x3fb8aa3b, v15
	v_cndmask_b32_e64 v1, v1, v4, s[4:5]
	v_cndmask_b32_e32 v4, 0, v16, vcc
	v_sub_f32_e32 v1, v1, v4
	v_mul_f32_e32 v4, 0x3f317217, v0
	v_fma_f32 v4, v0, s13, -v4
	v_fmac_f32_e32 v4, 0x3377d1cf, v0
	v_fmac_f32_e32 v4, 0x3f317217, v0
	v_cmp_lt_f32_e64 vcc, |v0|, s14
	v_exp_f32_e32 v13, v13
	s_nop 0
	v_cndmask_b32_e32 v0, v0, v4, vcc
	v_cmp_gt_f16_sdwa vcc, v2, s9 src0_sel:WORD_1 src1_sel:DWORD
	v_cndmask_b32_e64 v4, 0, v16, s[2:3]
	v_cmp_lt_f16_e64 s[2:3], s9, v2
	v_cndmask_b32_e32 v1, v1, v20, vcc
	v_mul_f32_e32 v12, 0x4f800000, v1
	v_cmp_gt_f32_e32 vcc, s12, v1
	v_sub_f32_e32 v0, v0, v4
	v_cndmask_b32_e64 v0, v0, v19, s[2:3]
	v_cndmask_b32_e32 v1, v1, v12, vcc
	v_sqrt_f32_e32 v12, v1
	s_nop 0
	v_add_u32_e32 v2, -1, v12
	v_fma_f32 v4, -v2, v12, v1
	v_cmp_ge_f32_e64 s[2:3], 0, v4
	v_add_u32_e32 v4, 1, v12
	s_nop 0
	v_cndmask_b32_e64 v2, v12, v2, s[2:3]
	v_fma_f32 v12, -v4, v12, v1
	v_cmp_lt_f32_e64 s[2:3], 0, v12
	v_mul_f32_e32 v12, 0x4f800000, v0
	s_nop 0
	v_cndmask_b32_e64 v2, v2, v4, s[2:3]
	v_cmp_gt_f32_e64 s[2:3], s12, v0
	v_mul_f32_e32 v4, 0x37800000, v2
	v_cndmask_b32_e32 v2, v2, v4, vcc
	v_cndmask_b32_e64 v0, v0, v12, s[2:3]
	v_sqrt_f32_e32 v12, v0
	v_cmp_class_f32_e32 vcc, v1, v17
	v_add_u32_e32 v14, 1, v12
	s_nop 0
	v_cndmask_b32_e32 v1, v2, v1, vcc
	v_add_u32_e32 v2, -1, v12
	v_fma_f32 v4, -v2, v12, v0
	v_cmp_ge_f32_e32 vcc, 0, v4
	v_cvt_f32_f16_e32 v4, v3
	v_fma_f32 v18, -v14, v12, v0
	v_cndmask_b32_e32 v2, v12, v2, vcc
	v_cmp_lt_f32_e32 vcc, 0, v18
	v_mul_f32_e32 v12, 0x3fb8aa3b, v4
	v_exp_f32_e32 v12, v12
	v_cndmask_b32_e32 v2, v2, v14, vcc
	v_mul_f32_e32 v14, 0x37800000, v2
	v_cndmask_b32_e64 v2, v2, v14, s[2:3]
	v_pk_add_f32 v[12:13], v[12:13], 1.0 op_sel_hi:[1,0]
	v_cmp_class_f32_e64 s[2:3], v0, v17
	v_cmp_gt_f32_e32 vcc, s15, v13
	s_nop 0
	v_cndmask_b32_e64 v0, v2, v0, s[2:3]
	v_cndmask_b32_e32 v18, 1.0, v7, vcc
	v_mul_f32_e32 v13, v13, v18
	v_log_f32_e32 v13, v13
	v_cmp_gt_f32_e64 s[2:3], s15, v12
	v_mul_f32_e32 v2, 0x3f317217, v13
	s_nop 0
	v_cndmask_b32_e64 v7, 1.0, v7, s[2:3]
	v_mul_f32_e32 v7, v12, v7
	v_fma_f32 v2, v13, s13, -v2
	v_log_f32_e32 v7, v7
	v_fmac_f32_e32 v2, 0x3377d1cf, v13
	v_fmac_f32_e32 v2, 0x3f317217, v13
	v_cmp_lt_f32_e64 s[4:5], |v13|, s14
	v_cndmask_b32_e32 v12, 0, v16, vcc
	v_cmp_lt_f32_e64 vcc, |v7|, s14
	v_cndmask_b32_e64 v2, v13, v2, s[4:5]
	v_sub_f32_e32 v2, v2, v12
	v_mul_f32_e32 v12, 0x3f317217, v7
	v_fma_f32 v12, v7, s13, -v12
	v_fmac_f32_e32 v12, 0x3377d1cf, v7
	v_fmac_f32_e32 v12, 0x3f317217, v7
	v_cndmask_b32_e32 v7, v7, v12, vcc
	v_cmp_gt_f16_sdwa vcc, v3, s9 src0_sel:WORD_1 src1_sel:DWORD
	v_cndmask_b32_e64 v12, 0, v16, s[2:3]
	v_sub_f32_e32 v7, v7, v12
	v_cndmask_b32_e32 v2, v2, v15, vcc
	v_mul_f32_e32 v13, 0x4f800000, v2
	v_cmp_gt_f32_e32 vcc, s12, v2
	v_cmp_lt_f16_e64 s[2:3], s9, v3
	s_cselect_b64 s[4:5], -1, 0
	v_cndmask_b32_e32 v2, v2, v13, vcc
	v_sqrt_f32_e32 v13, v2
	v_cndmask_b32_e64 v3, v7, v4, s[2:3]
	s_cmp_lt_i32 s33, 1
	v_add_u32_e32 v4, -1, v13
	v_fma_f32 v7, -v4, v13, v2
	v_cmp_ge_f32_e64 s[2:3], 0, v7
	v_add_u32_e32 v7, 1, v13
	v_fma_f32 v12, -v7, v13, v2
	v_cndmask_b32_e64 v4, v13, v4, s[2:3]
	v_cmp_lt_f32_e64 s[2:3], 0, v12
	v_mul_f32_e32 v12, 0x4f800000, v3
	s_nop 0
	v_cndmask_b32_e64 v4, v4, v7, s[2:3]
	v_cmp_gt_f32_e64 s[2:3], s12, v3
	v_mul_f32_e32 v7, 0x37800000, v4
	s_nop 0
	v_cndmask_b32_e64 v12, v3, v12, s[2:3]
	v_sqrt_f32_e32 v13, v12
	v_cndmask_b32_e32 v3, v4, v7, vcc
	v_cmp_class_f32_e32 vcc, v2, v17
	s_nop 1
	v_cndmask_b32_e32 v3, v3, v2, vcc
	v_add_u32_e32 v2, -1, v13
	v_fma_f32 v4, -v2, v13, v12
	v_cmp_ge_f32_e32 vcc, 0, v4
	v_add_u32_e32 v4, 1, v13
	v_fma_f32 v7, -v4, v13, v12
	v_cndmask_b32_e32 v2, v13, v2, vcc
	v_cmp_lt_f32_e32 vcc, 0, v7
	s_nop 1
	v_cndmask_b32_e32 v2, v2, v4, vcc
	v_mul_f32_e32 v4, 0x37800000, v2
	v_cndmask_b32_e64 v2, v2, v4, s[2:3]
	v_cmp_class_f32_e32 vcc, v12, v17
	s_nop 1
	v_cndmask_b32_e32 v2, v2, v12, vcc
	scratch_store_dwordx4 off, v[0:3], off offset:16
	s_nop 1
	v_lshl_add_u64 v[2:3], v[8:9], 2, s[10:11]
	v_mul_lo_u32 v0, v6, s33
	s_cbranch_scc1 .LBB206_28
; %bb.2:
	s_load_dwordx2 s[6:7], s[0:1], 0x20
	s_cmp_lt_u32 s33, 4
	v_and_b32_e32 v4, 7, v11
	s_cbranch_scc1 .LBB206_21
; %bb.3:
	v_lshlrev_b32_e32 v5, 3, v4
	s_mov_b32 s11, 0
	s_and_b32 s8, s33, 0x7ffffffc
	v_ashrrev_i32_e32 v1, 31, v0
	v_sub_u32_e32 v11, 0, v5
	v_mov_b32_e32 v5, 0
	s_mov_b32 s10, s11
	s_branch .LBB206_5
.LBB206_4:                              ;   in Loop: Header=BB206_5 Depth=1
	s_or_b64 exec, exec, s[12:13]
	s_add_i32 s10, s10, 4
	s_cmp_eq_u32 s10, s8
	s_cbranch_scc1 .LBB206_21
.LBB206_5:                              ; =>This Loop Header: Depth=1
                                        ;     Child Loop BB206_7 Depth 2
                                        ;     Child Loop BB206_11 Depth 2
	;; [unrolled: 1-line block ×4, first 2 shown]
	v_lshl_add_u64 v[6:7], s[10:11], 2, v[2:3]
	global_load_dword v12, v[6:7], off
	v_add_u32_e32 v8, s10, v0
	v_ashrrev_i32_e32 v9, 31, v8
	v_mov_b32_e32 v13, 0
	s_mov_b64 s[12:13], 0
	s_waitcnt lgkmcnt(0)
	v_lshl_add_u64 v[8:9], v[8:9], 2, s[6:7]
	s_mov_b32 s9, 0
	s_waitcnt vmcnt(0)
	v_add_u32_e32 v14, v11, v12
	s_branch .LBB206_7
.LBB206_6:                              ;   in Loop: Header=BB206_7 Depth=2
	s_or_b64 exec, exec, s[14:15]
	s_add_i32 s16, s9, 1
	s_cmp_gt_u32 s9, 6
	s_cselect_b64 s[2:3], -1, 0
	s_xor_b64 s[14:15], vcc, -1
	s_or_b64 s[2:3], s[14:15], s[2:3]
	s_and_b64 s[2:3], exec, s[2:3]
	v_add_u32_e32 v13, 4, v13
	s_or_b64 s[12:13], s[2:3], s[12:13]
	s_mov_b32 s9, s16
	s_andn2_b64 exec, exec, s[12:13]
	s_cbranch_execz .LBB206_9
.LBB206_7:                              ;   Parent Loop BB206_5 Depth=1
                                        ; =>  This Inner Loop Header: Depth=2
	v_cmp_ne_u32_e32 vcc, s9, v14
	v_cmp_eq_u32_e64 s[2:3], s9, v14
	s_and_saveexec_b64 s[14:15], s[2:3]
	s_cbranch_execz .LBB206_6
; %bb.8:                                ;   in Loop: Header=BB206_7 Depth=2
	scratch_load_dword v15, v13, off
	s_waitcnt vmcnt(0)
	v_add_f32_e32 v5, v5, v15
	global_store_dword v[8:9], v12, off
	s_branch .LBB206_6
.LBB206_9:                              ;   in Loop: Header=BB206_5 Depth=1
	s_or_b64 exec, exec, s[12:13]
	global_load_dword v12, v[6:7], off offset:4
	s_ashr_i32 s3, s10, 31
	s_mov_b32 s2, s10
	v_lshl_add_u64 v[8:9], s[2:3], 0, v[0:1]
	v_mov_b32_e32 v13, 0
	s_mov_b32 s9, 0
	v_lshl_add_u64 v[8:9], v[8:9], 2, s[6:7]
	s_mov_b64 s[12:13], 0
	s_waitcnt vmcnt(0)
	v_add_u32_e32 v14, v11, v12
	s_branch .LBB206_11
.LBB206_10:                             ;   in Loop: Header=BB206_11 Depth=2
	s_or_b64 exec, exec, s[14:15]
	s_add_i32 s16, s9, 1
	s_cmp_gt_u32 s9, 6
	s_cselect_b64 s[2:3], -1, 0
	s_xor_b64 s[14:15], vcc, -1
	s_or_b64 s[2:3], s[14:15], s[2:3]
	s_and_b64 s[2:3], exec, s[2:3]
	v_add_u32_e32 v13, 4, v13
	s_or_b64 s[12:13], s[2:3], s[12:13]
	s_mov_b32 s9, s16
	s_andn2_b64 exec, exec, s[12:13]
	s_cbranch_execz .LBB206_13
.LBB206_11:                             ;   Parent Loop BB206_5 Depth=1
                                        ; =>  This Inner Loop Header: Depth=2
	v_cmp_ne_u32_e32 vcc, s9, v14
	v_cmp_eq_u32_e64 s[2:3], s9, v14
	s_and_saveexec_b64 s[14:15], s[2:3]
	s_cbranch_execz .LBB206_10
; %bb.12:                               ;   in Loop: Header=BB206_11 Depth=2
	scratch_load_dword v15, v13, off
	s_waitcnt vmcnt(0)
	v_add_f32_e32 v5, v5, v15
	global_store_dword v[8:9], v12, off offset:4
	s_branch .LBB206_10
.LBB206_13:                             ;   in Loop: Header=BB206_5 Depth=1
	s_or_b64 exec, exec, s[12:13]
	global_load_dword v12, v[6:7], off offset:8
	v_mov_b32_e32 v13, 0
	s_mov_b32 s9, 0
	s_mov_b64 s[12:13], 0
	s_waitcnt vmcnt(0)
	v_add_u32_e32 v14, v11, v12
	s_branch .LBB206_15
.LBB206_14:                             ;   in Loop: Header=BB206_15 Depth=2
	s_or_b64 exec, exec, s[14:15]
	s_add_i32 s16, s9, 1
	s_cmp_gt_u32 s9, 6
	s_cselect_b64 s[2:3], -1, 0
	s_xor_b64 s[14:15], vcc, -1
	s_or_b64 s[2:3], s[14:15], s[2:3]
	s_and_b64 s[2:3], exec, s[2:3]
	v_add_u32_e32 v13, 4, v13
	s_or_b64 s[12:13], s[2:3], s[12:13]
	s_mov_b32 s9, s16
	s_andn2_b64 exec, exec, s[12:13]
	s_cbranch_execz .LBB206_17
.LBB206_15:                             ;   Parent Loop BB206_5 Depth=1
                                        ; =>  This Inner Loop Header: Depth=2
	v_cmp_ne_u32_e32 vcc, s9, v14
	v_cmp_eq_u32_e64 s[2:3], s9, v14
	s_and_saveexec_b64 s[14:15], s[2:3]
	s_cbranch_execz .LBB206_14
; %bb.16:                               ;   in Loop: Header=BB206_15 Depth=2
	scratch_load_dword v15, v13, off
	s_waitcnt vmcnt(0)
	v_add_f32_e32 v5, v5, v15
	global_store_dword v[8:9], v12, off offset:8
	s_branch .LBB206_14
.LBB206_17:                             ;   in Loop: Header=BB206_5 Depth=1
	s_or_b64 exec, exec, s[12:13]
	global_load_dword v6, v[6:7], off offset:12
	v_mov_b32_e32 v7, 0
	s_mov_b32 s9, 0
	s_mov_b64 s[12:13], 0
	s_waitcnt vmcnt(0)
	v_add_u32_e32 v12, v11, v6
	s_branch .LBB206_19
.LBB206_18:                             ;   in Loop: Header=BB206_19 Depth=2
	s_or_b64 exec, exec, s[14:15]
	s_add_i32 s16, s9, 1
	s_cmp_gt_u32 s9, 6
	s_cselect_b64 s[2:3], -1, 0
	s_xor_b64 s[14:15], vcc, -1
	s_or_b64 s[2:3], s[14:15], s[2:3]
	s_and_b64 s[2:3], exec, s[2:3]
	v_add_u32_e32 v7, 4, v7
	s_or_b64 s[12:13], s[2:3], s[12:13]
	s_mov_b32 s9, s16
	s_andn2_b64 exec, exec, s[12:13]
	s_cbranch_execz .LBB206_4
.LBB206_19:                             ;   Parent Loop BB206_5 Depth=1
                                        ; =>  This Inner Loop Header: Depth=2
	v_cmp_ne_u32_e32 vcc, s9, v12
	v_cmp_eq_u32_e64 s[2:3], s9, v12
	s_and_saveexec_b64 s[14:15], s[2:3]
	s_cbranch_execz .LBB206_18
; %bb.20:                               ;   in Loop: Header=BB206_19 Depth=2
	scratch_load_dword v13, v7, off
	s_waitcnt vmcnt(0)
	v_add_f32_e32 v5, v5, v13
	global_store_dword v[8:9], v6, off offset:12
	s_branch .LBB206_18
.LBB206_21:
	s_and_b32 s14, s33, 3
	s_cmp_eq_u32 s14, 0
	s_mov_b32 s9, 0
	s_cbranch_scc1 .LBB206_28
; %bb.22:
	v_lshlrev_b32_e32 v1, 3, v4
	v_sub_u32_e32 v1, 0, v1
	s_mov_b32 s15, s9
	s_branch .LBB206_24
.LBB206_23:                             ;   in Loop: Header=BB206_24 Depth=1
	s_or_b64 exec, exec, s[10:11]
	s_add_i32 s8, s8, 1
	s_add_i32 s15, s15, 1
	s_cmp_lg_u32 s15, s14
	s_cbranch_scc0 .LBB206_28
.LBB206_24:                             ; =>This Loop Header: Depth=1
                                        ;     Child Loop BB206_26 Depth 2
	v_lshl_add_u64 v[6:7], s[8:9], 2, v[2:3]
	global_load_dword v4, v[6:7], off
	v_add_u32_e32 v6, s8, v0
	v_ashrrev_i32_e32 v7, 31, v6
	v_mov_b32_e32 v8, 0
	s_mov_b32 s16, 0
	s_waitcnt lgkmcnt(0)
	v_lshl_add_u64 v[6:7], v[6:7], 2, s[6:7]
	s_mov_b64 s[10:11], 0
	s_waitcnt vmcnt(0)
	v_add_u32_e32 v9, v1, v4
	s_branch .LBB206_26
.LBB206_25:                             ;   in Loop: Header=BB206_26 Depth=2
	s_or_b64 exec, exec, s[12:13]
	s_add_i32 s17, s16, 1
	s_cmp_gt_u32 s16, 6
	s_cselect_b64 s[2:3], -1, 0
	s_xor_b64 s[12:13], vcc, -1
	s_or_b64 s[2:3], s[12:13], s[2:3]
	s_and_b64 s[2:3], exec, s[2:3]
	v_add_u32_e32 v8, 4, v8
	s_or_b64 s[10:11], s[2:3], s[10:11]
	s_mov_b32 s16, s17
	s_andn2_b64 exec, exec, s[10:11]
	s_cbranch_execz .LBB206_23
.LBB206_26:                             ;   Parent Loop BB206_24 Depth=1
                                        ; =>  This Inner Loop Header: Depth=2
	v_cmp_ne_u32_e32 vcc, s16, v9
	v_cmp_eq_u32_e64 s[2:3], s16, v9
	s_and_saveexec_b64 s[12:13], s[2:3]
	s_cbranch_execz .LBB206_25
; %bb.27:                               ;   in Loop: Header=BB206_26 Depth=2
	scratch_load_dword v11, v8, off
	s_waitcnt vmcnt(0)
	v_add_f32_e32 v5, v5, v11
	global_store_dword v[6:7], v4, off
	s_branch .LBB206_25
.LBB206_28:
	s_waitcnt lgkmcnt(0)
	s_load_dword s6, s[0:1], 0x3c
	s_waitcnt lgkmcnt(0)
	s_bitcmp1_b32 s6, 0
	s_cselect_b64 s[2:3], -1, 0
	s_bitcmp0_b32 s6, 0
	s_cbranch_scc0 .LBB206_32
; %bb.29:
	s_load_dwordx2 s[6:7], s[0:1], 0x40
	s_andn2_b64 vcc, exec, s[2:3]
	s_waitcnt lgkmcnt(0)
	v_cvt_f32_f64_e32 v8, s[6:7]
	s_cbranch_vccz .LBB206_33
.LBB206_30:
	s_andn2_b64 vcc, exec, s[4:5]
	s_cbranch_vccz .LBB206_34
.LBB206_31:
	s_endpgm
.LBB206_32:
	v_mbcnt_lo_u32_b32 v1, -1, 0
	v_mbcnt_hi_u32_b32 v1, -1, v1
	v_and_b32_e32 v4, 0x78, v1
	v_add_u32_e32 v4, 8, v4
	v_xor_b32_e32 v6, 4, v1
	v_cmp_lt_i32_e32 vcc, v6, v4
	v_xor_b32_e32 v7, 2, v1
	s_nop 0
	v_cndmask_b32_e32 v6, v1, v6, vcc
	v_lshlrev_b32_e32 v6, 2, v6
	ds_bpermute_b32 v6, v6, v5
	v_cmp_lt_i32_e32 vcc, v7, v4
	s_waitcnt lgkmcnt(0)
	v_add_f32_e32 v5, v5, v6
	v_cndmask_b32_e32 v6, v1, v7, vcc
	v_lshlrev_b32_e32 v6, 2, v6
	ds_bpermute_b32 v6, v6, v5
	v_xor_b32_e32 v7, 1, v1
	v_cmp_lt_i32_e32 vcc, v7, v4
	s_waitcnt lgkmcnt(0)
	v_add_f32_e32 v5, v5, v6
	v_cndmask_b32_e32 v1, v1, v7, vcc
	v_lshlrev_b32_e32 v1, 2, v1
	ds_bpermute_b32 v1, v1, v5
	s_waitcnt lgkmcnt(0)
	v_add_f32_e32 v5, v5, v1
	s_load_dwordx2 s[6:7], s[0:1], 0x40
	s_andn2_b64 vcc, exec, s[2:3]
	s_waitcnt lgkmcnt(0)
	v_cvt_f32_f64_e32 v8, s[6:7]
	s_cbranch_vccnz .LBB206_30
.LBB206_33:
	v_cmp_lt_f32_e32 vcc, 0, v5
	s_nop 1
	v_cndmask_b32_e32 v1, 1.0, v5, vcc
	v_div_scale_f32 v4, s[2:3], v1, v1, v8
	v_rcp_f32_e32 v5, v4
	s_nop 0
	v_fma_f32 v6, -v4, v5, 1.0
	v_fmac_f32_e32 v5, v6, v5
	v_div_scale_f32 v6, vcc, v8, v1, v8
	v_mul_f32_e32 v7, v6, v5
	v_fma_f32 v9, -v4, v7, v6
	v_fmac_f32_e32 v7, v9, v5
	v_fma_f32 v4, -v4, v7, v6
	v_div_fmas_f32 v4, v4, v5, v7
	v_div_fixup_f32 v8, v4, v1, v8
	s_andn2_b64 vcc, exec, s[4:5]
	s_cbranch_vccnz .LBB206_31
.LBB206_34:
	s_load_dwordx2 s[12:13], s[0:1], 0x10
	v_mov_b32_e32 v1, 0
	v_or_b32_e32 v20, 4, v1
	v_or_b32_e32 v18, 8, v1
	;; [unrolled: 1-line block ×3, first 2 shown]
	v_add_u32_e32 v14, 16, v1
	v_add_u32_e32 v12, 20, v1
	;; [unrolled: 1-line block ×4, first 2 shown]
	v_or_b32_e32 v23, 1, v10
	v_or_b32_e32 v22, 2, v10
	;; [unrolled: 1-line block ×7, first 2 shown]
	s_cmp_eq_u32 s33, 1
	s_mov_b32 s14, 0
	s_cbranch_scc1 .LBB206_69
; %bb.35:
	v_ashrrev_i32_e32 v1, 31, v0
	s_waitcnt lgkmcnt(0)
	v_lshl_add_u64 v[4:5], v[0:1], 2, s[12:13]
	s_and_b32 s14, s33, 0x7ffffffe
	v_lshl_add_u64 v[4:5], v[4:5], 0, 4
	v_lshl_add_u64 v[6:7], v[2:3], 0, 4
	s_mov_b32 s15, 0
	s_branch .LBB206_37
.LBB206_36:                             ;   in Loop: Header=BB206_37 Depth=1
	s_or_b64 exec, exec, s[0:1]
	s_add_i32 s15, s15, 2
	v_lshl_add_u64 v[4:5], v[4:5], 0, 8
	s_cmp_eq_u32 s14, s15
	v_lshl_add_u64 v[6:7], v[6:7], 0, 8
	s_cbranch_scc1 .LBB206_69
.LBB206_37:                             ; =>This Inner Loop Header: Depth=1
	global_load_dword v24, v[6:7], off offset:-4
	v_mov_b32_e32 v1, 0
	s_waitcnt vmcnt(0)
	v_cmp_eq_u32_e32 vcc, v24, v10
	v_cmp_ne_u32_e64 s[0:1], v24, v10
	s_and_saveexec_b64 s[16:17], s[0:1]
	s_cbranch_execz .LBB206_51
; %bb.38:                               ;   in Loop: Header=BB206_37 Depth=1
	v_cmp_eq_u32_e64 s[0:1], v24, v23
	v_cmp_ne_u32_e64 s[2:3], v24, v23
	v_mov_b32_e32 v1, v20
	s_and_saveexec_b64 s[18:19], s[2:3]
	s_cbranch_execz .LBB206_50
; %bb.39:                               ;   in Loop: Header=BB206_37 Depth=1
	v_cmp_eq_u32_e64 s[2:3], v24, v22
	v_cmp_ne_u32_e64 s[4:5], v24, v22
	v_mov_b32_e32 v1, v18
	;; [unrolled: 6-line block ×6, first 2 shown]
	s_and_saveexec_b64 s[30:31], s[10:11]
	s_xor_b64 s[30:31], exec, s[30:31]
; %bb.44:                               ;   in Loop: Header=BB206_37 Depth=1
	v_cmp_eq_u32_e64 s[10:11], v24, v13
	s_andn2_b64 s[28:29], s[28:29], exec
	s_and_b64 s[10:11], s[10:11], exec
	s_or_b64 s[28:29], s[28:29], s[10:11]
	v_mov_b32_e32 v1, v11
; %bb.45:                               ;   in Loop: Header=BB206_37 Depth=1
	s_or_b64 exec, exec, s[30:31]
	s_andn2_b64 s[8:9], s[8:9], exec
	s_and_b64 s[10:11], s[28:29], exec
	s_or_b64 s[8:9], s[8:9], s[10:11]
.LBB206_46:                             ;   in Loop: Header=BB206_37 Depth=1
	s_or_b64 exec, exec, s[26:27]
	s_andn2_b64 s[6:7], s[6:7], exec
	s_and_b64 s[8:9], s[8:9], exec
	s_or_b64 s[6:7], s[6:7], s[8:9]
.LBB206_47:                             ;   in Loop: Header=BB206_37 Depth=1
	s_or_b64 exec, exec, s[24:25]
	s_andn2_b64 s[4:5], s[4:5], exec
	s_and_b64 s[6:7], s[6:7], exec
	s_or_b64 s[4:5], s[4:5], s[6:7]
.LBB206_48:                             ;   in Loop: Header=BB206_37 Depth=1
	s_or_b64 exec, exec, s[22:23]
	s_andn2_b64 s[2:3], s[2:3], exec
	s_and_b64 s[4:5], s[4:5], exec
	s_or_b64 s[2:3], s[2:3], s[4:5]
.LBB206_49:                             ;   in Loop: Header=BB206_37 Depth=1
	s_or_b64 exec, exec, s[20:21]
	s_andn2_b64 s[0:1], s[0:1], exec
	s_and_b64 s[2:3], s[2:3], exec
	s_or_b64 s[0:1], s[0:1], s[2:3]
.LBB206_50:                             ;   in Loop: Header=BB206_37 Depth=1
	s_or_b64 exec, exec, s[18:19]
	s_andn2_b64 s[2:3], vcc, exec
	s_and_b64 s[0:1], s[0:1], exec
	s_or_b64 vcc, s[2:3], s[0:1]
.LBB206_51:                             ;   in Loop: Header=BB206_37 Depth=1
	s_or_b64 exec, exec, s[16:17]
	s_and_saveexec_b64 s[0:1], vcc
	s_cbranch_execz .LBB206_53
; %bb.52:                               ;   in Loop: Header=BB206_37 Depth=1
	scratch_load_dword v1, v1, off
	v_add_u32_e32 v24, s15, v0
	v_ashrrev_i32_e32 v25, 31, v24
	v_lshl_add_u64 v[24:25], v[24:25], 2, s[12:13]
	s_waitcnt vmcnt(0)
	v_mul_f32_e32 v1, v8, v1
	global_store_dword v[24:25], v1, off
.LBB206_53:                             ;   in Loop: Header=BB206_37 Depth=1
	s_or_b64 exec, exec, s[0:1]
	global_load_dword v24, v[6:7], off
	v_mov_b32_e32 v1, 0
	s_waitcnt vmcnt(0)
	v_cmp_eq_u32_e64 s[8:9], v24, v10
	v_cmp_ne_u32_e32 vcc, v24, v10
	s_and_saveexec_b64 s[10:11], vcc
	s_cbranch_execz .LBB206_67
; %bb.54:                               ;   in Loop: Header=BB206_37 Depth=1
	v_cmp_eq_u32_e32 vcc, v24, v23
	v_cmp_ne_u32_e64 s[0:1], v24, v23
	v_mov_b32_e32 v1, v20
	s_and_saveexec_b64 s[16:17], s[0:1]
	s_cbranch_execz .LBB206_66
; %bb.55:                               ;   in Loop: Header=BB206_37 Depth=1
	v_cmp_eq_u32_e64 s[0:1], v24, v22
	v_cmp_ne_u32_e64 s[2:3], v24, v22
	v_mov_b32_e32 v1, v18
	s_and_saveexec_b64 s[18:19], s[2:3]
	s_cbranch_execz .LBB206_65
; %bb.56:                               ;   in Loop: Header=BB206_37 Depth=1
	v_cmp_eq_u32_e64 s[2:3], v24, v21
	;; [unrolled: 6-line block ×5, first 2 shown]
	v_cmp_ne_u32_e64 s[6:7], v24, v15
	v_mov_b32_e32 v1, v9
	s_and_saveexec_b64 s[30:31], s[6:7]
; %bb.60:                               ;   in Loop: Header=BB206_37 Depth=1
	v_cmp_eq_u32_e64 s[6:7], v24, v13
	s_andn2_b64 s[28:29], s[28:29], exec
	s_and_b64 s[6:7], s[6:7], exec
	s_or_b64 s[28:29], s[28:29], s[6:7]
	v_mov_b32_e32 v1, v11
; %bb.61:                               ;   in Loop: Header=BB206_37 Depth=1
	s_or_b64 exec, exec, s[30:31]
	s_andn2_b64 s[6:7], s[24:25], exec
	s_and_b64 s[24:25], s[28:29], exec
	s_or_b64 s[24:25], s[6:7], s[24:25]
.LBB206_62:                             ;   in Loop: Header=BB206_37 Depth=1
	s_or_b64 exec, exec, s[26:27]
	s_andn2_b64 s[4:5], s[4:5], exec
	s_and_b64 s[6:7], s[24:25], exec
	s_or_b64 s[4:5], s[4:5], s[6:7]
.LBB206_63:                             ;   in Loop: Header=BB206_37 Depth=1
	s_or_b64 exec, exec, s[22:23]
	s_andn2_b64 s[2:3], s[2:3], exec
	s_and_b64 s[4:5], s[4:5], exec
	s_or_b64 s[2:3], s[2:3], s[4:5]
.LBB206_64:                             ;   in Loop: Header=BB206_37 Depth=1
	s_or_b64 exec, exec, s[20:21]
	s_andn2_b64 s[0:1], s[0:1], exec
	s_and_b64 s[2:3], s[2:3], exec
	s_or_b64 s[0:1], s[0:1], s[2:3]
.LBB206_65:                             ;   in Loop: Header=BB206_37 Depth=1
	s_or_b64 exec, exec, s[18:19]
	s_andn2_b64 s[2:3], vcc, exec
	s_and_b64 s[0:1], s[0:1], exec
	s_or_b64 vcc, s[2:3], s[0:1]
.LBB206_66:                             ;   in Loop: Header=BB206_37 Depth=1
	s_or_b64 exec, exec, s[16:17]
	s_andn2_b64 s[0:1], s[8:9], exec
	s_and_b64 s[2:3], vcc, exec
	s_or_b64 s[8:9], s[0:1], s[2:3]
.LBB206_67:                             ;   in Loop: Header=BB206_37 Depth=1
	s_or_b64 exec, exec, s[10:11]
	s_and_saveexec_b64 s[0:1], s[8:9]
	s_cbranch_execz .LBB206_36
; %bb.68:                               ;   in Loop: Header=BB206_37 Depth=1
	scratch_load_dword v1, v1, off
	s_waitcnt vmcnt(0)
	v_mul_f32_e32 v1, v8, v1
	global_store_dword v[4:5], v1, off
	s_branch .LBB206_36
.LBB206_69:
	s_bitcmp0_b32 s33, 0
	s_mov_b32 s15, 0
	s_cbranch_scc1 .LBB206_31
; %bb.70:
	v_lshl_add_u64 v[2:3], s[14:15], 2, v[2:3]
	global_load_dword v1, v[2:3], off
	v_mov_b32_e32 v2, 0
	s_waitcnt vmcnt(0)
	v_cmp_eq_u32_e64 s[8:9], v1, v10
	v_cmp_ne_u32_e32 vcc, v1, v10
	s_and_saveexec_b64 s[10:11], vcc
	s_cbranch_execz .LBB206_84
; %bb.71:
	v_cmp_eq_u32_e32 vcc, v1, v23
	v_cmp_ne_u32_e64 s[0:1], v1, v23
	s_and_saveexec_b64 s[16:17], s[0:1]
	s_cbranch_execz .LBB206_83
; %bb.72:
	v_cmp_eq_u32_e64 s[0:1], v1, v22
	v_cmp_ne_u32_e64 s[2:3], v1, v22
	s_and_saveexec_b64 s[18:19], s[2:3]
	s_cbranch_execz .LBB206_82
; %bb.73:
	v_cmp_eq_u32_e64 s[2:3], v1, v21
	;; [unrolled: 5-line block ×5, first 2 shown]
	v_cmp_ne_u32_e64 s[6:7], v1, v15
	s_and_saveexec_b64 s[30:31], s[6:7]
; %bb.77:
	v_cmp_eq_u32_e64 s[6:7], v1, v13
	s_andn2_b64 s[28:29], s[28:29], exec
	s_and_b64 s[6:7], s[6:7], exec
	s_or_b64 s[28:29], s[28:29], s[6:7]
	v_mov_b32_e32 v9, v11
; %bb.78:
	s_or_b64 exec, exec, s[30:31]
	s_andn2_b64 s[6:7], s[24:25], exec
	s_and_b64 s[24:25], s[28:29], exec
	s_or_b64 s[24:25], s[6:7], s[24:25]
	v_mov_b32_e32 v12, v9
.LBB206_79:
	s_or_b64 exec, exec, s[26:27]
	s_andn2_b64 s[4:5], s[4:5], exec
	s_and_b64 s[6:7], s[24:25], exec
	s_or_b64 s[4:5], s[4:5], s[6:7]
	v_mov_b32_e32 v14, v12
.LBB206_80:
	s_or_b64 exec, exec, s[22:23]
	s_andn2_b64 s[2:3], s[2:3], exec
	s_and_b64 s[4:5], s[4:5], exec
	s_or_b64 s[2:3], s[2:3], s[4:5]
	v_mov_b32_e32 v16, v14
.LBB206_81:
	s_or_b64 exec, exec, s[20:21]
	s_andn2_b64 s[0:1], s[0:1], exec
	s_and_b64 s[2:3], s[2:3], exec
	s_or_b64 s[0:1], s[0:1], s[2:3]
	v_mov_b32_e32 v18, v16
.LBB206_82:
	s_or_b64 exec, exec, s[18:19]
	s_andn2_b64 s[2:3], vcc, exec
	s_and_b64 s[0:1], s[0:1], exec
	s_or_b64 vcc, s[2:3], s[0:1]
	v_mov_b32_e32 v20, v18
.LBB206_83:
	s_or_b64 exec, exec, s[16:17]
	s_andn2_b64 s[0:1], s[8:9], exec
	s_and_b64 s[2:3], vcc, exec
	s_or_b64 s[8:9], s[0:1], s[2:3]
	v_mov_b32_e32 v2, v20
.LBB206_84:
	s_or_b64 exec, exec, s[10:11]
	s_and_b64 exec, exec, s[8:9]
	s_cbranch_execz .LBB206_31
; %bb.85:
	scratch_load_dword v2, v2, off
	v_add_u32_e32 v0, s14, v0
	v_ashrrev_i32_e32 v1, 31, v0
	s_waitcnt lgkmcnt(0)
	v_lshl_add_u64 v[0:1], v[0:1], 2, s[12:13]
	s_waitcnt vmcnt(0)
	v_mul_f32_e32 v2, v8, v2
	global_store_dword v[0:1], v2, off
	s_endpgm
	.section	.rodata,"a",@progbits
	.p2align	6, 0x0
	.amdhsa_kernel _ZN4vllm3moe22topkGatingSoftplusSqrtILi8ELi64ELi4ELi16ELi32ELb1Ei6__halfEEvPKT6_PKbPfiPT5_PiiiibdPKfPKS9_SF_
		.amdhsa_group_segment_fixed_size 0
		.amdhsa_private_segment_fixed_size 48
		.amdhsa_kernarg_size 96
		.amdhsa_user_sgpr_count 2
		.amdhsa_user_sgpr_dispatch_ptr 0
		.amdhsa_user_sgpr_queue_ptr 0
		.amdhsa_user_sgpr_kernarg_segment_ptr 1
		.amdhsa_user_sgpr_dispatch_id 0
		.amdhsa_user_sgpr_kernarg_preload_length 0
		.amdhsa_user_sgpr_kernarg_preload_offset 0
		.amdhsa_user_sgpr_private_segment_size 0
		.amdhsa_uses_dynamic_stack 0
		.amdhsa_enable_private_segment 1
		.amdhsa_system_sgpr_workgroup_id_x 1
		.amdhsa_system_sgpr_workgroup_id_y 0
		.amdhsa_system_sgpr_workgroup_id_z 0
		.amdhsa_system_sgpr_workgroup_info 0
		.amdhsa_system_vgpr_workitem_id 1
		.amdhsa_next_free_vgpr 29
		.amdhsa_next_free_sgpr 34
		.amdhsa_accum_offset 32
		.amdhsa_reserve_vcc 1
		.amdhsa_float_round_mode_32 0
		.amdhsa_float_round_mode_16_64 0
		.amdhsa_float_denorm_mode_32 3
		.amdhsa_float_denorm_mode_16_64 3
		.amdhsa_dx10_clamp 1
		.amdhsa_ieee_mode 1
		.amdhsa_fp16_overflow 0
		.amdhsa_tg_split 0
		.amdhsa_exception_fp_ieee_invalid_op 0
		.amdhsa_exception_fp_denorm_src 0
		.amdhsa_exception_fp_ieee_div_zero 0
		.amdhsa_exception_fp_ieee_overflow 0
		.amdhsa_exception_fp_ieee_underflow 0
		.amdhsa_exception_fp_ieee_inexact 0
		.amdhsa_exception_int_div_zero 0
	.end_amdhsa_kernel
	.section	.text._ZN4vllm3moe22topkGatingSoftplusSqrtILi8ELi64ELi4ELi16ELi32ELb1Ei6__halfEEvPKT6_PKbPfiPT5_PiiiibdPKfPKS9_SF_,"axG",@progbits,_ZN4vllm3moe22topkGatingSoftplusSqrtILi8ELi64ELi4ELi16ELi32ELb1Ei6__halfEEvPKT6_PKbPfiPT5_PiiiibdPKfPKS9_SF_,comdat
.Lfunc_end206:
	.size	_ZN4vllm3moe22topkGatingSoftplusSqrtILi8ELi64ELi4ELi16ELi32ELb1Ei6__halfEEvPKT6_PKbPfiPT5_PiiiibdPKfPKS9_SF_, .Lfunc_end206-_ZN4vllm3moe22topkGatingSoftplusSqrtILi8ELi64ELi4ELi16ELi32ELb1Ei6__halfEEvPKT6_PKbPfiPT5_PiiiibdPKfPKS9_SF_
                                        ; -- End function
	.section	.AMDGPU.csdata,"",@progbits
; Kernel info:
; codeLenInByte = 4516
; NumSgprs: 40
; NumVgprs: 29
; NumAgprs: 0
; TotalNumVgprs: 29
; ScratchSize: 48
; MemoryBound: 0
; FloatMode: 240
; IeeeMode: 1
; LDSByteSize: 0 bytes/workgroup (compile time only)
; SGPRBlocks: 4
; VGPRBlocks: 3
; NumSGPRsForWavesPerEU: 40
; NumVGPRsForWavesPerEU: 29
; AccumOffset: 32
; Occupancy: 8
; WaveLimiterHint : 1
; COMPUTE_PGM_RSRC2:SCRATCH_EN: 1
; COMPUTE_PGM_RSRC2:USER_SGPR: 2
; COMPUTE_PGM_RSRC2:TRAP_HANDLER: 0
; COMPUTE_PGM_RSRC2:TGID_X_EN: 1
; COMPUTE_PGM_RSRC2:TGID_Y_EN: 0
; COMPUTE_PGM_RSRC2:TGID_Z_EN: 0
; COMPUTE_PGM_RSRC2:TIDIG_COMP_CNT: 1
; COMPUTE_PGM_RSRC3_GFX90A:ACCUM_OFFSET: 7
; COMPUTE_PGM_RSRC3_GFX90A:TG_SPLIT: 0
	.section	.text._ZN4vllm3moe22topkGatingSoftplusSqrtILi8ELi64ELi4ELi16ELi32ELb0Ei6__halfEEvPKT6_PKbPfiPT5_PiiiibdPKfPKS9_SF_,"axG",@progbits,_ZN4vllm3moe22topkGatingSoftplusSqrtILi8ELi64ELi4ELi16ELi32ELb0Ei6__halfEEvPKT6_PKbPfiPT5_PiiiibdPKfPKS9_SF_,comdat
	.protected	_ZN4vllm3moe22topkGatingSoftplusSqrtILi8ELi64ELi4ELi16ELi32ELb0Ei6__halfEEvPKT6_PKbPfiPT5_PiiiibdPKfPKS9_SF_ ; -- Begin function _ZN4vllm3moe22topkGatingSoftplusSqrtILi8ELi64ELi4ELi16ELi32ELb0Ei6__halfEEvPKT6_PKbPfiPT5_PiiiibdPKfPKS9_SF_
	.globl	_ZN4vllm3moe22topkGatingSoftplusSqrtILi8ELi64ELi4ELi16ELi32ELb0Ei6__halfEEvPKT6_PKbPfiPT5_PiiiibdPKfPKS9_SF_
	.p2align	8
	.type	_ZN4vllm3moe22topkGatingSoftplusSqrtILi8ELi64ELi4ELi16ELi32ELb0Ei6__halfEEvPKT6_PKbPfiPT5_PiiiibdPKfPKS9_SF_,@function
_ZN4vllm3moe22topkGatingSoftplusSqrtILi8ELi64ELi4ELi16ELi32ELb0Ei6__halfEEvPKT6_PKbPfiPT5_PiiiibdPKfPKS9_SF_: ; @_ZN4vllm3moe22topkGatingSoftplusSqrtILi8ELi64ELi4ELi16ELi32ELb0Ei6__halfEEvPKT6_PKbPfiPT5_PiiiibdPKfPKS9_SF_
; %bb.0:
	s_load_dword s33, s[0:1], 0x18
	v_bfe_u32 v1, v0, 10, 10
	v_and_b32_e32 v0, 0x3ff, v0
	s_lshl_b32 s2, s2, 4
	v_lshlrev_b32_e32 v1, 2, v1
	v_lshrrev_b32_e32 v2, 3, v0
	v_add3_u32 v8, s2, v1, v2
	s_waitcnt lgkmcnt(0)
	v_cmp_gt_i32_e32 vcc, s33, v8
	s_and_saveexec_b64 s[2:3], vcc
	s_cbranch_execz .LBB207_57
; %bb.1:
	s_load_dwordx4 s[4:7], s[0:1], 0x0
	s_load_dwordx2 s[34:35], s[0:1], 0x10
	s_waitcnt lgkmcnt(0)
	s_cmp_eq_u64 s[6:7], 0
	s_cbranch_scc1 .LBB207_3
; %bb.2:
	v_ashrrev_i32_e32 v9, 31, v8
	v_lshl_add_u64 v[2:3], s[6:7], 0, v[8:9]
	global_load_ubyte v1, v[2:3], off
	s_waitcnt vmcnt(0)
	v_and_b32_e32 v1, 1, v1
	v_cmp_eq_u32_e32 vcc, 1, v1
	s_xor_b64 s[2:3], vcc, -1
	s_orn2_b64 s[36:37], s[2:3], exec
	s_branch .LBB207_4
.LBB207_3:
	s_mov_b64 s[36:37], -1
.LBB207_4:
	v_lshlrev_b32_e32 v4, 6, v8
	v_mov_b32_e32 v2, s4
	v_mov_b32_e32 v3, s5
	v_ashrrev_i32_e32 v5, 31, v4
	v_and_b32_e32 v9, 7, v0
	v_lshl_add_u64 v[2:3], v[4:5], 1, v[2:3]
	v_mov_b32_e32 v1, 0
	v_lshlrev_b32_e32 v0, 4, v9
	v_lshl_add_u64 v[0:1], v[2:3], 0, v[0:1]
	global_load_dwordx4 v[4:7], v[0:1], off
	s_mov_b32 s12, 0x800000
	v_mov_b32_e32 v2, 0x4f800000
	s_mov_b32 s9, 0x3f317217
	s_mov_b32 s10, 0x7f800000
	v_mov_b32_e32 v3, 0x41b17218
	s_movk_i32 s8, 0x4d00
	s_mov_b32 s11, 0xf800000
	s_load_dwordx4 s[20:23], s[0:1], 0x40
	v_lshlrev_b32_e32 v12, 3, v9
	s_waitcnt lgkmcnt(0)
	s_cmp_lg_u64 s[22:23], 0
	s_cselect_b64 s[6:7], -1, 0
	s_and_b64 s[2:3], exec, s[6:7]
	s_waitcnt vmcnt(0)
	v_cvt_f32_f16_e32 v0, v4
	v_mul_f32_e32 v1, 0x3fb8aa3b, v0
	v_exp_f32_e32 v10, v1
	v_mov_b32_e32 v1, 0x260
	v_add_f32_e32 v10, 1.0, v10
	v_cmp_gt_f32_e32 vcc, s12, v10
	s_nop 1
	v_cndmask_b32_e32 v11, 1.0, v2, vcc
	v_mul_f32_e32 v10, v10, v11
	v_log_f32_e32 v11, v10
	v_cndmask_b32_e32 v13, 0, v3, vcc
	v_lshlrev_b32_e32 v10, 2, v12
	v_mul_f32_e32 v14, 0x3f317217, v11
	v_fma_f32 v14, v11, s9, -v14
	v_fmac_f32_e32 v14, 0x3377d1cf, v11
	v_fmac_f32_e32 v14, 0x3f317217, v11
	v_cmp_lt_f32_e64 vcc, |v11|, s10
	s_nop 1
	v_cndmask_b32_e32 v11, v11, v14, vcc
	v_sub_f32_e32 v11, v11, v13
	v_cmp_lt_f16_e32 vcc, s8, v4
	s_nop 1
	v_cndmask_b32_e32 v0, v11, v0, vcc
	v_mul_f32_e32 v11, 0x4f800000, v0
	v_cmp_gt_f32_e32 vcc, s11, v0
	s_nop 1
	v_cndmask_b32_e32 v0, v0, v11, vcc
	v_sqrt_f32_e32 v11, v0
	s_nop 0
	v_add_u32_e32 v13, -1, v11
	v_add_u32_e32 v14, 1, v11
	v_fma_f32 v15, -v13, v11, v0
	v_fma_f32 v16, -v14, v11, v0
	v_cmp_ge_f32_e64 s[4:5], 0, v15
	s_nop 1
	v_cndmask_b32_e64 v11, v11, v13, s[4:5]
	v_cmp_lt_f32_e64 s[4:5], 0, v16
	s_nop 1
	v_cndmask_b32_e64 v11, v11, v14, s[4:5]
	v_mul_f32_e32 v13, 0x37800000, v11
	v_cndmask_b32_e32 v11, v11, v13, vcc
	v_cmp_class_f32_e32 vcc, v0, v1
	s_nop 1
	v_cndmask_b32_e32 v0, v11, v0, vcc
	s_mov_b64 vcc, s[2:3]
	s_cbranch_vccz .LBB207_6
; %bb.5:
	global_load_dword v11, v10, s[22:23]
	s_waitcnt vmcnt(0)
	v_add_f32_e32 v0, v0, v11
.LBB207_6:
	v_cvt_f32_f16_sdwa v11, v4 dst_sel:DWORD dst_unused:UNUSED_PAD src0_sel:WORD_1
	v_mul_f32_e32 v13, 0x3fb8aa3b, v11
	v_exp_f32_e32 v13, v13
	s_nop 0
	v_add_f32_e32 v13, 1.0, v13
	v_cmp_gt_f32_e32 vcc, s12, v13
	s_nop 1
	v_cndmask_b32_e32 v2, 1.0, v2, vcc
	v_mul_f32_e32 v2, v13, v2
	v_log_f32_e32 v2, v2
	v_cndmask_b32_e32 v3, 0, v3, vcc
	v_mul_f32_e32 v13, 0x3f317217, v2
	v_fma_f32 v13, v2, s9, -v13
	v_fmac_f32_e32 v13, 0x3377d1cf, v2
	v_fmac_f32_e32 v13, 0x3f317217, v2
	v_cmp_lt_f32_e64 vcc, |v2|, s10
	s_nop 1
	v_cndmask_b32_e32 v2, v2, v13, vcc
	v_sub_f32_e32 v2, v2, v3
	v_cmp_gt_f16_sdwa vcc, v4, s8 src0_sel:WORD_1 src1_sel:DWORD
	v_cndmask_b32_e64 v4, 0, 1, s[6:7]
	v_cmp_ne_u32_e64 s[2:3], 1, v4
	v_cndmask_b32_e32 v2, v2, v11, vcc
	v_mul_f32_e32 v3, 0x4f800000, v2
	v_cmp_gt_f32_e64 s[4:5], s11, v2
	s_andn2_b64 vcc, exec, s[6:7]
	s_nop 0
	v_cndmask_b32_e64 v2, v2, v3, s[4:5]
	v_sqrt_f32_e32 v3, v2
	s_nop 0
	v_add_u32_e32 v4, -1, v3
	v_add_u32_e32 v11, 1, v3
	v_fma_f32 v13, -v4, v3, v2
	v_fma_f32 v14, -v11, v3, v2
	v_cmp_ge_f32_e64 s[6:7], 0, v13
	s_nop 1
	v_cndmask_b32_e64 v3, v3, v4, s[6:7]
	v_cmp_lt_f32_e64 s[6:7], 0, v14
	s_nop 1
	v_cndmask_b32_e64 v3, v3, v11, s[6:7]
	v_mul_f32_e32 v4, 0x37800000, v3
	v_cndmask_b32_e64 v3, v3, v4, s[4:5]
	v_cmp_class_f32_e64 s[4:5], v2, v1
	s_nop 1
	v_cndmask_b32_e64 v1, v3, v2, s[4:5]
	s_cbranch_vccnz .LBB207_8
; %bb.7:
	global_load_dword v2, v10, s[22:23] offset:4
	s_waitcnt vmcnt(0)
	v_add_f32_e32 v1, v1, v2
.LBB207_8:
	v_cvt_f32_f16_e32 v2, v5
	s_mov_b32 s8, 0x800000
	v_mov_b32_e32 v4, 0x4f800000
	s_mov_b32 s7, 0x3f317217
	v_mul_f32_e32 v3, 0x3fb8aa3b, v2
	v_exp_f32_e32 v3, v3
	s_mov_b32 s9, 0x7f800000
	s_movk_i32 s6, 0x4d00
	s_mov_b32 s10, 0xf800000
	v_add_f32_e32 v3, 1.0, v3
	v_cmp_gt_f32_e32 vcc, s8, v3
	s_nop 1
	v_cndmask_b32_e32 v11, 1.0, v4, vcc
	v_mul_f32_e32 v3, v3, v11
	v_log_f32_e32 v3, v3
	v_mov_b32_e32 v11, 0x41b17218
	v_cndmask_b32_e32 v13, 0, v11, vcc
	v_mul_f32_e32 v14, 0x3f317217, v3
	v_fma_f32 v14, v3, s7, -v14
	v_fmac_f32_e32 v14, 0x3377d1cf, v3
	v_fmac_f32_e32 v14, 0x3f317217, v3
	v_cmp_lt_f32_e64 vcc, |v3|, s9
	s_nop 1
	v_cndmask_b32_e32 v3, v3, v14, vcc
	v_sub_f32_e32 v3, v3, v13
	v_cmp_lt_f16_e32 vcc, s6, v5
	s_nop 1
	v_cndmask_b32_e32 v2, v3, v2, vcc
	v_mul_f32_e32 v3, 0x4f800000, v2
	v_cmp_gt_f32_e32 vcc, s10, v2
	s_nop 1
	v_cndmask_b32_e32 v2, v2, v3, vcc
	v_sqrt_f32_e32 v3, v2
	s_nop 0
	v_add_u32_e32 v13, -1, v3
	v_fma_f32 v14, -v13, v3, v2
	v_cmp_ge_f32_e64 s[4:5], 0, v14
	v_add_u32_e32 v14, 1, v3
	s_nop 0
	v_cndmask_b32_e64 v13, v3, v13, s[4:5]
	v_fma_f32 v3, -v14, v3, v2
	v_cmp_lt_f32_e64 s[4:5], 0, v3
	s_nop 1
	v_cndmask_b32_e64 v3, v13, v14, s[4:5]
	v_mul_f32_e32 v13, 0x37800000, v3
	v_cndmask_b32_e32 v13, v3, v13, vcc
	v_mov_b32_e32 v3, 0x260
	v_cmp_class_f32_e64 s[4:5], v2, v3
	s_and_b64 vcc, exec, s[2:3]
	s_nop 0
	v_cndmask_b32_e64 v2, v13, v2, s[4:5]
	s_cbranch_vccnz .LBB207_10
; %bb.9:
	global_load_dword v13, v10, s[22:23] offset:8
	s_waitcnt vmcnt(0)
	v_add_f32_e32 v2, v2, v13
.LBB207_10:
	v_cvt_f32_f16_sdwa v13, v5 dst_sel:DWORD dst_unused:UNUSED_PAD src0_sel:WORD_1
	v_mul_f32_e32 v14, 0x3fb8aa3b, v13
	v_exp_f32_e32 v14, v14
	s_nop 0
	v_add_f32_e32 v14, 1.0, v14
	v_cmp_gt_f32_e32 vcc, s8, v14
	s_nop 1
	v_cndmask_b32_e32 v4, 1.0, v4, vcc
	v_mul_f32_e32 v4, v14, v4
	v_log_f32_e32 v4, v4
	v_cndmask_b32_e32 v11, 0, v11, vcc
	v_mul_f32_e32 v14, 0x3f317217, v4
	v_fma_f32 v14, v4, s7, -v14
	v_fmac_f32_e32 v14, 0x3377d1cf, v4
	v_fmac_f32_e32 v14, 0x3f317217, v4
	v_cmp_lt_f32_e64 vcc, |v4|, s9
	s_nop 1
	v_cndmask_b32_e32 v4, v4, v14, vcc
	v_sub_f32_e32 v4, v4, v11
	v_cmp_gt_f16_sdwa vcc, v5, s6 src0_sel:WORD_1 src1_sel:DWORD
	s_nop 1
	v_cndmask_b32_e32 v4, v4, v13, vcc
	v_mul_f32_e32 v5, 0x4f800000, v4
	v_cmp_gt_f32_e64 s[4:5], s10, v4
	s_and_b64 vcc, exec, s[2:3]
	s_nop 0
	v_cndmask_b32_e64 v4, v4, v5, s[4:5]
	v_sqrt_f32_e32 v5, v4
	s_nop 0
	v_add_u32_e32 v11, -1, v5
	v_add_u32_e32 v13, 1, v5
	v_fma_f32 v14, -v11, v5, v4
	v_fma_f32 v15, -v13, v5, v4
	v_cmp_ge_f32_e64 s[6:7], 0, v14
	s_nop 1
	v_cndmask_b32_e64 v5, v5, v11, s[6:7]
	v_cmp_lt_f32_e64 s[6:7], 0, v15
	s_nop 1
	v_cndmask_b32_e64 v5, v5, v13, s[6:7]
	v_mul_f32_e32 v11, 0x37800000, v5
	v_cndmask_b32_e64 v5, v5, v11, s[4:5]
	v_cmp_class_f32_e64 s[4:5], v4, v3
	s_nop 1
	v_cndmask_b32_e64 v3, v5, v4, s[4:5]
	s_cbranch_vccnz .LBB207_12
; %bb.11:
	global_load_dword v4, v10, s[22:23] offset:12
	s_waitcnt vmcnt(0)
	v_add_f32_e32 v3, v3, v4
.LBB207_12:
	v_cvt_f32_f16_e32 v4, v6
	v_mov_b32_e32 v11, 0x4f800000
	s_mov_b32 s7, 0x3f317217
	s_movk_i32 s6, 0x4d00
	v_mul_f32_e32 v5, 0x3fb8aa3b, v4
	v_exp_f32_e32 v5, v5
	s_nop 0
	v_add_f32_e32 v5, 1.0, v5
	v_cmp_gt_f32_e32 vcc, s8, v5
	s_nop 1
	v_cndmask_b32_e32 v13, 1.0, v11, vcc
	v_mul_f32_e32 v5, v5, v13
	v_log_f32_e32 v5, v5
	v_mov_b32_e32 v13, 0x41b17218
	v_cndmask_b32_e32 v14, 0, v13, vcc
	v_mul_f32_e32 v15, 0x3f317217, v5
	v_fma_f32 v15, v5, s7, -v15
	v_fmac_f32_e32 v15, 0x3377d1cf, v5
	v_fmac_f32_e32 v15, 0x3f317217, v5
	v_cmp_lt_f32_e64 vcc, |v5|, s9
	s_nop 1
	v_cndmask_b32_e32 v5, v5, v15, vcc
	v_sub_f32_e32 v5, v5, v14
	v_cmp_lt_f16_e32 vcc, s6, v6
	s_nop 1
	v_cndmask_b32_e32 v4, v5, v4, vcc
	v_mul_f32_e32 v5, 0x4f800000, v4
	v_cmp_gt_f32_e32 vcc, s10, v4
	s_nop 1
	v_cndmask_b32_e32 v4, v4, v5, vcc
	v_sqrt_f32_e32 v5, v4
	s_nop 0
	v_add_u32_e32 v14, -1, v5
	v_fma_f32 v15, -v14, v5, v4
	v_cmp_ge_f32_e64 s[4:5], 0, v15
	v_add_u32_e32 v15, 1, v5
	s_nop 0
	v_cndmask_b32_e64 v14, v5, v14, s[4:5]
	v_fma_f32 v5, -v15, v5, v4
	v_cmp_lt_f32_e64 s[4:5], 0, v5
	s_nop 1
	v_cndmask_b32_e64 v5, v14, v15, s[4:5]
	v_mul_f32_e32 v14, 0x37800000, v5
	v_cndmask_b32_e32 v14, v5, v14, vcc
	v_mov_b32_e32 v5, 0x260
	v_cmp_class_f32_e64 s[4:5], v4, v5
	s_and_b64 vcc, exec, s[2:3]
	s_nop 0
	v_cndmask_b32_e64 v4, v14, v4, s[4:5]
	s_cbranch_vccnz .LBB207_14
; %bb.13:
	global_load_dword v14, v10, s[22:23] offset:16
	s_waitcnt vmcnt(0)
	v_add_f32_e32 v4, v4, v14
.LBB207_14:
	v_cvt_f32_f16_sdwa v14, v6 dst_sel:DWORD dst_unused:UNUSED_PAD src0_sel:WORD_1
	v_mul_f32_e32 v15, 0x3fb8aa3b, v14
	v_exp_f32_e32 v15, v15
	s_nop 0
	v_add_f32_e32 v15, 1.0, v15
	v_cmp_gt_f32_e32 vcc, s8, v15
	s_nop 1
	v_cndmask_b32_e32 v11, 1.0, v11, vcc
	v_mul_f32_e32 v11, v15, v11
	v_log_f32_e32 v11, v11
	v_cndmask_b32_e32 v13, 0, v13, vcc
	v_mul_f32_e32 v15, 0x3f317217, v11
	v_fma_f32 v15, v11, s7, -v15
	v_fmac_f32_e32 v15, 0x3377d1cf, v11
	v_fmac_f32_e32 v15, 0x3f317217, v11
	v_cmp_lt_f32_e64 vcc, |v11|, s9
	s_nop 1
	v_cndmask_b32_e32 v11, v11, v15, vcc
	v_sub_f32_e32 v11, v11, v13
	v_cmp_gt_f16_sdwa vcc, v6, s6 src0_sel:WORD_1 src1_sel:DWORD
	s_nop 1
	v_cndmask_b32_e32 v6, v11, v14, vcc
	v_mul_f32_e32 v11, 0x4f800000, v6
	v_cmp_gt_f32_e64 s[4:5], s10, v6
	s_and_b64 vcc, exec, s[2:3]
	s_nop 0
	v_cndmask_b32_e64 v6, v6, v11, s[4:5]
	v_sqrt_f32_e32 v11, v6
	s_nop 0
	v_add_u32_e32 v13, -1, v11
	v_add_u32_e32 v14, 1, v11
	v_fma_f32 v15, -v13, v11, v6
	v_fma_f32 v16, -v14, v11, v6
	v_cmp_ge_f32_e64 s[6:7], 0, v15
	s_nop 1
	v_cndmask_b32_e64 v11, v11, v13, s[6:7]
	v_cmp_lt_f32_e64 s[6:7], 0, v16
	s_nop 1
	v_cndmask_b32_e64 v11, v11, v14, s[6:7]
	v_mul_f32_e32 v13, 0x37800000, v11
	v_cndmask_b32_e64 v11, v11, v13, s[4:5]
	v_cmp_class_f32_e64 s[4:5], v6, v5
	s_nop 1
	v_cndmask_b32_e64 v5, v11, v6, s[4:5]
	s_cbranch_vccnz .LBB207_16
; %bb.15:
	global_load_dword v6, v10, s[22:23] offset:20
	s_waitcnt vmcnt(0)
	v_add_f32_e32 v5, v5, v6
.LBB207_16:
	v_cvt_f32_f16_e32 v6, v7
	v_mov_b32_e32 v13, 0x4f800000
	s_mov_b32 s7, 0x3f317217
	s_movk_i32 s6, 0x4d00
	v_mul_f32_e32 v11, 0x3fb8aa3b, v6
	v_exp_f32_e32 v11, v11
	s_nop 0
	v_add_f32_e32 v11, 1.0, v11
	v_cmp_gt_f32_e32 vcc, s8, v11
	s_nop 1
	v_cndmask_b32_e32 v14, 1.0, v13, vcc
	v_mul_f32_e32 v11, v11, v14
	v_log_f32_e32 v11, v11
	v_mov_b32_e32 v14, 0x41b17218
	v_cndmask_b32_e32 v15, 0, v14, vcc
	v_mul_f32_e32 v16, 0x3f317217, v11
	v_fma_f32 v16, v11, s7, -v16
	v_fmac_f32_e32 v16, 0x3377d1cf, v11
	v_fmac_f32_e32 v16, 0x3f317217, v11
	v_cmp_lt_f32_e64 vcc, |v11|, s9
	s_nop 1
	v_cndmask_b32_e32 v11, v11, v16, vcc
	v_sub_f32_e32 v11, v11, v15
	v_cmp_lt_f16_e32 vcc, s6, v7
	s_nop 1
	v_cndmask_b32_e32 v6, v11, v6, vcc
	v_mul_f32_e32 v11, 0x4f800000, v6
	v_cmp_gt_f32_e32 vcc, s10, v6
	s_nop 1
	v_cndmask_b32_e32 v6, v6, v11, vcc
	v_sqrt_f32_e32 v11, v6
	s_nop 0
	v_add_u32_e32 v15, -1, v11
	v_fma_f32 v16, -v15, v11, v6
	v_cmp_ge_f32_e64 s[4:5], 0, v16
	v_add_u32_e32 v16, 1, v11
	s_nop 0
	v_cndmask_b32_e64 v15, v11, v15, s[4:5]
	v_fma_f32 v11, -v16, v11, v6
	v_cmp_lt_f32_e64 s[4:5], 0, v11
	s_nop 1
	v_cndmask_b32_e64 v11, v15, v16, s[4:5]
	v_mul_f32_e32 v15, 0x37800000, v11
	v_cndmask_b32_e32 v15, v11, v15, vcc
	v_mov_b32_e32 v11, 0x260
	v_cmp_class_f32_e64 s[4:5], v6, v11
	s_and_b64 vcc, exec, s[2:3]
	s_nop 0
	v_cndmask_b32_e64 v6, v15, v6, s[4:5]
	s_cbranch_vccnz .LBB207_18
; %bb.17:
	global_load_dword v15, v10, s[22:23] offset:24
	s_waitcnt vmcnt(0)
	v_add_f32_e32 v6, v6, v15
.LBB207_18:
	v_cvt_f32_f16_sdwa v15, v7 dst_sel:DWORD dst_unused:UNUSED_PAD src0_sel:WORD_1
	v_mul_f32_e32 v16, 0x3fb8aa3b, v15
	v_exp_f32_e32 v16, v16
	s_nop 0
	v_add_f32_e32 v16, 1.0, v16
	v_cmp_gt_f32_e32 vcc, s8, v16
	s_nop 1
	v_cndmask_b32_e32 v13, 1.0, v13, vcc
	v_mul_f32_e32 v13, v16, v13
	v_log_f32_e32 v13, v13
	v_cndmask_b32_e32 v14, 0, v14, vcc
	v_mul_f32_e32 v16, 0x3f317217, v13
	v_fma_f32 v16, v13, s7, -v16
	v_fmac_f32_e32 v16, 0x3377d1cf, v13
	v_fmac_f32_e32 v16, 0x3f317217, v13
	v_cmp_lt_f32_e64 vcc, |v13|, s9
	s_nop 1
	v_cndmask_b32_e32 v13, v13, v16, vcc
	v_sub_f32_e32 v13, v13, v14
	v_cmp_gt_f16_sdwa vcc, v7, s6 src0_sel:WORD_1 src1_sel:DWORD
	s_nop 1
	v_cndmask_b32_e32 v7, v13, v15, vcc
	v_mul_f32_e32 v13, 0x4f800000, v7
	v_cmp_gt_f32_e64 s[4:5], s10, v7
	s_and_b64 vcc, exec, s[2:3]
	s_nop 0
	v_cndmask_b32_e64 v7, v7, v13, s[4:5]
	v_sqrt_f32_e32 v13, v7
	s_nop 0
	v_add_u32_e32 v14, -1, v13
	v_add_u32_e32 v15, 1, v13
	v_fma_f32 v16, -v14, v13, v7
	v_fma_f32 v17, -v15, v13, v7
	v_cmp_ge_f32_e64 s[6:7], 0, v16
	s_nop 1
	v_cndmask_b32_e64 v13, v13, v14, s[6:7]
	v_cmp_lt_f32_e64 s[6:7], 0, v17
	s_nop 1
	v_cndmask_b32_e64 v13, v13, v15, s[6:7]
	v_mul_f32_e32 v14, 0x37800000, v13
	v_cndmask_b32_e64 v13, v13, v14, s[4:5]
	v_cmp_class_f32_e64 s[4:5], v7, v11
	s_nop 1
	v_cndmask_b32_e64 v7, v13, v7, s[4:5]
	s_cbranch_vccnz .LBB207_20
; %bb.19:
	global_load_dword v10, v10, s[22:23] offset:28
	s_waitcnt vmcnt(0)
	v_add_f32_e32 v7, v7, v10
.LBB207_20:
	s_load_dwordx4 s[24:27], s[0:1], 0x30
	s_mov_b32 s42, 0
	v_cmp_eq_u32_e64 s[6:7], 0, v9
	s_waitcnt lgkmcnt(0)
	s_bitcmp1_b32 s27, 0
	s_cselect_b64 s[4:5], -1, 0
	s_cmp_gt_i32 s24, 0
	s_cselect_b64 s[38:39], -1, 0
	s_and_b64 vcc, exec, s[38:39]
	s_cbranch_vccz .LBB207_43
; %bb.21:
	v_mbcnt_lo_u32_b32 v10, -1, 0
	v_mbcnt_hi_u32_b32 v10, -1, v10
	v_and_b32_e32 v11, 0x78, v10
	v_add_u32_e32 v11, 8, v11
	v_xor_b32_e32 v13, 4, v10
	v_cmp_lt_i32_e32 vcc, v13, v11
	s_load_dwordx4 s[28:31], s[0:1], 0x20
	v_mul_lo_u32 v14, v8, s24
	v_cndmask_b32_e32 v13, v10, v13, vcc
	v_lshlrev_b32_e32 v15, 2, v13
	v_xor_b32_e32 v13, 2, v10
	v_cmp_lt_i32_e32 vcc, v13, v11
	v_mov_b32_e32 v18, 0xc61c4000
	v_mov_b32_e32 v19, v8
	v_cndmask_b32_e32 v13, v10, v13, vcc
	v_lshlrev_b32_e32 v16, 2, v13
	v_xor_b32_e32 v13, 1, v10
	v_cmp_lt_i32_e32 vcc, v13, v11
	s_nop 1
	v_cndmask_b32_e32 v10, v10, v13, vcc
	v_lshlrev_b32_e32 v17, 2, v10
	v_mov_b32_e32 v13, 0
	s_branch .LBB207_24
.LBB207_22:                             ;   in Loop: Header=BB207_24 Depth=1
	s_or_b64 exec, exec, s[40:41]
.LBB207_23:                             ;   in Loop: Header=BB207_24 Depth=1
	s_cmp_eq_u32 s24, s42
	v_add_u32_e32 v19, s33, v19
	s_cbranch_scc1 .LBB207_44
.LBB207_24:                             ; =>This Inner Loop Header: Depth=1
	v_cmp_gt_f32_e32 vcc, v1, v0
	s_nop 1
	v_cndmask_b32_e32 v11, v0, v1, vcc
	v_cndmask_b32_e64 v10, 0, 1, vcc
	v_cmp_gt_f32_e32 vcc, v2, v11
	s_nop 1
	v_cndmask_b32_e32 v11, v11, v2, vcc
	v_cndmask_b32_e64 v10, v10, 2, vcc
	;; [unrolled: 4-line block ×6, first 2 shown]
	v_cmp_gt_f32_e32 vcc, v7, v11
	s_nop 1
	v_cndmask_b32_e64 v10, v10, 7, vcc
	v_cndmask_b32_e32 v20, v11, v7, vcc
	ds_bpermute_b32 v11, v15, v20
	v_or_b32_e32 v10, v12, v10
	s_waitcnt lgkmcnt(0)
	ds_bpermute_b32 v21, v15, v10
	s_waitcnt lgkmcnt(0)
	v_cmp_lt_f32_e64 s[8:9], v20, v11
	v_cmp_nlt_f32_e32 vcc, v20, v11
	s_and_saveexec_b64 s[10:11], vcc
; %bb.25:                               ;   in Loop: Header=BB207_24 Depth=1
	v_cmp_eq_f32_e32 vcc, v20, v11
	v_cmp_lt_i32_e64 s[0:1], v21, v10
	s_and_b64 s[0:1], vcc, s[0:1]
	s_andn2_b64 s[8:9], s[8:9], exec
	s_and_b64 s[0:1], s[0:1], exec
	s_or_b64 s[8:9], s[8:9], s[0:1]
; %bb.26:                               ;   in Loop: Header=BB207_24 Depth=1
	s_or_b64 exec, exec, s[10:11]
	s_and_saveexec_b64 s[0:1], s[8:9]
; %bb.27:                               ;   in Loop: Header=BB207_24 Depth=1
	v_mov_b32_e32 v20, v11
	v_mov_b32_e32 v10, v21
; %bb.28:                               ;   in Loop: Header=BB207_24 Depth=1
	s_or_b64 exec, exec, s[0:1]
	ds_bpermute_b32 v11, v16, v20
	ds_bpermute_b32 v21, v16, v10
	s_waitcnt lgkmcnt(1)
	v_cmp_lt_f32_e64 s[8:9], v20, v11
	v_cmp_nlt_f32_e32 vcc, v20, v11
	s_and_saveexec_b64 s[10:11], vcc
	s_cbranch_execz .LBB207_30
; %bb.29:                               ;   in Loop: Header=BB207_24 Depth=1
	v_cmp_eq_f32_e32 vcc, v20, v11
	s_waitcnt lgkmcnt(0)
	v_cmp_lt_i32_e64 s[0:1], v21, v10
	s_and_b64 s[0:1], vcc, s[0:1]
	s_andn2_b64 s[8:9], s[8:9], exec
	s_and_b64 s[0:1], s[0:1], exec
	s_or_b64 s[8:9], s[8:9], s[0:1]
.LBB207_30:                             ;   in Loop: Header=BB207_24 Depth=1
	s_or_b64 exec, exec, s[10:11]
	s_and_saveexec_b64 s[0:1], s[8:9]
	s_cbranch_execz .LBB207_32
; %bb.31:                               ;   in Loop: Header=BB207_24 Depth=1
	v_mov_b32_e32 v20, v11
	s_waitcnt lgkmcnt(0)
	v_mov_b32_e32 v10, v21
.LBB207_32:                             ;   in Loop: Header=BB207_24 Depth=1
	s_or_b64 exec, exec, s[0:1]
	ds_bpermute_b32 v11, v17, v20
	s_waitcnt lgkmcnt(1)
	ds_bpermute_b32 v21, v17, v10
	s_waitcnt lgkmcnt(1)
	v_cmp_lt_f32_e64 s[8:9], v20, v11
	v_cmp_nlt_f32_e32 vcc, v20, v11
	s_and_saveexec_b64 s[10:11], vcc
	s_cbranch_execnz .LBB207_36
; %bb.33:                               ;   in Loop: Header=BB207_24 Depth=1
	s_or_b64 exec, exec, s[10:11]
	s_and_saveexec_b64 s[0:1], s[8:9]
	s_cbranch_execnz .LBB207_37
.LBB207_34:                             ;   in Loop: Header=BB207_24 Depth=1
	s_or_b64 exec, exec, s[0:1]
	s_and_saveexec_b64 s[8:9], s[6:7]
	s_cbranch_execnz .LBB207_38
.LBB207_35:                             ;   in Loop: Header=BB207_24 Depth=1
	s_or_b64 exec, exec, s[8:9]
	s_add_i32 s42, s42, 1
	s_cmp_ge_i32 s42, s24
	s_cbranch_scc1 .LBB207_23
	s_branch .LBB207_41
.LBB207_36:                             ;   in Loop: Header=BB207_24 Depth=1
	v_cmp_eq_f32_e32 vcc, v20, v11
	s_waitcnt lgkmcnt(0)
	v_cmp_lt_i32_e64 s[0:1], v21, v10
	s_and_b64 s[0:1], vcc, s[0:1]
	s_andn2_b64 s[8:9], s[8:9], exec
	s_and_b64 s[0:1], s[0:1], exec
	s_or_b64 s[8:9], s[8:9], s[0:1]
	s_or_b64 exec, exec, s[10:11]
	s_and_saveexec_b64 s[0:1], s[8:9]
	s_cbranch_execz .LBB207_34
.LBB207_37:                             ;   in Loop: Header=BB207_24 Depth=1
	s_waitcnt lgkmcnt(0)
	v_mov_b32_e32 v10, v21
	v_mov_b32_e32 v20, v11
	s_or_b64 exec, exec, s[0:1]
	s_and_saveexec_b64 s[8:9], s[6:7]
	s_cbranch_execz .LBB207_35
.LBB207_38:                             ;   in Loop: Header=BB207_24 Depth=1
	s_and_b64 vcc, exec, s[2:3]
	s_cbranch_vccnz .LBB207_40
; %bb.39:                               ;   in Loop: Header=BB207_24 Depth=1
	v_ashrrev_i32_e32 v11, 31, v10
	v_lshl_add_u64 v[22:23], v[10:11], 2, s[22:23]
	global_load_dword v11, v[22:23], off
	s_waitcnt vmcnt(0)
	v_sub_f32_e32 v20, v20, v11
.LBB207_40:                             ;   in Loop: Header=BB207_24 Depth=1
	v_add_u32_e32 v22, s42, v14
	v_cmp_le_i32_e32 vcc, s25, v10
	v_cmp_gt_i32_e64 s[0:1], s26, v10
	v_ashrrev_i32_e32 v23, 31, v22
	s_and_b64 s[0:1], vcc, s[0:1]
	v_lshlrev_b64 v[22:23], 2, v[22:23]
	v_lshl_add_u64 v[24:25], s[34:35], 0, v[22:23]
	v_subrev_u32_e32 v11, s25, v10
	s_and_b64 vcc, s[36:37], s[0:1]
	global_store_dword v[24:25], v20, off
	v_cndmask_b32_e32 v11, 64, v11, vcc
	v_lshl_add_u64 v[24:25], s[28:29], 0, v[22:23]
	global_store_dword v[24:25], v11, off
	v_add_f32_e32 v11, v13, v20
	v_lshl_add_u64 v[22:23], s[30:31], 0, v[22:23]
	v_cndmask_b32_e64 v13, v13, v11, s[4:5]
	global_store_dword v[22:23], v19, off
	s_or_b64 exec, exec, s[8:9]
	s_add_i32 s42, s42, 1
	s_cmp_ge_i32 s42, s24
	s_cbranch_scc1 .LBB207_23
.LBB207_41:                             ;   in Loop: Header=BB207_24 Depth=1
	v_ashrrev_i32_e32 v20, 31, v10
	v_lshrrev_b32_e32 v11, 29, v20
	v_add_u32_e32 v11, v10, v11
	v_ashrrev_i32_e32 v11, 3, v11
	s_waitcnt lgkmcnt(0)
	v_lshrrev_b32_e32 v21, 29, v11
	v_add_u32_e32 v21, v11, v21
	v_and_b32_e32 v21, -8, v21
	v_sub_u32_e32 v21, v11, v21
	v_cmp_eq_u32_e32 vcc, v9, v21
	s_and_saveexec_b64 s[40:41], vcc
	s_cbranch_execz .LBB207_22
; %bb.42:                               ;   in Loop: Header=BB207_24 Depth=1
	v_lshrrev_b32_e32 v20, 26, v20
	v_add_u32_e32 v20, v10, v20
	v_lshlrev_b32_e32 v11, 3, v11
	v_sub_u32_e32 v10, v10, v11
	v_ashrrev_i32_e32 v11, 6, v20
	v_lshl_add_u32 v10, v11, 3, v10
	v_cmp_ne_u32_e32 vcc, 6, v10
	v_cmp_ne_u32_e64 s[0:1], 5, v10
	v_cmp_ne_u32_e64 s[8:9], 4, v10
	;; [unrolled: 1-line block ×7, first 2 shown]
	v_cndmask_b32_e32 v6, v18, v6, vcc
	v_cndmask_b32_e64 v5, v18, v5, s[0:1]
	v_cndmask_b32_e64 v7, v18, v7, s[18:19]
	v_cndmask_b32_e64 v4, v18, v4, s[8:9]
	v_cndmask_b32_e64 v3, v18, v3, s[10:11]
	v_cndmask_b32_e64 v2, v18, v2, s[12:13]
	v_cndmask_b32_e64 v1, v18, v1, s[14:15]
	v_cndmask_b32_e64 v0, v18, v0, s[16:17]
	s_branch .LBB207_22
.LBB207_43:
	v_mov_b32_e32 v13, 0
.LBB207_44:
	v_cmp_eq_u32_e32 vcc, 0, v9
	s_and_b64 exec, exec, vcc
	s_cbranch_execz .LBB207_57
; %bb.45:
	s_andn2_b64 vcc, exec, s[4:5]
	v_cvt_f32_f64_e32 v0, s[20:21]
	s_cbranch_vccnz .LBB207_47
; %bb.46:
	v_cmp_lt_f32_e32 vcc, 0, v13
	s_nop 1
	v_cndmask_b32_e32 v1, 1.0, v13, vcc
	v_div_scale_f32 v2, s[0:1], v1, v1, v0
	v_rcp_f32_e32 v3, v2
	s_nop 0
	v_fma_f32 v4, -v2, v3, 1.0
	v_fmac_f32_e32 v3, v4, v3
	v_div_scale_f32 v4, vcc, v0, v1, v0
	v_mul_f32_e32 v5, v4, v3
	v_fma_f32 v6, -v2, v5, v4
	v_fmac_f32_e32 v5, v6, v3
	v_fma_f32 v2, -v2, v5, v4
	v_div_fmas_f32 v2, v2, v3, v5
	v_div_fixup_f32 v0, v2, v1, v0
.LBB207_47:
	s_andn2_b64 vcc, exec, s[38:39]
	s_cbranch_vccnz .LBB207_57
; %bb.48:
	v_mul_lo_u32 v2, v8, s24
	s_cmp_gt_u32 s24, 3
	v_ashrrev_i32_e32 v3, 31, v2
	s_cbranch_scc0 .LBB207_52
; %bb.49:
	s_and_b32 s0, s24, 0x7ffffffc
	v_lshl_add_u64 v[4:5], v[2:3], 2, s[34:35]
	v_mov_b32_e32 v1, v0
	v_lshl_add_u64 v[4:5], v[4:5], 0, 8
	s_mov_b32 s1, s0
.LBB207_50:                             ; =>This Inner Loop Header: Depth=1
	global_load_dwordx4 v[6:9], v[4:5], off offset:-8
	s_add_i32 s1, s1, -4
	s_cmp_lg_u32 s1, 0
	s_waitcnt vmcnt(0)
	v_pk_mul_f32 v[6:7], v[0:1], v[6:7]
	v_pk_mul_f32 v[8:9], v[0:1], v[8:9]
	global_store_dwordx4 v[4:5], v[6:9], off offset:-8
	v_lshl_add_u64 v[4:5], v[4:5], 0, 16
	s_cbranch_scc1 .LBB207_50
; %bb.51:
	s_cmp_lg_u32 s0, s24
	s_cselect_b64 s[2:3], -1, 0
	s_branch .LBB207_54
.LBB207_52:
	s_mov_b64 s[2:3], 0
                                        ; implicit-def: $sgpr0
	s_cbranch_execz .LBB207_54
; %bb.53:
	s_mov_b64 s[2:3], -1
	s_mov_b32 s0, 0
.LBB207_54:
	s_andn2_b64 vcc, exec, s[2:3]
	s_cbranch_vccnz .LBB207_57
; %bb.55:
	s_mov_b32 s1, 0
	v_lshl_add_u64 v[2:3], v[2:3], 0, s[0:1]
	s_sub_i32 s2, s24, s0
	v_lshl_add_u64 v[2:3], v[2:3], 2, s[34:35]
.LBB207_56:                             ; =>This Inner Loop Header: Depth=1
	global_load_dword v1, v[2:3], off
	s_add_i32 s2, s2, -1
	s_cmp_lg_u32 s2, 0
	s_waitcnt vmcnt(0)
	v_mul_f32_e32 v1, v0, v1
	global_store_dword v[2:3], v1, off
	v_lshl_add_u64 v[2:3], v[2:3], 0, 4
	s_cbranch_scc1 .LBB207_56
.LBB207_57:
	s_endpgm
	.section	.rodata,"a",@progbits
	.p2align	6, 0x0
	.amdhsa_kernel _ZN4vllm3moe22topkGatingSoftplusSqrtILi8ELi64ELi4ELi16ELi32ELb0Ei6__halfEEvPKT6_PKbPfiPT5_PiiiibdPKfPKS9_SF_
		.amdhsa_group_segment_fixed_size 0
		.amdhsa_private_segment_fixed_size 0
		.amdhsa_kernarg_size 96
		.amdhsa_user_sgpr_count 2
		.amdhsa_user_sgpr_dispatch_ptr 0
		.amdhsa_user_sgpr_queue_ptr 0
		.amdhsa_user_sgpr_kernarg_segment_ptr 1
		.amdhsa_user_sgpr_dispatch_id 0
		.amdhsa_user_sgpr_kernarg_preload_length 0
		.amdhsa_user_sgpr_kernarg_preload_offset 0
		.amdhsa_user_sgpr_private_segment_size 0
		.amdhsa_uses_dynamic_stack 0
		.amdhsa_enable_private_segment 0
		.amdhsa_system_sgpr_workgroup_id_x 1
		.amdhsa_system_sgpr_workgroup_id_y 0
		.amdhsa_system_sgpr_workgroup_id_z 0
		.amdhsa_system_sgpr_workgroup_info 0
		.amdhsa_system_vgpr_workitem_id 1
		.amdhsa_next_free_vgpr 26
		.amdhsa_next_free_sgpr 43
		.amdhsa_accum_offset 28
		.amdhsa_reserve_vcc 1
		.amdhsa_float_round_mode_32 0
		.amdhsa_float_round_mode_16_64 0
		.amdhsa_float_denorm_mode_32 3
		.amdhsa_float_denorm_mode_16_64 3
		.amdhsa_dx10_clamp 1
		.amdhsa_ieee_mode 1
		.amdhsa_fp16_overflow 0
		.amdhsa_tg_split 0
		.amdhsa_exception_fp_ieee_invalid_op 0
		.amdhsa_exception_fp_denorm_src 0
		.amdhsa_exception_fp_ieee_div_zero 0
		.amdhsa_exception_fp_ieee_overflow 0
		.amdhsa_exception_fp_ieee_underflow 0
		.amdhsa_exception_fp_ieee_inexact 0
		.amdhsa_exception_int_div_zero 0
	.end_amdhsa_kernel
	.section	.text._ZN4vllm3moe22topkGatingSoftplusSqrtILi8ELi64ELi4ELi16ELi32ELb0Ei6__halfEEvPKT6_PKbPfiPT5_PiiiibdPKfPKS9_SF_,"axG",@progbits,_ZN4vllm3moe22topkGatingSoftplusSqrtILi8ELi64ELi4ELi16ELi32ELb0Ei6__halfEEvPKT6_PKbPfiPT5_PiiiibdPKfPKS9_SF_,comdat
.Lfunc_end207:
	.size	_ZN4vllm3moe22topkGatingSoftplusSqrtILi8ELi64ELi4ELi16ELi32ELb0Ei6__halfEEvPKT6_PKbPfiPT5_PiiiibdPKfPKS9_SF_, .Lfunc_end207-_ZN4vllm3moe22topkGatingSoftplusSqrtILi8ELi64ELi4ELi16ELi32ELb0Ei6__halfEEvPKT6_PKbPfiPT5_PiiiibdPKfPKS9_SF_
                                        ; -- End function
	.section	.AMDGPU.csdata,"",@progbits
; Kernel info:
; codeLenInByte = 3936
; NumSgprs: 49
; NumVgprs: 26
; NumAgprs: 0
; TotalNumVgprs: 26
; ScratchSize: 0
; MemoryBound: 0
; FloatMode: 240
; IeeeMode: 1
; LDSByteSize: 0 bytes/workgroup (compile time only)
; SGPRBlocks: 6
; VGPRBlocks: 3
; NumSGPRsForWavesPerEU: 49
; NumVGPRsForWavesPerEU: 26
; AccumOffset: 28
; Occupancy: 8
; WaveLimiterHint : 0
; COMPUTE_PGM_RSRC2:SCRATCH_EN: 0
; COMPUTE_PGM_RSRC2:USER_SGPR: 2
; COMPUTE_PGM_RSRC2:TRAP_HANDLER: 0
; COMPUTE_PGM_RSRC2:TGID_X_EN: 1
; COMPUTE_PGM_RSRC2:TGID_Y_EN: 0
; COMPUTE_PGM_RSRC2:TGID_Z_EN: 0
; COMPUTE_PGM_RSRC2:TIDIG_COMP_CNT: 1
; COMPUTE_PGM_RSRC3_GFX90A:ACCUM_OFFSET: 6
; COMPUTE_PGM_RSRC3_GFX90A:TG_SPLIT: 0
	.section	.text._ZN4vllm3moe22topkGatingSoftplusSqrtILi8ELi128ELi4ELi16ELi64ELb1Ei6__halfEEvPKT6_PKbPfiPT5_PiiiibdPKfPKS9_SF_,"axG",@progbits,_ZN4vllm3moe22topkGatingSoftplusSqrtILi8ELi128ELi4ELi16ELi64ELb1Ei6__halfEEvPKT6_PKbPfiPT5_PiiiibdPKfPKS9_SF_,comdat
	.protected	_ZN4vllm3moe22topkGatingSoftplusSqrtILi8ELi128ELi4ELi16ELi64ELb1Ei6__halfEEvPKT6_PKbPfiPT5_PiiiibdPKfPKS9_SF_ ; -- Begin function _ZN4vllm3moe22topkGatingSoftplusSqrtILi8ELi128ELi4ELi16ELi64ELb1Ei6__halfEEvPKT6_PKbPfiPT5_PiiiibdPKfPKS9_SF_
	.globl	_ZN4vllm3moe22topkGatingSoftplusSqrtILi8ELi128ELi4ELi16ELi64ELb1Ei6__halfEEvPKT6_PKbPfiPT5_PiiiibdPKfPKS9_SF_
	.p2align	8
	.type	_ZN4vllm3moe22topkGatingSoftplusSqrtILi8ELi128ELi4ELi16ELi64ELb1Ei6__halfEEvPKT6_PKbPfiPT5_PiiiibdPKfPKS9_SF_,@function
_ZN4vllm3moe22topkGatingSoftplusSqrtILi8ELi128ELi4ELi16ELi64ELb1Ei6__halfEEvPKT6_PKbPfiPT5_PiiiibdPKfPKS9_SF_: ; @_ZN4vllm3moe22topkGatingSoftplusSqrtILi8ELi128ELi4ELi16ELi64ELb1Ei6__halfEEvPKT6_PKbPfiPT5_PiiiibdPKfPKS9_SF_
; %bb.0:
	s_load_dword s3, s[0:1], 0x18
	v_bfe_u32 v1, v0, 10, 10
	v_and_b32_e32 v11, 0x3ff, v0
	s_lshl_b32 s2, s2, 4
	v_lshlrev_b32_e32 v1, 2, v1
	v_lshrrev_b32_e32 v0, 4, v11
	v_add3_u32 v6, s2, v1, v0
	s_waitcnt lgkmcnt(0)
	v_cmp_gt_i32_e32 vcc, s3, v6
	s_and_saveexec_b64 s[2:3], vcc
	s_cbranch_execz .LBB208_31
; %bb.1:
	s_load_dwordx2 s[2:3], s[0:1], 0x0
	s_load_dword s33, s[0:1], 0x30
	v_lshlrev_b32_e32 v0, 7, v6
	v_lshlrev_b32_e32 v2, 3, v11
	v_ashrrev_i32_e32 v1, 31, v0
	v_and_b32_e32 v10, 0x78, v2
	s_waitcnt lgkmcnt(0)
	v_lshl_add_u64 v[0:1], v[0:1], 1, s[2:3]
	v_lshlrev_b32_e32 v4, 1, v10
	v_mov_b32_e32 v5, 0
	v_lshl_add_u64 v[0:1], v[0:1], 0, v[4:5]
	global_load_dwordx4 v[0:3], v[0:1], off
	s_load_dwordx4 s[8:11], s[0:1], 0x50
	v_ashrrev_i32_e32 v7, 31, v6
	s_mov_b32 s15, 0x800000
	s_mov_b32 s13, 0x3f317217
	;; [unrolled: 1-line block ×3, first 2 shown]
	s_waitcnt lgkmcnt(0)
	v_mov_b32_e32 v8, s8
	v_mov_b32_e32 v9, s9
	v_lshl_add_u64 v[8:9], v[6:7], 2, v[8:9]
	global_load_dword v4, v[8:9], off
	v_mov_b32_e32 v7, 0x4f800000
	v_mov_b32_e32 v16, 0x41b17218
	s_movk_i32 s9, 0x4d00
	s_mov_b32 s12, 0xf800000
	v_mov_b32_e32 v17, 0x260
	s_cmp_gt_i32 s33, 0
	s_mov_b32 s8, 0
	s_waitcnt vmcnt(1)
	v_cvt_f32_f16_e32 v18, v0
	v_cvt_f32_f16_sdwa v19, v0 dst_sel:DWORD dst_unused:UNUSED_PAD src0_sel:WORD_1
	v_cvt_f32_f16_e32 v20, v1
	v_cvt_f32_f16_sdwa v21, v1 dst_sel:DWORD dst_unused:UNUSED_PAD src0_sel:WORD_1
	v_mul_f32_e32 v8, 0x3fb8aa3b, v18
	v_mul_f32_e32 v9, 0x3fb8aa3b, v19
	v_exp_f32_e32 v12, v8
	v_exp_f32_e32 v13, v9
	v_mul_f32_e32 v14, 0x3fb8aa3b, v20
	v_mul_f32_e32 v15, 0x3fb8aa3b, v21
	v_exp_f32_e32 v14, v14
	v_exp_f32_e32 v15, v15
	v_pk_add_f32 v[12:13], v[12:13], 1.0 op_sel_hi:[1,0]
	s_waitcnt vmcnt(0)
	v_mul_lo_u32 v8, v4, s33
	v_cmp_gt_f32_e32 vcc, s15, v13
	v_pk_add_f32 v[14:15], v[14:15], 1.0 op_sel_hi:[1,0]
	v_cmp_gt_f32_e64 s[2:3], s15, v12
	v_cndmask_b32_e32 v4, 1.0, v7, vcc
	v_cmp_gt_f32_e64 s[4:5], s15, v15
	v_cndmask_b32_e64 v22, 1.0, v7, s[2:3]
	v_mul_f32_e32 v4, v13, v4
	v_cndmask_b32_e64 v23, 1.0, v7, s[4:5]
	v_mul_f32_e32 v12, v12, v22
	v_log_f32_e32 v4, v4
	v_mul_f32_e32 v15, v15, v23
	v_log_f32_e32 v12, v12
	v_cmp_gt_f32_e64 s[6:7], s15, v14
	v_log_f32_e32 v15, v15
	v_cndmask_b32_e32 v13, 0, v16, vcc
	v_cndmask_b32_e64 v24, 1.0, v7, s[6:7]
	v_mul_f32_e32 v14, v14, v24
	v_mul_f32_e32 v24, 0x3f317217, v4
	v_mul_f32_e32 v25, 0x3f317217, v12
	v_fma_f32 v24, v4, s13, -v24
	v_mul_f32_e32 v26, 0x3f317217, v15
	v_fma_f32 v25, v12, s13, -v25
	v_fmac_f32_e32 v24, 0x3377d1cf, v4
	v_fma_f32 v26, v15, s13, -v26
	v_fmac_f32_e32 v25, 0x3377d1cf, v12
	v_fmac_f32_e32 v24, 0x3f317217, v4
	v_cmp_lt_f32_e64 vcc, |v4|, s14
	v_fmac_f32_e32 v26, 0x3377d1cf, v15
	v_fmac_f32_e32 v25, 0x3f317217, v12
	v_cndmask_b32_e32 v4, v4, v24, vcc
	v_cmp_lt_f32_e64 vcc, |v12|, s14
	v_cndmask_b32_e64 v22, 0, v16, s[2:3]
	v_fmac_f32_e32 v26, 0x3f317217, v15
	v_cndmask_b32_e32 v12, v12, v25, vcc
	v_cmp_lt_f32_e64 vcc, |v15|, s14
	v_sub_f32_e32 v12, v12, v22
	v_sub_f32_e32 v4, v4, v13
	v_cndmask_b32_e32 v15, v15, v26, vcc
	v_cmp_lt_f16_e32 vcc, s9, v0
	v_cndmask_b32_e64 v23, 0, v16, s[4:5]
	v_log_f32_e32 v14, v14
	v_cndmask_b32_e32 v12, v12, v18, vcc
	v_cmp_gt_f16_sdwa vcc, v0, s9 src0_sel:WORD_1 src1_sel:DWORD
	v_mul_f32_e32 v13, 0x4f800000, v12
	v_cmp_gt_f32_e64 s[2:3], s12, v12
	v_cndmask_b32_e32 v0, v4, v19, vcc
	v_mul_f32_e32 v4, 0x4f800000, v0
	v_cmp_gt_f32_e32 vcc, s12, v0
	v_cndmask_b32_e64 v12, v12, v13, s[2:3]
	v_sqrt_f32_e32 v13, v12
	v_cndmask_b32_e32 v0, v0, v4, vcc
	v_sqrt_f32_e32 v4, v0
	v_sub_f32_e32 v15, v15, v23
	v_add_u32_e32 v22, -1, v13
	v_fma_f32 v26, -v22, v13, v12
	v_add_u32_e32 v18, -1, v4
	v_fma_f32 v24, -v18, v4, v0
	v_add_u32_e32 v19, 1, v4
	v_cmp_ge_f32_e64 s[4:5], 0, v24
	v_add_u32_e32 v23, 1, v13
	v_fma_f32 v25, -v19, v4, v0
	v_cndmask_b32_e64 v4, v4, v18, s[4:5]
	v_cmp_ge_f32_e64 s[4:5], 0, v26
	v_fma_f32 v28, -v23, v13, v12
	v_mul_f32_e32 v27, 0x3f317217, v14
	v_cndmask_b32_e64 v13, v13, v22, s[4:5]
	v_cmp_lt_f32_e64 s[4:5], 0, v25
	v_fma_f32 v27, v14, s13, -v27
	v_fmac_f32_e32 v27, 0x3377d1cf, v14
	v_cndmask_b32_e64 v4, v4, v19, s[4:5]
	v_cmp_lt_f32_e64 s[4:5], 0, v28
	v_mul_f32_e32 v18, 0x37800000, v4
	v_cndmask_b32_e32 v4, v4, v18, vcc
	v_cndmask_b32_e64 v13, v13, v23, s[4:5]
	v_mul_f32_e32 v19, 0x37800000, v13
	v_cmp_class_f32_e32 vcc, v0, v17
	v_cndmask_b32_e64 v18, v13, v19, s[2:3]
	v_fmac_f32_e32 v27, 0x3f317217, v14
	v_cndmask_b32_e32 v13, v4, v0, vcc
	v_cmp_class_f32_e32 vcc, v12, v17
	v_cndmask_b32_e64 v4, 0, v16, s[6:7]
	v_cmp_lt_f16_e64 s[2:3], s9, v1
	v_cndmask_b32_e32 v12, v18, v12, vcc
	v_cmp_lt_f32_e64 vcc, |v14|, s14
	v_cvt_f32_f16_e32 v19, v2
	v_ashrrev_i32_e32 v9, 31, v8
	v_cndmask_b32_e32 v0, v14, v27, vcc
	v_cmp_gt_f16_sdwa vcc, v1, s9 src0_sel:WORD_1 src1_sel:DWORD
	v_sub_f32_e32 v0, v0, v4
	v_cndmask_b32_e64 v0, v0, v20, s[2:3]
	v_cndmask_b32_e32 v14, v15, v21, vcc
	v_mul_f32_e32 v15, 0x4f800000, v14
	v_cmp_gt_f32_e32 vcc, s12, v14
	v_cvt_f32_f16_sdwa v20, v2 dst_sel:DWORD dst_unused:UNUSED_PAD src0_sel:WORD_1
	s_nop 0
	v_cndmask_b32_e32 v14, v14, v15, vcc
	v_sqrt_f32_e32 v15, v14
	s_nop 0
	v_add_u32_e32 v1, -1, v15
	v_fma_f32 v4, -v1, v15, v14
	v_cmp_ge_f32_e64 s[2:3], 0, v4
	v_add_u32_e32 v4, 1, v15
	s_nop 0
	v_cndmask_b32_e64 v1, v15, v1, s[2:3]
	v_fma_f32 v15, -v4, v15, v14
	v_cmp_lt_f32_e64 s[2:3], 0, v15
	v_mul_f32_e32 v15, 0x4f800000, v0
	s_nop 0
	v_cndmask_b32_e64 v1, v1, v4, s[2:3]
	v_cmp_gt_f32_e64 s[2:3], s12, v0
	v_mul_f32_e32 v4, 0x37800000, v1
	v_cndmask_b32_e32 v1, v1, v4, vcc
	v_cndmask_b32_e64 v18, v0, v15, s[2:3]
	v_sqrt_f32_e32 v0, v18
	v_cmp_class_f32_e32 vcc, v14, v17
	s_nop 1
	v_cndmask_b32_e32 v15, v1, v14, vcc
	v_add_u32_e32 v1, -1, v0
	v_fma_f32 v4, -v1, v0, v18
	v_cmp_ge_f32_e32 vcc, 0, v4
	v_add_u32_e32 v14, 1, v0
	v_fma_f32 v21, -v14, v0, v18
	v_cndmask_b32_e32 v4, v0, v1, vcc
	v_mul_f32_e32 v0, 0x3fb8aa3b, v19
	v_mul_f32_e32 v1, 0x3fb8aa3b, v20
	v_exp_f32_e32 v0, v0
	v_exp_f32_e32 v1, v1
	v_cmp_lt_f32_e32 vcc, 0, v21
	v_pk_add_f32 v[0:1], v[0:1], 1.0 op_sel_hi:[1,0]
	s_nop 0
	v_cndmask_b32_e32 v4, v4, v14, vcc
	v_mul_f32_e32 v14, 0x37800000, v4
	v_cmp_gt_f32_e32 vcc, s15, v1
	v_cndmask_b32_e64 v4, v4, v14, s[2:3]
	v_cmp_class_f32_e64 s[2:3], v18, v17
	v_cndmask_b32_e32 v14, 1.0, v7, vcc
	v_mul_f32_e32 v1, v1, v14
	v_log_f32_e32 v1, v1
	v_cndmask_b32_e64 v14, v4, v18, s[2:3]
	v_cmp_gt_f32_e64 s[2:3], s15, v0
	scratch_store_dwordx4 off, v[12:15], off
	v_mul_f32_e32 v4, 0x3f317217, v1
	v_fma_f32 v4, v1, s13, -v4
	v_cndmask_b32_e64 v12, 1.0, v7, s[2:3]
	v_mul_f32_e32 v0, v0, v12
	v_log_f32_e32 v0, v0
	v_fmac_f32_e32 v4, 0x3377d1cf, v1
	v_fmac_f32_e32 v4, 0x3f317217, v1
	v_cmp_lt_f32_e64 s[4:5], |v1|, s14
	v_cvt_f32_f16_sdwa v15, v3 dst_sel:DWORD dst_unused:UNUSED_PAD src0_sel:WORD_1
	v_mul_f32_e32 v13, 0x3fb8aa3b, v15
	v_cndmask_b32_e64 v1, v1, v4, s[4:5]
	v_cndmask_b32_e32 v4, 0, v16, vcc
	v_sub_f32_e32 v1, v1, v4
	v_mul_f32_e32 v4, 0x3f317217, v0
	v_fma_f32 v4, v0, s13, -v4
	v_fmac_f32_e32 v4, 0x3377d1cf, v0
	v_fmac_f32_e32 v4, 0x3f317217, v0
	v_cmp_lt_f32_e64 vcc, |v0|, s14
	v_exp_f32_e32 v13, v13
	s_nop 0
	v_cndmask_b32_e32 v0, v0, v4, vcc
	v_cmp_gt_f16_sdwa vcc, v2, s9 src0_sel:WORD_1 src1_sel:DWORD
	v_cndmask_b32_e64 v4, 0, v16, s[2:3]
	v_cmp_lt_f16_e64 s[2:3], s9, v2
	v_cndmask_b32_e32 v1, v1, v20, vcc
	v_mul_f32_e32 v12, 0x4f800000, v1
	v_cmp_gt_f32_e32 vcc, s12, v1
	v_sub_f32_e32 v0, v0, v4
	v_cndmask_b32_e64 v0, v0, v19, s[2:3]
	v_cndmask_b32_e32 v1, v1, v12, vcc
	v_sqrt_f32_e32 v12, v1
	s_nop 0
	v_add_u32_e32 v2, -1, v12
	v_fma_f32 v4, -v2, v12, v1
	v_cmp_ge_f32_e64 s[2:3], 0, v4
	v_add_u32_e32 v4, 1, v12
	s_nop 0
	v_cndmask_b32_e64 v2, v12, v2, s[2:3]
	v_fma_f32 v12, -v4, v12, v1
	v_cmp_lt_f32_e64 s[2:3], 0, v12
	v_mul_f32_e32 v12, 0x4f800000, v0
	s_nop 0
	v_cndmask_b32_e64 v2, v2, v4, s[2:3]
	v_cmp_gt_f32_e64 s[2:3], s12, v0
	v_mul_f32_e32 v4, 0x37800000, v2
	v_cndmask_b32_e32 v2, v2, v4, vcc
	v_cndmask_b32_e64 v0, v0, v12, s[2:3]
	v_sqrt_f32_e32 v12, v0
	v_cmp_class_f32_e32 vcc, v1, v17
	v_add_u32_e32 v14, 1, v12
	s_nop 0
	v_cndmask_b32_e32 v1, v2, v1, vcc
	v_add_u32_e32 v2, -1, v12
	v_fma_f32 v4, -v2, v12, v0
	v_cmp_ge_f32_e32 vcc, 0, v4
	v_cvt_f32_f16_e32 v4, v3
	v_fma_f32 v18, -v14, v12, v0
	v_cndmask_b32_e32 v2, v12, v2, vcc
	v_cmp_lt_f32_e32 vcc, 0, v18
	v_mul_f32_e32 v12, 0x3fb8aa3b, v4
	v_exp_f32_e32 v12, v12
	v_cndmask_b32_e32 v2, v2, v14, vcc
	v_mul_f32_e32 v14, 0x37800000, v2
	v_cndmask_b32_e64 v2, v2, v14, s[2:3]
	v_pk_add_f32 v[12:13], v[12:13], 1.0 op_sel_hi:[1,0]
	v_cmp_class_f32_e64 s[2:3], v0, v17
	v_cmp_gt_f32_e32 vcc, s15, v13
	s_nop 0
	v_cndmask_b32_e64 v0, v2, v0, s[2:3]
	v_cndmask_b32_e32 v18, 1.0, v7, vcc
	v_mul_f32_e32 v13, v13, v18
	v_log_f32_e32 v13, v13
	v_cmp_gt_f32_e64 s[2:3], s15, v12
	v_mul_f32_e32 v2, 0x3f317217, v13
	s_nop 0
	v_cndmask_b32_e64 v7, 1.0, v7, s[2:3]
	v_mul_f32_e32 v7, v12, v7
	v_fma_f32 v2, v13, s13, -v2
	v_log_f32_e32 v7, v7
	v_fmac_f32_e32 v2, 0x3377d1cf, v13
	v_fmac_f32_e32 v2, 0x3f317217, v13
	v_cmp_lt_f32_e64 s[4:5], |v13|, s14
	v_cndmask_b32_e32 v12, 0, v16, vcc
	v_cmp_lt_f32_e64 vcc, |v7|, s14
	v_cndmask_b32_e64 v2, v13, v2, s[4:5]
	v_sub_f32_e32 v2, v2, v12
	v_mul_f32_e32 v12, 0x3f317217, v7
	v_fma_f32 v12, v7, s13, -v12
	v_fmac_f32_e32 v12, 0x3377d1cf, v7
	v_fmac_f32_e32 v12, 0x3f317217, v7
	v_cndmask_b32_e32 v7, v7, v12, vcc
	v_cmp_gt_f16_sdwa vcc, v3, s9 src0_sel:WORD_1 src1_sel:DWORD
	v_cndmask_b32_e64 v12, 0, v16, s[2:3]
	v_sub_f32_e32 v7, v7, v12
	v_cndmask_b32_e32 v2, v2, v15, vcc
	v_mul_f32_e32 v13, 0x4f800000, v2
	v_cmp_gt_f32_e32 vcc, s12, v2
	v_cmp_lt_f16_e64 s[2:3], s9, v3
	s_cselect_b64 s[4:5], -1, 0
	v_cndmask_b32_e32 v2, v2, v13, vcc
	v_sqrt_f32_e32 v13, v2
	v_cndmask_b32_e64 v3, v7, v4, s[2:3]
	s_cmp_lt_i32 s33, 1
	v_add_u32_e32 v4, -1, v13
	v_fma_f32 v7, -v4, v13, v2
	v_cmp_ge_f32_e64 s[2:3], 0, v7
	v_add_u32_e32 v7, 1, v13
	v_fma_f32 v12, -v7, v13, v2
	v_cndmask_b32_e64 v4, v13, v4, s[2:3]
	v_cmp_lt_f32_e64 s[2:3], 0, v12
	v_mul_f32_e32 v12, 0x4f800000, v3
	s_nop 0
	v_cndmask_b32_e64 v4, v4, v7, s[2:3]
	v_cmp_gt_f32_e64 s[2:3], s12, v3
	v_mul_f32_e32 v7, 0x37800000, v4
	s_nop 0
	v_cndmask_b32_e64 v12, v3, v12, s[2:3]
	v_sqrt_f32_e32 v13, v12
	v_cndmask_b32_e32 v3, v4, v7, vcc
	v_cmp_class_f32_e32 vcc, v2, v17
	s_nop 1
	v_cndmask_b32_e32 v3, v3, v2, vcc
	v_add_u32_e32 v2, -1, v13
	v_fma_f32 v4, -v2, v13, v12
	v_cmp_ge_f32_e32 vcc, 0, v4
	v_add_u32_e32 v4, 1, v13
	v_fma_f32 v7, -v4, v13, v12
	v_cndmask_b32_e32 v2, v13, v2, vcc
	v_cmp_lt_f32_e32 vcc, 0, v7
	s_nop 1
	v_cndmask_b32_e32 v2, v2, v4, vcc
	v_mul_f32_e32 v4, 0x37800000, v2
	v_cndmask_b32_e64 v2, v2, v4, s[2:3]
	v_cmp_class_f32_e32 vcc, v12, v17
	s_nop 1
	v_cndmask_b32_e32 v2, v2, v12, vcc
	scratch_store_dwordx4 off, v[0:3], off offset:16
	s_nop 1
	v_lshl_add_u64 v[2:3], v[8:9], 2, s[10:11]
	v_mul_lo_u32 v0, v6, s33
	s_cbranch_scc1 .LBB208_28
; %bb.2:
	s_load_dwordx2 s[6:7], s[0:1], 0x20
	s_cmp_lt_u32 s33, 4
	v_and_b32_e32 v4, 15, v11
	s_cbranch_scc1 .LBB208_21
; %bb.3:
	v_lshlrev_b32_e32 v5, 3, v4
	s_mov_b32 s11, 0
	s_and_b32 s8, s33, 0x7ffffffc
	v_ashrrev_i32_e32 v1, 31, v0
	v_sub_u32_e32 v11, 0, v5
	v_mov_b32_e32 v5, 0
	s_mov_b32 s10, s11
	s_branch .LBB208_5
.LBB208_4:                              ;   in Loop: Header=BB208_5 Depth=1
	s_or_b64 exec, exec, s[12:13]
	s_add_i32 s10, s10, 4
	s_cmp_eq_u32 s10, s8
	s_cbranch_scc1 .LBB208_21
.LBB208_5:                              ; =>This Loop Header: Depth=1
                                        ;     Child Loop BB208_7 Depth 2
                                        ;     Child Loop BB208_11 Depth 2
	;; [unrolled: 1-line block ×4, first 2 shown]
	v_lshl_add_u64 v[6:7], s[10:11], 2, v[2:3]
	global_load_dword v12, v[6:7], off
	v_add_u32_e32 v8, s10, v0
	v_ashrrev_i32_e32 v9, 31, v8
	v_mov_b32_e32 v13, 0
	s_mov_b64 s[12:13], 0
	s_waitcnt lgkmcnt(0)
	v_lshl_add_u64 v[8:9], v[8:9], 2, s[6:7]
	s_mov_b32 s9, 0
	s_waitcnt vmcnt(0)
	v_add_u32_e32 v14, v11, v12
	s_branch .LBB208_7
.LBB208_6:                              ;   in Loop: Header=BB208_7 Depth=2
	s_or_b64 exec, exec, s[14:15]
	s_add_i32 s16, s9, 1
	s_cmp_gt_u32 s9, 6
	s_cselect_b64 s[2:3], -1, 0
	s_xor_b64 s[14:15], vcc, -1
	s_or_b64 s[2:3], s[14:15], s[2:3]
	s_and_b64 s[2:3], exec, s[2:3]
	v_add_u32_e32 v13, 4, v13
	s_or_b64 s[12:13], s[2:3], s[12:13]
	s_mov_b32 s9, s16
	s_andn2_b64 exec, exec, s[12:13]
	s_cbranch_execz .LBB208_9
.LBB208_7:                              ;   Parent Loop BB208_5 Depth=1
                                        ; =>  This Inner Loop Header: Depth=2
	v_cmp_ne_u32_e32 vcc, s9, v14
	v_cmp_eq_u32_e64 s[2:3], s9, v14
	s_and_saveexec_b64 s[14:15], s[2:3]
	s_cbranch_execz .LBB208_6
; %bb.8:                                ;   in Loop: Header=BB208_7 Depth=2
	scratch_load_dword v15, v13, off
	s_waitcnt vmcnt(0)
	v_add_f32_e32 v5, v5, v15
	global_store_dword v[8:9], v12, off
	s_branch .LBB208_6
.LBB208_9:                              ;   in Loop: Header=BB208_5 Depth=1
	s_or_b64 exec, exec, s[12:13]
	global_load_dword v12, v[6:7], off offset:4
	s_ashr_i32 s3, s10, 31
	s_mov_b32 s2, s10
	v_lshl_add_u64 v[8:9], s[2:3], 0, v[0:1]
	v_mov_b32_e32 v13, 0
	s_mov_b32 s9, 0
	v_lshl_add_u64 v[8:9], v[8:9], 2, s[6:7]
	s_mov_b64 s[12:13], 0
	s_waitcnt vmcnt(0)
	v_add_u32_e32 v14, v11, v12
	s_branch .LBB208_11
.LBB208_10:                             ;   in Loop: Header=BB208_11 Depth=2
	s_or_b64 exec, exec, s[14:15]
	s_add_i32 s16, s9, 1
	s_cmp_gt_u32 s9, 6
	s_cselect_b64 s[2:3], -1, 0
	s_xor_b64 s[14:15], vcc, -1
	s_or_b64 s[2:3], s[14:15], s[2:3]
	s_and_b64 s[2:3], exec, s[2:3]
	v_add_u32_e32 v13, 4, v13
	s_or_b64 s[12:13], s[2:3], s[12:13]
	s_mov_b32 s9, s16
	s_andn2_b64 exec, exec, s[12:13]
	s_cbranch_execz .LBB208_13
.LBB208_11:                             ;   Parent Loop BB208_5 Depth=1
                                        ; =>  This Inner Loop Header: Depth=2
	v_cmp_ne_u32_e32 vcc, s9, v14
	v_cmp_eq_u32_e64 s[2:3], s9, v14
	s_and_saveexec_b64 s[14:15], s[2:3]
	s_cbranch_execz .LBB208_10
; %bb.12:                               ;   in Loop: Header=BB208_11 Depth=2
	scratch_load_dword v15, v13, off
	s_waitcnt vmcnt(0)
	v_add_f32_e32 v5, v5, v15
	global_store_dword v[8:9], v12, off offset:4
	s_branch .LBB208_10
.LBB208_13:                             ;   in Loop: Header=BB208_5 Depth=1
	s_or_b64 exec, exec, s[12:13]
	global_load_dword v12, v[6:7], off offset:8
	v_mov_b32_e32 v13, 0
	s_mov_b32 s9, 0
	s_mov_b64 s[12:13], 0
	s_waitcnt vmcnt(0)
	v_add_u32_e32 v14, v11, v12
	s_branch .LBB208_15
.LBB208_14:                             ;   in Loop: Header=BB208_15 Depth=2
	s_or_b64 exec, exec, s[14:15]
	s_add_i32 s16, s9, 1
	s_cmp_gt_u32 s9, 6
	s_cselect_b64 s[2:3], -1, 0
	s_xor_b64 s[14:15], vcc, -1
	s_or_b64 s[2:3], s[14:15], s[2:3]
	s_and_b64 s[2:3], exec, s[2:3]
	v_add_u32_e32 v13, 4, v13
	s_or_b64 s[12:13], s[2:3], s[12:13]
	s_mov_b32 s9, s16
	s_andn2_b64 exec, exec, s[12:13]
	s_cbranch_execz .LBB208_17
.LBB208_15:                             ;   Parent Loop BB208_5 Depth=1
                                        ; =>  This Inner Loop Header: Depth=2
	v_cmp_ne_u32_e32 vcc, s9, v14
	v_cmp_eq_u32_e64 s[2:3], s9, v14
	s_and_saveexec_b64 s[14:15], s[2:3]
	s_cbranch_execz .LBB208_14
; %bb.16:                               ;   in Loop: Header=BB208_15 Depth=2
	scratch_load_dword v15, v13, off
	s_waitcnt vmcnt(0)
	v_add_f32_e32 v5, v5, v15
	global_store_dword v[8:9], v12, off offset:8
	s_branch .LBB208_14
.LBB208_17:                             ;   in Loop: Header=BB208_5 Depth=1
	s_or_b64 exec, exec, s[12:13]
	global_load_dword v6, v[6:7], off offset:12
	v_mov_b32_e32 v7, 0
	s_mov_b32 s9, 0
	s_mov_b64 s[12:13], 0
	s_waitcnt vmcnt(0)
	v_add_u32_e32 v12, v11, v6
	s_branch .LBB208_19
.LBB208_18:                             ;   in Loop: Header=BB208_19 Depth=2
	s_or_b64 exec, exec, s[14:15]
	s_add_i32 s16, s9, 1
	s_cmp_gt_u32 s9, 6
	s_cselect_b64 s[2:3], -1, 0
	s_xor_b64 s[14:15], vcc, -1
	s_or_b64 s[2:3], s[14:15], s[2:3]
	s_and_b64 s[2:3], exec, s[2:3]
	v_add_u32_e32 v7, 4, v7
	s_or_b64 s[12:13], s[2:3], s[12:13]
	s_mov_b32 s9, s16
	s_andn2_b64 exec, exec, s[12:13]
	s_cbranch_execz .LBB208_4
.LBB208_19:                             ;   Parent Loop BB208_5 Depth=1
                                        ; =>  This Inner Loop Header: Depth=2
	v_cmp_ne_u32_e32 vcc, s9, v12
	v_cmp_eq_u32_e64 s[2:3], s9, v12
	s_and_saveexec_b64 s[14:15], s[2:3]
	s_cbranch_execz .LBB208_18
; %bb.20:                               ;   in Loop: Header=BB208_19 Depth=2
	scratch_load_dword v13, v7, off
	s_waitcnt vmcnt(0)
	v_add_f32_e32 v5, v5, v13
	global_store_dword v[8:9], v6, off offset:12
	s_branch .LBB208_18
.LBB208_21:
	s_and_b32 s14, s33, 3
	s_cmp_eq_u32 s14, 0
	s_mov_b32 s9, 0
	s_cbranch_scc1 .LBB208_28
; %bb.22:
	v_lshlrev_b32_e32 v1, 3, v4
	v_sub_u32_e32 v1, 0, v1
	s_mov_b32 s15, s9
	s_branch .LBB208_24
.LBB208_23:                             ;   in Loop: Header=BB208_24 Depth=1
	s_or_b64 exec, exec, s[10:11]
	s_add_i32 s8, s8, 1
	s_add_i32 s15, s15, 1
	s_cmp_lg_u32 s15, s14
	s_cbranch_scc0 .LBB208_28
.LBB208_24:                             ; =>This Loop Header: Depth=1
                                        ;     Child Loop BB208_26 Depth 2
	v_lshl_add_u64 v[6:7], s[8:9], 2, v[2:3]
	global_load_dword v4, v[6:7], off
	v_add_u32_e32 v6, s8, v0
	v_ashrrev_i32_e32 v7, 31, v6
	v_mov_b32_e32 v8, 0
	s_mov_b32 s16, 0
	s_waitcnt lgkmcnt(0)
	v_lshl_add_u64 v[6:7], v[6:7], 2, s[6:7]
	s_mov_b64 s[10:11], 0
	s_waitcnt vmcnt(0)
	v_add_u32_e32 v9, v1, v4
	s_branch .LBB208_26
.LBB208_25:                             ;   in Loop: Header=BB208_26 Depth=2
	s_or_b64 exec, exec, s[12:13]
	s_add_i32 s17, s16, 1
	s_cmp_gt_u32 s16, 6
	s_cselect_b64 s[2:3], -1, 0
	s_xor_b64 s[12:13], vcc, -1
	s_or_b64 s[2:3], s[12:13], s[2:3]
	s_and_b64 s[2:3], exec, s[2:3]
	v_add_u32_e32 v8, 4, v8
	s_or_b64 s[10:11], s[2:3], s[10:11]
	s_mov_b32 s16, s17
	s_andn2_b64 exec, exec, s[10:11]
	s_cbranch_execz .LBB208_23
.LBB208_26:                             ;   Parent Loop BB208_24 Depth=1
                                        ; =>  This Inner Loop Header: Depth=2
	v_cmp_ne_u32_e32 vcc, s16, v9
	v_cmp_eq_u32_e64 s[2:3], s16, v9
	s_and_saveexec_b64 s[12:13], s[2:3]
	s_cbranch_execz .LBB208_25
; %bb.27:                               ;   in Loop: Header=BB208_26 Depth=2
	scratch_load_dword v11, v8, off
	s_waitcnt vmcnt(0)
	v_add_f32_e32 v5, v5, v11
	global_store_dword v[6:7], v4, off
	s_branch .LBB208_25
.LBB208_28:
	s_waitcnt lgkmcnt(0)
	s_load_dword s6, s[0:1], 0x3c
	s_waitcnt lgkmcnt(0)
	s_bitcmp1_b32 s6, 0
	s_cselect_b64 s[2:3], -1, 0
	s_bitcmp0_b32 s6, 0
	s_cbranch_scc0 .LBB208_32
; %bb.29:
	s_load_dwordx2 s[6:7], s[0:1], 0x40
	s_andn2_b64 vcc, exec, s[2:3]
	s_waitcnt lgkmcnt(0)
	v_cvt_f32_f64_e32 v8, s[6:7]
	s_cbranch_vccz .LBB208_33
.LBB208_30:
	s_andn2_b64 vcc, exec, s[4:5]
	s_cbranch_vccz .LBB208_34
.LBB208_31:
	s_endpgm
.LBB208_32:
	v_mbcnt_lo_u32_b32 v1, -1, 0
	v_mbcnt_hi_u32_b32 v1, -1, v1
	v_and_b32_e32 v4, 0x70, v1
	v_add_u32_e32 v4, 16, v4
	v_xor_b32_e32 v6, 8, v1
	v_cmp_lt_i32_e32 vcc, v6, v4
	v_xor_b32_e32 v7, 4, v1
	s_nop 0
	v_cndmask_b32_e32 v6, v1, v6, vcc
	v_lshlrev_b32_e32 v6, 2, v6
	ds_bpermute_b32 v6, v6, v5
	v_cmp_lt_i32_e32 vcc, v7, v4
	s_waitcnt lgkmcnt(0)
	v_add_f32_e32 v5, v5, v6
	v_cndmask_b32_e32 v6, v1, v7, vcc
	v_lshlrev_b32_e32 v6, 2, v6
	ds_bpermute_b32 v6, v6, v5
	v_xor_b32_e32 v7, 2, v1
	v_cmp_lt_i32_e32 vcc, v7, v4
	s_waitcnt lgkmcnt(0)
	v_add_f32_e32 v5, v5, v6
	v_cndmask_b32_e32 v6, v1, v7, vcc
	v_lshlrev_b32_e32 v6, 2, v6
	ds_bpermute_b32 v6, v6, v5
	v_xor_b32_e32 v7, 1, v1
	v_cmp_lt_i32_e32 vcc, v7, v4
	s_waitcnt lgkmcnt(0)
	v_add_f32_e32 v5, v5, v6
	v_cndmask_b32_e32 v1, v1, v7, vcc
	v_lshlrev_b32_e32 v1, 2, v1
	ds_bpermute_b32 v1, v1, v5
	s_waitcnt lgkmcnt(0)
	v_add_f32_e32 v5, v5, v1
	s_load_dwordx2 s[6:7], s[0:1], 0x40
	s_andn2_b64 vcc, exec, s[2:3]
	s_waitcnt lgkmcnt(0)
	v_cvt_f32_f64_e32 v8, s[6:7]
	s_cbranch_vccnz .LBB208_30
.LBB208_33:
	v_cmp_lt_f32_e32 vcc, 0, v5
	s_nop 1
	v_cndmask_b32_e32 v1, 1.0, v5, vcc
	v_div_scale_f32 v4, s[2:3], v1, v1, v8
	v_rcp_f32_e32 v5, v4
	s_nop 0
	v_fma_f32 v6, -v4, v5, 1.0
	v_fmac_f32_e32 v5, v6, v5
	v_div_scale_f32 v6, vcc, v8, v1, v8
	v_mul_f32_e32 v7, v6, v5
	v_fma_f32 v9, -v4, v7, v6
	v_fmac_f32_e32 v7, v9, v5
	v_fma_f32 v4, -v4, v7, v6
	v_div_fmas_f32 v4, v4, v5, v7
	v_div_fixup_f32 v8, v4, v1, v8
	s_andn2_b64 vcc, exec, s[4:5]
	s_cbranch_vccnz .LBB208_31
.LBB208_34:
	s_load_dwordx2 s[12:13], s[0:1], 0x10
	v_mov_b32_e32 v1, 0
	v_or_b32_e32 v20, 4, v1
	v_or_b32_e32 v18, 8, v1
	;; [unrolled: 1-line block ×3, first 2 shown]
	v_add_u32_e32 v14, 16, v1
	v_add_u32_e32 v12, 20, v1
	;; [unrolled: 1-line block ×4, first 2 shown]
	v_or_b32_e32 v23, 1, v10
	v_or_b32_e32 v22, 2, v10
	;; [unrolled: 1-line block ×7, first 2 shown]
	s_cmp_eq_u32 s33, 1
	s_mov_b32 s14, 0
	s_cbranch_scc1 .LBB208_69
; %bb.35:
	v_ashrrev_i32_e32 v1, 31, v0
	s_waitcnt lgkmcnt(0)
	v_lshl_add_u64 v[4:5], v[0:1], 2, s[12:13]
	s_and_b32 s14, s33, 0x7ffffffe
	v_lshl_add_u64 v[4:5], v[4:5], 0, 4
	v_lshl_add_u64 v[6:7], v[2:3], 0, 4
	s_mov_b32 s15, 0
	s_branch .LBB208_37
.LBB208_36:                             ;   in Loop: Header=BB208_37 Depth=1
	s_or_b64 exec, exec, s[0:1]
	s_add_i32 s15, s15, 2
	v_lshl_add_u64 v[4:5], v[4:5], 0, 8
	s_cmp_eq_u32 s14, s15
	v_lshl_add_u64 v[6:7], v[6:7], 0, 8
	s_cbranch_scc1 .LBB208_69
.LBB208_37:                             ; =>This Inner Loop Header: Depth=1
	global_load_dword v24, v[6:7], off offset:-4
	v_mov_b32_e32 v1, 0
	s_waitcnt vmcnt(0)
	v_cmp_eq_u32_e32 vcc, v24, v10
	v_cmp_ne_u32_e64 s[0:1], v24, v10
	s_and_saveexec_b64 s[16:17], s[0:1]
	s_cbranch_execz .LBB208_51
; %bb.38:                               ;   in Loop: Header=BB208_37 Depth=1
	v_cmp_eq_u32_e64 s[0:1], v24, v23
	v_cmp_ne_u32_e64 s[2:3], v24, v23
	v_mov_b32_e32 v1, v20
	s_and_saveexec_b64 s[18:19], s[2:3]
	s_cbranch_execz .LBB208_50
; %bb.39:                               ;   in Loop: Header=BB208_37 Depth=1
	v_cmp_eq_u32_e64 s[2:3], v24, v22
	v_cmp_ne_u32_e64 s[4:5], v24, v22
	v_mov_b32_e32 v1, v18
	;; [unrolled: 6-line block ×6, first 2 shown]
	s_and_saveexec_b64 s[30:31], s[10:11]
	s_xor_b64 s[30:31], exec, s[30:31]
; %bb.44:                               ;   in Loop: Header=BB208_37 Depth=1
	v_cmp_eq_u32_e64 s[10:11], v24, v13
	s_andn2_b64 s[28:29], s[28:29], exec
	s_and_b64 s[10:11], s[10:11], exec
	s_or_b64 s[28:29], s[28:29], s[10:11]
	v_mov_b32_e32 v1, v11
; %bb.45:                               ;   in Loop: Header=BB208_37 Depth=1
	s_or_b64 exec, exec, s[30:31]
	s_andn2_b64 s[8:9], s[8:9], exec
	s_and_b64 s[10:11], s[28:29], exec
	s_or_b64 s[8:9], s[8:9], s[10:11]
.LBB208_46:                             ;   in Loop: Header=BB208_37 Depth=1
	s_or_b64 exec, exec, s[26:27]
	s_andn2_b64 s[6:7], s[6:7], exec
	s_and_b64 s[8:9], s[8:9], exec
	s_or_b64 s[6:7], s[6:7], s[8:9]
.LBB208_47:                             ;   in Loop: Header=BB208_37 Depth=1
	s_or_b64 exec, exec, s[24:25]
	s_andn2_b64 s[4:5], s[4:5], exec
	s_and_b64 s[6:7], s[6:7], exec
	s_or_b64 s[4:5], s[4:5], s[6:7]
.LBB208_48:                             ;   in Loop: Header=BB208_37 Depth=1
	s_or_b64 exec, exec, s[22:23]
	s_andn2_b64 s[2:3], s[2:3], exec
	s_and_b64 s[4:5], s[4:5], exec
	s_or_b64 s[2:3], s[2:3], s[4:5]
.LBB208_49:                             ;   in Loop: Header=BB208_37 Depth=1
	s_or_b64 exec, exec, s[20:21]
	s_andn2_b64 s[0:1], s[0:1], exec
	s_and_b64 s[2:3], s[2:3], exec
	s_or_b64 s[0:1], s[0:1], s[2:3]
.LBB208_50:                             ;   in Loop: Header=BB208_37 Depth=1
	s_or_b64 exec, exec, s[18:19]
	s_andn2_b64 s[2:3], vcc, exec
	s_and_b64 s[0:1], s[0:1], exec
	s_or_b64 vcc, s[2:3], s[0:1]
.LBB208_51:                             ;   in Loop: Header=BB208_37 Depth=1
	s_or_b64 exec, exec, s[16:17]
	s_and_saveexec_b64 s[0:1], vcc
	s_cbranch_execz .LBB208_53
; %bb.52:                               ;   in Loop: Header=BB208_37 Depth=1
	scratch_load_dword v1, v1, off
	v_add_u32_e32 v24, s15, v0
	v_ashrrev_i32_e32 v25, 31, v24
	v_lshl_add_u64 v[24:25], v[24:25], 2, s[12:13]
	s_waitcnt vmcnt(0)
	v_mul_f32_e32 v1, v8, v1
	global_store_dword v[24:25], v1, off
.LBB208_53:                             ;   in Loop: Header=BB208_37 Depth=1
	s_or_b64 exec, exec, s[0:1]
	global_load_dword v24, v[6:7], off
	v_mov_b32_e32 v1, 0
	s_waitcnt vmcnt(0)
	v_cmp_eq_u32_e64 s[8:9], v24, v10
	v_cmp_ne_u32_e32 vcc, v24, v10
	s_and_saveexec_b64 s[10:11], vcc
	s_cbranch_execz .LBB208_67
; %bb.54:                               ;   in Loop: Header=BB208_37 Depth=1
	v_cmp_eq_u32_e32 vcc, v24, v23
	v_cmp_ne_u32_e64 s[0:1], v24, v23
	v_mov_b32_e32 v1, v20
	s_and_saveexec_b64 s[16:17], s[0:1]
	s_cbranch_execz .LBB208_66
; %bb.55:                               ;   in Loop: Header=BB208_37 Depth=1
	v_cmp_eq_u32_e64 s[0:1], v24, v22
	v_cmp_ne_u32_e64 s[2:3], v24, v22
	v_mov_b32_e32 v1, v18
	s_and_saveexec_b64 s[18:19], s[2:3]
	s_cbranch_execz .LBB208_65
; %bb.56:                               ;   in Loop: Header=BB208_37 Depth=1
	v_cmp_eq_u32_e64 s[2:3], v24, v21
	;; [unrolled: 6-line block ×5, first 2 shown]
	v_cmp_ne_u32_e64 s[6:7], v24, v15
	v_mov_b32_e32 v1, v9
	s_and_saveexec_b64 s[30:31], s[6:7]
; %bb.60:                               ;   in Loop: Header=BB208_37 Depth=1
	v_cmp_eq_u32_e64 s[6:7], v24, v13
	s_andn2_b64 s[28:29], s[28:29], exec
	s_and_b64 s[6:7], s[6:7], exec
	s_or_b64 s[28:29], s[28:29], s[6:7]
	v_mov_b32_e32 v1, v11
; %bb.61:                               ;   in Loop: Header=BB208_37 Depth=1
	s_or_b64 exec, exec, s[30:31]
	s_andn2_b64 s[6:7], s[24:25], exec
	s_and_b64 s[24:25], s[28:29], exec
	s_or_b64 s[24:25], s[6:7], s[24:25]
.LBB208_62:                             ;   in Loop: Header=BB208_37 Depth=1
	s_or_b64 exec, exec, s[26:27]
	s_andn2_b64 s[4:5], s[4:5], exec
	s_and_b64 s[6:7], s[24:25], exec
	s_or_b64 s[4:5], s[4:5], s[6:7]
.LBB208_63:                             ;   in Loop: Header=BB208_37 Depth=1
	s_or_b64 exec, exec, s[22:23]
	s_andn2_b64 s[2:3], s[2:3], exec
	s_and_b64 s[4:5], s[4:5], exec
	s_or_b64 s[2:3], s[2:3], s[4:5]
.LBB208_64:                             ;   in Loop: Header=BB208_37 Depth=1
	s_or_b64 exec, exec, s[20:21]
	s_andn2_b64 s[0:1], s[0:1], exec
	s_and_b64 s[2:3], s[2:3], exec
	s_or_b64 s[0:1], s[0:1], s[2:3]
.LBB208_65:                             ;   in Loop: Header=BB208_37 Depth=1
	s_or_b64 exec, exec, s[18:19]
	s_andn2_b64 s[2:3], vcc, exec
	s_and_b64 s[0:1], s[0:1], exec
	s_or_b64 vcc, s[2:3], s[0:1]
.LBB208_66:                             ;   in Loop: Header=BB208_37 Depth=1
	s_or_b64 exec, exec, s[16:17]
	s_andn2_b64 s[0:1], s[8:9], exec
	s_and_b64 s[2:3], vcc, exec
	s_or_b64 s[8:9], s[0:1], s[2:3]
.LBB208_67:                             ;   in Loop: Header=BB208_37 Depth=1
	s_or_b64 exec, exec, s[10:11]
	s_and_saveexec_b64 s[0:1], s[8:9]
	s_cbranch_execz .LBB208_36
; %bb.68:                               ;   in Loop: Header=BB208_37 Depth=1
	scratch_load_dword v1, v1, off
	s_waitcnt vmcnt(0)
	v_mul_f32_e32 v1, v8, v1
	global_store_dword v[4:5], v1, off
	s_branch .LBB208_36
.LBB208_69:
	s_bitcmp0_b32 s33, 0
	s_mov_b32 s15, 0
	s_cbranch_scc1 .LBB208_31
; %bb.70:
	v_lshl_add_u64 v[2:3], s[14:15], 2, v[2:3]
	global_load_dword v1, v[2:3], off
	v_mov_b32_e32 v2, 0
	s_waitcnt vmcnt(0)
	v_cmp_eq_u32_e64 s[8:9], v1, v10
	v_cmp_ne_u32_e32 vcc, v1, v10
	s_and_saveexec_b64 s[10:11], vcc
	s_cbranch_execz .LBB208_84
; %bb.71:
	v_cmp_eq_u32_e32 vcc, v1, v23
	v_cmp_ne_u32_e64 s[0:1], v1, v23
	s_and_saveexec_b64 s[16:17], s[0:1]
	s_cbranch_execz .LBB208_83
; %bb.72:
	v_cmp_eq_u32_e64 s[0:1], v1, v22
	v_cmp_ne_u32_e64 s[2:3], v1, v22
	s_and_saveexec_b64 s[18:19], s[2:3]
	s_cbranch_execz .LBB208_82
; %bb.73:
	v_cmp_eq_u32_e64 s[2:3], v1, v21
	;; [unrolled: 5-line block ×5, first 2 shown]
	v_cmp_ne_u32_e64 s[6:7], v1, v15
	s_and_saveexec_b64 s[30:31], s[6:7]
; %bb.77:
	v_cmp_eq_u32_e64 s[6:7], v1, v13
	s_andn2_b64 s[28:29], s[28:29], exec
	s_and_b64 s[6:7], s[6:7], exec
	s_or_b64 s[28:29], s[28:29], s[6:7]
	v_mov_b32_e32 v9, v11
; %bb.78:
	s_or_b64 exec, exec, s[30:31]
	s_andn2_b64 s[6:7], s[24:25], exec
	s_and_b64 s[24:25], s[28:29], exec
	s_or_b64 s[24:25], s[6:7], s[24:25]
	v_mov_b32_e32 v12, v9
.LBB208_79:
	s_or_b64 exec, exec, s[26:27]
	s_andn2_b64 s[4:5], s[4:5], exec
	s_and_b64 s[6:7], s[24:25], exec
	s_or_b64 s[4:5], s[4:5], s[6:7]
	v_mov_b32_e32 v14, v12
.LBB208_80:
	s_or_b64 exec, exec, s[22:23]
	s_andn2_b64 s[2:3], s[2:3], exec
	s_and_b64 s[4:5], s[4:5], exec
	s_or_b64 s[2:3], s[2:3], s[4:5]
	v_mov_b32_e32 v16, v14
.LBB208_81:
	s_or_b64 exec, exec, s[20:21]
	s_andn2_b64 s[0:1], s[0:1], exec
	s_and_b64 s[2:3], s[2:3], exec
	s_or_b64 s[0:1], s[0:1], s[2:3]
	v_mov_b32_e32 v18, v16
.LBB208_82:
	s_or_b64 exec, exec, s[18:19]
	s_andn2_b64 s[2:3], vcc, exec
	s_and_b64 s[0:1], s[0:1], exec
	s_or_b64 vcc, s[2:3], s[0:1]
	v_mov_b32_e32 v20, v18
.LBB208_83:
	s_or_b64 exec, exec, s[16:17]
	s_andn2_b64 s[0:1], s[8:9], exec
	s_and_b64 s[2:3], vcc, exec
	s_or_b64 s[8:9], s[0:1], s[2:3]
	v_mov_b32_e32 v2, v20
.LBB208_84:
	s_or_b64 exec, exec, s[10:11]
	s_and_b64 exec, exec, s[8:9]
	s_cbranch_execz .LBB208_31
; %bb.85:
	scratch_load_dword v2, v2, off
	v_add_u32_e32 v0, s14, v0
	v_ashrrev_i32_e32 v1, 31, v0
	s_waitcnt lgkmcnt(0)
	v_lshl_add_u64 v[0:1], v[0:1], 2, s[12:13]
	s_waitcnt vmcnt(0)
	v_mul_f32_e32 v2, v8, v2
	global_store_dword v[0:1], v2, off
	s_endpgm
	.section	.rodata,"a",@progbits
	.p2align	6, 0x0
	.amdhsa_kernel _ZN4vllm3moe22topkGatingSoftplusSqrtILi8ELi128ELi4ELi16ELi64ELb1Ei6__halfEEvPKT6_PKbPfiPT5_PiiiibdPKfPKS9_SF_
		.amdhsa_group_segment_fixed_size 0
		.amdhsa_private_segment_fixed_size 48
		.amdhsa_kernarg_size 96
		.amdhsa_user_sgpr_count 2
		.amdhsa_user_sgpr_dispatch_ptr 0
		.amdhsa_user_sgpr_queue_ptr 0
		.amdhsa_user_sgpr_kernarg_segment_ptr 1
		.amdhsa_user_sgpr_dispatch_id 0
		.amdhsa_user_sgpr_kernarg_preload_length 0
		.amdhsa_user_sgpr_kernarg_preload_offset 0
		.amdhsa_user_sgpr_private_segment_size 0
		.amdhsa_uses_dynamic_stack 0
		.amdhsa_enable_private_segment 1
		.amdhsa_system_sgpr_workgroup_id_x 1
		.amdhsa_system_sgpr_workgroup_id_y 0
		.amdhsa_system_sgpr_workgroup_id_z 0
		.amdhsa_system_sgpr_workgroup_info 0
		.amdhsa_system_vgpr_workitem_id 1
		.amdhsa_next_free_vgpr 29
		.amdhsa_next_free_sgpr 34
		.amdhsa_accum_offset 32
		.amdhsa_reserve_vcc 1
		.amdhsa_float_round_mode_32 0
		.amdhsa_float_round_mode_16_64 0
		.amdhsa_float_denorm_mode_32 3
		.amdhsa_float_denorm_mode_16_64 3
		.amdhsa_dx10_clamp 1
		.amdhsa_ieee_mode 1
		.amdhsa_fp16_overflow 0
		.amdhsa_tg_split 0
		.amdhsa_exception_fp_ieee_invalid_op 0
		.amdhsa_exception_fp_denorm_src 0
		.amdhsa_exception_fp_ieee_div_zero 0
		.amdhsa_exception_fp_ieee_overflow 0
		.amdhsa_exception_fp_ieee_underflow 0
		.amdhsa_exception_fp_ieee_inexact 0
		.amdhsa_exception_int_div_zero 0
	.end_amdhsa_kernel
	.section	.text._ZN4vllm3moe22topkGatingSoftplusSqrtILi8ELi128ELi4ELi16ELi64ELb1Ei6__halfEEvPKT6_PKbPfiPT5_PiiiibdPKfPKS9_SF_,"axG",@progbits,_ZN4vllm3moe22topkGatingSoftplusSqrtILi8ELi128ELi4ELi16ELi64ELb1Ei6__halfEEvPKT6_PKbPfiPT5_PiiiibdPKfPKS9_SF_,comdat
.Lfunc_end208:
	.size	_ZN4vllm3moe22topkGatingSoftplusSqrtILi8ELi128ELi4ELi16ELi64ELb1Ei6__halfEEvPKT6_PKbPfiPT5_PiiiibdPKfPKS9_SF_, .Lfunc_end208-_ZN4vllm3moe22topkGatingSoftplusSqrtILi8ELi128ELi4ELi16ELi64ELb1Ei6__halfEEvPKT6_PKbPfiPT5_PiiiibdPKfPKS9_SF_
                                        ; -- End function
	.section	.AMDGPU.csdata,"",@progbits
; Kernel info:
; codeLenInByte = 4552
; NumSgprs: 40
; NumVgprs: 29
; NumAgprs: 0
; TotalNumVgprs: 29
; ScratchSize: 48
; MemoryBound: 0
; FloatMode: 240
; IeeeMode: 1
; LDSByteSize: 0 bytes/workgroup (compile time only)
; SGPRBlocks: 4
; VGPRBlocks: 3
; NumSGPRsForWavesPerEU: 40
; NumVGPRsForWavesPerEU: 29
; AccumOffset: 32
; Occupancy: 8
; WaveLimiterHint : 1
; COMPUTE_PGM_RSRC2:SCRATCH_EN: 1
; COMPUTE_PGM_RSRC2:USER_SGPR: 2
; COMPUTE_PGM_RSRC2:TRAP_HANDLER: 0
; COMPUTE_PGM_RSRC2:TGID_X_EN: 1
; COMPUTE_PGM_RSRC2:TGID_Y_EN: 0
; COMPUTE_PGM_RSRC2:TGID_Z_EN: 0
; COMPUTE_PGM_RSRC2:TIDIG_COMP_CNT: 1
; COMPUTE_PGM_RSRC3_GFX90A:ACCUM_OFFSET: 7
; COMPUTE_PGM_RSRC3_GFX90A:TG_SPLIT: 0
	.section	.text._ZN4vllm3moe22topkGatingSoftplusSqrtILi8ELi128ELi4ELi16ELi64ELb0Ei6__halfEEvPKT6_PKbPfiPT5_PiiiibdPKfPKS9_SF_,"axG",@progbits,_ZN4vllm3moe22topkGatingSoftplusSqrtILi8ELi128ELi4ELi16ELi64ELb0Ei6__halfEEvPKT6_PKbPfiPT5_PiiiibdPKfPKS9_SF_,comdat
	.protected	_ZN4vllm3moe22topkGatingSoftplusSqrtILi8ELi128ELi4ELi16ELi64ELb0Ei6__halfEEvPKT6_PKbPfiPT5_PiiiibdPKfPKS9_SF_ ; -- Begin function _ZN4vllm3moe22topkGatingSoftplusSqrtILi8ELi128ELi4ELi16ELi64ELb0Ei6__halfEEvPKT6_PKbPfiPT5_PiiiibdPKfPKS9_SF_
	.globl	_ZN4vllm3moe22topkGatingSoftplusSqrtILi8ELi128ELi4ELi16ELi64ELb0Ei6__halfEEvPKT6_PKbPfiPT5_PiiiibdPKfPKS9_SF_
	.p2align	8
	.type	_ZN4vllm3moe22topkGatingSoftplusSqrtILi8ELi128ELi4ELi16ELi64ELb0Ei6__halfEEvPKT6_PKbPfiPT5_PiiiibdPKfPKS9_SF_,@function
_ZN4vllm3moe22topkGatingSoftplusSqrtILi8ELi128ELi4ELi16ELi64ELb0Ei6__halfEEvPKT6_PKbPfiPT5_PiiiibdPKfPKS9_SF_: ; @_ZN4vllm3moe22topkGatingSoftplusSqrtILi8ELi128ELi4ELi16ELi64ELb0Ei6__halfEEvPKT6_PKbPfiPT5_PiiiibdPKfPKS9_SF_
; %bb.0:
	s_load_dword s33, s[0:1], 0x18
	v_bfe_u32 v1, v0, 10, 10
	v_and_b32_e32 v0, 0x3ff, v0
	s_lshl_b32 s2, s2, 4
	v_lshlrev_b32_e32 v1, 2, v1
	v_lshrrev_b32_e32 v2, 4, v0
	v_add3_u32 v8, s2, v1, v2
	s_waitcnt lgkmcnt(0)
	v_cmp_gt_i32_e32 vcc, s33, v8
	s_and_saveexec_b64 s[2:3], vcc
	s_cbranch_execz .LBB209_61
; %bb.1:
	s_load_dwordx4 s[4:7], s[0:1], 0x0
	s_load_dwordx2 s[34:35], s[0:1], 0x10
	s_waitcnt lgkmcnt(0)
	s_cmp_eq_u64 s[6:7], 0
	s_cbranch_scc1 .LBB209_3
; %bb.2:
	v_ashrrev_i32_e32 v9, 31, v8
	v_lshl_add_u64 v[2:3], s[6:7], 0, v[8:9]
	global_load_ubyte v1, v[2:3], off
	s_waitcnt vmcnt(0)
	v_and_b32_e32 v1, 1, v1
	v_cmp_eq_u32_e32 vcc, 1, v1
	s_xor_b64 s[2:3], vcc, -1
	s_orn2_b64 s[36:37], s[2:3], exec
	s_branch .LBB209_4
.LBB209_3:
	s_mov_b64 s[36:37], -1
.LBB209_4:
	v_lshlrev_b32_e32 v4, 7, v8
	v_mov_b32_e32 v2, s4
	v_mov_b32_e32 v3, s5
	v_ashrrev_i32_e32 v5, 31, v4
	v_and_b32_e32 v9, 15, v0
	v_lshl_add_u64 v[2:3], v[4:5], 1, v[2:3]
	v_mov_b32_e32 v1, 0
	v_lshlrev_b32_e32 v0, 4, v9
	v_lshl_add_u64 v[0:1], v[2:3], 0, v[0:1]
	global_load_dwordx4 v[4:7], v[0:1], off
	s_mov_b32 s12, 0x800000
	v_mov_b32_e32 v2, 0x4f800000
	s_mov_b32 s9, 0x3f317217
	s_mov_b32 s10, 0x7f800000
	v_mov_b32_e32 v3, 0x41b17218
	s_movk_i32 s8, 0x4d00
	s_mov_b32 s11, 0xf800000
	s_load_dwordx4 s[20:23], s[0:1], 0x40
	v_lshlrev_b32_e32 v12, 3, v9
	s_waitcnt lgkmcnt(0)
	s_cmp_lg_u64 s[22:23], 0
	s_cselect_b64 s[6:7], -1, 0
	s_and_b64 s[2:3], exec, s[6:7]
	s_waitcnt vmcnt(0)
	v_cvt_f32_f16_e32 v0, v4
	v_mul_f32_e32 v1, 0x3fb8aa3b, v0
	v_exp_f32_e32 v10, v1
	v_mov_b32_e32 v1, 0x260
	v_add_f32_e32 v10, 1.0, v10
	v_cmp_gt_f32_e32 vcc, s12, v10
	s_nop 1
	v_cndmask_b32_e32 v11, 1.0, v2, vcc
	v_mul_f32_e32 v10, v10, v11
	v_log_f32_e32 v11, v10
	v_cndmask_b32_e32 v13, 0, v3, vcc
	v_lshlrev_b32_e32 v10, 2, v12
	v_mul_f32_e32 v14, 0x3f317217, v11
	v_fma_f32 v14, v11, s9, -v14
	v_fmac_f32_e32 v14, 0x3377d1cf, v11
	v_fmac_f32_e32 v14, 0x3f317217, v11
	v_cmp_lt_f32_e64 vcc, |v11|, s10
	s_nop 1
	v_cndmask_b32_e32 v11, v11, v14, vcc
	v_sub_f32_e32 v11, v11, v13
	v_cmp_lt_f16_e32 vcc, s8, v4
	s_nop 1
	v_cndmask_b32_e32 v0, v11, v0, vcc
	v_mul_f32_e32 v11, 0x4f800000, v0
	v_cmp_gt_f32_e32 vcc, s11, v0
	s_nop 1
	v_cndmask_b32_e32 v0, v0, v11, vcc
	v_sqrt_f32_e32 v11, v0
	s_nop 0
	v_add_u32_e32 v13, -1, v11
	v_add_u32_e32 v14, 1, v11
	v_fma_f32 v15, -v13, v11, v0
	v_fma_f32 v16, -v14, v11, v0
	v_cmp_ge_f32_e64 s[4:5], 0, v15
	s_nop 1
	v_cndmask_b32_e64 v11, v11, v13, s[4:5]
	v_cmp_lt_f32_e64 s[4:5], 0, v16
	s_nop 1
	v_cndmask_b32_e64 v11, v11, v14, s[4:5]
	v_mul_f32_e32 v13, 0x37800000, v11
	v_cndmask_b32_e32 v11, v11, v13, vcc
	v_cmp_class_f32_e32 vcc, v0, v1
	s_nop 1
	v_cndmask_b32_e32 v0, v11, v0, vcc
	s_mov_b64 vcc, s[2:3]
	s_cbranch_vccz .LBB209_6
; %bb.5:
	global_load_dword v11, v10, s[22:23]
	s_waitcnt vmcnt(0)
	v_add_f32_e32 v0, v0, v11
.LBB209_6:
	v_cvt_f32_f16_sdwa v11, v4 dst_sel:DWORD dst_unused:UNUSED_PAD src0_sel:WORD_1
	v_mul_f32_e32 v13, 0x3fb8aa3b, v11
	v_exp_f32_e32 v13, v13
	s_nop 0
	v_add_f32_e32 v13, 1.0, v13
	v_cmp_gt_f32_e32 vcc, s12, v13
	s_nop 1
	v_cndmask_b32_e32 v2, 1.0, v2, vcc
	v_mul_f32_e32 v2, v13, v2
	v_log_f32_e32 v2, v2
	v_cndmask_b32_e32 v3, 0, v3, vcc
	v_mul_f32_e32 v13, 0x3f317217, v2
	v_fma_f32 v13, v2, s9, -v13
	v_fmac_f32_e32 v13, 0x3377d1cf, v2
	v_fmac_f32_e32 v13, 0x3f317217, v2
	v_cmp_lt_f32_e64 vcc, |v2|, s10
	s_nop 1
	v_cndmask_b32_e32 v2, v2, v13, vcc
	v_sub_f32_e32 v2, v2, v3
	v_cmp_gt_f16_sdwa vcc, v4, s8 src0_sel:WORD_1 src1_sel:DWORD
	v_cndmask_b32_e64 v4, 0, 1, s[6:7]
	v_cmp_ne_u32_e64 s[2:3], 1, v4
	v_cndmask_b32_e32 v2, v2, v11, vcc
	v_mul_f32_e32 v3, 0x4f800000, v2
	v_cmp_gt_f32_e64 s[4:5], s11, v2
	s_andn2_b64 vcc, exec, s[6:7]
	s_nop 0
	v_cndmask_b32_e64 v2, v2, v3, s[4:5]
	v_sqrt_f32_e32 v3, v2
	s_nop 0
	v_add_u32_e32 v4, -1, v3
	v_add_u32_e32 v11, 1, v3
	v_fma_f32 v13, -v4, v3, v2
	v_fma_f32 v14, -v11, v3, v2
	v_cmp_ge_f32_e64 s[6:7], 0, v13
	s_nop 1
	v_cndmask_b32_e64 v3, v3, v4, s[6:7]
	v_cmp_lt_f32_e64 s[6:7], 0, v14
	s_nop 1
	v_cndmask_b32_e64 v3, v3, v11, s[6:7]
	v_mul_f32_e32 v4, 0x37800000, v3
	v_cndmask_b32_e64 v3, v3, v4, s[4:5]
	v_cmp_class_f32_e64 s[4:5], v2, v1
	s_nop 1
	v_cndmask_b32_e64 v1, v3, v2, s[4:5]
	s_cbranch_vccnz .LBB209_8
; %bb.7:
	global_load_dword v2, v10, s[22:23] offset:4
	s_waitcnt vmcnt(0)
	v_add_f32_e32 v1, v1, v2
.LBB209_8:
	v_cvt_f32_f16_e32 v2, v5
	s_mov_b32 s8, 0x800000
	v_mov_b32_e32 v4, 0x4f800000
	s_mov_b32 s7, 0x3f317217
	v_mul_f32_e32 v3, 0x3fb8aa3b, v2
	v_exp_f32_e32 v3, v3
	s_mov_b32 s9, 0x7f800000
	s_movk_i32 s6, 0x4d00
	s_mov_b32 s10, 0xf800000
	v_add_f32_e32 v3, 1.0, v3
	v_cmp_gt_f32_e32 vcc, s8, v3
	s_nop 1
	v_cndmask_b32_e32 v11, 1.0, v4, vcc
	v_mul_f32_e32 v3, v3, v11
	v_log_f32_e32 v3, v3
	v_mov_b32_e32 v11, 0x41b17218
	v_cndmask_b32_e32 v13, 0, v11, vcc
	v_mul_f32_e32 v14, 0x3f317217, v3
	v_fma_f32 v14, v3, s7, -v14
	v_fmac_f32_e32 v14, 0x3377d1cf, v3
	v_fmac_f32_e32 v14, 0x3f317217, v3
	v_cmp_lt_f32_e64 vcc, |v3|, s9
	s_nop 1
	v_cndmask_b32_e32 v3, v3, v14, vcc
	v_sub_f32_e32 v3, v3, v13
	v_cmp_lt_f16_e32 vcc, s6, v5
	s_nop 1
	v_cndmask_b32_e32 v2, v3, v2, vcc
	v_mul_f32_e32 v3, 0x4f800000, v2
	v_cmp_gt_f32_e32 vcc, s10, v2
	s_nop 1
	v_cndmask_b32_e32 v2, v2, v3, vcc
	v_sqrt_f32_e32 v3, v2
	s_nop 0
	v_add_u32_e32 v13, -1, v3
	v_fma_f32 v14, -v13, v3, v2
	v_cmp_ge_f32_e64 s[4:5], 0, v14
	v_add_u32_e32 v14, 1, v3
	s_nop 0
	v_cndmask_b32_e64 v13, v3, v13, s[4:5]
	v_fma_f32 v3, -v14, v3, v2
	v_cmp_lt_f32_e64 s[4:5], 0, v3
	s_nop 1
	v_cndmask_b32_e64 v3, v13, v14, s[4:5]
	v_mul_f32_e32 v13, 0x37800000, v3
	v_cndmask_b32_e32 v13, v3, v13, vcc
	v_mov_b32_e32 v3, 0x260
	v_cmp_class_f32_e64 s[4:5], v2, v3
	s_and_b64 vcc, exec, s[2:3]
	s_nop 0
	v_cndmask_b32_e64 v2, v13, v2, s[4:5]
	s_cbranch_vccnz .LBB209_10
; %bb.9:
	global_load_dword v13, v10, s[22:23] offset:8
	s_waitcnt vmcnt(0)
	v_add_f32_e32 v2, v2, v13
.LBB209_10:
	v_cvt_f32_f16_sdwa v13, v5 dst_sel:DWORD dst_unused:UNUSED_PAD src0_sel:WORD_1
	v_mul_f32_e32 v14, 0x3fb8aa3b, v13
	v_exp_f32_e32 v14, v14
	s_nop 0
	v_add_f32_e32 v14, 1.0, v14
	v_cmp_gt_f32_e32 vcc, s8, v14
	s_nop 1
	v_cndmask_b32_e32 v4, 1.0, v4, vcc
	v_mul_f32_e32 v4, v14, v4
	v_log_f32_e32 v4, v4
	v_cndmask_b32_e32 v11, 0, v11, vcc
	v_mul_f32_e32 v14, 0x3f317217, v4
	v_fma_f32 v14, v4, s7, -v14
	v_fmac_f32_e32 v14, 0x3377d1cf, v4
	v_fmac_f32_e32 v14, 0x3f317217, v4
	v_cmp_lt_f32_e64 vcc, |v4|, s9
	s_nop 1
	v_cndmask_b32_e32 v4, v4, v14, vcc
	v_sub_f32_e32 v4, v4, v11
	v_cmp_gt_f16_sdwa vcc, v5, s6 src0_sel:WORD_1 src1_sel:DWORD
	s_nop 1
	v_cndmask_b32_e32 v4, v4, v13, vcc
	v_mul_f32_e32 v5, 0x4f800000, v4
	v_cmp_gt_f32_e64 s[4:5], s10, v4
	s_and_b64 vcc, exec, s[2:3]
	s_nop 0
	v_cndmask_b32_e64 v4, v4, v5, s[4:5]
	v_sqrt_f32_e32 v5, v4
	s_nop 0
	v_add_u32_e32 v11, -1, v5
	v_add_u32_e32 v13, 1, v5
	v_fma_f32 v14, -v11, v5, v4
	v_fma_f32 v15, -v13, v5, v4
	v_cmp_ge_f32_e64 s[6:7], 0, v14
	s_nop 1
	v_cndmask_b32_e64 v5, v5, v11, s[6:7]
	v_cmp_lt_f32_e64 s[6:7], 0, v15
	s_nop 1
	v_cndmask_b32_e64 v5, v5, v13, s[6:7]
	v_mul_f32_e32 v11, 0x37800000, v5
	v_cndmask_b32_e64 v5, v5, v11, s[4:5]
	v_cmp_class_f32_e64 s[4:5], v4, v3
	s_nop 1
	v_cndmask_b32_e64 v3, v5, v4, s[4:5]
	s_cbranch_vccnz .LBB209_12
; %bb.11:
	global_load_dword v4, v10, s[22:23] offset:12
	s_waitcnt vmcnt(0)
	v_add_f32_e32 v3, v3, v4
.LBB209_12:
	v_cvt_f32_f16_e32 v4, v6
	v_mov_b32_e32 v11, 0x4f800000
	s_mov_b32 s7, 0x3f317217
	s_movk_i32 s6, 0x4d00
	v_mul_f32_e32 v5, 0x3fb8aa3b, v4
	v_exp_f32_e32 v5, v5
	s_nop 0
	v_add_f32_e32 v5, 1.0, v5
	v_cmp_gt_f32_e32 vcc, s8, v5
	s_nop 1
	v_cndmask_b32_e32 v13, 1.0, v11, vcc
	v_mul_f32_e32 v5, v5, v13
	v_log_f32_e32 v5, v5
	v_mov_b32_e32 v13, 0x41b17218
	v_cndmask_b32_e32 v14, 0, v13, vcc
	v_mul_f32_e32 v15, 0x3f317217, v5
	v_fma_f32 v15, v5, s7, -v15
	v_fmac_f32_e32 v15, 0x3377d1cf, v5
	v_fmac_f32_e32 v15, 0x3f317217, v5
	v_cmp_lt_f32_e64 vcc, |v5|, s9
	s_nop 1
	v_cndmask_b32_e32 v5, v5, v15, vcc
	v_sub_f32_e32 v5, v5, v14
	v_cmp_lt_f16_e32 vcc, s6, v6
	s_nop 1
	v_cndmask_b32_e32 v4, v5, v4, vcc
	v_mul_f32_e32 v5, 0x4f800000, v4
	v_cmp_gt_f32_e32 vcc, s10, v4
	s_nop 1
	v_cndmask_b32_e32 v4, v4, v5, vcc
	v_sqrt_f32_e32 v5, v4
	s_nop 0
	v_add_u32_e32 v14, -1, v5
	v_fma_f32 v15, -v14, v5, v4
	v_cmp_ge_f32_e64 s[4:5], 0, v15
	v_add_u32_e32 v15, 1, v5
	s_nop 0
	v_cndmask_b32_e64 v14, v5, v14, s[4:5]
	v_fma_f32 v5, -v15, v5, v4
	v_cmp_lt_f32_e64 s[4:5], 0, v5
	s_nop 1
	v_cndmask_b32_e64 v5, v14, v15, s[4:5]
	v_mul_f32_e32 v14, 0x37800000, v5
	v_cndmask_b32_e32 v14, v5, v14, vcc
	v_mov_b32_e32 v5, 0x260
	v_cmp_class_f32_e64 s[4:5], v4, v5
	s_and_b64 vcc, exec, s[2:3]
	s_nop 0
	v_cndmask_b32_e64 v4, v14, v4, s[4:5]
	s_cbranch_vccnz .LBB209_14
; %bb.13:
	global_load_dword v14, v10, s[22:23] offset:16
	s_waitcnt vmcnt(0)
	v_add_f32_e32 v4, v4, v14
.LBB209_14:
	v_cvt_f32_f16_sdwa v14, v6 dst_sel:DWORD dst_unused:UNUSED_PAD src0_sel:WORD_1
	v_mul_f32_e32 v15, 0x3fb8aa3b, v14
	v_exp_f32_e32 v15, v15
	s_nop 0
	v_add_f32_e32 v15, 1.0, v15
	v_cmp_gt_f32_e32 vcc, s8, v15
	s_nop 1
	v_cndmask_b32_e32 v11, 1.0, v11, vcc
	v_mul_f32_e32 v11, v15, v11
	v_log_f32_e32 v11, v11
	v_cndmask_b32_e32 v13, 0, v13, vcc
	v_mul_f32_e32 v15, 0x3f317217, v11
	v_fma_f32 v15, v11, s7, -v15
	v_fmac_f32_e32 v15, 0x3377d1cf, v11
	v_fmac_f32_e32 v15, 0x3f317217, v11
	v_cmp_lt_f32_e64 vcc, |v11|, s9
	s_nop 1
	v_cndmask_b32_e32 v11, v11, v15, vcc
	v_sub_f32_e32 v11, v11, v13
	v_cmp_gt_f16_sdwa vcc, v6, s6 src0_sel:WORD_1 src1_sel:DWORD
	s_nop 1
	v_cndmask_b32_e32 v6, v11, v14, vcc
	v_mul_f32_e32 v11, 0x4f800000, v6
	v_cmp_gt_f32_e64 s[4:5], s10, v6
	s_and_b64 vcc, exec, s[2:3]
	s_nop 0
	v_cndmask_b32_e64 v6, v6, v11, s[4:5]
	v_sqrt_f32_e32 v11, v6
	s_nop 0
	v_add_u32_e32 v13, -1, v11
	v_add_u32_e32 v14, 1, v11
	v_fma_f32 v15, -v13, v11, v6
	v_fma_f32 v16, -v14, v11, v6
	v_cmp_ge_f32_e64 s[6:7], 0, v15
	s_nop 1
	v_cndmask_b32_e64 v11, v11, v13, s[6:7]
	v_cmp_lt_f32_e64 s[6:7], 0, v16
	s_nop 1
	v_cndmask_b32_e64 v11, v11, v14, s[6:7]
	v_mul_f32_e32 v13, 0x37800000, v11
	v_cndmask_b32_e64 v11, v11, v13, s[4:5]
	v_cmp_class_f32_e64 s[4:5], v6, v5
	s_nop 1
	v_cndmask_b32_e64 v5, v11, v6, s[4:5]
	s_cbranch_vccnz .LBB209_16
; %bb.15:
	global_load_dword v6, v10, s[22:23] offset:20
	s_waitcnt vmcnt(0)
	v_add_f32_e32 v5, v5, v6
.LBB209_16:
	v_cvt_f32_f16_e32 v6, v7
	v_mov_b32_e32 v13, 0x4f800000
	s_mov_b32 s7, 0x3f317217
	s_movk_i32 s6, 0x4d00
	v_mul_f32_e32 v11, 0x3fb8aa3b, v6
	v_exp_f32_e32 v11, v11
	s_nop 0
	v_add_f32_e32 v11, 1.0, v11
	v_cmp_gt_f32_e32 vcc, s8, v11
	s_nop 1
	v_cndmask_b32_e32 v14, 1.0, v13, vcc
	v_mul_f32_e32 v11, v11, v14
	v_log_f32_e32 v11, v11
	v_mov_b32_e32 v14, 0x41b17218
	v_cndmask_b32_e32 v15, 0, v14, vcc
	v_mul_f32_e32 v16, 0x3f317217, v11
	v_fma_f32 v16, v11, s7, -v16
	v_fmac_f32_e32 v16, 0x3377d1cf, v11
	v_fmac_f32_e32 v16, 0x3f317217, v11
	v_cmp_lt_f32_e64 vcc, |v11|, s9
	s_nop 1
	v_cndmask_b32_e32 v11, v11, v16, vcc
	v_sub_f32_e32 v11, v11, v15
	v_cmp_lt_f16_e32 vcc, s6, v7
	s_nop 1
	v_cndmask_b32_e32 v6, v11, v6, vcc
	v_mul_f32_e32 v11, 0x4f800000, v6
	v_cmp_gt_f32_e32 vcc, s10, v6
	s_nop 1
	v_cndmask_b32_e32 v6, v6, v11, vcc
	v_sqrt_f32_e32 v11, v6
	s_nop 0
	v_add_u32_e32 v15, -1, v11
	v_fma_f32 v16, -v15, v11, v6
	v_cmp_ge_f32_e64 s[4:5], 0, v16
	v_add_u32_e32 v16, 1, v11
	s_nop 0
	v_cndmask_b32_e64 v15, v11, v15, s[4:5]
	v_fma_f32 v11, -v16, v11, v6
	v_cmp_lt_f32_e64 s[4:5], 0, v11
	s_nop 1
	v_cndmask_b32_e64 v11, v15, v16, s[4:5]
	v_mul_f32_e32 v15, 0x37800000, v11
	v_cndmask_b32_e32 v15, v11, v15, vcc
	v_mov_b32_e32 v11, 0x260
	v_cmp_class_f32_e64 s[4:5], v6, v11
	s_and_b64 vcc, exec, s[2:3]
	s_nop 0
	v_cndmask_b32_e64 v6, v15, v6, s[4:5]
	s_cbranch_vccnz .LBB209_18
; %bb.17:
	global_load_dword v15, v10, s[22:23] offset:24
	s_waitcnt vmcnt(0)
	v_add_f32_e32 v6, v6, v15
.LBB209_18:
	v_cvt_f32_f16_sdwa v15, v7 dst_sel:DWORD dst_unused:UNUSED_PAD src0_sel:WORD_1
	v_mul_f32_e32 v16, 0x3fb8aa3b, v15
	v_exp_f32_e32 v16, v16
	s_nop 0
	v_add_f32_e32 v16, 1.0, v16
	v_cmp_gt_f32_e32 vcc, s8, v16
	s_nop 1
	v_cndmask_b32_e32 v13, 1.0, v13, vcc
	v_mul_f32_e32 v13, v16, v13
	v_log_f32_e32 v13, v13
	v_cndmask_b32_e32 v14, 0, v14, vcc
	v_mul_f32_e32 v16, 0x3f317217, v13
	v_fma_f32 v16, v13, s7, -v16
	v_fmac_f32_e32 v16, 0x3377d1cf, v13
	v_fmac_f32_e32 v16, 0x3f317217, v13
	v_cmp_lt_f32_e64 vcc, |v13|, s9
	s_nop 1
	v_cndmask_b32_e32 v13, v13, v16, vcc
	v_sub_f32_e32 v13, v13, v14
	v_cmp_gt_f16_sdwa vcc, v7, s6 src0_sel:WORD_1 src1_sel:DWORD
	s_nop 1
	v_cndmask_b32_e32 v7, v13, v15, vcc
	v_mul_f32_e32 v13, 0x4f800000, v7
	v_cmp_gt_f32_e64 s[4:5], s10, v7
	s_and_b64 vcc, exec, s[2:3]
	s_nop 0
	v_cndmask_b32_e64 v7, v7, v13, s[4:5]
	v_sqrt_f32_e32 v13, v7
	s_nop 0
	v_add_u32_e32 v14, -1, v13
	v_add_u32_e32 v15, 1, v13
	v_fma_f32 v16, -v14, v13, v7
	v_fma_f32 v17, -v15, v13, v7
	v_cmp_ge_f32_e64 s[6:7], 0, v16
	s_nop 1
	v_cndmask_b32_e64 v13, v13, v14, s[6:7]
	v_cmp_lt_f32_e64 s[6:7], 0, v17
	s_nop 1
	v_cndmask_b32_e64 v13, v13, v15, s[6:7]
	v_mul_f32_e32 v14, 0x37800000, v13
	v_cndmask_b32_e64 v13, v13, v14, s[4:5]
	v_cmp_class_f32_e64 s[4:5], v7, v11
	s_nop 1
	v_cndmask_b32_e64 v7, v13, v7, s[4:5]
	s_cbranch_vccnz .LBB209_20
; %bb.19:
	global_load_dword v10, v10, s[22:23] offset:28
	s_waitcnt vmcnt(0)
	v_add_f32_e32 v7, v7, v10
.LBB209_20:
	s_load_dwordx4 s[24:27], s[0:1], 0x30
	s_mov_b32 s42, 0
	v_cmp_eq_u32_e64 s[6:7], 0, v9
	s_waitcnt lgkmcnt(0)
	s_bitcmp1_b32 s27, 0
	s_cselect_b64 s[4:5], -1, 0
	s_cmp_gt_i32 s24, 0
	s_cselect_b64 s[38:39], -1, 0
	s_and_b64 vcc, exec, s[38:39]
	s_cbranch_vccz .LBB209_47
; %bb.21:
	v_mbcnt_lo_u32_b32 v10, -1, 0
	v_mbcnt_hi_u32_b32 v10, -1, v10
	v_and_b32_e32 v11, 0x70, v10
	v_add_u32_e32 v11, 16, v11
	v_xor_b32_e32 v13, 8, v10
	v_cmp_lt_i32_e32 vcc, v13, v11
	s_load_dwordx4 s[28:31], s[0:1], 0x20
	v_mul_lo_u32 v14, v8, s24
	v_cndmask_b32_e32 v13, v10, v13, vcc
	v_lshlrev_b32_e32 v15, 2, v13
	v_xor_b32_e32 v13, 4, v10
	v_cmp_lt_i32_e32 vcc, v13, v11
	v_mov_b32_e32 v19, 0x80
	v_mov_b32_e32 v20, 0xc61c4000
	v_cndmask_b32_e32 v13, v10, v13, vcc
	v_lshlrev_b32_e32 v16, 2, v13
	v_xor_b32_e32 v13, 2, v10
	v_cmp_lt_i32_e32 vcc, v13, v11
	v_mov_b32_e32 v21, v8
	s_nop 0
	v_cndmask_b32_e32 v13, v10, v13, vcc
	v_lshlrev_b32_e32 v17, 2, v13
	v_xor_b32_e32 v13, 1, v10
	v_cmp_lt_i32_e32 vcc, v13, v11
	s_nop 1
	v_cndmask_b32_e32 v10, v10, v13, vcc
	v_lshlrev_b32_e32 v18, 2, v10
	v_mov_b32_e32 v13, 0
	s_branch .LBB209_24
.LBB209_22:                             ;   in Loop: Header=BB209_24 Depth=1
	s_or_b64 exec, exec, s[40:41]
.LBB209_23:                             ;   in Loop: Header=BB209_24 Depth=1
	s_cmp_eq_u32 s24, s42
	v_add_u32_e32 v21, s33, v21
	s_cbranch_scc1 .LBB209_48
.LBB209_24:                             ; =>This Inner Loop Header: Depth=1
	v_cmp_gt_f32_e32 vcc, v1, v0
	s_nop 1
	v_cndmask_b32_e32 v11, v0, v1, vcc
	v_cndmask_b32_e64 v10, 0, 1, vcc
	v_cmp_gt_f32_e32 vcc, v2, v11
	s_nop 1
	v_cndmask_b32_e32 v11, v11, v2, vcc
	v_cndmask_b32_e64 v10, v10, 2, vcc
	;; [unrolled: 4-line block ×6, first 2 shown]
	v_cmp_gt_f32_e32 vcc, v7, v11
	s_nop 1
	v_cndmask_b32_e64 v10, v10, 7, vcc
	v_cndmask_b32_e32 v22, v11, v7, vcc
	ds_bpermute_b32 v11, v15, v22
	v_or_b32_e32 v10, v12, v10
	s_waitcnt lgkmcnt(0)
	ds_bpermute_b32 v23, v15, v10
	s_waitcnt lgkmcnt(0)
	v_cmp_lt_f32_e64 s[8:9], v22, v11
	v_cmp_nlt_f32_e32 vcc, v22, v11
	s_and_saveexec_b64 s[10:11], vcc
; %bb.25:                               ;   in Loop: Header=BB209_24 Depth=1
	v_cmp_eq_f32_e32 vcc, v22, v11
	v_cmp_lt_i32_e64 s[0:1], v23, v10
	s_and_b64 s[0:1], vcc, s[0:1]
	s_andn2_b64 s[8:9], s[8:9], exec
	s_and_b64 s[0:1], s[0:1], exec
	s_or_b64 s[8:9], s[8:9], s[0:1]
; %bb.26:                               ;   in Loop: Header=BB209_24 Depth=1
	s_or_b64 exec, exec, s[10:11]
	s_and_saveexec_b64 s[0:1], s[8:9]
; %bb.27:                               ;   in Loop: Header=BB209_24 Depth=1
	v_mov_b32_e32 v22, v11
	v_mov_b32_e32 v10, v23
; %bb.28:                               ;   in Loop: Header=BB209_24 Depth=1
	s_or_b64 exec, exec, s[0:1]
	ds_bpermute_b32 v11, v16, v22
	ds_bpermute_b32 v23, v16, v10
	s_waitcnt lgkmcnt(1)
	v_cmp_lt_f32_e64 s[8:9], v22, v11
	v_cmp_nlt_f32_e32 vcc, v22, v11
	s_and_saveexec_b64 s[10:11], vcc
	s_cbranch_execz .LBB209_30
; %bb.29:                               ;   in Loop: Header=BB209_24 Depth=1
	v_cmp_eq_f32_e32 vcc, v22, v11
	s_waitcnt lgkmcnt(0)
	v_cmp_lt_i32_e64 s[0:1], v23, v10
	s_and_b64 s[0:1], vcc, s[0:1]
	s_andn2_b64 s[8:9], s[8:9], exec
	s_and_b64 s[0:1], s[0:1], exec
	s_or_b64 s[8:9], s[8:9], s[0:1]
.LBB209_30:                             ;   in Loop: Header=BB209_24 Depth=1
	s_or_b64 exec, exec, s[10:11]
	s_and_saveexec_b64 s[0:1], s[8:9]
	s_cbranch_execz .LBB209_32
; %bb.31:                               ;   in Loop: Header=BB209_24 Depth=1
	v_mov_b32_e32 v22, v11
	s_waitcnt lgkmcnt(0)
	v_mov_b32_e32 v10, v23
.LBB209_32:                             ;   in Loop: Header=BB209_24 Depth=1
	s_or_b64 exec, exec, s[0:1]
	ds_bpermute_b32 v11, v17, v22
	s_waitcnt lgkmcnt(1)
	ds_bpermute_b32 v23, v17, v10
	s_waitcnt lgkmcnt(1)
	v_cmp_lt_f32_e64 s[8:9], v22, v11
	v_cmp_nlt_f32_e32 vcc, v22, v11
	s_and_saveexec_b64 s[10:11], vcc
	s_cbranch_execz .LBB209_34
; %bb.33:                               ;   in Loop: Header=BB209_24 Depth=1
	v_cmp_eq_f32_e32 vcc, v22, v11
	s_waitcnt lgkmcnt(0)
	v_cmp_lt_i32_e64 s[0:1], v23, v10
	s_and_b64 s[0:1], vcc, s[0:1]
	s_andn2_b64 s[8:9], s[8:9], exec
	s_and_b64 s[0:1], s[0:1], exec
	s_or_b64 s[8:9], s[8:9], s[0:1]
.LBB209_34:                             ;   in Loop: Header=BB209_24 Depth=1
	s_or_b64 exec, exec, s[10:11]
	s_and_saveexec_b64 s[0:1], s[8:9]
	s_cbranch_execz .LBB209_36
; %bb.35:                               ;   in Loop: Header=BB209_24 Depth=1
	v_mov_b32_e32 v22, v11
	s_waitcnt lgkmcnt(0)
	v_mov_b32_e32 v10, v23
.LBB209_36:                             ;   in Loop: Header=BB209_24 Depth=1
	s_or_b64 exec, exec, s[0:1]
	ds_bpermute_b32 v11, v18, v22
	s_waitcnt lgkmcnt(1)
	ds_bpermute_b32 v23, v18, v10
	s_waitcnt lgkmcnt(1)
	v_cmp_lt_f32_e64 s[8:9], v22, v11
	v_cmp_nlt_f32_e32 vcc, v22, v11
	s_and_saveexec_b64 s[10:11], vcc
	s_cbranch_execnz .LBB209_40
; %bb.37:                               ;   in Loop: Header=BB209_24 Depth=1
	s_or_b64 exec, exec, s[10:11]
	s_and_saveexec_b64 s[0:1], s[8:9]
	s_cbranch_execnz .LBB209_41
.LBB209_38:                             ;   in Loop: Header=BB209_24 Depth=1
	s_or_b64 exec, exec, s[0:1]
	s_and_saveexec_b64 s[8:9], s[6:7]
	s_cbranch_execnz .LBB209_42
.LBB209_39:                             ;   in Loop: Header=BB209_24 Depth=1
	s_or_b64 exec, exec, s[8:9]
	s_add_i32 s42, s42, 1
	s_cmp_ge_i32 s42, s24
	s_cbranch_scc1 .LBB209_23
	s_branch .LBB209_45
.LBB209_40:                             ;   in Loop: Header=BB209_24 Depth=1
	v_cmp_eq_f32_e32 vcc, v22, v11
	s_waitcnt lgkmcnt(0)
	v_cmp_lt_i32_e64 s[0:1], v23, v10
	s_and_b64 s[0:1], vcc, s[0:1]
	s_andn2_b64 s[8:9], s[8:9], exec
	s_and_b64 s[0:1], s[0:1], exec
	s_or_b64 s[8:9], s[8:9], s[0:1]
	s_or_b64 exec, exec, s[10:11]
	s_and_saveexec_b64 s[0:1], s[8:9]
	s_cbranch_execz .LBB209_38
.LBB209_41:                             ;   in Loop: Header=BB209_24 Depth=1
	s_waitcnt lgkmcnt(0)
	v_mov_b32_e32 v10, v23
	v_mov_b32_e32 v22, v11
	s_or_b64 exec, exec, s[0:1]
	s_and_saveexec_b64 s[8:9], s[6:7]
	s_cbranch_execz .LBB209_39
.LBB209_42:                             ;   in Loop: Header=BB209_24 Depth=1
	s_and_b64 vcc, exec, s[2:3]
	s_cbranch_vccnz .LBB209_44
; %bb.43:                               ;   in Loop: Header=BB209_24 Depth=1
	v_ashrrev_i32_e32 v11, 31, v10
	v_lshl_add_u64 v[24:25], v[10:11], 2, s[22:23]
	global_load_dword v11, v[24:25], off
	s_waitcnt vmcnt(0)
	v_sub_f32_e32 v22, v22, v11
.LBB209_44:                             ;   in Loop: Header=BB209_24 Depth=1
	v_add_u32_e32 v24, s42, v14
	v_cmp_le_i32_e32 vcc, s25, v10
	v_cmp_gt_i32_e64 s[0:1], s26, v10
	v_ashrrev_i32_e32 v25, 31, v24
	s_and_b64 s[0:1], vcc, s[0:1]
	v_lshlrev_b64 v[24:25], 2, v[24:25]
	v_lshl_add_u64 v[26:27], s[34:35], 0, v[24:25]
	v_subrev_u32_e32 v11, s25, v10
	s_and_b64 vcc, s[36:37], s[0:1]
	global_store_dword v[26:27], v22, off
	v_cndmask_b32_e32 v11, v19, v11, vcc
	v_lshl_add_u64 v[26:27], s[28:29], 0, v[24:25]
	global_store_dword v[26:27], v11, off
	v_add_f32_e32 v11, v13, v22
	v_lshl_add_u64 v[24:25], s[30:31], 0, v[24:25]
	v_cndmask_b32_e64 v13, v13, v11, s[4:5]
	global_store_dword v[24:25], v21, off
	s_or_b64 exec, exec, s[8:9]
	s_add_i32 s42, s42, 1
	s_cmp_ge_i32 s42, s24
	s_cbranch_scc1 .LBB209_23
.LBB209_45:                             ;   in Loop: Header=BB209_24 Depth=1
	v_ashrrev_i32_e32 v22, 31, v10
	v_lshrrev_b32_e32 v11, 29, v22
	v_add_u32_e32 v11, v10, v11
	v_ashrrev_i32_e32 v11, 3, v11
	s_waitcnt lgkmcnt(0)
	v_lshrrev_b32_e32 v23, 28, v11
	v_add_u32_e32 v23, v11, v23
	v_and_b32_e32 v23, -16, v23
	v_sub_u32_e32 v23, v11, v23
	v_cmp_eq_u32_e32 vcc, v9, v23
	s_and_saveexec_b64 s[40:41], vcc
	s_cbranch_execz .LBB209_22
; %bb.46:                               ;   in Loop: Header=BB209_24 Depth=1
	v_lshrrev_b32_e32 v22, 25, v22
	v_add_u32_e32 v22, v10, v22
	v_lshlrev_b32_e32 v11, 3, v11
	v_sub_u32_e32 v10, v10, v11
	v_ashrrev_i32_e32 v11, 7, v22
	v_lshl_add_u32 v10, v11, 3, v10
	v_cmp_ne_u32_e32 vcc, 6, v10
	v_cmp_ne_u32_e64 s[0:1], 5, v10
	v_cmp_ne_u32_e64 s[8:9], 4, v10
	;; [unrolled: 1-line block ×7, first 2 shown]
	v_cndmask_b32_e32 v6, v20, v6, vcc
	v_cndmask_b32_e64 v5, v20, v5, s[0:1]
	v_cndmask_b32_e64 v7, v20, v7, s[18:19]
	;; [unrolled: 1-line block ×7, first 2 shown]
	s_branch .LBB209_22
.LBB209_47:
	v_mov_b32_e32 v13, 0
.LBB209_48:
	v_cmp_eq_u32_e32 vcc, 0, v9
	s_and_b64 exec, exec, vcc
	s_cbranch_execz .LBB209_61
; %bb.49:
	s_andn2_b64 vcc, exec, s[4:5]
	v_cvt_f32_f64_e32 v0, s[20:21]
	s_cbranch_vccnz .LBB209_51
; %bb.50:
	v_cmp_lt_f32_e32 vcc, 0, v13
	s_nop 1
	v_cndmask_b32_e32 v1, 1.0, v13, vcc
	v_div_scale_f32 v2, s[0:1], v1, v1, v0
	v_rcp_f32_e32 v3, v2
	s_nop 0
	v_fma_f32 v4, -v2, v3, 1.0
	v_fmac_f32_e32 v3, v4, v3
	v_div_scale_f32 v4, vcc, v0, v1, v0
	v_mul_f32_e32 v5, v4, v3
	v_fma_f32 v6, -v2, v5, v4
	v_fmac_f32_e32 v5, v6, v3
	v_fma_f32 v2, -v2, v5, v4
	v_div_fmas_f32 v2, v2, v3, v5
	v_div_fixup_f32 v0, v2, v1, v0
.LBB209_51:
	s_andn2_b64 vcc, exec, s[38:39]
	s_cbranch_vccnz .LBB209_61
; %bb.52:
	v_mul_lo_u32 v2, v8, s24
	s_cmp_gt_u32 s24, 3
	v_ashrrev_i32_e32 v3, 31, v2
	s_cbranch_scc0 .LBB209_56
; %bb.53:
	s_and_b32 s0, s24, 0x7ffffffc
	v_lshl_add_u64 v[4:5], v[2:3], 2, s[34:35]
	v_mov_b32_e32 v1, v0
	v_lshl_add_u64 v[4:5], v[4:5], 0, 8
	s_mov_b32 s1, s0
.LBB209_54:                             ; =>This Inner Loop Header: Depth=1
	global_load_dwordx4 v[6:9], v[4:5], off offset:-8
	s_add_i32 s1, s1, -4
	s_cmp_lg_u32 s1, 0
	s_waitcnt vmcnt(0)
	v_pk_mul_f32 v[6:7], v[0:1], v[6:7]
	v_pk_mul_f32 v[8:9], v[0:1], v[8:9]
	global_store_dwordx4 v[4:5], v[6:9], off offset:-8
	v_lshl_add_u64 v[4:5], v[4:5], 0, 16
	s_cbranch_scc1 .LBB209_54
; %bb.55:
	s_cmp_lg_u32 s0, s24
	s_cselect_b64 s[2:3], -1, 0
	s_branch .LBB209_58
.LBB209_56:
	s_mov_b64 s[2:3], 0
                                        ; implicit-def: $sgpr0
	s_cbranch_execz .LBB209_58
; %bb.57:
	s_mov_b64 s[2:3], -1
	s_mov_b32 s0, 0
.LBB209_58:
	s_andn2_b64 vcc, exec, s[2:3]
	s_cbranch_vccnz .LBB209_61
; %bb.59:
	s_mov_b32 s1, 0
	v_lshl_add_u64 v[2:3], v[2:3], 0, s[0:1]
	s_sub_i32 s2, s24, s0
	v_lshl_add_u64 v[2:3], v[2:3], 2, s[34:35]
.LBB209_60:                             ; =>This Inner Loop Header: Depth=1
	global_load_dword v1, v[2:3], off
	s_add_i32 s2, s2, -1
	s_cmp_lg_u32 s2, 0
	s_waitcnt vmcnt(0)
	v_mul_f32_e32 v1, v0, v1
	global_store_dword v[2:3], v1, off
	v_lshl_add_u64 v[2:3], v[2:3], 0, 4
	s_cbranch_scc1 .LBB209_60
.LBB209_61:
	s_endpgm
	.section	.rodata,"a",@progbits
	.p2align	6, 0x0
	.amdhsa_kernel _ZN4vllm3moe22topkGatingSoftplusSqrtILi8ELi128ELi4ELi16ELi64ELb0Ei6__halfEEvPKT6_PKbPfiPT5_PiiiibdPKfPKS9_SF_
		.amdhsa_group_segment_fixed_size 0
		.amdhsa_private_segment_fixed_size 0
		.amdhsa_kernarg_size 96
		.amdhsa_user_sgpr_count 2
		.amdhsa_user_sgpr_dispatch_ptr 0
		.amdhsa_user_sgpr_queue_ptr 0
		.amdhsa_user_sgpr_kernarg_segment_ptr 1
		.amdhsa_user_sgpr_dispatch_id 0
		.amdhsa_user_sgpr_kernarg_preload_length 0
		.amdhsa_user_sgpr_kernarg_preload_offset 0
		.amdhsa_user_sgpr_private_segment_size 0
		.amdhsa_uses_dynamic_stack 0
		.amdhsa_enable_private_segment 0
		.amdhsa_system_sgpr_workgroup_id_x 1
		.amdhsa_system_sgpr_workgroup_id_y 0
		.amdhsa_system_sgpr_workgroup_id_z 0
		.amdhsa_system_sgpr_workgroup_info 0
		.amdhsa_system_vgpr_workitem_id 1
		.amdhsa_next_free_vgpr 28
		.amdhsa_next_free_sgpr 43
		.amdhsa_accum_offset 28
		.amdhsa_reserve_vcc 1
		.amdhsa_float_round_mode_32 0
		.amdhsa_float_round_mode_16_64 0
		.amdhsa_float_denorm_mode_32 3
		.amdhsa_float_denorm_mode_16_64 3
		.amdhsa_dx10_clamp 1
		.amdhsa_ieee_mode 1
		.amdhsa_fp16_overflow 0
		.amdhsa_tg_split 0
		.amdhsa_exception_fp_ieee_invalid_op 0
		.amdhsa_exception_fp_denorm_src 0
		.amdhsa_exception_fp_ieee_div_zero 0
		.amdhsa_exception_fp_ieee_overflow 0
		.amdhsa_exception_fp_ieee_underflow 0
		.amdhsa_exception_fp_ieee_inexact 0
		.amdhsa_exception_int_div_zero 0
	.end_amdhsa_kernel
	.section	.text._ZN4vllm3moe22topkGatingSoftplusSqrtILi8ELi128ELi4ELi16ELi64ELb0Ei6__halfEEvPKT6_PKbPfiPT5_PiiiibdPKfPKS9_SF_,"axG",@progbits,_ZN4vllm3moe22topkGatingSoftplusSqrtILi8ELi128ELi4ELi16ELi64ELb0Ei6__halfEEvPKT6_PKbPfiPT5_PiiiibdPKfPKS9_SF_,comdat
.Lfunc_end209:
	.size	_ZN4vllm3moe22topkGatingSoftplusSqrtILi8ELi128ELi4ELi16ELi64ELb0Ei6__halfEEvPKT6_PKbPfiPT5_PiiiibdPKfPKS9_SF_, .Lfunc_end209-_ZN4vllm3moe22topkGatingSoftplusSqrtILi8ELi128ELi4ELi16ELi64ELb0Ei6__halfEEvPKT6_PKbPfiPT5_PiiiibdPKfPKS9_SF_
                                        ; -- End function
	.section	.AMDGPU.csdata,"",@progbits
; Kernel info:
; codeLenInByte = 4068
; NumSgprs: 49
; NumVgprs: 28
; NumAgprs: 0
; TotalNumVgprs: 28
; ScratchSize: 0
; MemoryBound: 0
; FloatMode: 240
; IeeeMode: 1
; LDSByteSize: 0 bytes/workgroup (compile time only)
; SGPRBlocks: 6
; VGPRBlocks: 3
; NumSGPRsForWavesPerEU: 49
; NumVGPRsForWavesPerEU: 28
; AccumOffset: 28
; Occupancy: 8
; WaveLimiterHint : 0
; COMPUTE_PGM_RSRC2:SCRATCH_EN: 0
; COMPUTE_PGM_RSRC2:USER_SGPR: 2
; COMPUTE_PGM_RSRC2:TRAP_HANDLER: 0
; COMPUTE_PGM_RSRC2:TGID_X_EN: 1
; COMPUTE_PGM_RSRC2:TGID_Y_EN: 0
; COMPUTE_PGM_RSRC2:TGID_Z_EN: 0
; COMPUTE_PGM_RSRC2:TIDIG_COMP_CNT: 1
; COMPUTE_PGM_RSRC3_GFX90A:ACCUM_OFFSET: 6
; COMPUTE_PGM_RSRC3_GFX90A:TG_SPLIT: 0
	.section	.text._ZN4vllm3moe22topkGatingSoftplusSqrtILi8ELi128ELi4ELi16ELi32ELb1Ei6__halfEEvPKT6_PKbPfiPT5_PiiiibdPKfPKS9_SF_,"axG",@progbits,_ZN4vllm3moe22topkGatingSoftplusSqrtILi8ELi128ELi4ELi16ELi32ELb1Ei6__halfEEvPKT6_PKbPfiPT5_PiiiibdPKfPKS9_SF_,comdat
	.protected	_ZN4vllm3moe22topkGatingSoftplusSqrtILi8ELi128ELi4ELi16ELi32ELb1Ei6__halfEEvPKT6_PKbPfiPT5_PiiiibdPKfPKS9_SF_ ; -- Begin function _ZN4vllm3moe22topkGatingSoftplusSqrtILi8ELi128ELi4ELi16ELi32ELb1Ei6__halfEEvPKT6_PKbPfiPT5_PiiiibdPKfPKS9_SF_
	.globl	_ZN4vllm3moe22topkGatingSoftplusSqrtILi8ELi128ELi4ELi16ELi32ELb1Ei6__halfEEvPKT6_PKbPfiPT5_PiiiibdPKfPKS9_SF_
	.p2align	8
	.type	_ZN4vllm3moe22topkGatingSoftplusSqrtILi8ELi128ELi4ELi16ELi32ELb1Ei6__halfEEvPKT6_PKbPfiPT5_PiiiibdPKfPKS9_SF_,@function
_ZN4vllm3moe22topkGatingSoftplusSqrtILi8ELi128ELi4ELi16ELi32ELb1Ei6__halfEEvPKT6_PKbPfiPT5_PiiiibdPKfPKS9_SF_: ; @_ZN4vllm3moe22topkGatingSoftplusSqrtILi8ELi128ELi4ELi16ELi32ELb1Ei6__halfEEvPKT6_PKbPfiPT5_PiiiibdPKfPKS9_SF_
; %bb.0:
	s_load_dword s3, s[0:1], 0x18
	v_bfe_u32 v1, v0, 10, 10
	v_and_b32_e32 v11, 0x3ff, v0
	s_lshl_b32 s2, s2, 3
	v_lshlrev_b32_e32 v1, 1, v1
	v_lshrrev_b32_e32 v0, 4, v11
	v_add3_u32 v6, s2, v1, v0
	s_waitcnt lgkmcnt(0)
	v_cmp_gt_i32_e32 vcc, s3, v6
	s_and_saveexec_b64 s[2:3], vcc
	s_cbranch_execz .LBB210_31
; %bb.1:
	s_load_dwordx2 s[2:3], s[0:1], 0x0
	s_load_dword s33, s[0:1], 0x30
	v_lshlrev_b32_e32 v0, 7, v6
	v_lshlrev_b32_e32 v2, 3, v11
	v_ashrrev_i32_e32 v1, 31, v0
	v_and_b32_e32 v10, 0x78, v2
	s_waitcnt lgkmcnt(0)
	v_lshl_add_u64 v[0:1], v[0:1], 1, s[2:3]
	v_lshlrev_b32_e32 v4, 1, v10
	v_mov_b32_e32 v5, 0
	v_lshl_add_u64 v[0:1], v[0:1], 0, v[4:5]
	global_load_dwordx4 v[0:3], v[0:1], off
	s_load_dwordx4 s[8:11], s[0:1], 0x50
	v_ashrrev_i32_e32 v7, 31, v6
	s_mov_b32 s15, 0x800000
	s_mov_b32 s13, 0x3f317217
	;; [unrolled: 1-line block ×3, first 2 shown]
	s_waitcnt lgkmcnt(0)
	v_mov_b32_e32 v8, s8
	v_mov_b32_e32 v9, s9
	v_lshl_add_u64 v[8:9], v[6:7], 2, v[8:9]
	global_load_dword v4, v[8:9], off
	v_mov_b32_e32 v7, 0x4f800000
	v_mov_b32_e32 v16, 0x41b17218
	s_movk_i32 s9, 0x4d00
	s_mov_b32 s12, 0xf800000
	v_mov_b32_e32 v17, 0x260
	s_cmp_gt_i32 s33, 0
	s_mov_b32 s8, 0
	s_waitcnt vmcnt(1)
	v_cvt_f32_f16_e32 v18, v0
	v_cvt_f32_f16_sdwa v19, v0 dst_sel:DWORD dst_unused:UNUSED_PAD src0_sel:WORD_1
	v_cvt_f32_f16_e32 v20, v1
	v_cvt_f32_f16_sdwa v21, v1 dst_sel:DWORD dst_unused:UNUSED_PAD src0_sel:WORD_1
	v_mul_f32_e32 v8, 0x3fb8aa3b, v18
	v_mul_f32_e32 v9, 0x3fb8aa3b, v19
	v_exp_f32_e32 v12, v8
	v_exp_f32_e32 v13, v9
	v_mul_f32_e32 v14, 0x3fb8aa3b, v20
	v_mul_f32_e32 v15, 0x3fb8aa3b, v21
	v_exp_f32_e32 v14, v14
	v_exp_f32_e32 v15, v15
	v_pk_add_f32 v[12:13], v[12:13], 1.0 op_sel_hi:[1,0]
	s_waitcnt vmcnt(0)
	v_mul_lo_u32 v8, v4, s33
	v_cmp_gt_f32_e32 vcc, s15, v13
	v_pk_add_f32 v[14:15], v[14:15], 1.0 op_sel_hi:[1,0]
	v_cmp_gt_f32_e64 s[2:3], s15, v12
	v_cndmask_b32_e32 v4, 1.0, v7, vcc
	v_cmp_gt_f32_e64 s[4:5], s15, v15
	v_cndmask_b32_e64 v22, 1.0, v7, s[2:3]
	v_mul_f32_e32 v4, v13, v4
	v_cndmask_b32_e64 v23, 1.0, v7, s[4:5]
	v_mul_f32_e32 v12, v12, v22
	v_log_f32_e32 v4, v4
	v_mul_f32_e32 v15, v15, v23
	v_log_f32_e32 v12, v12
	v_cmp_gt_f32_e64 s[6:7], s15, v14
	v_log_f32_e32 v15, v15
	v_cndmask_b32_e32 v13, 0, v16, vcc
	v_cndmask_b32_e64 v24, 1.0, v7, s[6:7]
	v_mul_f32_e32 v14, v14, v24
	v_mul_f32_e32 v24, 0x3f317217, v4
	;; [unrolled: 1-line block ×3, first 2 shown]
	v_fma_f32 v24, v4, s13, -v24
	v_mul_f32_e32 v26, 0x3f317217, v15
	v_fma_f32 v25, v12, s13, -v25
	v_fmac_f32_e32 v24, 0x3377d1cf, v4
	v_fma_f32 v26, v15, s13, -v26
	v_fmac_f32_e32 v25, 0x3377d1cf, v12
	v_fmac_f32_e32 v24, 0x3f317217, v4
	v_cmp_lt_f32_e64 vcc, |v4|, s14
	v_fmac_f32_e32 v26, 0x3377d1cf, v15
	v_fmac_f32_e32 v25, 0x3f317217, v12
	v_cndmask_b32_e32 v4, v4, v24, vcc
	v_cmp_lt_f32_e64 vcc, |v12|, s14
	v_cndmask_b32_e64 v22, 0, v16, s[2:3]
	v_fmac_f32_e32 v26, 0x3f317217, v15
	v_cndmask_b32_e32 v12, v12, v25, vcc
	v_cmp_lt_f32_e64 vcc, |v15|, s14
	v_sub_f32_e32 v12, v12, v22
	v_sub_f32_e32 v4, v4, v13
	v_cndmask_b32_e32 v15, v15, v26, vcc
	v_cmp_lt_f16_e32 vcc, s9, v0
	v_cndmask_b32_e64 v23, 0, v16, s[4:5]
	v_log_f32_e32 v14, v14
	v_cndmask_b32_e32 v12, v12, v18, vcc
	v_cmp_gt_f16_sdwa vcc, v0, s9 src0_sel:WORD_1 src1_sel:DWORD
	v_mul_f32_e32 v13, 0x4f800000, v12
	v_cmp_gt_f32_e64 s[2:3], s12, v12
	v_cndmask_b32_e32 v0, v4, v19, vcc
	v_mul_f32_e32 v4, 0x4f800000, v0
	v_cmp_gt_f32_e32 vcc, s12, v0
	v_cndmask_b32_e64 v12, v12, v13, s[2:3]
	v_sqrt_f32_e32 v13, v12
	v_cndmask_b32_e32 v0, v0, v4, vcc
	v_sqrt_f32_e32 v4, v0
	v_sub_f32_e32 v15, v15, v23
	v_add_u32_e32 v22, -1, v13
	v_fma_f32 v26, -v22, v13, v12
	v_add_u32_e32 v18, -1, v4
	v_fma_f32 v24, -v18, v4, v0
	v_add_u32_e32 v19, 1, v4
	v_cmp_ge_f32_e64 s[4:5], 0, v24
	v_add_u32_e32 v23, 1, v13
	v_fma_f32 v25, -v19, v4, v0
	v_cndmask_b32_e64 v4, v4, v18, s[4:5]
	v_cmp_ge_f32_e64 s[4:5], 0, v26
	v_fma_f32 v28, -v23, v13, v12
	v_mul_f32_e32 v27, 0x3f317217, v14
	v_cndmask_b32_e64 v13, v13, v22, s[4:5]
	v_cmp_lt_f32_e64 s[4:5], 0, v25
	v_fma_f32 v27, v14, s13, -v27
	v_fmac_f32_e32 v27, 0x3377d1cf, v14
	v_cndmask_b32_e64 v4, v4, v19, s[4:5]
	v_cmp_lt_f32_e64 s[4:5], 0, v28
	v_mul_f32_e32 v18, 0x37800000, v4
	v_cndmask_b32_e32 v4, v4, v18, vcc
	v_cndmask_b32_e64 v13, v13, v23, s[4:5]
	v_mul_f32_e32 v19, 0x37800000, v13
	v_cmp_class_f32_e32 vcc, v0, v17
	v_cndmask_b32_e64 v18, v13, v19, s[2:3]
	v_fmac_f32_e32 v27, 0x3f317217, v14
	v_cndmask_b32_e32 v13, v4, v0, vcc
	v_cmp_class_f32_e32 vcc, v12, v17
	v_cndmask_b32_e64 v4, 0, v16, s[6:7]
	v_cmp_lt_f16_e64 s[2:3], s9, v1
	v_cndmask_b32_e32 v12, v18, v12, vcc
	v_cmp_lt_f32_e64 vcc, |v14|, s14
	v_cvt_f32_f16_e32 v19, v2
	v_ashrrev_i32_e32 v9, 31, v8
	v_cndmask_b32_e32 v0, v14, v27, vcc
	v_cmp_gt_f16_sdwa vcc, v1, s9 src0_sel:WORD_1 src1_sel:DWORD
	v_sub_f32_e32 v0, v0, v4
	v_cndmask_b32_e64 v0, v0, v20, s[2:3]
	v_cndmask_b32_e32 v14, v15, v21, vcc
	v_mul_f32_e32 v15, 0x4f800000, v14
	v_cmp_gt_f32_e32 vcc, s12, v14
	v_cvt_f32_f16_sdwa v20, v2 dst_sel:DWORD dst_unused:UNUSED_PAD src0_sel:WORD_1
	s_nop 0
	v_cndmask_b32_e32 v14, v14, v15, vcc
	v_sqrt_f32_e32 v15, v14
	s_nop 0
	v_add_u32_e32 v1, -1, v15
	v_fma_f32 v4, -v1, v15, v14
	v_cmp_ge_f32_e64 s[2:3], 0, v4
	v_add_u32_e32 v4, 1, v15
	s_nop 0
	v_cndmask_b32_e64 v1, v15, v1, s[2:3]
	v_fma_f32 v15, -v4, v15, v14
	v_cmp_lt_f32_e64 s[2:3], 0, v15
	v_mul_f32_e32 v15, 0x4f800000, v0
	s_nop 0
	v_cndmask_b32_e64 v1, v1, v4, s[2:3]
	v_cmp_gt_f32_e64 s[2:3], s12, v0
	v_mul_f32_e32 v4, 0x37800000, v1
	v_cndmask_b32_e32 v1, v1, v4, vcc
	v_cndmask_b32_e64 v18, v0, v15, s[2:3]
	v_sqrt_f32_e32 v0, v18
	v_cmp_class_f32_e32 vcc, v14, v17
	s_nop 1
	v_cndmask_b32_e32 v15, v1, v14, vcc
	v_add_u32_e32 v1, -1, v0
	v_fma_f32 v4, -v1, v0, v18
	v_cmp_ge_f32_e32 vcc, 0, v4
	v_add_u32_e32 v14, 1, v0
	v_fma_f32 v21, -v14, v0, v18
	v_cndmask_b32_e32 v4, v0, v1, vcc
	v_mul_f32_e32 v0, 0x3fb8aa3b, v19
	v_mul_f32_e32 v1, 0x3fb8aa3b, v20
	v_exp_f32_e32 v0, v0
	v_exp_f32_e32 v1, v1
	v_cmp_lt_f32_e32 vcc, 0, v21
	v_pk_add_f32 v[0:1], v[0:1], 1.0 op_sel_hi:[1,0]
	s_nop 0
	v_cndmask_b32_e32 v4, v4, v14, vcc
	v_mul_f32_e32 v14, 0x37800000, v4
	v_cmp_gt_f32_e32 vcc, s15, v1
	v_cndmask_b32_e64 v4, v4, v14, s[2:3]
	v_cmp_class_f32_e64 s[2:3], v18, v17
	v_cndmask_b32_e32 v14, 1.0, v7, vcc
	v_mul_f32_e32 v1, v1, v14
	v_log_f32_e32 v1, v1
	v_cndmask_b32_e64 v14, v4, v18, s[2:3]
	v_cmp_gt_f32_e64 s[2:3], s15, v0
	scratch_store_dwordx4 off, v[12:15], off
	v_mul_f32_e32 v4, 0x3f317217, v1
	v_fma_f32 v4, v1, s13, -v4
	v_cndmask_b32_e64 v12, 1.0, v7, s[2:3]
	v_mul_f32_e32 v0, v0, v12
	v_log_f32_e32 v0, v0
	v_fmac_f32_e32 v4, 0x3377d1cf, v1
	v_fmac_f32_e32 v4, 0x3f317217, v1
	v_cmp_lt_f32_e64 s[4:5], |v1|, s14
	v_cvt_f32_f16_sdwa v15, v3 dst_sel:DWORD dst_unused:UNUSED_PAD src0_sel:WORD_1
	v_mul_f32_e32 v13, 0x3fb8aa3b, v15
	v_cndmask_b32_e64 v1, v1, v4, s[4:5]
	v_cndmask_b32_e32 v4, 0, v16, vcc
	v_sub_f32_e32 v1, v1, v4
	v_mul_f32_e32 v4, 0x3f317217, v0
	v_fma_f32 v4, v0, s13, -v4
	v_fmac_f32_e32 v4, 0x3377d1cf, v0
	v_fmac_f32_e32 v4, 0x3f317217, v0
	v_cmp_lt_f32_e64 vcc, |v0|, s14
	v_exp_f32_e32 v13, v13
	s_nop 0
	v_cndmask_b32_e32 v0, v0, v4, vcc
	v_cmp_gt_f16_sdwa vcc, v2, s9 src0_sel:WORD_1 src1_sel:DWORD
	v_cndmask_b32_e64 v4, 0, v16, s[2:3]
	v_cmp_lt_f16_e64 s[2:3], s9, v2
	v_cndmask_b32_e32 v1, v1, v20, vcc
	v_mul_f32_e32 v12, 0x4f800000, v1
	v_cmp_gt_f32_e32 vcc, s12, v1
	v_sub_f32_e32 v0, v0, v4
	v_cndmask_b32_e64 v0, v0, v19, s[2:3]
	v_cndmask_b32_e32 v1, v1, v12, vcc
	v_sqrt_f32_e32 v12, v1
	s_nop 0
	v_add_u32_e32 v2, -1, v12
	v_fma_f32 v4, -v2, v12, v1
	v_cmp_ge_f32_e64 s[2:3], 0, v4
	v_add_u32_e32 v4, 1, v12
	s_nop 0
	v_cndmask_b32_e64 v2, v12, v2, s[2:3]
	v_fma_f32 v12, -v4, v12, v1
	v_cmp_lt_f32_e64 s[2:3], 0, v12
	v_mul_f32_e32 v12, 0x4f800000, v0
	s_nop 0
	v_cndmask_b32_e64 v2, v2, v4, s[2:3]
	v_cmp_gt_f32_e64 s[2:3], s12, v0
	v_mul_f32_e32 v4, 0x37800000, v2
	v_cndmask_b32_e32 v2, v2, v4, vcc
	v_cndmask_b32_e64 v0, v0, v12, s[2:3]
	v_sqrt_f32_e32 v12, v0
	v_cmp_class_f32_e32 vcc, v1, v17
	v_add_u32_e32 v14, 1, v12
	s_nop 0
	v_cndmask_b32_e32 v1, v2, v1, vcc
	v_add_u32_e32 v2, -1, v12
	v_fma_f32 v4, -v2, v12, v0
	v_cmp_ge_f32_e32 vcc, 0, v4
	v_cvt_f32_f16_e32 v4, v3
	v_fma_f32 v18, -v14, v12, v0
	v_cndmask_b32_e32 v2, v12, v2, vcc
	v_cmp_lt_f32_e32 vcc, 0, v18
	v_mul_f32_e32 v12, 0x3fb8aa3b, v4
	v_exp_f32_e32 v12, v12
	v_cndmask_b32_e32 v2, v2, v14, vcc
	v_mul_f32_e32 v14, 0x37800000, v2
	v_cndmask_b32_e64 v2, v2, v14, s[2:3]
	v_pk_add_f32 v[12:13], v[12:13], 1.0 op_sel_hi:[1,0]
	v_cmp_class_f32_e64 s[2:3], v0, v17
	v_cmp_gt_f32_e32 vcc, s15, v13
	s_nop 0
	v_cndmask_b32_e64 v0, v2, v0, s[2:3]
	v_cndmask_b32_e32 v18, 1.0, v7, vcc
	v_mul_f32_e32 v13, v13, v18
	v_log_f32_e32 v13, v13
	v_cmp_gt_f32_e64 s[2:3], s15, v12
	v_mul_f32_e32 v2, 0x3f317217, v13
	s_nop 0
	v_cndmask_b32_e64 v7, 1.0, v7, s[2:3]
	v_mul_f32_e32 v7, v12, v7
	v_fma_f32 v2, v13, s13, -v2
	v_log_f32_e32 v7, v7
	v_fmac_f32_e32 v2, 0x3377d1cf, v13
	v_fmac_f32_e32 v2, 0x3f317217, v13
	v_cmp_lt_f32_e64 s[4:5], |v13|, s14
	v_cndmask_b32_e32 v12, 0, v16, vcc
	v_cmp_lt_f32_e64 vcc, |v7|, s14
	v_cndmask_b32_e64 v2, v13, v2, s[4:5]
	v_sub_f32_e32 v2, v2, v12
	v_mul_f32_e32 v12, 0x3f317217, v7
	v_fma_f32 v12, v7, s13, -v12
	v_fmac_f32_e32 v12, 0x3377d1cf, v7
	v_fmac_f32_e32 v12, 0x3f317217, v7
	v_cndmask_b32_e32 v7, v7, v12, vcc
	v_cmp_gt_f16_sdwa vcc, v3, s9 src0_sel:WORD_1 src1_sel:DWORD
	v_cndmask_b32_e64 v12, 0, v16, s[2:3]
	v_sub_f32_e32 v7, v7, v12
	v_cndmask_b32_e32 v2, v2, v15, vcc
	v_mul_f32_e32 v13, 0x4f800000, v2
	v_cmp_gt_f32_e32 vcc, s12, v2
	v_cmp_lt_f16_e64 s[2:3], s9, v3
	s_cselect_b64 s[4:5], -1, 0
	v_cndmask_b32_e32 v2, v2, v13, vcc
	v_sqrt_f32_e32 v13, v2
	v_cndmask_b32_e64 v3, v7, v4, s[2:3]
	s_cmp_lt_i32 s33, 1
	v_add_u32_e32 v4, -1, v13
	v_fma_f32 v7, -v4, v13, v2
	v_cmp_ge_f32_e64 s[2:3], 0, v7
	v_add_u32_e32 v7, 1, v13
	v_fma_f32 v12, -v7, v13, v2
	v_cndmask_b32_e64 v4, v13, v4, s[2:3]
	v_cmp_lt_f32_e64 s[2:3], 0, v12
	v_mul_f32_e32 v12, 0x4f800000, v3
	s_nop 0
	v_cndmask_b32_e64 v4, v4, v7, s[2:3]
	v_cmp_gt_f32_e64 s[2:3], s12, v3
	v_mul_f32_e32 v7, 0x37800000, v4
	s_nop 0
	v_cndmask_b32_e64 v12, v3, v12, s[2:3]
	v_sqrt_f32_e32 v13, v12
	v_cndmask_b32_e32 v3, v4, v7, vcc
	v_cmp_class_f32_e32 vcc, v2, v17
	s_nop 1
	v_cndmask_b32_e32 v3, v3, v2, vcc
	v_add_u32_e32 v2, -1, v13
	v_fma_f32 v4, -v2, v13, v12
	v_cmp_ge_f32_e32 vcc, 0, v4
	v_add_u32_e32 v4, 1, v13
	v_fma_f32 v7, -v4, v13, v12
	v_cndmask_b32_e32 v2, v13, v2, vcc
	v_cmp_lt_f32_e32 vcc, 0, v7
	s_nop 1
	v_cndmask_b32_e32 v2, v2, v4, vcc
	v_mul_f32_e32 v4, 0x37800000, v2
	v_cndmask_b32_e64 v2, v2, v4, s[2:3]
	v_cmp_class_f32_e32 vcc, v12, v17
	s_nop 1
	v_cndmask_b32_e32 v2, v2, v12, vcc
	scratch_store_dwordx4 off, v[0:3], off offset:16
	s_nop 1
	v_lshl_add_u64 v[2:3], v[8:9], 2, s[10:11]
	v_mul_lo_u32 v0, v6, s33
	s_cbranch_scc1 .LBB210_28
; %bb.2:
	s_load_dwordx2 s[6:7], s[0:1], 0x20
	s_cmp_lt_u32 s33, 4
	v_and_b32_e32 v4, 15, v11
	s_cbranch_scc1 .LBB210_21
; %bb.3:
	v_lshlrev_b32_e32 v5, 3, v4
	s_mov_b32 s11, 0
	s_and_b32 s8, s33, 0x7ffffffc
	v_ashrrev_i32_e32 v1, 31, v0
	v_sub_u32_e32 v11, 0, v5
	v_mov_b32_e32 v5, 0
	s_mov_b32 s10, s11
	s_branch .LBB210_5
.LBB210_4:                              ;   in Loop: Header=BB210_5 Depth=1
	s_or_b64 exec, exec, s[12:13]
	s_add_i32 s10, s10, 4
	s_cmp_eq_u32 s10, s8
	s_cbranch_scc1 .LBB210_21
.LBB210_5:                              ; =>This Loop Header: Depth=1
                                        ;     Child Loop BB210_7 Depth 2
                                        ;     Child Loop BB210_11 Depth 2
	;; [unrolled: 1-line block ×4, first 2 shown]
	v_lshl_add_u64 v[6:7], s[10:11], 2, v[2:3]
	global_load_dword v12, v[6:7], off
	v_add_u32_e32 v8, s10, v0
	v_ashrrev_i32_e32 v9, 31, v8
	v_mov_b32_e32 v13, 0
	s_mov_b64 s[12:13], 0
	s_waitcnt lgkmcnt(0)
	v_lshl_add_u64 v[8:9], v[8:9], 2, s[6:7]
	s_mov_b32 s9, 0
	s_waitcnt vmcnt(0)
	v_add_u32_e32 v14, v11, v12
	s_branch .LBB210_7
.LBB210_6:                              ;   in Loop: Header=BB210_7 Depth=2
	s_or_b64 exec, exec, s[14:15]
	s_add_i32 s16, s9, 1
	s_cmp_gt_u32 s9, 6
	s_cselect_b64 s[2:3], -1, 0
	s_xor_b64 s[14:15], vcc, -1
	s_or_b64 s[2:3], s[14:15], s[2:3]
	s_and_b64 s[2:3], exec, s[2:3]
	v_add_u32_e32 v13, 4, v13
	s_or_b64 s[12:13], s[2:3], s[12:13]
	s_mov_b32 s9, s16
	s_andn2_b64 exec, exec, s[12:13]
	s_cbranch_execz .LBB210_9
.LBB210_7:                              ;   Parent Loop BB210_5 Depth=1
                                        ; =>  This Inner Loop Header: Depth=2
	v_cmp_ne_u32_e32 vcc, s9, v14
	v_cmp_eq_u32_e64 s[2:3], s9, v14
	s_and_saveexec_b64 s[14:15], s[2:3]
	s_cbranch_execz .LBB210_6
; %bb.8:                                ;   in Loop: Header=BB210_7 Depth=2
	scratch_load_dword v15, v13, off
	s_waitcnt vmcnt(0)
	v_add_f32_e32 v5, v5, v15
	global_store_dword v[8:9], v12, off
	s_branch .LBB210_6
.LBB210_9:                              ;   in Loop: Header=BB210_5 Depth=1
	s_or_b64 exec, exec, s[12:13]
	global_load_dword v12, v[6:7], off offset:4
	s_ashr_i32 s3, s10, 31
	s_mov_b32 s2, s10
	v_lshl_add_u64 v[8:9], s[2:3], 0, v[0:1]
	v_mov_b32_e32 v13, 0
	s_mov_b32 s9, 0
	v_lshl_add_u64 v[8:9], v[8:9], 2, s[6:7]
	s_mov_b64 s[12:13], 0
	s_waitcnt vmcnt(0)
	v_add_u32_e32 v14, v11, v12
	s_branch .LBB210_11
.LBB210_10:                             ;   in Loop: Header=BB210_11 Depth=2
	s_or_b64 exec, exec, s[14:15]
	s_add_i32 s16, s9, 1
	s_cmp_gt_u32 s9, 6
	s_cselect_b64 s[2:3], -1, 0
	s_xor_b64 s[14:15], vcc, -1
	s_or_b64 s[2:3], s[14:15], s[2:3]
	s_and_b64 s[2:3], exec, s[2:3]
	v_add_u32_e32 v13, 4, v13
	s_or_b64 s[12:13], s[2:3], s[12:13]
	s_mov_b32 s9, s16
	s_andn2_b64 exec, exec, s[12:13]
	s_cbranch_execz .LBB210_13
.LBB210_11:                             ;   Parent Loop BB210_5 Depth=1
                                        ; =>  This Inner Loop Header: Depth=2
	v_cmp_ne_u32_e32 vcc, s9, v14
	v_cmp_eq_u32_e64 s[2:3], s9, v14
	s_and_saveexec_b64 s[14:15], s[2:3]
	s_cbranch_execz .LBB210_10
; %bb.12:                               ;   in Loop: Header=BB210_11 Depth=2
	scratch_load_dword v15, v13, off
	s_waitcnt vmcnt(0)
	v_add_f32_e32 v5, v5, v15
	global_store_dword v[8:9], v12, off offset:4
	s_branch .LBB210_10
.LBB210_13:                             ;   in Loop: Header=BB210_5 Depth=1
	s_or_b64 exec, exec, s[12:13]
	global_load_dword v12, v[6:7], off offset:8
	v_mov_b32_e32 v13, 0
	s_mov_b32 s9, 0
	s_mov_b64 s[12:13], 0
	s_waitcnt vmcnt(0)
	v_add_u32_e32 v14, v11, v12
	s_branch .LBB210_15
.LBB210_14:                             ;   in Loop: Header=BB210_15 Depth=2
	s_or_b64 exec, exec, s[14:15]
	s_add_i32 s16, s9, 1
	s_cmp_gt_u32 s9, 6
	s_cselect_b64 s[2:3], -1, 0
	s_xor_b64 s[14:15], vcc, -1
	s_or_b64 s[2:3], s[14:15], s[2:3]
	s_and_b64 s[2:3], exec, s[2:3]
	v_add_u32_e32 v13, 4, v13
	s_or_b64 s[12:13], s[2:3], s[12:13]
	s_mov_b32 s9, s16
	s_andn2_b64 exec, exec, s[12:13]
	s_cbranch_execz .LBB210_17
.LBB210_15:                             ;   Parent Loop BB210_5 Depth=1
                                        ; =>  This Inner Loop Header: Depth=2
	v_cmp_ne_u32_e32 vcc, s9, v14
	v_cmp_eq_u32_e64 s[2:3], s9, v14
	s_and_saveexec_b64 s[14:15], s[2:3]
	s_cbranch_execz .LBB210_14
; %bb.16:                               ;   in Loop: Header=BB210_15 Depth=2
	scratch_load_dword v15, v13, off
	s_waitcnt vmcnt(0)
	v_add_f32_e32 v5, v5, v15
	global_store_dword v[8:9], v12, off offset:8
	s_branch .LBB210_14
.LBB210_17:                             ;   in Loop: Header=BB210_5 Depth=1
	s_or_b64 exec, exec, s[12:13]
	global_load_dword v6, v[6:7], off offset:12
	v_mov_b32_e32 v7, 0
	s_mov_b32 s9, 0
	s_mov_b64 s[12:13], 0
	s_waitcnt vmcnt(0)
	v_add_u32_e32 v12, v11, v6
	s_branch .LBB210_19
.LBB210_18:                             ;   in Loop: Header=BB210_19 Depth=2
	s_or_b64 exec, exec, s[14:15]
	s_add_i32 s16, s9, 1
	s_cmp_gt_u32 s9, 6
	s_cselect_b64 s[2:3], -1, 0
	s_xor_b64 s[14:15], vcc, -1
	s_or_b64 s[2:3], s[14:15], s[2:3]
	s_and_b64 s[2:3], exec, s[2:3]
	v_add_u32_e32 v7, 4, v7
	s_or_b64 s[12:13], s[2:3], s[12:13]
	s_mov_b32 s9, s16
	s_andn2_b64 exec, exec, s[12:13]
	s_cbranch_execz .LBB210_4
.LBB210_19:                             ;   Parent Loop BB210_5 Depth=1
                                        ; =>  This Inner Loop Header: Depth=2
	v_cmp_ne_u32_e32 vcc, s9, v12
	v_cmp_eq_u32_e64 s[2:3], s9, v12
	s_and_saveexec_b64 s[14:15], s[2:3]
	s_cbranch_execz .LBB210_18
; %bb.20:                               ;   in Loop: Header=BB210_19 Depth=2
	scratch_load_dword v13, v7, off
	s_waitcnt vmcnt(0)
	v_add_f32_e32 v5, v5, v13
	global_store_dword v[8:9], v6, off offset:12
	s_branch .LBB210_18
.LBB210_21:
	s_and_b32 s14, s33, 3
	s_cmp_eq_u32 s14, 0
	s_mov_b32 s9, 0
	s_cbranch_scc1 .LBB210_28
; %bb.22:
	v_lshlrev_b32_e32 v1, 3, v4
	v_sub_u32_e32 v1, 0, v1
	s_mov_b32 s15, s9
	s_branch .LBB210_24
.LBB210_23:                             ;   in Loop: Header=BB210_24 Depth=1
	s_or_b64 exec, exec, s[10:11]
	s_add_i32 s8, s8, 1
	s_add_i32 s15, s15, 1
	s_cmp_lg_u32 s15, s14
	s_cbranch_scc0 .LBB210_28
.LBB210_24:                             ; =>This Loop Header: Depth=1
                                        ;     Child Loop BB210_26 Depth 2
	v_lshl_add_u64 v[6:7], s[8:9], 2, v[2:3]
	global_load_dword v4, v[6:7], off
	v_add_u32_e32 v6, s8, v0
	v_ashrrev_i32_e32 v7, 31, v6
	v_mov_b32_e32 v8, 0
	s_mov_b32 s16, 0
	s_waitcnt lgkmcnt(0)
	v_lshl_add_u64 v[6:7], v[6:7], 2, s[6:7]
	s_mov_b64 s[10:11], 0
	s_waitcnt vmcnt(0)
	v_add_u32_e32 v9, v1, v4
	s_branch .LBB210_26
.LBB210_25:                             ;   in Loop: Header=BB210_26 Depth=2
	s_or_b64 exec, exec, s[12:13]
	s_add_i32 s17, s16, 1
	s_cmp_gt_u32 s16, 6
	s_cselect_b64 s[2:3], -1, 0
	s_xor_b64 s[12:13], vcc, -1
	s_or_b64 s[2:3], s[12:13], s[2:3]
	s_and_b64 s[2:3], exec, s[2:3]
	v_add_u32_e32 v8, 4, v8
	s_or_b64 s[10:11], s[2:3], s[10:11]
	s_mov_b32 s16, s17
	s_andn2_b64 exec, exec, s[10:11]
	s_cbranch_execz .LBB210_23
.LBB210_26:                             ;   Parent Loop BB210_24 Depth=1
                                        ; =>  This Inner Loop Header: Depth=2
	v_cmp_ne_u32_e32 vcc, s16, v9
	v_cmp_eq_u32_e64 s[2:3], s16, v9
	s_and_saveexec_b64 s[12:13], s[2:3]
	s_cbranch_execz .LBB210_25
; %bb.27:                               ;   in Loop: Header=BB210_26 Depth=2
	scratch_load_dword v11, v8, off
	s_waitcnt vmcnt(0)
	v_add_f32_e32 v5, v5, v11
	global_store_dword v[6:7], v4, off
	s_branch .LBB210_25
.LBB210_28:
	s_waitcnt lgkmcnt(0)
	s_load_dword s6, s[0:1], 0x3c
	s_waitcnt lgkmcnt(0)
	s_bitcmp1_b32 s6, 0
	s_cselect_b64 s[2:3], -1, 0
	s_bitcmp0_b32 s6, 0
	s_cbranch_scc0 .LBB210_32
; %bb.29:
	s_load_dwordx2 s[6:7], s[0:1], 0x40
	s_andn2_b64 vcc, exec, s[2:3]
	s_waitcnt lgkmcnt(0)
	v_cvt_f32_f64_e32 v8, s[6:7]
	s_cbranch_vccz .LBB210_33
.LBB210_30:
	s_andn2_b64 vcc, exec, s[4:5]
	s_cbranch_vccz .LBB210_34
.LBB210_31:
	s_endpgm
.LBB210_32:
	v_mbcnt_lo_u32_b32 v1, -1, 0
	v_mbcnt_hi_u32_b32 v1, -1, v1
	v_and_b32_e32 v4, 0x70, v1
	v_add_u32_e32 v4, 16, v4
	v_xor_b32_e32 v6, 8, v1
	v_cmp_lt_i32_e32 vcc, v6, v4
	v_xor_b32_e32 v7, 4, v1
	s_nop 0
	v_cndmask_b32_e32 v6, v1, v6, vcc
	v_lshlrev_b32_e32 v6, 2, v6
	ds_bpermute_b32 v6, v6, v5
	v_cmp_lt_i32_e32 vcc, v7, v4
	s_waitcnt lgkmcnt(0)
	v_add_f32_e32 v5, v5, v6
	v_cndmask_b32_e32 v6, v1, v7, vcc
	v_lshlrev_b32_e32 v6, 2, v6
	ds_bpermute_b32 v6, v6, v5
	v_xor_b32_e32 v7, 2, v1
	v_cmp_lt_i32_e32 vcc, v7, v4
	s_waitcnt lgkmcnt(0)
	v_add_f32_e32 v5, v5, v6
	v_cndmask_b32_e32 v6, v1, v7, vcc
	v_lshlrev_b32_e32 v6, 2, v6
	ds_bpermute_b32 v6, v6, v5
	v_xor_b32_e32 v7, 1, v1
	v_cmp_lt_i32_e32 vcc, v7, v4
	s_waitcnt lgkmcnt(0)
	v_add_f32_e32 v5, v5, v6
	v_cndmask_b32_e32 v1, v1, v7, vcc
	v_lshlrev_b32_e32 v1, 2, v1
	ds_bpermute_b32 v1, v1, v5
	s_waitcnt lgkmcnt(0)
	v_add_f32_e32 v5, v5, v1
	s_load_dwordx2 s[6:7], s[0:1], 0x40
	s_andn2_b64 vcc, exec, s[2:3]
	s_waitcnt lgkmcnt(0)
	v_cvt_f32_f64_e32 v8, s[6:7]
	s_cbranch_vccnz .LBB210_30
.LBB210_33:
	v_cmp_lt_f32_e32 vcc, 0, v5
	s_nop 1
	v_cndmask_b32_e32 v1, 1.0, v5, vcc
	v_div_scale_f32 v4, s[2:3], v1, v1, v8
	v_rcp_f32_e32 v5, v4
	s_nop 0
	v_fma_f32 v6, -v4, v5, 1.0
	v_fmac_f32_e32 v5, v6, v5
	v_div_scale_f32 v6, vcc, v8, v1, v8
	v_mul_f32_e32 v7, v6, v5
	v_fma_f32 v9, -v4, v7, v6
	v_fmac_f32_e32 v7, v9, v5
	v_fma_f32 v4, -v4, v7, v6
	v_div_fmas_f32 v4, v4, v5, v7
	v_div_fixup_f32 v8, v4, v1, v8
	s_andn2_b64 vcc, exec, s[4:5]
	s_cbranch_vccnz .LBB210_31
.LBB210_34:
	s_load_dwordx2 s[12:13], s[0:1], 0x10
	v_mov_b32_e32 v1, 0
	v_or_b32_e32 v20, 4, v1
	v_or_b32_e32 v18, 8, v1
	v_or_b32_e32 v16, 12, v1
	v_add_u32_e32 v14, 16, v1
	v_add_u32_e32 v12, 20, v1
	;; [unrolled: 1-line block ×4, first 2 shown]
	v_or_b32_e32 v23, 1, v10
	v_or_b32_e32 v22, 2, v10
	;; [unrolled: 1-line block ×7, first 2 shown]
	s_cmp_eq_u32 s33, 1
	s_mov_b32 s14, 0
	s_cbranch_scc1 .LBB210_69
; %bb.35:
	v_ashrrev_i32_e32 v1, 31, v0
	s_waitcnt lgkmcnt(0)
	v_lshl_add_u64 v[4:5], v[0:1], 2, s[12:13]
	s_and_b32 s14, s33, 0x7ffffffe
	v_lshl_add_u64 v[4:5], v[4:5], 0, 4
	v_lshl_add_u64 v[6:7], v[2:3], 0, 4
	s_mov_b32 s15, 0
	s_branch .LBB210_37
.LBB210_36:                             ;   in Loop: Header=BB210_37 Depth=1
	s_or_b64 exec, exec, s[0:1]
	s_add_i32 s15, s15, 2
	v_lshl_add_u64 v[4:5], v[4:5], 0, 8
	s_cmp_eq_u32 s14, s15
	v_lshl_add_u64 v[6:7], v[6:7], 0, 8
	s_cbranch_scc1 .LBB210_69
.LBB210_37:                             ; =>This Inner Loop Header: Depth=1
	global_load_dword v24, v[6:7], off offset:-4
	v_mov_b32_e32 v1, 0
	s_waitcnt vmcnt(0)
	v_cmp_eq_u32_e32 vcc, v24, v10
	v_cmp_ne_u32_e64 s[0:1], v24, v10
	s_and_saveexec_b64 s[16:17], s[0:1]
	s_cbranch_execz .LBB210_51
; %bb.38:                               ;   in Loop: Header=BB210_37 Depth=1
	v_cmp_eq_u32_e64 s[0:1], v24, v23
	v_cmp_ne_u32_e64 s[2:3], v24, v23
	v_mov_b32_e32 v1, v20
	s_and_saveexec_b64 s[18:19], s[2:3]
	s_cbranch_execz .LBB210_50
; %bb.39:                               ;   in Loop: Header=BB210_37 Depth=1
	v_cmp_eq_u32_e64 s[2:3], v24, v22
	v_cmp_ne_u32_e64 s[4:5], v24, v22
	v_mov_b32_e32 v1, v18
	s_and_saveexec_b64 s[20:21], s[4:5]
	s_cbranch_execz .LBB210_49
; %bb.40:                               ;   in Loop: Header=BB210_37 Depth=1
	v_cmp_eq_u32_e64 s[4:5], v24, v21
	v_cmp_ne_u32_e64 s[6:7], v24, v21
	v_mov_b32_e32 v1, v16
	s_and_saveexec_b64 s[22:23], s[6:7]
	s_cbranch_execz .LBB210_48
; %bb.41:                               ;   in Loop: Header=BB210_37 Depth=1
	v_cmp_eq_u32_e64 s[6:7], v24, v19
	v_cmp_ne_u32_e64 s[8:9], v24, v19
	v_mov_b32_e32 v1, v14
	s_and_saveexec_b64 s[24:25], s[8:9]
	s_cbranch_execz .LBB210_47
; %bb.42:                               ;   in Loop: Header=BB210_37 Depth=1
	v_cmp_eq_u32_e64 s[8:9], v24, v17
	v_cmp_ne_u32_e64 s[10:11], v24, v17
	v_mov_b32_e32 v1, v12
	s_and_saveexec_b64 s[26:27], s[10:11]
	s_cbranch_execz .LBB210_46
; %bb.43:                               ;   in Loop: Header=BB210_37 Depth=1
	v_cmp_eq_u32_e64 s[28:29], v24, v15
	v_cmp_ne_u32_e64 s[10:11], v24, v15
	v_mov_b32_e32 v1, v9
	s_and_saveexec_b64 s[30:31], s[10:11]
	s_xor_b64 s[30:31], exec, s[30:31]
; %bb.44:                               ;   in Loop: Header=BB210_37 Depth=1
	v_cmp_eq_u32_e64 s[10:11], v24, v13
	s_andn2_b64 s[28:29], s[28:29], exec
	s_and_b64 s[10:11], s[10:11], exec
	s_or_b64 s[28:29], s[28:29], s[10:11]
	v_mov_b32_e32 v1, v11
; %bb.45:                               ;   in Loop: Header=BB210_37 Depth=1
	s_or_b64 exec, exec, s[30:31]
	s_andn2_b64 s[8:9], s[8:9], exec
	s_and_b64 s[10:11], s[28:29], exec
	s_or_b64 s[8:9], s[8:9], s[10:11]
.LBB210_46:                             ;   in Loop: Header=BB210_37 Depth=1
	s_or_b64 exec, exec, s[26:27]
	s_andn2_b64 s[6:7], s[6:7], exec
	s_and_b64 s[8:9], s[8:9], exec
	s_or_b64 s[6:7], s[6:7], s[8:9]
.LBB210_47:                             ;   in Loop: Header=BB210_37 Depth=1
	s_or_b64 exec, exec, s[24:25]
	s_andn2_b64 s[4:5], s[4:5], exec
	s_and_b64 s[6:7], s[6:7], exec
	s_or_b64 s[4:5], s[4:5], s[6:7]
.LBB210_48:                             ;   in Loop: Header=BB210_37 Depth=1
	s_or_b64 exec, exec, s[22:23]
	s_andn2_b64 s[2:3], s[2:3], exec
	s_and_b64 s[4:5], s[4:5], exec
	s_or_b64 s[2:3], s[2:3], s[4:5]
.LBB210_49:                             ;   in Loop: Header=BB210_37 Depth=1
	s_or_b64 exec, exec, s[20:21]
	s_andn2_b64 s[0:1], s[0:1], exec
	s_and_b64 s[2:3], s[2:3], exec
	s_or_b64 s[0:1], s[0:1], s[2:3]
.LBB210_50:                             ;   in Loop: Header=BB210_37 Depth=1
	s_or_b64 exec, exec, s[18:19]
	s_andn2_b64 s[2:3], vcc, exec
	s_and_b64 s[0:1], s[0:1], exec
	s_or_b64 vcc, s[2:3], s[0:1]
.LBB210_51:                             ;   in Loop: Header=BB210_37 Depth=1
	s_or_b64 exec, exec, s[16:17]
	s_and_saveexec_b64 s[0:1], vcc
	s_cbranch_execz .LBB210_53
; %bb.52:                               ;   in Loop: Header=BB210_37 Depth=1
	scratch_load_dword v1, v1, off
	v_add_u32_e32 v24, s15, v0
	v_ashrrev_i32_e32 v25, 31, v24
	v_lshl_add_u64 v[24:25], v[24:25], 2, s[12:13]
	s_waitcnt vmcnt(0)
	v_mul_f32_e32 v1, v8, v1
	global_store_dword v[24:25], v1, off
.LBB210_53:                             ;   in Loop: Header=BB210_37 Depth=1
	s_or_b64 exec, exec, s[0:1]
	global_load_dword v24, v[6:7], off
	v_mov_b32_e32 v1, 0
	s_waitcnt vmcnt(0)
	v_cmp_eq_u32_e64 s[8:9], v24, v10
	v_cmp_ne_u32_e32 vcc, v24, v10
	s_and_saveexec_b64 s[10:11], vcc
	s_cbranch_execz .LBB210_67
; %bb.54:                               ;   in Loop: Header=BB210_37 Depth=1
	v_cmp_eq_u32_e32 vcc, v24, v23
	v_cmp_ne_u32_e64 s[0:1], v24, v23
	v_mov_b32_e32 v1, v20
	s_and_saveexec_b64 s[16:17], s[0:1]
	s_cbranch_execz .LBB210_66
; %bb.55:                               ;   in Loop: Header=BB210_37 Depth=1
	v_cmp_eq_u32_e64 s[0:1], v24, v22
	v_cmp_ne_u32_e64 s[2:3], v24, v22
	v_mov_b32_e32 v1, v18
	s_and_saveexec_b64 s[18:19], s[2:3]
	s_cbranch_execz .LBB210_65
; %bb.56:                               ;   in Loop: Header=BB210_37 Depth=1
	v_cmp_eq_u32_e64 s[2:3], v24, v21
	;; [unrolled: 6-line block ×5, first 2 shown]
	v_cmp_ne_u32_e64 s[6:7], v24, v15
	v_mov_b32_e32 v1, v9
	s_and_saveexec_b64 s[30:31], s[6:7]
; %bb.60:                               ;   in Loop: Header=BB210_37 Depth=1
	v_cmp_eq_u32_e64 s[6:7], v24, v13
	s_andn2_b64 s[28:29], s[28:29], exec
	s_and_b64 s[6:7], s[6:7], exec
	s_or_b64 s[28:29], s[28:29], s[6:7]
	v_mov_b32_e32 v1, v11
; %bb.61:                               ;   in Loop: Header=BB210_37 Depth=1
	s_or_b64 exec, exec, s[30:31]
	s_andn2_b64 s[6:7], s[24:25], exec
	s_and_b64 s[24:25], s[28:29], exec
	s_or_b64 s[24:25], s[6:7], s[24:25]
.LBB210_62:                             ;   in Loop: Header=BB210_37 Depth=1
	s_or_b64 exec, exec, s[26:27]
	s_andn2_b64 s[4:5], s[4:5], exec
	s_and_b64 s[6:7], s[24:25], exec
	s_or_b64 s[4:5], s[4:5], s[6:7]
.LBB210_63:                             ;   in Loop: Header=BB210_37 Depth=1
	s_or_b64 exec, exec, s[22:23]
	s_andn2_b64 s[2:3], s[2:3], exec
	s_and_b64 s[4:5], s[4:5], exec
	s_or_b64 s[2:3], s[2:3], s[4:5]
.LBB210_64:                             ;   in Loop: Header=BB210_37 Depth=1
	s_or_b64 exec, exec, s[20:21]
	s_andn2_b64 s[0:1], s[0:1], exec
	s_and_b64 s[2:3], s[2:3], exec
	s_or_b64 s[0:1], s[0:1], s[2:3]
.LBB210_65:                             ;   in Loop: Header=BB210_37 Depth=1
	s_or_b64 exec, exec, s[18:19]
	s_andn2_b64 s[2:3], vcc, exec
	s_and_b64 s[0:1], s[0:1], exec
	s_or_b64 vcc, s[2:3], s[0:1]
.LBB210_66:                             ;   in Loop: Header=BB210_37 Depth=1
	s_or_b64 exec, exec, s[16:17]
	s_andn2_b64 s[0:1], s[8:9], exec
	s_and_b64 s[2:3], vcc, exec
	s_or_b64 s[8:9], s[0:1], s[2:3]
.LBB210_67:                             ;   in Loop: Header=BB210_37 Depth=1
	s_or_b64 exec, exec, s[10:11]
	s_and_saveexec_b64 s[0:1], s[8:9]
	s_cbranch_execz .LBB210_36
; %bb.68:                               ;   in Loop: Header=BB210_37 Depth=1
	scratch_load_dword v1, v1, off
	s_waitcnt vmcnt(0)
	v_mul_f32_e32 v1, v8, v1
	global_store_dword v[4:5], v1, off
	s_branch .LBB210_36
.LBB210_69:
	s_bitcmp0_b32 s33, 0
	s_mov_b32 s15, 0
	s_cbranch_scc1 .LBB210_31
; %bb.70:
	v_lshl_add_u64 v[2:3], s[14:15], 2, v[2:3]
	global_load_dword v1, v[2:3], off
	v_mov_b32_e32 v2, 0
	s_waitcnt vmcnt(0)
	v_cmp_eq_u32_e64 s[8:9], v1, v10
	v_cmp_ne_u32_e32 vcc, v1, v10
	s_and_saveexec_b64 s[10:11], vcc
	s_cbranch_execz .LBB210_84
; %bb.71:
	v_cmp_eq_u32_e32 vcc, v1, v23
	v_cmp_ne_u32_e64 s[0:1], v1, v23
	s_and_saveexec_b64 s[16:17], s[0:1]
	s_cbranch_execz .LBB210_83
; %bb.72:
	v_cmp_eq_u32_e64 s[0:1], v1, v22
	v_cmp_ne_u32_e64 s[2:3], v1, v22
	s_and_saveexec_b64 s[18:19], s[2:3]
	s_cbranch_execz .LBB210_82
; %bb.73:
	v_cmp_eq_u32_e64 s[2:3], v1, v21
	;; [unrolled: 5-line block ×5, first 2 shown]
	v_cmp_ne_u32_e64 s[6:7], v1, v15
	s_and_saveexec_b64 s[30:31], s[6:7]
; %bb.77:
	v_cmp_eq_u32_e64 s[6:7], v1, v13
	s_andn2_b64 s[28:29], s[28:29], exec
	s_and_b64 s[6:7], s[6:7], exec
	s_or_b64 s[28:29], s[28:29], s[6:7]
	v_mov_b32_e32 v9, v11
; %bb.78:
	s_or_b64 exec, exec, s[30:31]
	s_andn2_b64 s[6:7], s[24:25], exec
	s_and_b64 s[24:25], s[28:29], exec
	s_or_b64 s[24:25], s[6:7], s[24:25]
	v_mov_b32_e32 v12, v9
.LBB210_79:
	s_or_b64 exec, exec, s[26:27]
	s_andn2_b64 s[4:5], s[4:5], exec
	s_and_b64 s[6:7], s[24:25], exec
	s_or_b64 s[4:5], s[4:5], s[6:7]
	v_mov_b32_e32 v14, v12
.LBB210_80:
	s_or_b64 exec, exec, s[22:23]
	s_andn2_b64 s[2:3], s[2:3], exec
	s_and_b64 s[4:5], s[4:5], exec
	s_or_b64 s[2:3], s[2:3], s[4:5]
	v_mov_b32_e32 v16, v14
.LBB210_81:
	s_or_b64 exec, exec, s[20:21]
	s_andn2_b64 s[0:1], s[0:1], exec
	s_and_b64 s[2:3], s[2:3], exec
	s_or_b64 s[0:1], s[0:1], s[2:3]
	v_mov_b32_e32 v18, v16
.LBB210_82:
	s_or_b64 exec, exec, s[18:19]
	s_andn2_b64 s[2:3], vcc, exec
	s_and_b64 s[0:1], s[0:1], exec
	s_or_b64 vcc, s[2:3], s[0:1]
	v_mov_b32_e32 v20, v18
.LBB210_83:
	s_or_b64 exec, exec, s[16:17]
	s_andn2_b64 s[0:1], s[8:9], exec
	s_and_b64 s[2:3], vcc, exec
	s_or_b64 s[8:9], s[0:1], s[2:3]
	v_mov_b32_e32 v2, v20
.LBB210_84:
	s_or_b64 exec, exec, s[10:11]
	s_and_b64 exec, exec, s[8:9]
	s_cbranch_execz .LBB210_31
; %bb.85:
	scratch_load_dword v2, v2, off
	v_add_u32_e32 v0, s14, v0
	v_ashrrev_i32_e32 v1, 31, v0
	s_waitcnt lgkmcnt(0)
	v_lshl_add_u64 v[0:1], v[0:1], 2, s[12:13]
	s_waitcnt vmcnt(0)
	v_mul_f32_e32 v2, v8, v2
	global_store_dword v[0:1], v2, off
	s_endpgm
	.section	.rodata,"a",@progbits
	.p2align	6, 0x0
	.amdhsa_kernel _ZN4vllm3moe22topkGatingSoftplusSqrtILi8ELi128ELi4ELi16ELi32ELb1Ei6__halfEEvPKT6_PKbPfiPT5_PiiiibdPKfPKS9_SF_
		.amdhsa_group_segment_fixed_size 0
		.amdhsa_private_segment_fixed_size 48
		.amdhsa_kernarg_size 96
		.amdhsa_user_sgpr_count 2
		.amdhsa_user_sgpr_dispatch_ptr 0
		.amdhsa_user_sgpr_queue_ptr 0
		.amdhsa_user_sgpr_kernarg_segment_ptr 1
		.amdhsa_user_sgpr_dispatch_id 0
		.amdhsa_user_sgpr_kernarg_preload_length 0
		.amdhsa_user_sgpr_kernarg_preload_offset 0
		.amdhsa_user_sgpr_private_segment_size 0
		.amdhsa_uses_dynamic_stack 0
		.amdhsa_enable_private_segment 1
		.amdhsa_system_sgpr_workgroup_id_x 1
		.amdhsa_system_sgpr_workgroup_id_y 0
		.amdhsa_system_sgpr_workgroup_id_z 0
		.amdhsa_system_sgpr_workgroup_info 0
		.amdhsa_system_vgpr_workitem_id 1
		.amdhsa_next_free_vgpr 29
		.amdhsa_next_free_sgpr 34
		.amdhsa_accum_offset 32
		.amdhsa_reserve_vcc 1
		.amdhsa_float_round_mode_32 0
		.amdhsa_float_round_mode_16_64 0
		.amdhsa_float_denorm_mode_32 3
		.amdhsa_float_denorm_mode_16_64 3
		.amdhsa_dx10_clamp 1
		.amdhsa_ieee_mode 1
		.amdhsa_fp16_overflow 0
		.amdhsa_tg_split 0
		.amdhsa_exception_fp_ieee_invalid_op 0
		.amdhsa_exception_fp_denorm_src 0
		.amdhsa_exception_fp_ieee_div_zero 0
		.amdhsa_exception_fp_ieee_overflow 0
		.amdhsa_exception_fp_ieee_underflow 0
		.amdhsa_exception_fp_ieee_inexact 0
		.amdhsa_exception_int_div_zero 0
	.end_amdhsa_kernel
	.section	.text._ZN4vllm3moe22topkGatingSoftplusSqrtILi8ELi128ELi4ELi16ELi32ELb1Ei6__halfEEvPKT6_PKbPfiPT5_PiiiibdPKfPKS9_SF_,"axG",@progbits,_ZN4vllm3moe22topkGatingSoftplusSqrtILi8ELi128ELi4ELi16ELi32ELb1Ei6__halfEEvPKT6_PKbPfiPT5_PiiiibdPKfPKS9_SF_,comdat
.Lfunc_end210:
	.size	_ZN4vllm3moe22topkGatingSoftplusSqrtILi8ELi128ELi4ELi16ELi32ELb1Ei6__halfEEvPKT6_PKbPfiPT5_PiiiibdPKfPKS9_SF_, .Lfunc_end210-_ZN4vllm3moe22topkGatingSoftplusSqrtILi8ELi128ELi4ELi16ELi32ELb1Ei6__halfEEvPKT6_PKbPfiPT5_PiiiibdPKfPKS9_SF_
                                        ; -- End function
	.section	.AMDGPU.csdata,"",@progbits
; Kernel info:
; codeLenInByte = 4552
; NumSgprs: 40
; NumVgprs: 29
; NumAgprs: 0
; TotalNumVgprs: 29
; ScratchSize: 48
; MemoryBound: 0
; FloatMode: 240
; IeeeMode: 1
; LDSByteSize: 0 bytes/workgroup (compile time only)
; SGPRBlocks: 4
; VGPRBlocks: 3
; NumSGPRsForWavesPerEU: 40
; NumVGPRsForWavesPerEU: 29
; AccumOffset: 32
; Occupancy: 8
; WaveLimiterHint : 1
; COMPUTE_PGM_RSRC2:SCRATCH_EN: 1
; COMPUTE_PGM_RSRC2:USER_SGPR: 2
; COMPUTE_PGM_RSRC2:TRAP_HANDLER: 0
; COMPUTE_PGM_RSRC2:TGID_X_EN: 1
; COMPUTE_PGM_RSRC2:TGID_Y_EN: 0
; COMPUTE_PGM_RSRC2:TGID_Z_EN: 0
; COMPUTE_PGM_RSRC2:TIDIG_COMP_CNT: 1
; COMPUTE_PGM_RSRC3_GFX90A:ACCUM_OFFSET: 7
; COMPUTE_PGM_RSRC3_GFX90A:TG_SPLIT: 0
	.section	.text._ZN4vllm3moe22topkGatingSoftplusSqrtILi8ELi128ELi4ELi16ELi32ELb0Ei6__halfEEvPKT6_PKbPfiPT5_PiiiibdPKfPKS9_SF_,"axG",@progbits,_ZN4vllm3moe22topkGatingSoftplusSqrtILi8ELi128ELi4ELi16ELi32ELb0Ei6__halfEEvPKT6_PKbPfiPT5_PiiiibdPKfPKS9_SF_,comdat
	.protected	_ZN4vllm3moe22topkGatingSoftplusSqrtILi8ELi128ELi4ELi16ELi32ELb0Ei6__halfEEvPKT6_PKbPfiPT5_PiiiibdPKfPKS9_SF_ ; -- Begin function _ZN4vllm3moe22topkGatingSoftplusSqrtILi8ELi128ELi4ELi16ELi32ELb0Ei6__halfEEvPKT6_PKbPfiPT5_PiiiibdPKfPKS9_SF_
	.globl	_ZN4vllm3moe22topkGatingSoftplusSqrtILi8ELi128ELi4ELi16ELi32ELb0Ei6__halfEEvPKT6_PKbPfiPT5_PiiiibdPKfPKS9_SF_
	.p2align	8
	.type	_ZN4vllm3moe22topkGatingSoftplusSqrtILi8ELi128ELi4ELi16ELi32ELb0Ei6__halfEEvPKT6_PKbPfiPT5_PiiiibdPKfPKS9_SF_,@function
_ZN4vllm3moe22topkGatingSoftplusSqrtILi8ELi128ELi4ELi16ELi32ELb0Ei6__halfEEvPKT6_PKbPfiPT5_PiiiibdPKfPKS9_SF_: ; @_ZN4vllm3moe22topkGatingSoftplusSqrtILi8ELi128ELi4ELi16ELi32ELb0Ei6__halfEEvPKT6_PKbPfiPT5_PiiiibdPKfPKS9_SF_
; %bb.0:
	s_load_dword s33, s[0:1], 0x18
	v_bfe_u32 v1, v0, 10, 10
	v_and_b32_e32 v0, 0x3ff, v0
	s_lshl_b32 s2, s2, 3
	v_lshlrev_b32_e32 v1, 1, v1
	v_lshrrev_b32_e32 v2, 4, v0
	v_add3_u32 v8, s2, v1, v2
	s_waitcnt lgkmcnt(0)
	v_cmp_gt_i32_e32 vcc, s33, v8
	s_and_saveexec_b64 s[2:3], vcc
	s_cbranch_execz .LBB211_61
; %bb.1:
	s_load_dwordx4 s[4:7], s[0:1], 0x0
	s_load_dwordx2 s[34:35], s[0:1], 0x10
	s_waitcnt lgkmcnt(0)
	s_cmp_eq_u64 s[6:7], 0
	s_cbranch_scc1 .LBB211_3
; %bb.2:
	v_ashrrev_i32_e32 v9, 31, v8
	v_lshl_add_u64 v[2:3], s[6:7], 0, v[8:9]
	global_load_ubyte v1, v[2:3], off
	s_waitcnt vmcnt(0)
	v_and_b32_e32 v1, 1, v1
	v_cmp_eq_u32_e32 vcc, 1, v1
	s_xor_b64 s[2:3], vcc, -1
	s_orn2_b64 s[36:37], s[2:3], exec
	s_branch .LBB211_4
.LBB211_3:
	s_mov_b64 s[36:37], -1
.LBB211_4:
	v_lshlrev_b32_e32 v4, 7, v8
	v_mov_b32_e32 v2, s4
	v_mov_b32_e32 v3, s5
	v_ashrrev_i32_e32 v5, 31, v4
	v_and_b32_e32 v9, 15, v0
	v_lshl_add_u64 v[2:3], v[4:5], 1, v[2:3]
	v_mov_b32_e32 v1, 0
	v_lshlrev_b32_e32 v0, 4, v9
	v_lshl_add_u64 v[0:1], v[2:3], 0, v[0:1]
	global_load_dwordx4 v[4:7], v[0:1], off
	s_mov_b32 s12, 0x800000
	v_mov_b32_e32 v2, 0x4f800000
	s_mov_b32 s9, 0x3f317217
	s_mov_b32 s10, 0x7f800000
	v_mov_b32_e32 v3, 0x41b17218
	s_movk_i32 s8, 0x4d00
	s_mov_b32 s11, 0xf800000
	s_load_dwordx4 s[20:23], s[0:1], 0x40
	v_lshlrev_b32_e32 v12, 3, v9
	s_waitcnt lgkmcnt(0)
	s_cmp_lg_u64 s[22:23], 0
	s_cselect_b64 s[6:7], -1, 0
	s_and_b64 s[2:3], exec, s[6:7]
	s_waitcnt vmcnt(0)
	v_cvt_f32_f16_e32 v0, v4
	v_mul_f32_e32 v1, 0x3fb8aa3b, v0
	v_exp_f32_e32 v10, v1
	v_mov_b32_e32 v1, 0x260
	v_add_f32_e32 v10, 1.0, v10
	v_cmp_gt_f32_e32 vcc, s12, v10
	s_nop 1
	v_cndmask_b32_e32 v11, 1.0, v2, vcc
	v_mul_f32_e32 v10, v10, v11
	v_log_f32_e32 v11, v10
	v_cndmask_b32_e32 v13, 0, v3, vcc
	v_lshlrev_b32_e32 v10, 2, v12
	v_mul_f32_e32 v14, 0x3f317217, v11
	v_fma_f32 v14, v11, s9, -v14
	v_fmac_f32_e32 v14, 0x3377d1cf, v11
	v_fmac_f32_e32 v14, 0x3f317217, v11
	v_cmp_lt_f32_e64 vcc, |v11|, s10
	s_nop 1
	v_cndmask_b32_e32 v11, v11, v14, vcc
	v_sub_f32_e32 v11, v11, v13
	v_cmp_lt_f16_e32 vcc, s8, v4
	s_nop 1
	v_cndmask_b32_e32 v0, v11, v0, vcc
	v_mul_f32_e32 v11, 0x4f800000, v0
	v_cmp_gt_f32_e32 vcc, s11, v0
	s_nop 1
	v_cndmask_b32_e32 v0, v0, v11, vcc
	v_sqrt_f32_e32 v11, v0
	s_nop 0
	v_add_u32_e32 v13, -1, v11
	v_add_u32_e32 v14, 1, v11
	v_fma_f32 v15, -v13, v11, v0
	v_fma_f32 v16, -v14, v11, v0
	v_cmp_ge_f32_e64 s[4:5], 0, v15
	s_nop 1
	v_cndmask_b32_e64 v11, v11, v13, s[4:5]
	v_cmp_lt_f32_e64 s[4:5], 0, v16
	s_nop 1
	v_cndmask_b32_e64 v11, v11, v14, s[4:5]
	v_mul_f32_e32 v13, 0x37800000, v11
	v_cndmask_b32_e32 v11, v11, v13, vcc
	v_cmp_class_f32_e32 vcc, v0, v1
	s_nop 1
	v_cndmask_b32_e32 v0, v11, v0, vcc
	s_mov_b64 vcc, s[2:3]
	s_cbranch_vccz .LBB211_6
; %bb.5:
	global_load_dword v11, v10, s[22:23]
	s_waitcnt vmcnt(0)
	v_add_f32_e32 v0, v0, v11
.LBB211_6:
	v_cvt_f32_f16_sdwa v11, v4 dst_sel:DWORD dst_unused:UNUSED_PAD src0_sel:WORD_1
	v_mul_f32_e32 v13, 0x3fb8aa3b, v11
	v_exp_f32_e32 v13, v13
	s_nop 0
	v_add_f32_e32 v13, 1.0, v13
	v_cmp_gt_f32_e32 vcc, s12, v13
	s_nop 1
	v_cndmask_b32_e32 v2, 1.0, v2, vcc
	v_mul_f32_e32 v2, v13, v2
	v_log_f32_e32 v2, v2
	v_cndmask_b32_e32 v3, 0, v3, vcc
	v_mul_f32_e32 v13, 0x3f317217, v2
	v_fma_f32 v13, v2, s9, -v13
	v_fmac_f32_e32 v13, 0x3377d1cf, v2
	v_fmac_f32_e32 v13, 0x3f317217, v2
	v_cmp_lt_f32_e64 vcc, |v2|, s10
	s_nop 1
	v_cndmask_b32_e32 v2, v2, v13, vcc
	v_sub_f32_e32 v2, v2, v3
	v_cmp_gt_f16_sdwa vcc, v4, s8 src0_sel:WORD_1 src1_sel:DWORD
	v_cndmask_b32_e64 v4, 0, 1, s[6:7]
	v_cmp_ne_u32_e64 s[2:3], 1, v4
	v_cndmask_b32_e32 v2, v2, v11, vcc
	v_mul_f32_e32 v3, 0x4f800000, v2
	v_cmp_gt_f32_e64 s[4:5], s11, v2
	s_andn2_b64 vcc, exec, s[6:7]
	s_nop 0
	v_cndmask_b32_e64 v2, v2, v3, s[4:5]
	v_sqrt_f32_e32 v3, v2
	s_nop 0
	v_add_u32_e32 v4, -1, v3
	v_add_u32_e32 v11, 1, v3
	v_fma_f32 v13, -v4, v3, v2
	v_fma_f32 v14, -v11, v3, v2
	v_cmp_ge_f32_e64 s[6:7], 0, v13
	s_nop 1
	v_cndmask_b32_e64 v3, v3, v4, s[6:7]
	v_cmp_lt_f32_e64 s[6:7], 0, v14
	s_nop 1
	v_cndmask_b32_e64 v3, v3, v11, s[6:7]
	v_mul_f32_e32 v4, 0x37800000, v3
	v_cndmask_b32_e64 v3, v3, v4, s[4:5]
	v_cmp_class_f32_e64 s[4:5], v2, v1
	s_nop 1
	v_cndmask_b32_e64 v1, v3, v2, s[4:5]
	s_cbranch_vccnz .LBB211_8
; %bb.7:
	global_load_dword v2, v10, s[22:23] offset:4
	s_waitcnt vmcnt(0)
	v_add_f32_e32 v1, v1, v2
.LBB211_8:
	v_cvt_f32_f16_e32 v2, v5
	s_mov_b32 s8, 0x800000
	v_mov_b32_e32 v4, 0x4f800000
	s_mov_b32 s7, 0x3f317217
	v_mul_f32_e32 v3, 0x3fb8aa3b, v2
	v_exp_f32_e32 v3, v3
	s_mov_b32 s9, 0x7f800000
	s_movk_i32 s6, 0x4d00
	s_mov_b32 s10, 0xf800000
	v_add_f32_e32 v3, 1.0, v3
	v_cmp_gt_f32_e32 vcc, s8, v3
	s_nop 1
	v_cndmask_b32_e32 v11, 1.0, v4, vcc
	v_mul_f32_e32 v3, v3, v11
	v_log_f32_e32 v3, v3
	v_mov_b32_e32 v11, 0x41b17218
	v_cndmask_b32_e32 v13, 0, v11, vcc
	v_mul_f32_e32 v14, 0x3f317217, v3
	v_fma_f32 v14, v3, s7, -v14
	v_fmac_f32_e32 v14, 0x3377d1cf, v3
	v_fmac_f32_e32 v14, 0x3f317217, v3
	v_cmp_lt_f32_e64 vcc, |v3|, s9
	s_nop 1
	v_cndmask_b32_e32 v3, v3, v14, vcc
	v_sub_f32_e32 v3, v3, v13
	v_cmp_lt_f16_e32 vcc, s6, v5
	s_nop 1
	v_cndmask_b32_e32 v2, v3, v2, vcc
	v_mul_f32_e32 v3, 0x4f800000, v2
	v_cmp_gt_f32_e32 vcc, s10, v2
	s_nop 1
	v_cndmask_b32_e32 v2, v2, v3, vcc
	v_sqrt_f32_e32 v3, v2
	s_nop 0
	v_add_u32_e32 v13, -1, v3
	v_fma_f32 v14, -v13, v3, v2
	v_cmp_ge_f32_e64 s[4:5], 0, v14
	v_add_u32_e32 v14, 1, v3
	s_nop 0
	v_cndmask_b32_e64 v13, v3, v13, s[4:5]
	v_fma_f32 v3, -v14, v3, v2
	v_cmp_lt_f32_e64 s[4:5], 0, v3
	s_nop 1
	v_cndmask_b32_e64 v3, v13, v14, s[4:5]
	v_mul_f32_e32 v13, 0x37800000, v3
	v_cndmask_b32_e32 v13, v3, v13, vcc
	v_mov_b32_e32 v3, 0x260
	v_cmp_class_f32_e64 s[4:5], v2, v3
	s_and_b64 vcc, exec, s[2:3]
	s_nop 0
	v_cndmask_b32_e64 v2, v13, v2, s[4:5]
	s_cbranch_vccnz .LBB211_10
; %bb.9:
	global_load_dword v13, v10, s[22:23] offset:8
	s_waitcnt vmcnt(0)
	v_add_f32_e32 v2, v2, v13
.LBB211_10:
	v_cvt_f32_f16_sdwa v13, v5 dst_sel:DWORD dst_unused:UNUSED_PAD src0_sel:WORD_1
	v_mul_f32_e32 v14, 0x3fb8aa3b, v13
	v_exp_f32_e32 v14, v14
	s_nop 0
	v_add_f32_e32 v14, 1.0, v14
	v_cmp_gt_f32_e32 vcc, s8, v14
	s_nop 1
	v_cndmask_b32_e32 v4, 1.0, v4, vcc
	v_mul_f32_e32 v4, v14, v4
	v_log_f32_e32 v4, v4
	v_cndmask_b32_e32 v11, 0, v11, vcc
	v_mul_f32_e32 v14, 0x3f317217, v4
	v_fma_f32 v14, v4, s7, -v14
	v_fmac_f32_e32 v14, 0x3377d1cf, v4
	v_fmac_f32_e32 v14, 0x3f317217, v4
	v_cmp_lt_f32_e64 vcc, |v4|, s9
	s_nop 1
	v_cndmask_b32_e32 v4, v4, v14, vcc
	v_sub_f32_e32 v4, v4, v11
	v_cmp_gt_f16_sdwa vcc, v5, s6 src0_sel:WORD_1 src1_sel:DWORD
	s_nop 1
	v_cndmask_b32_e32 v4, v4, v13, vcc
	v_mul_f32_e32 v5, 0x4f800000, v4
	v_cmp_gt_f32_e64 s[4:5], s10, v4
	s_and_b64 vcc, exec, s[2:3]
	s_nop 0
	v_cndmask_b32_e64 v4, v4, v5, s[4:5]
	v_sqrt_f32_e32 v5, v4
	s_nop 0
	v_add_u32_e32 v11, -1, v5
	v_add_u32_e32 v13, 1, v5
	v_fma_f32 v14, -v11, v5, v4
	v_fma_f32 v15, -v13, v5, v4
	v_cmp_ge_f32_e64 s[6:7], 0, v14
	s_nop 1
	v_cndmask_b32_e64 v5, v5, v11, s[6:7]
	v_cmp_lt_f32_e64 s[6:7], 0, v15
	s_nop 1
	v_cndmask_b32_e64 v5, v5, v13, s[6:7]
	v_mul_f32_e32 v11, 0x37800000, v5
	v_cndmask_b32_e64 v5, v5, v11, s[4:5]
	v_cmp_class_f32_e64 s[4:5], v4, v3
	s_nop 1
	v_cndmask_b32_e64 v3, v5, v4, s[4:5]
	s_cbranch_vccnz .LBB211_12
; %bb.11:
	global_load_dword v4, v10, s[22:23] offset:12
	s_waitcnt vmcnt(0)
	v_add_f32_e32 v3, v3, v4
.LBB211_12:
	v_cvt_f32_f16_e32 v4, v6
	v_mov_b32_e32 v11, 0x4f800000
	s_mov_b32 s7, 0x3f317217
	s_movk_i32 s6, 0x4d00
	v_mul_f32_e32 v5, 0x3fb8aa3b, v4
	v_exp_f32_e32 v5, v5
	s_nop 0
	v_add_f32_e32 v5, 1.0, v5
	v_cmp_gt_f32_e32 vcc, s8, v5
	s_nop 1
	v_cndmask_b32_e32 v13, 1.0, v11, vcc
	v_mul_f32_e32 v5, v5, v13
	v_log_f32_e32 v5, v5
	v_mov_b32_e32 v13, 0x41b17218
	v_cndmask_b32_e32 v14, 0, v13, vcc
	v_mul_f32_e32 v15, 0x3f317217, v5
	v_fma_f32 v15, v5, s7, -v15
	v_fmac_f32_e32 v15, 0x3377d1cf, v5
	v_fmac_f32_e32 v15, 0x3f317217, v5
	v_cmp_lt_f32_e64 vcc, |v5|, s9
	s_nop 1
	v_cndmask_b32_e32 v5, v5, v15, vcc
	v_sub_f32_e32 v5, v5, v14
	v_cmp_lt_f16_e32 vcc, s6, v6
	s_nop 1
	v_cndmask_b32_e32 v4, v5, v4, vcc
	v_mul_f32_e32 v5, 0x4f800000, v4
	v_cmp_gt_f32_e32 vcc, s10, v4
	s_nop 1
	v_cndmask_b32_e32 v4, v4, v5, vcc
	v_sqrt_f32_e32 v5, v4
	s_nop 0
	v_add_u32_e32 v14, -1, v5
	v_fma_f32 v15, -v14, v5, v4
	v_cmp_ge_f32_e64 s[4:5], 0, v15
	v_add_u32_e32 v15, 1, v5
	s_nop 0
	v_cndmask_b32_e64 v14, v5, v14, s[4:5]
	v_fma_f32 v5, -v15, v5, v4
	v_cmp_lt_f32_e64 s[4:5], 0, v5
	s_nop 1
	v_cndmask_b32_e64 v5, v14, v15, s[4:5]
	v_mul_f32_e32 v14, 0x37800000, v5
	v_cndmask_b32_e32 v14, v5, v14, vcc
	v_mov_b32_e32 v5, 0x260
	v_cmp_class_f32_e64 s[4:5], v4, v5
	s_and_b64 vcc, exec, s[2:3]
	s_nop 0
	v_cndmask_b32_e64 v4, v14, v4, s[4:5]
	s_cbranch_vccnz .LBB211_14
; %bb.13:
	global_load_dword v14, v10, s[22:23] offset:16
	s_waitcnt vmcnt(0)
	v_add_f32_e32 v4, v4, v14
.LBB211_14:
	v_cvt_f32_f16_sdwa v14, v6 dst_sel:DWORD dst_unused:UNUSED_PAD src0_sel:WORD_1
	v_mul_f32_e32 v15, 0x3fb8aa3b, v14
	v_exp_f32_e32 v15, v15
	s_nop 0
	v_add_f32_e32 v15, 1.0, v15
	v_cmp_gt_f32_e32 vcc, s8, v15
	s_nop 1
	v_cndmask_b32_e32 v11, 1.0, v11, vcc
	v_mul_f32_e32 v11, v15, v11
	v_log_f32_e32 v11, v11
	v_cndmask_b32_e32 v13, 0, v13, vcc
	v_mul_f32_e32 v15, 0x3f317217, v11
	v_fma_f32 v15, v11, s7, -v15
	v_fmac_f32_e32 v15, 0x3377d1cf, v11
	v_fmac_f32_e32 v15, 0x3f317217, v11
	v_cmp_lt_f32_e64 vcc, |v11|, s9
	s_nop 1
	v_cndmask_b32_e32 v11, v11, v15, vcc
	v_sub_f32_e32 v11, v11, v13
	v_cmp_gt_f16_sdwa vcc, v6, s6 src0_sel:WORD_1 src1_sel:DWORD
	s_nop 1
	v_cndmask_b32_e32 v6, v11, v14, vcc
	v_mul_f32_e32 v11, 0x4f800000, v6
	v_cmp_gt_f32_e64 s[4:5], s10, v6
	s_and_b64 vcc, exec, s[2:3]
	s_nop 0
	v_cndmask_b32_e64 v6, v6, v11, s[4:5]
	v_sqrt_f32_e32 v11, v6
	s_nop 0
	v_add_u32_e32 v13, -1, v11
	v_add_u32_e32 v14, 1, v11
	v_fma_f32 v15, -v13, v11, v6
	v_fma_f32 v16, -v14, v11, v6
	v_cmp_ge_f32_e64 s[6:7], 0, v15
	s_nop 1
	v_cndmask_b32_e64 v11, v11, v13, s[6:7]
	v_cmp_lt_f32_e64 s[6:7], 0, v16
	s_nop 1
	v_cndmask_b32_e64 v11, v11, v14, s[6:7]
	v_mul_f32_e32 v13, 0x37800000, v11
	v_cndmask_b32_e64 v11, v11, v13, s[4:5]
	v_cmp_class_f32_e64 s[4:5], v6, v5
	s_nop 1
	v_cndmask_b32_e64 v5, v11, v6, s[4:5]
	s_cbranch_vccnz .LBB211_16
; %bb.15:
	global_load_dword v6, v10, s[22:23] offset:20
	s_waitcnt vmcnt(0)
	v_add_f32_e32 v5, v5, v6
.LBB211_16:
	v_cvt_f32_f16_e32 v6, v7
	v_mov_b32_e32 v13, 0x4f800000
	s_mov_b32 s7, 0x3f317217
	s_movk_i32 s6, 0x4d00
	v_mul_f32_e32 v11, 0x3fb8aa3b, v6
	v_exp_f32_e32 v11, v11
	s_nop 0
	v_add_f32_e32 v11, 1.0, v11
	v_cmp_gt_f32_e32 vcc, s8, v11
	s_nop 1
	v_cndmask_b32_e32 v14, 1.0, v13, vcc
	v_mul_f32_e32 v11, v11, v14
	v_log_f32_e32 v11, v11
	v_mov_b32_e32 v14, 0x41b17218
	v_cndmask_b32_e32 v15, 0, v14, vcc
	v_mul_f32_e32 v16, 0x3f317217, v11
	v_fma_f32 v16, v11, s7, -v16
	v_fmac_f32_e32 v16, 0x3377d1cf, v11
	v_fmac_f32_e32 v16, 0x3f317217, v11
	v_cmp_lt_f32_e64 vcc, |v11|, s9
	s_nop 1
	v_cndmask_b32_e32 v11, v11, v16, vcc
	v_sub_f32_e32 v11, v11, v15
	v_cmp_lt_f16_e32 vcc, s6, v7
	s_nop 1
	v_cndmask_b32_e32 v6, v11, v6, vcc
	v_mul_f32_e32 v11, 0x4f800000, v6
	v_cmp_gt_f32_e32 vcc, s10, v6
	s_nop 1
	v_cndmask_b32_e32 v6, v6, v11, vcc
	v_sqrt_f32_e32 v11, v6
	s_nop 0
	v_add_u32_e32 v15, -1, v11
	v_fma_f32 v16, -v15, v11, v6
	v_cmp_ge_f32_e64 s[4:5], 0, v16
	v_add_u32_e32 v16, 1, v11
	s_nop 0
	v_cndmask_b32_e64 v15, v11, v15, s[4:5]
	v_fma_f32 v11, -v16, v11, v6
	v_cmp_lt_f32_e64 s[4:5], 0, v11
	s_nop 1
	v_cndmask_b32_e64 v11, v15, v16, s[4:5]
	v_mul_f32_e32 v15, 0x37800000, v11
	v_cndmask_b32_e32 v15, v11, v15, vcc
	v_mov_b32_e32 v11, 0x260
	v_cmp_class_f32_e64 s[4:5], v6, v11
	s_and_b64 vcc, exec, s[2:3]
	s_nop 0
	v_cndmask_b32_e64 v6, v15, v6, s[4:5]
	s_cbranch_vccnz .LBB211_18
; %bb.17:
	global_load_dword v15, v10, s[22:23] offset:24
	s_waitcnt vmcnt(0)
	v_add_f32_e32 v6, v6, v15
.LBB211_18:
	v_cvt_f32_f16_sdwa v15, v7 dst_sel:DWORD dst_unused:UNUSED_PAD src0_sel:WORD_1
	v_mul_f32_e32 v16, 0x3fb8aa3b, v15
	v_exp_f32_e32 v16, v16
	s_nop 0
	v_add_f32_e32 v16, 1.0, v16
	v_cmp_gt_f32_e32 vcc, s8, v16
	s_nop 1
	v_cndmask_b32_e32 v13, 1.0, v13, vcc
	v_mul_f32_e32 v13, v16, v13
	v_log_f32_e32 v13, v13
	v_cndmask_b32_e32 v14, 0, v14, vcc
	v_mul_f32_e32 v16, 0x3f317217, v13
	v_fma_f32 v16, v13, s7, -v16
	v_fmac_f32_e32 v16, 0x3377d1cf, v13
	v_fmac_f32_e32 v16, 0x3f317217, v13
	v_cmp_lt_f32_e64 vcc, |v13|, s9
	s_nop 1
	v_cndmask_b32_e32 v13, v13, v16, vcc
	v_sub_f32_e32 v13, v13, v14
	v_cmp_gt_f16_sdwa vcc, v7, s6 src0_sel:WORD_1 src1_sel:DWORD
	s_nop 1
	v_cndmask_b32_e32 v7, v13, v15, vcc
	v_mul_f32_e32 v13, 0x4f800000, v7
	v_cmp_gt_f32_e64 s[4:5], s10, v7
	s_and_b64 vcc, exec, s[2:3]
	s_nop 0
	v_cndmask_b32_e64 v7, v7, v13, s[4:5]
	v_sqrt_f32_e32 v13, v7
	s_nop 0
	v_add_u32_e32 v14, -1, v13
	v_add_u32_e32 v15, 1, v13
	v_fma_f32 v16, -v14, v13, v7
	v_fma_f32 v17, -v15, v13, v7
	v_cmp_ge_f32_e64 s[6:7], 0, v16
	s_nop 1
	v_cndmask_b32_e64 v13, v13, v14, s[6:7]
	v_cmp_lt_f32_e64 s[6:7], 0, v17
	s_nop 1
	v_cndmask_b32_e64 v13, v13, v15, s[6:7]
	v_mul_f32_e32 v14, 0x37800000, v13
	v_cndmask_b32_e64 v13, v13, v14, s[4:5]
	v_cmp_class_f32_e64 s[4:5], v7, v11
	s_nop 1
	v_cndmask_b32_e64 v7, v13, v7, s[4:5]
	s_cbranch_vccnz .LBB211_20
; %bb.19:
	global_load_dword v10, v10, s[22:23] offset:28
	s_waitcnt vmcnt(0)
	v_add_f32_e32 v7, v7, v10
.LBB211_20:
	s_load_dwordx4 s[24:27], s[0:1], 0x30
	s_mov_b32 s42, 0
	v_cmp_eq_u32_e64 s[6:7], 0, v9
	s_waitcnt lgkmcnt(0)
	s_bitcmp1_b32 s27, 0
	s_cselect_b64 s[4:5], -1, 0
	s_cmp_gt_i32 s24, 0
	s_cselect_b64 s[38:39], -1, 0
	s_and_b64 vcc, exec, s[38:39]
	s_cbranch_vccz .LBB211_47
; %bb.21:
	v_mbcnt_lo_u32_b32 v10, -1, 0
	v_mbcnt_hi_u32_b32 v10, -1, v10
	v_and_b32_e32 v11, 0x70, v10
	v_add_u32_e32 v11, 16, v11
	v_xor_b32_e32 v13, 8, v10
	v_cmp_lt_i32_e32 vcc, v13, v11
	s_load_dwordx4 s[28:31], s[0:1], 0x20
	v_mul_lo_u32 v14, v8, s24
	v_cndmask_b32_e32 v13, v10, v13, vcc
	v_lshlrev_b32_e32 v15, 2, v13
	v_xor_b32_e32 v13, 4, v10
	v_cmp_lt_i32_e32 vcc, v13, v11
	v_mov_b32_e32 v19, 0x80
	v_mov_b32_e32 v20, 0xc61c4000
	v_cndmask_b32_e32 v13, v10, v13, vcc
	v_lshlrev_b32_e32 v16, 2, v13
	v_xor_b32_e32 v13, 2, v10
	v_cmp_lt_i32_e32 vcc, v13, v11
	v_mov_b32_e32 v21, v8
	s_nop 0
	v_cndmask_b32_e32 v13, v10, v13, vcc
	v_lshlrev_b32_e32 v17, 2, v13
	v_xor_b32_e32 v13, 1, v10
	v_cmp_lt_i32_e32 vcc, v13, v11
	s_nop 1
	v_cndmask_b32_e32 v10, v10, v13, vcc
	v_lshlrev_b32_e32 v18, 2, v10
	v_mov_b32_e32 v13, 0
	s_branch .LBB211_24
.LBB211_22:                             ;   in Loop: Header=BB211_24 Depth=1
	s_or_b64 exec, exec, s[40:41]
.LBB211_23:                             ;   in Loop: Header=BB211_24 Depth=1
	s_cmp_eq_u32 s24, s42
	v_add_u32_e32 v21, s33, v21
	s_cbranch_scc1 .LBB211_48
.LBB211_24:                             ; =>This Inner Loop Header: Depth=1
	v_cmp_gt_f32_e32 vcc, v1, v0
	s_nop 1
	v_cndmask_b32_e32 v11, v0, v1, vcc
	v_cndmask_b32_e64 v10, 0, 1, vcc
	v_cmp_gt_f32_e32 vcc, v2, v11
	s_nop 1
	v_cndmask_b32_e32 v11, v11, v2, vcc
	v_cndmask_b32_e64 v10, v10, 2, vcc
	v_cmp_gt_f32_e32 vcc, v3, v11
	s_nop 1
	v_cndmask_b32_e32 v11, v11, v3, vcc
	v_cndmask_b32_e64 v10, v10, 3, vcc
	v_cmp_gt_f32_e32 vcc, v4, v11
	s_nop 1
	v_cndmask_b32_e32 v11, v11, v4, vcc
	v_cndmask_b32_e64 v10, v10, 4, vcc
	v_cmp_gt_f32_e32 vcc, v5, v11
	s_nop 1
	v_cndmask_b32_e32 v11, v11, v5, vcc
	v_cndmask_b32_e64 v10, v10, 5, vcc
	v_cmp_gt_f32_e32 vcc, v6, v11
	s_nop 1
	v_cndmask_b32_e32 v11, v11, v6, vcc
	v_cndmask_b32_e64 v10, v10, 6, vcc
	v_cmp_gt_f32_e32 vcc, v7, v11
	s_nop 1
	v_cndmask_b32_e64 v10, v10, 7, vcc
	v_cndmask_b32_e32 v22, v11, v7, vcc
	ds_bpermute_b32 v11, v15, v22
	v_or_b32_e32 v10, v12, v10
	s_waitcnt lgkmcnt(0)
	ds_bpermute_b32 v23, v15, v10
	s_waitcnt lgkmcnt(0)
	v_cmp_lt_f32_e64 s[8:9], v22, v11
	v_cmp_nlt_f32_e32 vcc, v22, v11
	s_and_saveexec_b64 s[10:11], vcc
; %bb.25:                               ;   in Loop: Header=BB211_24 Depth=1
	v_cmp_eq_f32_e32 vcc, v22, v11
	v_cmp_lt_i32_e64 s[0:1], v23, v10
	s_and_b64 s[0:1], vcc, s[0:1]
	s_andn2_b64 s[8:9], s[8:9], exec
	s_and_b64 s[0:1], s[0:1], exec
	s_or_b64 s[8:9], s[8:9], s[0:1]
; %bb.26:                               ;   in Loop: Header=BB211_24 Depth=1
	s_or_b64 exec, exec, s[10:11]
	s_and_saveexec_b64 s[0:1], s[8:9]
; %bb.27:                               ;   in Loop: Header=BB211_24 Depth=1
	v_mov_b32_e32 v22, v11
	v_mov_b32_e32 v10, v23
; %bb.28:                               ;   in Loop: Header=BB211_24 Depth=1
	s_or_b64 exec, exec, s[0:1]
	ds_bpermute_b32 v11, v16, v22
	ds_bpermute_b32 v23, v16, v10
	s_waitcnt lgkmcnt(1)
	v_cmp_lt_f32_e64 s[8:9], v22, v11
	v_cmp_nlt_f32_e32 vcc, v22, v11
	s_and_saveexec_b64 s[10:11], vcc
	s_cbranch_execz .LBB211_30
; %bb.29:                               ;   in Loop: Header=BB211_24 Depth=1
	v_cmp_eq_f32_e32 vcc, v22, v11
	s_waitcnt lgkmcnt(0)
	v_cmp_lt_i32_e64 s[0:1], v23, v10
	s_and_b64 s[0:1], vcc, s[0:1]
	s_andn2_b64 s[8:9], s[8:9], exec
	s_and_b64 s[0:1], s[0:1], exec
	s_or_b64 s[8:9], s[8:9], s[0:1]
.LBB211_30:                             ;   in Loop: Header=BB211_24 Depth=1
	s_or_b64 exec, exec, s[10:11]
	s_and_saveexec_b64 s[0:1], s[8:9]
	s_cbranch_execz .LBB211_32
; %bb.31:                               ;   in Loop: Header=BB211_24 Depth=1
	v_mov_b32_e32 v22, v11
	s_waitcnt lgkmcnt(0)
	v_mov_b32_e32 v10, v23
.LBB211_32:                             ;   in Loop: Header=BB211_24 Depth=1
	s_or_b64 exec, exec, s[0:1]
	ds_bpermute_b32 v11, v17, v22
	s_waitcnt lgkmcnt(1)
	ds_bpermute_b32 v23, v17, v10
	s_waitcnt lgkmcnt(1)
	v_cmp_lt_f32_e64 s[8:9], v22, v11
	v_cmp_nlt_f32_e32 vcc, v22, v11
	s_and_saveexec_b64 s[10:11], vcc
	s_cbranch_execz .LBB211_34
; %bb.33:                               ;   in Loop: Header=BB211_24 Depth=1
	v_cmp_eq_f32_e32 vcc, v22, v11
	s_waitcnt lgkmcnt(0)
	v_cmp_lt_i32_e64 s[0:1], v23, v10
	s_and_b64 s[0:1], vcc, s[0:1]
	s_andn2_b64 s[8:9], s[8:9], exec
	s_and_b64 s[0:1], s[0:1], exec
	s_or_b64 s[8:9], s[8:9], s[0:1]
.LBB211_34:                             ;   in Loop: Header=BB211_24 Depth=1
	s_or_b64 exec, exec, s[10:11]
	s_and_saveexec_b64 s[0:1], s[8:9]
	s_cbranch_execz .LBB211_36
; %bb.35:                               ;   in Loop: Header=BB211_24 Depth=1
	v_mov_b32_e32 v22, v11
	s_waitcnt lgkmcnt(0)
	v_mov_b32_e32 v10, v23
.LBB211_36:                             ;   in Loop: Header=BB211_24 Depth=1
	s_or_b64 exec, exec, s[0:1]
	ds_bpermute_b32 v11, v18, v22
	s_waitcnt lgkmcnt(1)
	ds_bpermute_b32 v23, v18, v10
	s_waitcnt lgkmcnt(1)
	v_cmp_lt_f32_e64 s[8:9], v22, v11
	v_cmp_nlt_f32_e32 vcc, v22, v11
	s_and_saveexec_b64 s[10:11], vcc
	s_cbranch_execnz .LBB211_40
; %bb.37:                               ;   in Loop: Header=BB211_24 Depth=1
	s_or_b64 exec, exec, s[10:11]
	s_and_saveexec_b64 s[0:1], s[8:9]
	s_cbranch_execnz .LBB211_41
.LBB211_38:                             ;   in Loop: Header=BB211_24 Depth=1
	s_or_b64 exec, exec, s[0:1]
	s_and_saveexec_b64 s[8:9], s[6:7]
	s_cbranch_execnz .LBB211_42
.LBB211_39:                             ;   in Loop: Header=BB211_24 Depth=1
	s_or_b64 exec, exec, s[8:9]
	s_add_i32 s42, s42, 1
	s_cmp_ge_i32 s42, s24
	s_cbranch_scc1 .LBB211_23
	s_branch .LBB211_45
.LBB211_40:                             ;   in Loop: Header=BB211_24 Depth=1
	v_cmp_eq_f32_e32 vcc, v22, v11
	s_waitcnt lgkmcnt(0)
	v_cmp_lt_i32_e64 s[0:1], v23, v10
	s_and_b64 s[0:1], vcc, s[0:1]
	s_andn2_b64 s[8:9], s[8:9], exec
	s_and_b64 s[0:1], s[0:1], exec
	s_or_b64 s[8:9], s[8:9], s[0:1]
	s_or_b64 exec, exec, s[10:11]
	s_and_saveexec_b64 s[0:1], s[8:9]
	s_cbranch_execz .LBB211_38
.LBB211_41:                             ;   in Loop: Header=BB211_24 Depth=1
	s_waitcnt lgkmcnt(0)
	v_mov_b32_e32 v10, v23
	v_mov_b32_e32 v22, v11
	s_or_b64 exec, exec, s[0:1]
	s_and_saveexec_b64 s[8:9], s[6:7]
	s_cbranch_execz .LBB211_39
.LBB211_42:                             ;   in Loop: Header=BB211_24 Depth=1
	s_and_b64 vcc, exec, s[2:3]
	s_cbranch_vccnz .LBB211_44
; %bb.43:                               ;   in Loop: Header=BB211_24 Depth=1
	v_ashrrev_i32_e32 v11, 31, v10
	v_lshl_add_u64 v[24:25], v[10:11], 2, s[22:23]
	global_load_dword v11, v[24:25], off
	s_waitcnt vmcnt(0)
	v_sub_f32_e32 v22, v22, v11
.LBB211_44:                             ;   in Loop: Header=BB211_24 Depth=1
	v_add_u32_e32 v24, s42, v14
	v_cmp_le_i32_e32 vcc, s25, v10
	v_cmp_gt_i32_e64 s[0:1], s26, v10
	v_ashrrev_i32_e32 v25, 31, v24
	s_and_b64 s[0:1], vcc, s[0:1]
	v_lshlrev_b64 v[24:25], 2, v[24:25]
	v_lshl_add_u64 v[26:27], s[34:35], 0, v[24:25]
	v_subrev_u32_e32 v11, s25, v10
	s_and_b64 vcc, s[36:37], s[0:1]
	global_store_dword v[26:27], v22, off
	v_cndmask_b32_e32 v11, v19, v11, vcc
	v_lshl_add_u64 v[26:27], s[28:29], 0, v[24:25]
	global_store_dword v[26:27], v11, off
	v_add_f32_e32 v11, v13, v22
	v_lshl_add_u64 v[24:25], s[30:31], 0, v[24:25]
	v_cndmask_b32_e64 v13, v13, v11, s[4:5]
	global_store_dword v[24:25], v21, off
	s_or_b64 exec, exec, s[8:9]
	s_add_i32 s42, s42, 1
	s_cmp_ge_i32 s42, s24
	s_cbranch_scc1 .LBB211_23
.LBB211_45:                             ;   in Loop: Header=BB211_24 Depth=1
	v_ashrrev_i32_e32 v22, 31, v10
	v_lshrrev_b32_e32 v11, 29, v22
	v_add_u32_e32 v11, v10, v11
	v_ashrrev_i32_e32 v11, 3, v11
	s_waitcnt lgkmcnt(0)
	v_lshrrev_b32_e32 v23, 28, v11
	v_add_u32_e32 v23, v11, v23
	v_and_b32_e32 v23, -16, v23
	v_sub_u32_e32 v23, v11, v23
	v_cmp_eq_u32_e32 vcc, v9, v23
	s_and_saveexec_b64 s[40:41], vcc
	s_cbranch_execz .LBB211_22
; %bb.46:                               ;   in Loop: Header=BB211_24 Depth=1
	v_lshrrev_b32_e32 v22, 25, v22
	v_add_u32_e32 v22, v10, v22
	v_lshlrev_b32_e32 v11, 3, v11
	v_sub_u32_e32 v10, v10, v11
	v_ashrrev_i32_e32 v11, 7, v22
	v_lshl_add_u32 v10, v11, 3, v10
	v_cmp_ne_u32_e32 vcc, 6, v10
	v_cmp_ne_u32_e64 s[0:1], 5, v10
	v_cmp_ne_u32_e64 s[8:9], 4, v10
	;; [unrolled: 1-line block ×7, first 2 shown]
	v_cndmask_b32_e32 v6, v20, v6, vcc
	v_cndmask_b32_e64 v5, v20, v5, s[0:1]
	v_cndmask_b32_e64 v7, v20, v7, s[18:19]
	;; [unrolled: 1-line block ×7, first 2 shown]
	s_branch .LBB211_22
.LBB211_47:
	v_mov_b32_e32 v13, 0
.LBB211_48:
	v_cmp_eq_u32_e32 vcc, 0, v9
	s_and_b64 exec, exec, vcc
	s_cbranch_execz .LBB211_61
; %bb.49:
	s_andn2_b64 vcc, exec, s[4:5]
	v_cvt_f32_f64_e32 v0, s[20:21]
	s_cbranch_vccnz .LBB211_51
; %bb.50:
	v_cmp_lt_f32_e32 vcc, 0, v13
	s_nop 1
	v_cndmask_b32_e32 v1, 1.0, v13, vcc
	v_div_scale_f32 v2, s[0:1], v1, v1, v0
	v_rcp_f32_e32 v3, v2
	s_nop 0
	v_fma_f32 v4, -v2, v3, 1.0
	v_fmac_f32_e32 v3, v4, v3
	v_div_scale_f32 v4, vcc, v0, v1, v0
	v_mul_f32_e32 v5, v4, v3
	v_fma_f32 v6, -v2, v5, v4
	v_fmac_f32_e32 v5, v6, v3
	v_fma_f32 v2, -v2, v5, v4
	v_div_fmas_f32 v2, v2, v3, v5
	v_div_fixup_f32 v0, v2, v1, v0
.LBB211_51:
	s_andn2_b64 vcc, exec, s[38:39]
	s_cbranch_vccnz .LBB211_61
; %bb.52:
	v_mul_lo_u32 v2, v8, s24
	s_cmp_gt_u32 s24, 3
	v_ashrrev_i32_e32 v3, 31, v2
	s_cbranch_scc0 .LBB211_56
; %bb.53:
	s_and_b32 s0, s24, 0x7ffffffc
	v_lshl_add_u64 v[4:5], v[2:3], 2, s[34:35]
	v_mov_b32_e32 v1, v0
	v_lshl_add_u64 v[4:5], v[4:5], 0, 8
	s_mov_b32 s1, s0
.LBB211_54:                             ; =>This Inner Loop Header: Depth=1
	global_load_dwordx4 v[6:9], v[4:5], off offset:-8
	s_add_i32 s1, s1, -4
	s_cmp_lg_u32 s1, 0
	s_waitcnt vmcnt(0)
	v_pk_mul_f32 v[6:7], v[0:1], v[6:7]
	v_pk_mul_f32 v[8:9], v[0:1], v[8:9]
	global_store_dwordx4 v[4:5], v[6:9], off offset:-8
	v_lshl_add_u64 v[4:5], v[4:5], 0, 16
	s_cbranch_scc1 .LBB211_54
; %bb.55:
	s_cmp_lg_u32 s0, s24
	s_cselect_b64 s[2:3], -1, 0
	s_branch .LBB211_58
.LBB211_56:
	s_mov_b64 s[2:3], 0
                                        ; implicit-def: $sgpr0
	s_cbranch_execz .LBB211_58
; %bb.57:
	s_mov_b64 s[2:3], -1
	s_mov_b32 s0, 0
.LBB211_58:
	s_andn2_b64 vcc, exec, s[2:3]
	s_cbranch_vccnz .LBB211_61
; %bb.59:
	s_mov_b32 s1, 0
	v_lshl_add_u64 v[2:3], v[2:3], 0, s[0:1]
	s_sub_i32 s2, s24, s0
	v_lshl_add_u64 v[2:3], v[2:3], 2, s[34:35]
.LBB211_60:                             ; =>This Inner Loop Header: Depth=1
	global_load_dword v1, v[2:3], off
	s_add_i32 s2, s2, -1
	s_cmp_lg_u32 s2, 0
	s_waitcnt vmcnt(0)
	v_mul_f32_e32 v1, v0, v1
	global_store_dword v[2:3], v1, off
	v_lshl_add_u64 v[2:3], v[2:3], 0, 4
	s_cbranch_scc1 .LBB211_60
.LBB211_61:
	s_endpgm
	.section	.rodata,"a",@progbits
	.p2align	6, 0x0
	.amdhsa_kernel _ZN4vllm3moe22topkGatingSoftplusSqrtILi8ELi128ELi4ELi16ELi32ELb0Ei6__halfEEvPKT6_PKbPfiPT5_PiiiibdPKfPKS9_SF_
		.amdhsa_group_segment_fixed_size 0
		.amdhsa_private_segment_fixed_size 0
		.amdhsa_kernarg_size 96
		.amdhsa_user_sgpr_count 2
		.amdhsa_user_sgpr_dispatch_ptr 0
		.amdhsa_user_sgpr_queue_ptr 0
		.amdhsa_user_sgpr_kernarg_segment_ptr 1
		.amdhsa_user_sgpr_dispatch_id 0
		.amdhsa_user_sgpr_kernarg_preload_length 0
		.amdhsa_user_sgpr_kernarg_preload_offset 0
		.amdhsa_user_sgpr_private_segment_size 0
		.amdhsa_uses_dynamic_stack 0
		.amdhsa_enable_private_segment 0
		.amdhsa_system_sgpr_workgroup_id_x 1
		.amdhsa_system_sgpr_workgroup_id_y 0
		.amdhsa_system_sgpr_workgroup_id_z 0
		.amdhsa_system_sgpr_workgroup_info 0
		.amdhsa_system_vgpr_workitem_id 1
		.amdhsa_next_free_vgpr 28
		.amdhsa_next_free_sgpr 43
		.amdhsa_accum_offset 28
		.amdhsa_reserve_vcc 1
		.amdhsa_float_round_mode_32 0
		.amdhsa_float_round_mode_16_64 0
		.amdhsa_float_denorm_mode_32 3
		.amdhsa_float_denorm_mode_16_64 3
		.amdhsa_dx10_clamp 1
		.amdhsa_ieee_mode 1
		.amdhsa_fp16_overflow 0
		.amdhsa_tg_split 0
		.amdhsa_exception_fp_ieee_invalid_op 0
		.amdhsa_exception_fp_denorm_src 0
		.amdhsa_exception_fp_ieee_div_zero 0
		.amdhsa_exception_fp_ieee_overflow 0
		.amdhsa_exception_fp_ieee_underflow 0
		.amdhsa_exception_fp_ieee_inexact 0
		.amdhsa_exception_int_div_zero 0
	.end_amdhsa_kernel
	.section	.text._ZN4vllm3moe22topkGatingSoftplusSqrtILi8ELi128ELi4ELi16ELi32ELb0Ei6__halfEEvPKT6_PKbPfiPT5_PiiiibdPKfPKS9_SF_,"axG",@progbits,_ZN4vllm3moe22topkGatingSoftplusSqrtILi8ELi128ELi4ELi16ELi32ELb0Ei6__halfEEvPKT6_PKbPfiPT5_PiiiibdPKfPKS9_SF_,comdat
.Lfunc_end211:
	.size	_ZN4vllm3moe22topkGatingSoftplusSqrtILi8ELi128ELi4ELi16ELi32ELb0Ei6__halfEEvPKT6_PKbPfiPT5_PiiiibdPKfPKS9_SF_, .Lfunc_end211-_ZN4vllm3moe22topkGatingSoftplusSqrtILi8ELi128ELi4ELi16ELi32ELb0Ei6__halfEEvPKT6_PKbPfiPT5_PiiiibdPKfPKS9_SF_
                                        ; -- End function
	.section	.AMDGPU.csdata,"",@progbits
; Kernel info:
; codeLenInByte = 4068
; NumSgprs: 49
; NumVgprs: 28
; NumAgprs: 0
; TotalNumVgprs: 28
; ScratchSize: 0
; MemoryBound: 0
; FloatMode: 240
; IeeeMode: 1
; LDSByteSize: 0 bytes/workgroup (compile time only)
; SGPRBlocks: 6
; VGPRBlocks: 3
; NumSGPRsForWavesPerEU: 49
; NumVGPRsForWavesPerEU: 28
; AccumOffset: 28
; Occupancy: 8
; WaveLimiterHint : 0
; COMPUTE_PGM_RSRC2:SCRATCH_EN: 0
; COMPUTE_PGM_RSRC2:USER_SGPR: 2
; COMPUTE_PGM_RSRC2:TRAP_HANDLER: 0
; COMPUTE_PGM_RSRC2:TGID_X_EN: 1
; COMPUTE_PGM_RSRC2:TGID_Y_EN: 0
; COMPUTE_PGM_RSRC2:TGID_Z_EN: 0
; COMPUTE_PGM_RSRC2:TIDIG_COMP_CNT: 1
; COMPUTE_PGM_RSRC3_GFX90A:ACCUM_OFFSET: 6
; COMPUTE_PGM_RSRC3_GFX90A:TG_SPLIT: 0
	.section	.text._ZN4vllm3moe22topkGatingSoftplusSqrtILi8ELi256ELi4ELi16ELi64ELb1Ei6__halfEEvPKT6_PKbPfiPT5_PiiiibdPKfPKS9_SF_,"axG",@progbits,_ZN4vllm3moe22topkGatingSoftplusSqrtILi8ELi256ELi4ELi16ELi64ELb1Ei6__halfEEvPKT6_PKbPfiPT5_PiiiibdPKfPKS9_SF_,comdat
	.protected	_ZN4vllm3moe22topkGatingSoftplusSqrtILi8ELi256ELi4ELi16ELi64ELb1Ei6__halfEEvPKT6_PKbPfiPT5_PiiiibdPKfPKS9_SF_ ; -- Begin function _ZN4vllm3moe22topkGatingSoftplusSqrtILi8ELi256ELi4ELi16ELi64ELb1Ei6__halfEEvPKT6_PKbPfiPT5_PiiiibdPKfPKS9_SF_
	.globl	_ZN4vllm3moe22topkGatingSoftplusSqrtILi8ELi256ELi4ELi16ELi64ELb1Ei6__halfEEvPKT6_PKbPfiPT5_PiiiibdPKfPKS9_SF_
	.p2align	8
	.type	_ZN4vllm3moe22topkGatingSoftplusSqrtILi8ELi256ELi4ELi16ELi64ELb1Ei6__halfEEvPKT6_PKbPfiPT5_PiiiibdPKfPKS9_SF_,@function
_ZN4vllm3moe22topkGatingSoftplusSqrtILi8ELi256ELi4ELi16ELi64ELb1Ei6__halfEEvPKT6_PKbPfiPT5_PiiiibdPKfPKS9_SF_: ; @_ZN4vllm3moe22topkGatingSoftplusSqrtILi8ELi256ELi4ELi16ELi64ELb1Ei6__halfEEvPKT6_PKbPfiPT5_PiiiibdPKfPKS9_SF_
; %bb.0:
	s_load_dword s3, s[0:1], 0x18
	v_bfe_u32 v1, v0, 10, 10
	v_and_b32_e32 v11, 0x3ff, v0
	s_lshl_b32 s2, s2, 3
	v_lshlrev_b32_e32 v1, 1, v1
	v_lshrrev_b32_e32 v0, 5, v11
	v_add3_u32 v6, s2, v1, v0
	s_waitcnt lgkmcnt(0)
	v_cmp_gt_i32_e32 vcc, s3, v6
	s_and_saveexec_b64 s[2:3], vcc
	s_cbranch_execz .LBB212_31
; %bb.1:
	s_load_dwordx2 s[2:3], s[0:1], 0x0
	s_load_dword s33, s[0:1], 0x30
	v_lshlrev_b32_e32 v0, 8, v6
	v_lshlrev_b32_e32 v2, 3, v11
	v_ashrrev_i32_e32 v1, 31, v0
	v_and_b32_e32 v10, 0xf8, v2
	s_waitcnt lgkmcnt(0)
	v_lshl_add_u64 v[0:1], v[0:1], 1, s[2:3]
	v_lshlrev_b32_e32 v4, 1, v10
	v_mov_b32_e32 v5, 0
	v_lshl_add_u64 v[0:1], v[0:1], 0, v[4:5]
	global_load_dwordx4 v[0:3], v[0:1], off
	s_load_dwordx4 s[8:11], s[0:1], 0x50
	v_ashrrev_i32_e32 v7, 31, v6
	s_mov_b32 s15, 0x800000
	s_mov_b32 s13, 0x3f317217
	;; [unrolled: 1-line block ×3, first 2 shown]
	s_waitcnt lgkmcnt(0)
	v_mov_b32_e32 v8, s8
	v_mov_b32_e32 v9, s9
	v_lshl_add_u64 v[8:9], v[6:7], 2, v[8:9]
	global_load_dword v4, v[8:9], off
	v_mov_b32_e32 v7, 0x4f800000
	v_mov_b32_e32 v16, 0x41b17218
	s_movk_i32 s9, 0x4d00
	s_mov_b32 s12, 0xf800000
	v_mov_b32_e32 v17, 0x260
	s_cmp_gt_i32 s33, 0
	s_mov_b32 s8, 0
	s_waitcnt vmcnt(1)
	v_cvt_f32_f16_e32 v18, v0
	v_cvt_f32_f16_sdwa v19, v0 dst_sel:DWORD dst_unused:UNUSED_PAD src0_sel:WORD_1
	v_cvt_f32_f16_e32 v20, v1
	v_cvt_f32_f16_sdwa v21, v1 dst_sel:DWORD dst_unused:UNUSED_PAD src0_sel:WORD_1
	v_mul_f32_e32 v8, 0x3fb8aa3b, v18
	v_mul_f32_e32 v9, 0x3fb8aa3b, v19
	v_exp_f32_e32 v12, v8
	v_exp_f32_e32 v13, v9
	v_mul_f32_e32 v14, 0x3fb8aa3b, v20
	v_mul_f32_e32 v15, 0x3fb8aa3b, v21
	v_exp_f32_e32 v14, v14
	v_exp_f32_e32 v15, v15
	v_pk_add_f32 v[12:13], v[12:13], 1.0 op_sel_hi:[1,0]
	s_waitcnt vmcnt(0)
	v_mul_lo_u32 v8, v4, s33
	v_cmp_gt_f32_e32 vcc, s15, v13
	v_pk_add_f32 v[14:15], v[14:15], 1.0 op_sel_hi:[1,0]
	v_cmp_gt_f32_e64 s[2:3], s15, v12
	v_cndmask_b32_e32 v4, 1.0, v7, vcc
	v_cmp_gt_f32_e64 s[4:5], s15, v15
	v_cndmask_b32_e64 v22, 1.0, v7, s[2:3]
	v_mul_f32_e32 v4, v13, v4
	v_cndmask_b32_e64 v23, 1.0, v7, s[4:5]
	v_mul_f32_e32 v12, v12, v22
	v_log_f32_e32 v4, v4
	v_mul_f32_e32 v15, v15, v23
	v_log_f32_e32 v12, v12
	v_cmp_gt_f32_e64 s[6:7], s15, v14
	v_log_f32_e32 v15, v15
	v_cndmask_b32_e32 v13, 0, v16, vcc
	v_cndmask_b32_e64 v24, 1.0, v7, s[6:7]
	v_mul_f32_e32 v14, v14, v24
	v_mul_f32_e32 v24, 0x3f317217, v4
	;; [unrolled: 1-line block ×3, first 2 shown]
	v_fma_f32 v24, v4, s13, -v24
	v_mul_f32_e32 v26, 0x3f317217, v15
	v_fma_f32 v25, v12, s13, -v25
	v_fmac_f32_e32 v24, 0x3377d1cf, v4
	v_fma_f32 v26, v15, s13, -v26
	v_fmac_f32_e32 v25, 0x3377d1cf, v12
	v_fmac_f32_e32 v24, 0x3f317217, v4
	v_cmp_lt_f32_e64 vcc, |v4|, s14
	v_fmac_f32_e32 v26, 0x3377d1cf, v15
	v_fmac_f32_e32 v25, 0x3f317217, v12
	v_cndmask_b32_e32 v4, v4, v24, vcc
	v_cmp_lt_f32_e64 vcc, |v12|, s14
	v_cndmask_b32_e64 v22, 0, v16, s[2:3]
	v_fmac_f32_e32 v26, 0x3f317217, v15
	v_cndmask_b32_e32 v12, v12, v25, vcc
	v_cmp_lt_f32_e64 vcc, |v15|, s14
	v_sub_f32_e32 v12, v12, v22
	v_sub_f32_e32 v4, v4, v13
	v_cndmask_b32_e32 v15, v15, v26, vcc
	v_cmp_lt_f16_e32 vcc, s9, v0
	v_cndmask_b32_e64 v23, 0, v16, s[4:5]
	v_log_f32_e32 v14, v14
	v_cndmask_b32_e32 v12, v12, v18, vcc
	v_cmp_gt_f16_sdwa vcc, v0, s9 src0_sel:WORD_1 src1_sel:DWORD
	v_mul_f32_e32 v13, 0x4f800000, v12
	v_cmp_gt_f32_e64 s[2:3], s12, v12
	v_cndmask_b32_e32 v0, v4, v19, vcc
	v_mul_f32_e32 v4, 0x4f800000, v0
	v_cmp_gt_f32_e32 vcc, s12, v0
	v_cndmask_b32_e64 v12, v12, v13, s[2:3]
	v_sqrt_f32_e32 v13, v12
	v_cndmask_b32_e32 v0, v0, v4, vcc
	v_sqrt_f32_e32 v4, v0
	v_sub_f32_e32 v15, v15, v23
	v_add_u32_e32 v22, -1, v13
	v_fma_f32 v26, -v22, v13, v12
	v_add_u32_e32 v18, -1, v4
	v_fma_f32 v24, -v18, v4, v0
	v_add_u32_e32 v19, 1, v4
	v_cmp_ge_f32_e64 s[4:5], 0, v24
	v_add_u32_e32 v23, 1, v13
	v_fma_f32 v25, -v19, v4, v0
	v_cndmask_b32_e64 v4, v4, v18, s[4:5]
	v_cmp_ge_f32_e64 s[4:5], 0, v26
	v_fma_f32 v28, -v23, v13, v12
	v_mul_f32_e32 v27, 0x3f317217, v14
	v_cndmask_b32_e64 v13, v13, v22, s[4:5]
	v_cmp_lt_f32_e64 s[4:5], 0, v25
	v_fma_f32 v27, v14, s13, -v27
	v_fmac_f32_e32 v27, 0x3377d1cf, v14
	v_cndmask_b32_e64 v4, v4, v19, s[4:5]
	v_cmp_lt_f32_e64 s[4:5], 0, v28
	v_mul_f32_e32 v18, 0x37800000, v4
	v_cndmask_b32_e32 v4, v4, v18, vcc
	v_cndmask_b32_e64 v13, v13, v23, s[4:5]
	v_mul_f32_e32 v19, 0x37800000, v13
	v_cmp_class_f32_e32 vcc, v0, v17
	v_cndmask_b32_e64 v18, v13, v19, s[2:3]
	v_fmac_f32_e32 v27, 0x3f317217, v14
	v_cndmask_b32_e32 v13, v4, v0, vcc
	v_cmp_class_f32_e32 vcc, v12, v17
	v_cndmask_b32_e64 v4, 0, v16, s[6:7]
	v_cmp_lt_f16_e64 s[2:3], s9, v1
	v_cndmask_b32_e32 v12, v18, v12, vcc
	v_cmp_lt_f32_e64 vcc, |v14|, s14
	v_cvt_f32_f16_e32 v19, v2
	v_ashrrev_i32_e32 v9, 31, v8
	v_cndmask_b32_e32 v0, v14, v27, vcc
	v_cmp_gt_f16_sdwa vcc, v1, s9 src0_sel:WORD_1 src1_sel:DWORD
	v_sub_f32_e32 v0, v0, v4
	v_cndmask_b32_e64 v0, v0, v20, s[2:3]
	v_cndmask_b32_e32 v14, v15, v21, vcc
	v_mul_f32_e32 v15, 0x4f800000, v14
	v_cmp_gt_f32_e32 vcc, s12, v14
	v_cvt_f32_f16_sdwa v20, v2 dst_sel:DWORD dst_unused:UNUSED_PAD src0_sel:WORD_1
	s_nop 0
	v_cndmask_b32_e32 v14, v14, v15, vcc
	v_sqrt_f32_e32 v15, v14
	s_nop 0
	v_add_u32_e32 v1, -1, v15
	v_fma_f32 v4, -v1, v15, v14
	v_cmp_ge_f32_e64 s[2:3], 0, v4
	v_add_u32_e32 v4, 1, v15
	s_nop 0
	v_cndmask_b32_e64 v1, v15, v1, s[2:3]
	v_fma_f32 v15, -v4, v15, v14
	v_cmp_lt_f32_e64 s[2:3], 0, v15
	v_mul_f32_e32 v15, 0x4f800000, v0
	s_nop 0
	v_cndmask_b32_e64 v1, v1, v4, s[2:3]
	v_cmp_gt_f32_e64 s[2:3], s12, v0
	v_mul_f32_e32 v4, 0x37800000, v1
	v_cndmask_b32_e32 v1, v1, v4, vcc
	v_cndmask_b32_e64 v18, v0, v15, s[2:3]
	v_sqrt_f32_e32 v0, v18
	v_cmp_class_f32_e32 vcc, v14, v17
	s_nop 1
	v_cndmask_b32_e32 v15, v1, v14, vcc
	v_add_u32_e32 v1, -1, v0
	v_fma_f32 v4, -v1, v0, v18
	v_cmp_ge_f32_e32 vcc, 0, v4
	v_add_u32_e32 v14, 1, v0
	v_fma_f32 v21, -v14, v0, v18
	v_cndmask_b32_e32 v4, v0, v1, vcc
	v_mul_f32_e32 v0, 0x3fb8aa3b, v19
	v_mul_f32_e32 v1, 0x3fb8aa3b, v20
	v_exp_f32_e32 v0, v0
	v_exp_f32_e32 v1, v1
	v_cmp_lt_f32_e32 vcc, 0, v21
	v_pk_add_f32 v[0:1], v[0:1], 1.0 op_sel_hi:[1,0]
	s_nop 0
	v_cndmask_b32_e32 v4, v4, v14, vcc
	v_mul_f32_e32 v14, 0x37800000, v4
	v_cmp_gt_f32_e32 vcc, s15, v1
	v_cndmask_b32_e64 v4, v4, v14, s[2:3]
	v_cmp_class_f32_e64 s[2:3], v18, v17
	v_cndmask_b32_e32 v14, 1.0, v7, vcc
	v_mul_f32_e32 v1, v1, v14
	v_log_f32_e32 v1, v1
	v_cndmask_b32_e64 v14, v4, v18, s[2:3]
	v_cmp_gt_f32_e64 s[2:3], s15, v0
	scratch_store_dwordx4 off, v[12:15], off
	v_mul_f32_e32 v4, 0x3f317217, v1
	v_fma_f32 v4, v1, s13, -v4
	v_cndmask_b32_e64 v12, 1.0, v7, s[2:3]
	v_mul_f32_e32 v0, v0, v12
	v_log_f32_e32 v0, v0
	v_fmac_f32_e32 v4, 0x3377d1cf, v1
	v_fmac_f32_e32 v4, 0x3f317217, v1
	v_cmp_lt_f32_e64 s[4:5], |v1|, s14
	v_cvt_f32_f16_sdwa v15, v3 dst_sel:DWORD dst_unused:UNUSED_PAD src0_sel:WORD_1
	v_mul_f32_e32 v13, 0x3fb8aa3b, v15
	v_cndmask_b32_e64 v1, v1, v4, s[4:5]
	v_cndmask_b32_e32 v4, 0, v16, vcc
	v_sub_f32_e32 v1, v1, v4
	v_mul_f32_e32 v4, 0x3f317217, v0
	v_fma_f32 v4, v0, s13, -v4
	v_fmac_f32_e32 v4, 0x3377d1cf, v0
	v_fmac_f32_e32 v4, 0x3f317217, v0
	v_cmp_lt_f32_e64 vcc, |v0|, s14
	v_exp_f32_e32 v13, v13
	s_nop 0
	v_cndmask_b32_e32 v0, v0, v4, vcc
	v_cmp_gt_f16_sdwa vcc, v2, s9 src0_sel:WORD_1 src1_sel:DWORD
	v_cndmask_b32_e64 v4, 0, v16, s[2:3]
	v_cmp_lt_f16_e64 s[2:3], s9, v2
	v_cndmask_b32_e32 v1, v1, v20, vcc
	v_mul_f32_e32 v12, 0x4f800000, v1
	v_cmp_gt_f32_e32 vcc, s12, v1
	v_sub_f32_e32 v0, v0, v4
	v_cndmask_b32_e64 v0, v0, v19, s[2:3]
	v_cndmask_b32_e32 v1, v1, v12, vcc
	v_sqrt_f32_e32 v12, v1
	s_nop 0
	v_add_u32_e32 v2, -1, v12
	v_fma_f32 v4, -v2, v12, v1
	v_cmp_ge_f32_e64 s[2:3], 0, v4
	v_add_u32_e32 v4, 1, v12
	s_nop 0
	v_cndmask_b32_e64 v2, v12, v2, s[2:3]
	v_fma_f32 v12, -v4, v12, v1
	v_cmp_lt_f32_e64 s[2:3], 0, v12
	v_mul_f32_e32 v12, 0x4f800000, v0
	s_nop 0
	v_cndmask_b32_e64 v2, v2, v4, s[2:3]
	v_cmp_gt_f32_e64 s[2:3], s12, v0
	v_mul_f32_e32 v4, 0x37800000, v2
	v_cndmask_b32_e32 v2, v2, v4, vcc
	v_cndmask_b32_e64 v0, v0, v12, s[2:3]
	v_sqrt_f32_e32 v12, v0
	v_cmp_class_f32_e32 vcc, v1, v17
	v_add_u32_e32 v14, 1, v12
	s_nop 0
	v_cndmask_b32_e32 v1, v2, v1, vcc
	v_add_u32_e32 v2, -1, v12
	v_fma_f32 v4, -v2, v12, v0
	v_cmp_ge_f32_e32 vcc, 0, v4
	v_cvt_f32_f16_e32 v4, v3
	v_fma_f32 v18, -v14, v12, v0
	v_cndmask_b32_e32 v2, v12, v2, vcc
	v_cmp_lt_f32_e32 vcc, 0, v18
	v_mul_f32_e32 v12, 0x3fb8aa3b, v4
	v_exp_f32_e32 v12, v12
	v_cndmask_b32_e32 v2, v2, v14, vcc
	v_mul_f32_e32 v14, 0x37800000, v2
	v_cndmask_b32_e64 v2, v2, v14, s[2:3]
	v_pk_add_f32 v[12:13], v[12:13], 1.0 op_sel_hi:[1,0]
	v_cmp_class_f32_e64 s[2:3], v0, v17
	v_cmp_gt_f32_e32 vcc, s15, v13
	s_nop 0
	v_cndmask_b32_e64 v0, v2, v0, s[2:3]
	v_cndmask_b32_e32 v18, 1.0, v7, vcc
	v_mul_f32_e32 v13, v13, v18
	v_log_f32_e32 v13, v13
	v_cmp_gt_f32_e64 s[2:3], s15, v12
	v_mul_f32_e32 v2, 0x3f317217, v13
	s_nop 0
	v_cndmask_b32_e64 v7, 1.0, v7, s[2:3]
	v_mul_f32_e32 v7, v12, v7
	v_fma_f32 v2, v13, s13, -v2
	v_log_f32_e32 v7, v7
	v_fmac_f32_e32 v2, 0x3377d1cf, v13
	v_fmac_f32_e32 v2, 0x3f317217, v13
	v_cmp_lt_f32_e64 s[4:5], |v13|, s14
	v_cndmask_b32_e32 v12, 0, v16, vcc
	v_cmp_lt_f32_e64 vcc, |v7|, s14
	v_cndmask_b32_e64 v2, v13, v2, s[4:5]
	v_sub_f32_e32 v2, v2, v12
	v_mul_f32_e32 v12, 0x3f317217, v7
	v_fma_f32 v12, v7, s13, -v12
	v_fmac_f32_e32 v12, 0x3377d1cf, v7
	v_fmac_f32_e32 v12, 0x3f317217, v7
	v_cndmask_b32_e32 v7, v7, v12, vcc
	v_cmp_gt_f16_sdwa vcc, v3, s9 src0_sel:WORD_1 src1_sel:DWORD
	v_cndmask_b32_e64 v12, 0, v16, s[2:3]
	v_sub_f32_e32 v7, v7, v12
	v_cndmask_b32_e32 v2, v2, v15, vcc
	v_mul_f32_e32 v13, 0x4f800000, v2
	v_cmp_gt_f32_e32 vcc, s12, v2
	v_cmp_lt_f16_e64 s[2:3], s9, v3
	s_cselect_b64 s[4:5], -1, 0
	v_cndmask_b32_e32 v2, v2, v13, vcc
	v_sqrt_f32_e32 v13, v2
	v_cndmask_b32_e64 v3, v7, v4, s[2:3]
	s_cmp_lt_i32 s33, 1
	v_add_u32_e32 v4, -1, v13
	v_fma_f32 v7, -v4, v13, v2
	v_cmp_ge_f32_e64 s[2:3], 0, v7
	v_add_u32_e32 v7, 1, v13
	v_fma_f32 v12, -v7, v13, v2
	v_cndmask_b32_e64 v4, v13, v4, s[2:3]
	v_cmp_lt_f32_e64 s[2:3], 0, v12
	v_mul_f32_e32 v12, 0x4f800000, v3
	s_nop 0
	v_cndmask_b32_e64 v4, v4, v7, s[2:3]
	v_cmp_gt_f32_e64 s[2:3], s12, v3
	v_mul_f32_e32 v7, 0x37800000, v4
	s_nop 0
	v_cndmask_b32_e64 v12, v3, v12, s[2:3]
	v_sqrt_f32_e32 v13, v12
	v_cndmask_b32_e32 v3, v4, v7, vcc
	v_cmp_class_f32_e32 vcc, v2, v17
	s_nop 1
	v_cndmask_b32_e32 v3, v3, v2, vcc
	v_add_u32_e32 v2, -1, v13
	v_fma_f32 v4, -v2, v13, v12
	v_cmp_ge_f32_e32 vcc, 0, v4
	v_add_u32_e32 v4, 1, v13
	v_fma_f32 v7, -v4, v13, v12
	v_cndmask_b32_e32 v2, v13, v2, vcc
	v_cmp_lt_f32_e32 vcc, 0, v7
	s_nop 1
	v_cndmask_b32_e32 v2, v2, v4, vcc
	v_mul_f32_e32 v4, 0x37800000, v2
	v_cndmask_b32_e64 v2, v2, v4, s[2:3]
	v_cmp_class_f32_e32 vcc, v12, v17
	s_nop 1
	v_cndmask_b32_e32 v2, v2, v12, vcc
	scratch_store_dwordx4 off, v[0:3], off offset:16
	s_nop 1
	v_lshl_add_u64 v[2:3], v[8:9], 2, s[10:11]
	v_mul_lo_u32 v0, v6, s33
	s_cbranch_scc1 .LBB212_28
; %bb.2:
	s_load_dwordx2 s[6:7], s[0:1], 0x20
	s_cmp_lt_u32 s33, 4
	v_and_b32_e32 v4, 31, v11
	s_cbranch_scc1 .LBB212_21
; %bb.3:
	v_lshlrev_b32_e32 v5, 3, v4
	s_mov_b32 s11, 0
	s_and_b32 s8, s33, 0x7ffffffc
	v_ashrrev_i32_e32 v1, 31, v0
	v_sub_u32_e32 v11, 0, v5
	v_mov_b32_e32 v5, 0
	s_mov_b32 s10, s11
	s_branch .LBB212_5
.LBB212_4:                              ;   in Loop: Header=BB212_5 Depth=1
	s_or_b64 exec, exec, s[12:13]
	s_add_i32 s10, s10, 4
	s_cmp_eq_u32 s10, s8
	s_cbranch_scc1 .LBB212_21
.LBB212_5:                              ; =>This Loop Header: Depth=1
                                        ;     Child Loop BB212_7 Depth 2
                                        ;     Child Loop BB212_11 Depth 2
	;; [unrolled: 1-line block ×4, first 2 shown]
	v_lshl_add_u64 v[6:7], s[10:11], 2, v[2:3]
	global_load_dword v12, v[6:7], off
	v_add_u32_e32 v8, s10, v0
	v_ashrrev_i32_e32 v9, 31, v8
	v_mov_b32_e32 v13, 0
	s_mov_b64 s[12:13], 0
	s_waitcnt lgkmcnt(0)
	v_lshl_add_u64 v[8:9], v[8:9], 2, s[6:7]
	s_mov_b32 s9, 0
	s_waitcnt vmcnt(0)
	v_add_u32_e32 v14, v11, v12
	s_branch .LBB212_7
.LBB212_6:                              ;   in Loop: Header=BB212_7 Depth=2
	s_or_b64 exec, exec, s[14:15]
	s_add_i32 s16, s9, 1
	s_cmp_gt_u32 s9, 6
	s_cselect_b64 s[2:3], -1, 0
	s_xor_b64 s[14:15], vcc, -1
	s_or_b64 s[2:3], s[14:15], s[2:3]
	s_and_b64 s[2:3], exec, s[2:3]
	v_add_u32_e32 v13, 4, v13
	s_or_b64 s[12:13], s[2:3], s[12:13]
	s_mov_b32 s9, s16
	s_andn2_b64 exec, exec, s[12:13]
	s_cbranch_execz .LBB212_9
.LBB212_7:                              ;   Parent Loop BB212_5 Depth=1
                                        ; =>  This Inner Loop Header: Depth=2
	v_cmp_ne_u32_e32 vcc, s9, v14
	v_cmp_eq_u32_e64 s[2:3], s9, v14
	s_and_saveexec_b64 s[14:15], s[2:3]
	s_cbranch_execz .LBB212_6
; %bb.8:                                ;   in Loop: Header=BB212_7 Depth=2
	scratch_load_dword v15, v13, off
	s_waitcnt vmcnt(0)
	v_add_f32_e32 v5, v5, v15
	global_store_dword v[8:9], v12, off
	s_branch .LBB212_6
.LBB212_9:                              ;   in Loop: Header=BB212_5 Depth=1
	s_or_b64 exec, exec, s[12:13]
	global_load_dword v12, v[6:7], off offset:4
	s_ashr_i32 s3, s10, 31
	s_mov_b32 s2, s10
	v_lshl_add_u64 v[8:9], s[2:3], 0, v[0:1]
	v_mov_b32_e32 v13, 0
	s_mov_b32 s9, 0
	v_lshl_add_u64 v[8:9], v[8:9], 2, s[6:7]
	s_mov_b64 s[12:13], 0
	s_waitcnt vmcnt(0)
	v_add_u32_e32 v14, v11, v12
	s_branch .LBB212_11
.LBB212_10:                             ;   in Loop: Header=BB212_11 Depth=2
	s_or_b64 exec, exec, s[14:15]
	s_add_i32 s16, s9, 1
	s_cmp_gt_u32 s9, 6
	s_cselect_b64 s[2:3], -1, 0
	s_xor_b64 s[14:15], vcc, -1
	s_or_b64 s[2:3], s[14:15], s[2:3]
	s_and_b64 s[2:3], exec, s[2:3]
	v_add_u32_e32 v13, 4, v13
	s_or_b64 s[12:13], s[2:3], s[12:13]
	s_mov_b32 s9, s16
	s_andn2_b64 exec, exec, s[12:13]
	s_cbranch_execz .LBB212_13
.LBB212_11:                             ;   Parent Loop BB212_5 Depth=1
                                        ; =>  This Inner Loop Header: Depth=2
	v_cmp_ne_u32_e32 vcc, s9, v14
	v_cmp_eq_u32_e64 s[2:3], s9, v14
	s_and_saveexec_b64 s[14:15], s[2:3]
	s_cbranch_execz .LBB212_10
; %bb.12:                               ;   in Loop: Header=BB212_11 Depth=2
	scratch_load_dword v15, v13, off
	s_waitcnt vmcnt(0)
	v_add_f32_e32 v5, v5, v15
	global_store_dword v[8:9], v12, off offset:4
	s_branch .LBB212_10
.LBB212_13:                             ;   in Loop: Header=BB212_5 Depth=1
	s_or_b64 exec, exec, s[12:13]
	global_load_dword v12, v[6:7], off offset:8
	v_mov_b32_e32 v13, 0
	s_mov_b32 s9, 0
	s_mov_b64 s[12:13], 0
	s_waitcnt vmcnt(0)
	v_add_u32_e32 v14, v11, v12
	s_branch .LBB212_15
.LBB212_14:                             ;   in Loop: Header=BB212_15 Depth=2
	s_or_b64 exec, exec, s[14:15]
	s_add_i32 s16, s9, 1
	s_cmp_gt_u32 s9, 6
	s_cselect_b64 s[2:3], -1, 0
	s_xor_b64 s[14:15], vcc, -1
	s_or_b64 s[2:3], s[14:15], s[2:3]
	s_and_b64 s[2:3], exec, s[2:3]
	v_add_u32_e32 v13, 4, v13
	s_or_b64 s[12:13], s[2:3], s[12:13]
	s_mov_b32 s9, s16
	s_andn2_b64 exec, exec, s[12:13]
	s_cbranch_execz .LBB212_17
.LBB212_15:                             ;   Parent Loop BB212_5 Depth=1
                                        ; =>  This Inner Loop Header: Depth=2
	v_cmp_ne_u32_e32 vcc, s9, v14
	v_cmp_eq_u32_e64 s[2:3], s9, v14
	s_and_saveexec_b64 s[14:15], s[2:3]
	s_cbranch_execz .LBB212_14
; %bb.16:                               ;   in Loop: Header=BB212_15 Depth=2
	scratch_load_dword v15, v13, off
	s_waitcnt vmcnt(0)
	v_add_f32_e32 v5, v5, v15
	global_store_dword v[8:9], v12, off offset:8
	s_branch .LBB212_14
.LBB212_17:                             ;   in Loop: Header=BB212_5 Depth=1
	s_or_b64 exec, exec, s[12:13]
	global_load_dword v6, v[6:7], off offset:12
	v_mov_b32_e32 v7, 0
	s_mov_b32 s9, 0
	s_mov_b64 s[12:13], 0
	s_waitcnt vmcnt(0)
	v_add_u32_e32 v12, v11, v6
	s_branch .LBB212_19
.LBB212_18:                             ;   in Loop: Header=BB212_19 Depth=2
	s_or_b64 exec, exec, s[14:15]
	s_add_i32 s16, s9, 1
	s_cmp_gt_u32 s9, 6
	s_cselect_b64 s[2:3], -1, 0
	s_xor_b64 s[14:15], vcc, -1
	s_or_b64 s[2:3], s[14:15], s[2:3]
	s_and_b64 s[2:3], exec, s[2:3]
	v_add_u32_e32 v7, 4, v7
	s_or_b64 s[12:13], s[2:3], s[12:13]
	s_mov_b32 s9, s16
	s_andn2_b64 exec, exec, s[12:13]
	s_cbranch_execz .LBB212_4
.LBB212_19:                             ;   Parent Loop BB212_5 Depth=1
                                        ; =>  This Inner Loop Header: Depth=2
	v_cmp_ne_u32_e32 vcc, s9, v12
	v_cmp_eq_u32_e64 s[2:3], s9, v12
	s_and_saveexec_b64 s[14:15], s[2:3]
	s_cbranch_execz .LBB212_18
; %bb.20:                               ;   in Loop: Header=BB212_19 Depth=2
	scratch_load_dword v13, v7, off
	s_waitcnt vmcnt(0)
	v_add_f32_e32 v5, v5, v13
	global_store_dword v[8:9], v6, off offset:12
	s_branch .LBB212_18
.LBB212_21:
	s_and_b32 s14, s33, 3
	s_cmp_eq_u32 s14, 0
	s_mov_b32 s9, 0
	s_cbranch_scc1 .LBB212_28
; %bb.22:
	v_lshlrev_b32_e32 v1, 3, v4
	v_sub_u32_e32 v1, 0, v1
	s_mov_b32 s15, s9
	s_branch .LBB212_24
.LBB212_23:                             ;   in Loop: Header=BB212_24 Depth=1
	s_or_b64 exec, exec, s[10:11]
	s_add_i32 s8, s8, 1
	s_add_i32 s15, s15, 1
	s_cmp_lg_u32 s15, s14
	s_cbranch_scc0 .LBB212_28
.LBB212_24:                             ; =>This Loop Header: Depth=1
                                        ;     Child Loop BB212_26 Depth 2
	v_lshl_add_u64 v[6:7], s[8:9], 2, v[2:3]
	global_load_dword v4, v[6:7], off
	v_add_u32_e32 v6, s8, v0
	v_ashrrev_i32_e32 v7, 31, v6
	v_mov_b32_e32 v8, 0
	s_mov_b32 s16, 0
	s_waitcnt lgkmcnt(0)
	v_lshl_add_u64 v[6:7], v[6:7], 2, s[6:7]
	s_mov_b64 s[10:11], 0
	s_waitcnt vmcnt(0)
	v_add_u32_e32 v9, v1, v4
	s_branch .LBB212_26
.LBB212_25:                             ;   in Loop: Header=BB212_26 Depth=2
	s_or_b64 exec, exec, s[12:13]
	s_add_i32 s17, s16, 1
	s_cmp_gt_u32 s16, 6
	s_cselect_b64 s[2:3], -1, 0
	s_xor_b64 s[12:13], vcc, -1
	s_or_b64 s[2:3], s[12:13], s[2:3]
	s_and_b64 s[2:3], exec, s[2:3]
	v_add_u32_e32 v8, 4, v8
	s_or_b64 s[10:11], s[2:3], s[10:11]
	s_mov_b32 s16, s17
	s_andn2_b64 exec, exec, s[10:11]
	s_cbranch_execz .LBB212_23
.LBB212_26:                             ;   Parent Loop BB212_24 Depth=1
                                        ; =>  This Inner Loop Header: Depth=2
	v_cmp_ne_u32_e32 vcc, s16, v9
	v_cmp_eq_u32_e64 s[2:3], s16, v9
	s_and_saveexec_b64 s[12:13], s[2:3]
	s_cbranch_execz .LBB212_25
; %bb.27:                               ;   in Loop: Header=BB212_26 Depth=2
	scratch_load_dword v11, v8, off
	s_waitcnt vmcnt(0)
	v_add_f32_e32 v5, v5, v11
	global_store_dword v[6:7], v4, off
	s_branch .LBB212_25
.LBB212_28:
	s_waitcnt lgkmcnt(0)
	s_load_dword s6, s[0:1], 0x3c
	s_waitcnt lgkmcnt(0)
	s_bitcmp1_b32 s6, 0
	s_cselect_b64 s[2:3], -1, 0
	s_bitcmp0_b32 s6, 0
	s_cbranch_scc0 .LBB212_32
; %bb.29:
	s_load_dwordx2 s[6:7], s[0:1], 0x40
	s_andn2_b64 vcc, exec, s[2:3]
	s_waitcnt lgkmcnt(0)
	v_cvt_f32_f64_e32 v8, s[6:7]
	s_cbranch_vccz .LBB212_33
.LBB212_30:
	s_andn2_b64 vcc, exec, s[4:5]
	s_cbranch_vccz .LBB212_34
.LBB212_31:
	s_endpgm
.LBB212_32:
	v_mbcnt_lo_u32_b32 v1, -1, 0
	v_mbcnt_hi_u32_b32 v1, -1, v1
	v_and_b32_e32 v4, 0x60, v1
	v_add_u32_e32 v4, 32, v4
	v_xor_b32_e32 v6, 16, v1
	v_cmp_lt_i32_e32 vcc, v6, v4
	v_xor_b32_e32 v7, 8, v1
	s_nop 0
	v_cndmask_b32_e32 v6, v1, v6, vcc
	v_lshlrev_b32_e32 v6, 2, v6
	ds_bpermute_b32 v6, v6, v5
	v_cmp_lt_i32_e32 vcc, v7, v4
	s_waitcnt lgkmcnt(0)
	v_add_f32_e32 v5, v5, v6
	v_cndmask_b32_e32 v6, v1, v7, vcc
	v_lshlrev_b32_e32 v6, 2, v6
	ds_bpermute_b32 v6, v6, v5
	v_xor_b32_e32 v7, 4, v1
	v_cmp_lt_i32_e32 vcc, v7, v4
	s_waitcnt lgkmcnt(0)
	v_add_f32_e32 v5, v5, v6
	v_cndmask_b32_e32 v6, v1, v7, vcc
	v_lshlrev_b32_e32 v6, 2, v6
	ds_bpermute_b32 v6, v6, v5
	v_xor_b32_e32 v7, 2, v1
	;; [unrolled: 7-line block ×3, first 2 shown]
	v_cmp_lt_i32_e32 vcc, v7, v4
	s_waitcnt lgkmcnt(0)
	v_add_f32_e32 v5, v5, v6
	v_cndmask_b32_e32 v1, v1, v7, vcc
	v_lshlrev_b32_e32 v1, 2, v1
	ds_bpermute_b32 v1, v1, v5
	s_waitcnt lgkmcnt(0)
	v_add_f32_e32 v5, v5, v1
	s_load_dwordx2 s[6:7], s[0:1], 0x40
	s_andn2_b64 vcc, exec, s[2:3]
	s_waitcnt lgkmcnt(0)
	v_cvt_f32_f64_e32 v8, s[6:7]
	s_cbranch_vccnz .LBB212_30
.LBB212_33:
	v_cmp_lt_f32_e32 vcc, 0, v5
	s_nop 1
	v_cndmask_b32_e32 v1, 1.0, v5, vcc
	v_div_scale_f32 v4, s[2:3], v1, v1, v8
	v_rcp_f32_e32 v5, v4
	s_nop 0
	v_fma_f32 v6, -v4, v5, 1.0
	v_fmac_f32_e32 v5, v6, v5
	v_div_scale_f32 v6, vcc, v8, v1, v8
	v_mul_f32_e32 v7, v6, v5
	v_fma_f32 v9, -v4, v7, v6
	v_fmac_f32_e32 v7, v9, v5
	v_fma_f32 v4, -v4, v7, v6
	v_div_fmas_f32 v4, v4, v5, v7
	v_div_fixup_f32 v8, v4, v1, v8
	s_andn2_b64 vcc, exec, s[4:5]
	s_cbranch_vccnz .LBB212_31
.LBB212_34:
	s_load_dwordx2 s[12:13], s[0:1], 0x10
	v_mov_b32_e32 v1, 0
	v_or_b32_e32 v20, 4, v1
	v_or_b32_e32 v18, 8, v1
	;; [unrolled: 1-line block ×3, first 2 shown]
	v_add_u32_e32 v14, 16, v1
	v_add_u32_e32 v12, 20, v1
	;; [unrolled: 1-line block ×4, first 2 shown]
	v_or_b32_e32 v23, 1, v10
	v_or_b32_e32 v22, 2, v10
	;; [unrolled: 1-line block ×7, first 2 shown]
	s_cmp_eq_u32 s33, 1
	s_mov_b32 s14, 0
	s_cbranch_scc1 .LBB212_69
; %bb.35:
	v_ashrrev_i32_e32 v1, 31, v0
	s_waitcnt lgkmcnt(0)
	v_lshl_add_u64 v[4:5], v[0:1], 2, s[12:13]
	s_and_b32 s14, s33, 0x7ffffffe
	v_lshl_add_u64 v[4:5], v[4:5], 0, 4
	v_lshl_add_u64 v[6:7], v[2:3], 0, 4
	s_mov_b32 s15, 0
	s_branch .LBB212_37
.LBB212_36:                             ;   in Loop: Header=BB212_37 Depth=1
	s_or_b64 exec, exec, s[0:1]
	s_add_i32 s15, s15, 2
	v_lshl_add_u64 v[4:5], v[4:5], 0, 8
	s_cmp_eq_u32 s14, s15
	v_lshl_add_u64 v[6:7], v[6:7], 0, 8
	s_cbranch_scc1 .LBB212_69
.LBB212_37:                             ; =>This Inner Loop Header: Depth=1
	global_load_dword v24, v[6:7], off offset:-4
	v_mov_b32_e32 v1, 0
	s_waitcnt vmcnt(0)
	v_cmp_eq_u32_e32 vcc, v24, v10
	v_cmp_ne_u32_e64 s[0:1], v24, v10
	s_and_saveexec_b64 s[16:17], s[0:1]
	s_cbranch_execz .LBB212_51
; %bb.38:                               ;   in Loop: Header=BB212_37 Depth=1
	v_cmp_eq_u32_e64 s[0:1], v24, v23
	v_cmp_ne_u32_e64 s[2:3], v24, v23
	v_mov_b32_e32 v1, v20
	s_and_saveexec_b64 s[18:19], s[2:3]
	s_cbranch_execz .LBB212_50
; %bb.39:                               ;   in Loop: Header=BB212_37 Depth=1
	v_cmp_eq_u32_e64 s[2:3], v24, v22
	v_cmp_ne_u32_e64 s[4:5], v24, v22
	v_mov_b32_e32 v1, v18
	;; [unrolled: 6-line block ×6, first 2 shown]
	s_and_saveexec_b64 s[30:31], s[10:11]
	s_xor_b64 s[30:31], exec, s[30:31]
; %bb.44:                               ;   in Loop: Header=BB212_37 Depth=1
	v_cmp_eq_u32_e64 s[10:11], v24, v13
	s_andn2_b64 s[28:29], s[28:29], exec
	s_and_b64 s[10:11], s[10:11], exec
	s_or_b64 s[28:29], s[28:29], s[10:11]
	v_mov_b32_e32 v1, v11
; %bb.45:                               ;   in Loop: Header=BB212_37 Depth=1
	s_or_b64 exec, exec, s[30:31]
	s_andn2_b64 s[8:9], s[8:9], exec
	s_and_b64 s[10:11], s[28:29], exec
	s_or_b64 s[8:9], s[8:9], s[10:11]
.LBB212_46:                             ;   in Loop: Header=BB212_37 Depth=1
	s_or_b64 exec, exec, s[26:27]
	s_andn2_b64 s[6:7], s[6:7], exec
	s_and_b64 s[8:9], s[8:9], exec
	s_or_b64 s[6:7], s[6:7], s[8:9]
.LBB212_47:                             ;   in Loop: Header=BB212_37 Depth=1
	s_or_b64 exec, exec, s[24:25]
	s_andn2_b64 s[4:5], s[4:5], exec
	s_and_b64 s[6:7], s[6:7], exec
	s_or_b64 s[4:5], s[4:5], s[6:7]
.LBB212_48:                             ;   in Loop: Header=BB212_37 Depth=1
	s_or_b64 exec, exec, s[22:23]
	s_andn2_b64 s[2:3], s[2:3], exec
	s_and_b64 s[4:5], s[4:5], exec
	s_or_b64 s[2:3], s[2:3], s[4:5]
.LBB212_49:                             ;   in Loop: Header=BB212_37 Depth=1
	s_or_b64 exec, exec, s[20:21]
	s_andn2_b64 s[0:1], s[0:1], exec
	s_and_b64 s[2:3], s[2:3], exec
	s_or_b64 s[0:1], s[0:1], s[2:3]
.LBB212_50:                             ;   in Loop: Header=BB212_37 Depth=1
	s_or_b64 exec, exec, s[18:19]
	s_andn2_b64 s[2:3], vcc, exec
	s_and_b64 s[0:1], s[0:1], exec
	s_or_b64 vcc, s[2:3], s[0:1]
.LBB212_51:                             ;   in Loop: Header=BB212_37 Depth=1
	s_or_b64 exec, exec, s[16:17]
	s_and_saveexec_b64 s[0:1], vcc
	s_cbranch_execz .LBB212_53
; %bb.52:                               ;   in Loop: Header=BB212_37 Depth=1
	scratch_load_dword v1, v1, off
	v_add_u32_e32 v24, s15, v0
	v_ashrrev_i32_e32 v25, 31, v24
	v_lshl_add_u64 v[24:25], v[24:25], 2, s[12:13]
	s_waitcnt vmcnt(0)
	v_mul_f32_e32 v1, v8, v1
	global_store_dword v[24:25], v1, off
.LBB212_53:                             ;   in Loop: Header=BB212_37 Depth=1
	s_or_b64 exec, exec, s[0:1]
	global_load_dword v24, v[6:7], off
	v_mov_b32_e32 v1, 0
	s_waitcnt vmcnt(0)
	v_cmp_eq_u32_e64 s[8:9], v24, v10
	v_cmp_ne_u32_e32 vcc, v24, v10
	s_and_saveexec_b64 s[10:11], vcc
	s_cbranch_execz .LBB212_67
; %bb.54:                               ;   in Loop: Header=BB212_37 Depth=1
	v_cmp_eq_u32_e32 vcc, v24, v23
	v_cmp_ne_u32_e64 s[0:1], v24, v23
	v_mov_b32_e32 v1, v20
	s_and_saveexec_b64 s[16:17], s[0:1]
	s_cbranch_execz .LBB212_66
; %bb.55:                               ;   in Loop: Header=BB212_37 Depth=1
	v_cmp_eq_u32_e64 s[0:1], v24, v22
	v_cmp_ne_u32_e64 s[2:3], v24, v22
	v_mov_b32_e32 v1, v18
	s_and_saveexec_b64 s[18:19], s[2:3]
	s_cbranch_execz .LBB212_65
; %bb.56:                               ;   in Loop: Header=BB212_37 Depth=1
	v_cmp_eq_u32_e64 s[2:3], v24, v21
	;; [unrolled: 6-line block ×5, first 2 shown]
	v_cmp_ne_u32_e64 s[6:7], v24, v15
	v_mov_b32_e32 v1, v9
	s_and_saveexec_b64 s[30:31], s[6:7]
; %bb.60:                               ;   in Loop: Header=BB212_37 Depth=1
	v_cmp_eq_u32_e64 s[6:7], v24, v13
	s_andn2_b64 s[28:29], s[28:29], exec
	s_and_b64 s[6:7], s[6:7], exec
	s_or_b64 s[28:29], s[28:29], s[6:7]
	v_mov_b32_e32 v1, v11
; %bb.61:                               ;   in Loop: Header=BB212_37 Depth=1
	s_or_b64 exec, exec, s[30:31]
	s_andn2_b64 s[6:7], s[24:25], exec
	s_and_b64 s[24:25], s[28:29], exec
	s_or_b64 s[24:25], s[6:7], s[24:25]
.LBB212_62:                             ;   in Loop: Header=BB212_37 Depth=1
	s_or_b64 exec, exec, s[26:27]
	s_andn2_b64 s[4:5], s[4:5], exec
	s_and_b64 s[6:7], s[24:25], exec
	s_or_b64 s[4:5], s[4:5], s[6:7]
.LBB212_63:                             ;   in Loop: Header=BB212_37 Depth=1
	s_or_b64 exec, exec, s[22:23]
	s_andn2_b64 s[2:3], s[2:3], exec
	s_and_b64 s[4:5], s[4:5], exec
	s_or_b64 s[2:3], s[2:3], s[4:5]
.LBB212_64:                             ;   in Loop: Header=BB212_37 Depth=1
	s_or_b64 exec, exec, s[20:21]
	s_andn2_b64 s[0:1], s[0:1], exec
	s_and_b64 s[2:3], s[2:3], exec
	s_or_b64 s[0:1], s[0:1], s[2:3]
.LBB212_65:                             ;   in Loop: Header=BB212_37 Depth=1
	s_or_b64 exec, exec, s[18:19]
	s_andn2_b64 s[2:3], vcc, exec
	s_and_b64 s[0:1], s[0:1], exec
	s_or_b64 vcc, s[2:3], s[0:1]
.LBB212_66:                             ;   in Loop: Header=BB212_37 Depth=1
	s_or_b64 exec, exec, s[16:17]
	s_andn2_b64 s[0:1], s[8:9], exec
	s_and_b64 s[2:3], vcc, exec
	s_or_b64 s[8:9], s[0:1], s[2:3]
.LBB212_67:                             ;   in Loop: Header=BB212_37 Depth=1
	s_or_b64 exec, exec, s[10:11]
	s_and_saveexec_b64 s[0:1], s[8:9]
	s_cbranch_execz .LBB212_36
; %bb.68:                               ;   in Loop: Header=BB212_37 Depth=1
	scratch_load_dword v1, v1, off
	s_waitcnt vmcnt(0)
	v_mul_f32_e32 v1, v8, v1
	global_store_dword v[4:5], v1, off
	s_branch .LBB212_36
.LBB212_69:
	s_bitcmp0_b32 s33, 0
	s_mov_b32 s15, 0
	s_cbranch_scc1 .LBB212_31
; %bb.70:
	v_lshl_add_u64 v[2:3], s[14:15], 2, v[2:3]
	global_load_dword v1, v[2:3], off
	v_mov_b32_e32 v2, 0
	s_waitcnt vmcnt(0)
	v_cmp_eq_u32_e64 s[8:9], v1, v10
	v_cmp_ne_u32_e32 vcc, v1, v10
	s_and_saveexec_b64 s[10:11], vcc
	s_cbranch_execz .LBB212_84
; %bb.71:
	v_cmp_eq_u32_e32 vcc, v1, v23
	v_cmp_ne_u32_e64 s[0:1], v1, v23
	s_and_saveexec_b64 s[16:17], s[0:1]
	s_cbranch_execz .LBB212_83
; %bb.72:
	v_cmp_eq_u32_e64 s[0:1], v1, v22
	v_cmp_ne_u32_e64 s[2:3], v1, v22
	s_and_saveexec_b64 s[18:19], s[2:3]
	s_cbranch_execz .LBB212_82
; %bb.73:
	v_cmp_eq_u32_e64 s[2:3], v1, v21
	;; [unrolled: 5-line block ×5, first 2 shown]
	v_cmp_ne_u32_e64 s[6:7], v1, v15
	s_and_saveexec_b64 s[30:31], s[6:7]
; %bb.77:
	v_cmp_eq_u32_e64 s[6:7], v1, v13
	s_andn2_b64 s[28:29], s[28:29], exec
	s_and_b64 s[6:7], s[6:7], exec
	s_or_b64 s[28:29], s[28:29], s[6:7]
	v_mov_b32_e32 v9, v11
; %bb.78:
	s_or_b64 exec, exec, s[30:31]
	s_andn2_b64 s[6:7], s[24:25], exec
	s_and_b64 s[24:25], s[28:29], exec
	s_or_b64 s[24:25], s[6:7], s[24:25]
	v_mov_b32_e32 v12, v9
.LBB212_79:
	s_or_b64 exec, exec, s[26:27]
	s_andn2_b64 s[4:5], s[4:5], exec
	s_and_b64 s[6:7], s[24:25], exec
	s_or_b64 s[4:5], s[4:5], s[6:7]
	v_mov_b32_e32 v14, v12
.LBB212_80:
	s_or_b64 exec, exec, s[22:23]
	s_andn2_b64 s[2:3], s[2:3], exec
	s_and_b64 s[4:5], s[4:5], exec
	s_or_b64 s[2:3], s[2:3], s[4:5]
	v_mov_b32_e32 v16, v14
.LBB212_81:
	s_or_b64 exec, exec, s[20:21]
	s_andn2_b64 s[0:1], s[0:1], exec
	s_and_b64 s[2:3], s[2:3], exec
	s_or_b64 s[0:1], s[0:1], s[2:3]
	v_mov_b32_e32 v18, v16
.LBB212_82:
	s_or_b64 exec, exec, s[18:19]
	s_andn2_b64 s[2:3], vcc, exec
	s_and_b64 s[0:1], s[0:1], exec
	s_or_b64 vcc, s[2:3], s[0:1]
	v_mov_b32_e32 v20, v18
.LBB212_83:
	s_or_b64 exec, exec, s[16:17]
	s_andn2_b64 s[0:1], s[8:9], exec
	s_and_b64 s[2:3], vcc, exec
	s_or_b64 s[8:9], s[0:1], s[2:3]
	v_mov_b32_e32 v2, v20
.LBB212_84:
	s_or_b64 exec, exec, s[10:11]
	s_and_b64 exec, exec, s[8:9]
	s_cbranch_execz .LBB212_31
; %bb.85:
	scratch_load_dword v2, v2, off
	v_add_u32_e32 v0, s14, v0
	v_ashrrev_i32_e32 v1, 31, v0
	s_waitcnt lgkmcnt(0)
	v_lshl_add_u64 v[0:1], v[0:1], 2, s[12:13]
	s_waitcnt vmcnt(0)
	v_mul_f32_e32 v2, v8, v2
	global_store_dword v[0:1], v2, off
	s_endpgm
	.section	.rodata,"a",@progbits
	.p2align	6, 0x0
	.amdhsa_kernel _ZN4vllm3moe22topkGatingSoftplusSqrtILi8ELi256ELi4ELi16ELi64ELb1Ei6__halfEEvPKT6_PKbPfiPT5_PiiiibdPKfPKS9_SF_
		.amdhsa_group_segment_fixed_size 0
		.amdhsa_private_segment_fixed_size 48
		.amdhsa_kernarg_size 96
		.amdhsa_user_sgpr_count 2
		.amdhsa_user_sgpr_dispatch_ptr 0
		.amdhsa_user_sgpr_queue_ptr 0
		.amdhsa_user_sgpr_kernarg_segment_ptr 1
		.amdhsa_user_sgpr_dispatch_id 0
		.amdhsa_user_sgpr_kernarg_preload_length 0
		.amdhsa_user_sgpr_kernarg_preload_offset 0
		.amdhsa_user_sgpr_private_segment_size 0
		.amdhsa_uses_dynamic_stack 0
		.amdhsa_enable_private_segment 1
		.amdhsa_system_sgpr_workgroup_id_x 1
		.amdhsa_system_sgpr_workgroup_id_y 0
		.amdhsa_system_sgpr_workgroup_id_z 0
		.amdhsa_system_sgpr_workgroup_info 0
		.amdhsa_system_vgpr_workitem_id 1
		.amdhsa_next_free_vgpr 29
		.amdhsa_next_free_sgpr 34
		.amdhsa_accum_offset 32
		.amdhsa_reserve_vcc 1
		.amdhsa_float_round_mode_32 0
		.amdhsa_float_round_mode_16_64 0
		.amdhsa_float_denorm_mode_32 3
		.amdhsa_float_denorm_mode_16_64 3
		.amdhsa_dx10_clamp 1
		.amdhsa_ieee_mode 1
		.amdhsa_fp16_overflow 0
		.amdhsa_tg_split 0
		.amdhsa_exception_fp_ieee_invalid_op 0
		.amdhsa_exception_fp_denorm_src 0
		.amdhsa_exception_fp_ieee_div_zero 0
		.amdhsa_exception_fp_ieee_overflow 0
		.amdhsa_exception_fp_ieee_underflow 0
		.amdhsa_exception_fp_ieee_inexact 0
		.amdhsa_exception_int_div_zero 0
	.end_amdhsa_kernel
	.section	.text._ZN4vllm3moe22topkGatingSoftplusSqrtILi8ELi256ELi4ELi16ELi64ELb1Ei6__halfEEvPKT6_PKbPfiPT5_PiiiibdPKfPKS9_SF_,"axG",@progbits,_ZN4vllm3moe22topkGatingSoftplusSqrtILi8ELi256ELi4ELi16ELi64ELb1Ei6__halfEEvPKT6_PKbPfiPT5_PiiiibdPKfPKS9_SF_,comdat
.Lfunc_end212:
	.size	_ZN4vllm3moe22topkGatingSoftplusSqrtILi8ELi256ELi4ELi16ELi64ELb1Ei6__halfEEvPKT6_PKbPfiPT5_PiiiibdPKfPKS9_SF_, .Lfunc_end212-_ZN4vllm3moe22topkGatingSoftplusSqrtILi8ELi256ELi4ELi16ELi64ELb1Ei6__halfEEvPKT6_PKbPfiPT5_PiiiibdPKfPKS9_SF_
                                        ; -- End function
	.section	.AMDGPU.csdata,"",@progbits
; Kernel info:
; codeLenInByte = 4584
; NumSgprs: 40
; NumVgprs: 29
; NumAgprs: 0
; TotalNumVgprs: 29
; ScratchSize: 48
; MemoryBound: 0
; FloatMode: 240
; IeeeMode: 1
; LDSByteSize: 0 bytes/workgroup (compile time only)
; SGPRBlocks: 4
; VGPRBlocks: 3
; NumSGPRsForWavesPerEU: 40
; NumVGPRsForWavesPerEU: 29
; AccumOffset: 32
; Occupancy: 8
; WaveLimiterHint : 1
; COMPUTE_PGM_RSRC2:SCRATCH_EN: 1
; COMPUTE_PGM_RSRC2:USER_SGPR: 2
; COMPUTE_PGM_RSRC2:TRAP_HANDLER: 0
; COMPUTE_PGM_RSRC2:TGID_X_EN: 1
; COMPUTE_PGM_RSRC2:TGID_Y_EN: 0
; COMPUTE_PGM_RSRC2:TGID_Z_EN: 0
; COMPUTE_PGM_RSRC2:TIDIG_COMP_CNT: 1
; COMPUTE_PGM_RSRC3_GFX90A:ACCUM_OFFSET: 7
; COMPUTE_PGM_RSRC3_GFX90A:TG_SPLIT: 0
	.section	.text._ZN4vllm3moe22topkGatingSoftplusSqrtILi8ELi256ELi4ELi16ELi64ELb0Ei6__halfEEvPKT6_PKbPfiPT5_PiiiibdPKfPKS9_SF_,"axG",@progbits,_ZN4vllm3moe22topkGatingSoftplusSqrtILi8ELi256ELi4ELi16ELi64ELb0Ei6__halfEEvPKT6_PKbPfiPT5_PiiiibdPKfPKS9_SF_,comdat
	.protected	_ZN4vllm3moe22topkGatingSoftplusSqrtILi8ELi256ELi4ELi16ELi64ELb0Ei6__halfEEvPKT6_PKbPfiPT5_PiiiibdPKfPKS9_SF_ ; -- Begin function _ZN4vllm3moe22topkGatingSoftplusSqrtILi8ELi256ELi4ELi16ELi64ELb0Ei6__halfEEvPKT6_PKbPfiPT5_PiiiibdPKfPKS9_SF_
	.globl	_ZN4vllm3moe22topkGatingSoftplusSqrtILi8ELi256ELi4ELi16ELi64ELb0Ei6__halfEEvPKT6_PKbPfiPT5_PiiiibdPKfPKS9_SF_
	.p2align	8
	.type	_ZN4vllm3moe22topkGatingSoftplusSqrtILi8ELi256ELi4ELi16ELi64ELb0Ei6__halfEEvPKT6_PKbPfiPT5_PiiiibdPKfPKS9_SF_,@function
_ZN4vllm3moe22topkGatingSoftplusSqrtILi8ELi256ELi4ELi16ELi64ELb0Ei6__halfEEvPKT6_PKbPfiPT5_PiiiibdPKfPKS9_SF_: ; @_ZN4vllm3moe22topkGatingSoftplusSqrtILi8ELi256ELi4ELi16ELi64ELb0Ei6__halfEEvPKT6_PKbPfiPT5_PiiiibdPKfPKS9_SF_
; %bb.0:
	s_load_dword s33, s[0:1], 0x18
	v_bfe_u32 v1, v0, 10, 10
	v_and_b32_e32 v0, 0x3ff, v0
	s_lshl_b32 s2, s2, 3
	v_lshlrev_b32_e32 v1, 1, v1
	v_lshrrev_b32_e32 v2, 5, v0
	v_add3_u32 v8, s2, v1, v2
	s_waitcnt lgkmcnt(0)
	v_cmp_gt_i32_e32 vcc, s33, v8
	s_and_saveexec_b64 s[2:3], vcc
	s_cbranch_execz .LBB213_65
; %bb.1:
	s_load_dwordx4 s[4:7], s[0:1], 0x0
	s_load_dwordx2 s[34:35], s[0:1], 0x10
	s_waitcnt lgkmcnt(0)
	s_cmp_eq_u64 s[6:7], 0
	s_cbranch_scc1 .LBB213_3
; %bb.2:
	v_ashrrev_i32_e32 v9, 31, v8
	v_lshl_add_u64 v[2:3], s[6:7], 0, v[8:9]
	global_load_ubyte v1, v[2:3], off
	s_waitcnt vmcnt(0)
	v_and_b32_e32 v1, 1, v1
	v_cmp_eq_u32_e32 vcc, 1, v1
	s_xor_b64 s[2:3], vcc, -1
	s_orn2_b64 s[36:37], s[2:3], exec
	s_branch .LBB213_4
.LBB213_3:
	s_mov_b64 s[36:37], -1
.LBB213_4:
	v_lshlrev_b32_e32 v4, 8, v8
	v_mov_b32_e32 v2, s4
	v_mov_b32_e32 v3, s5
	v_ashrrev_i32_e32 v5, 31, v4
	v_and_b32_e32 v9, 31, v0
	v_lshl_add_u64 v[2:3], v[4:5], 1, v[2:3]
	v_mov_b32_e32 v1, 0
	v_lshlrev_b32_e32 v0, 4, v9
	v_lshl_add_u64 v[0:1], v[2:3], 0, v[0:1]
	global_load_dwordx4 v[4:7], v[0:1], off
	s_mov_b32 s12, 0x800000
	v_mov_b32_e32 v2, 0x4f800000
	s_mov_b32 s9, 0x3f317217
	s_mov_b32 s10, 0x7f800000
	v_mov_b32_e32 v3, 0x41b17218
	s_movk_i32 s8, 0x4d00
	s_mov_b32 s11, 0xf800000
	s_load_dwordx4 s[20:23], s[0:1], 0x40
	v_lshlrev_b32_e32 v12, 3, v9
	s_waitcnt lgkmcnt(0)
	s_cmp_lg_u64 s[22:23], 0
	s_cselect_b64 s[6:7], -1, 0
	s_and_b64 s[2:3], exec, s[6:7]
	s_waitcnt vmcnt(0)
	v_cvt_f32_f16_e32 v0, v4
	v_mul_f32_e32 v1, 0x3fb8aa3b, v0
	v_exp_f32_e32 v10, v1
	v_mov_b32_e32 v1, 0x260
	v_add_f32_e32 v10, 1.0, v10
	v_cmp_gt_f32_e32 vcc, s12, v10
	s_nop 1
	v_cndmask_b32_e32 v11, 1.0, v2, vcc
	v_mul_f32_e32 v10, v10, v11
	v_log_f32_e32 v11, v10
	v_cndmask_b32_e32 v13, 0, v3, vcc
	v_lshlrev_b32_e32 v10, 2, v12
	v_mul_f32_e32 v14, 0x3f317217, v11
	v_fma_f32 v14, v11, s9, -v14
	v_fmac_f32_e32 v14, 0x3377d1cf, v11
	v_fmac_f32_e32 v14, 0x3f317217, v11
	v_cmp_lt_f32_e64 vcc, |v11|, s10
	s_nop 1
	v_cndmask_b32_e32 v11, v11, v14, vcc
	v_sub_f32_e32 v11, v11, v13
	v_cmp_lt_f16_e32 vcc, s8, v4
	s_nop 1
	v_cndmask_b32_e32 v0, v11, v0, vcc
	v_mul_f32_e32 v11, 0x4f800000, v0
	v_cmp_gt_f32_e32 vcc, s11, v0
	s_nop 1
	v_cndmask_b32_e32 v0, v0, v11, vcc
	v_sqrt_f32_e32 v11, v0
	s_nop 0
	v_add_u32_e32 v13, -1, v11
	v_add_u32_e32 v14, 1, v11
	v_fma_f32 v15, -v13, v11, v0
	v_fma_f32 v16, -v14, v11, v0
	v_cmp_ge_f32_e64 s[4:5], 0, v15
	s_nop 1
	v_cndmask_b32_e64 v11, v11, v13, s[4:5]
	v_cmp_lt_f32_e64 s[4:5], 0, v16
	s_nop 1
	v_cndmask_b32_e64 v11, v11, v14, s[4:5]
	v_mul_f32_e32 v13, 0x37800000, v11
	v_cndmask_b32_e32 v11, v11, v13, vcc
	v_cmp_class_f32_e32 vcc, v0, v1
	s_nop 1
	v_cndmask_b32_e32 v0, v11, v0, vcc
	s_mov_b64 vcc, s[2:3]
	s_cbranch_vccz .LBB213_6
; %bb.5:
	global_load_dword v11, v10, s[22:23]
	s_waitcnt vmcnt(0)
	v_add_f32_e32 v0, v0, v11
.LBB213_6:
	v_cvt_f32_f16_sdwa v11, v4 dst_sel:DWORD dst_unused:UNUSED_PAD src0_sel:WORD_1
	v_mul_f32_e32 v13, 0x3fb8aa3b, v11
	v_exp_f32_e32 v13, v13
	s_nop 0
	v_add_f32_e32 v13, 1.0, v13
	v_cmp_gt_f32_e32 vcc, s12, v13
	s_nop 1
	v_cndmask_b32_e32 v2, 1.0, v2, vcc
	v_mul_f32_e32 v2, v13, v2
	v_log_f32_e32 v2, v2
	v_cndmask_b32_e32 v3, 0, v3, vcc
	v_mul_f32_e32 v13, 0x3f317217, v2
	v_fma_f32 v13, v2, s9, -v13
	v_fmac_f32_e32 v13, 0x3377d1cf, v2
	v_fmac_f32_e32 v13, 0x3f317217, v2
	v_cmp_lt_f32_e64 vcc, |v2|, s10
	s_nop 1
	v_cndmask_b32_e32 v2, v2, v13, vcc
	v_sub_f32_e32 v2, v2, v3
	v_cmp_gt_f16_sdwa vcc, v4, s8 src0_sel:WORD_1 src1_sel:DWORD
	v_cndmask_b32_e64 v4, 0, 1, s[6:7]
	v_cmp_ne_u32_e64 s[2:3], 1, v4
	v_cndmask_b32_e32 v2, v2, v11, vcc
	v_mul_f32_e32 v3, 0x4f800000, v2
	v_cmp_gt_f32_e64 s[4:5], s11, v2
	s_andn2_b64 vcc, exec, s[6:7]
	s_nop 0
	v_cndmask_b32_e64 v2, v2, v3, s[4:5]
	v_sqrt_f32_e32 v3, v2
	s_nop 0
	v_add_u32_e32 v4, -1, v3
	v_add_u32_e32 v11, 1, v3
	v_fma_f32 v13, -v4, v3, v2
	v_fma_f32 v14, -v11, v3, v2
	v_cmp_ge_f32_e64 s[6:7], 0, v13
	s_nop 1
	v_cndmask_b32_e64 v3, v3, v4, s[6:7]
	v_cmp_lt_f32_e64 s[6:7], 0, v14
	s_nop 1
	v_cndmask_b32_e64 v3, v3, v11, s[6:7]
	v_mul_f32_e32 v4, 0x37800000, v3
	v_cndmask_b32_e64 v3, v3, v4, s[4:5]
	v_cmp_class_f32_e64 s[4:5], v2, v1
	s_nop 1
	v_cndmask_b32_e64 v1, v3, v2, s[4:5]
	s_cbranch_vccnz .LBB213_8
; %bb.7:
	global_load_dword v2, v10, s[22:23] offset:4
	s_waitcnt vmcnt(0)
	v_add_f32_e32 v1, v1, v2
.LBB213_8:
	v_cvt_f32_f16_e32 v2, v5
	s_mov_b32 s8, 0x800000
	v_mov_b32_e32 v4, 0x4f800000
	s_mov_b32 s7, 0x3f317217
	v_mul_f32_e32 v3, 0x3fb8aa3b, v2
	v_exp_f32_e32 v3, v3
	s_mov_b32 s9, 0x7f800000
	s_movk_i32 s6, 0x4d00
	s_mov_b32 s10, 0xf800000
	v_add_f32_e32 v3, 1.0, v3
	v_cmp_gt_f32_e32 vcc, s8, v3
	s_nop 1
	v_cndmask_b32_e32 v11, 1.0, v4, vcc
	v_mul_f32_e32 v3, v3, v11
	v_log_f32_e32 v3, v3
	v_mov_b32_e32 v11, 0x41b17218
	v_cndmask_b32_e32 v13, 0, v11, vcc
	v_mul_f32_e32 v14, 0x3f317217, v3
	v_fma_f32 v14, v3, s7, -v14
	v_fmac_f32_e32 v14, 0x3377d1cf, v3
	v_fmac_f32_e32 v14, 0x3f317217, v3
	v_cmp_lt_f32_e64 vcc, |v3|, s9
	s_nop 1
	v_cndmask_b32_e32 v3, v3, v14, vcc
	v_sub_f32_e32 v3, v3, v13
	v_cmp_lt_f16_e32 vcc, s6, v5
	s_nop 1
	v_cndmask_b32_e32 v2, v3, v2, vcc
	v_mul_f32_e32 v3, 0x4f800000, v2
	v_cmp_gt_f32_e32 vcc, s10, v2
	s_nop 1
	v_cndmask_b32_e32 v2, v2, v3, vcc
	v_sqrt_f32_e32 v3, v2
	s_nop 0
	v_add_u32_e32 v13, -1, v3
	v_fma_f32 v14, -v13, v3, v2
	v_cmp_ge_f32_e64 s[4:5], 0, v14
	v_add_u32_e32 v14, 1, v3
	s_nop 0
	v_cndmask_b32_e64 v13, v3, v13, s[4:5]
	v_fma_f32 v3, -v14, v3, v2
	v_cmp_lt_f32_e64 s[4:5], 0, v3
	s_nop 1
	v_cndmask_b32_e64 v3, v13, v14, s[4:5]
	v_mul_f32_e32 v13, 0x37800000, v3
	v_cndmask_b32_e32 v13, v3, v13, vcc
	v_mov_b32_e32 v3, 0x260
	v_cmp_class_f32_e64 s[4:5], v2, v3
	s_and_b64 vcc, exec, s[2:3]
	s_nop 0
	v_cndmask_b32_e64 v2, v13, v2, s[4:5]
	s_cbranch_vccnz .LBB213_10
; %bb.9:
	global_load_dword v13, v10, s[22:23] offset:8
	s_waitcnt vmcnt(0)
	v_add_f32_e32 v2, v2, v13
.LBB213_10:
	v_cvt_f32_f16_sdwa v13, v5 dst_sel:DWORD dst_unused:UNUSED_PAD src0_sel:WORD_1
	v_mul_f32_e32 v14, 0x3fb8aa3b, v13
	v_exp_f32_e32 v14, v14
	s_nop 0
	v_add_f32_e32 v14, 1.0, v14
	v_cmp_gt_f32_e32 vcc, s8, v14
	s_nop 1
	v_cndmask_b32_e32 v4, 1.0, v4, vcc
	v_mul_f32_e32 v4, v14, v4
	v_log_f32_e32 v4, v4
	v_cndmask_b32_e32 v11, 0, v11, vcc
	v_mul_f32_e32 v14, 0x3f317217, v4
	v_fma_f32 v14, v4, s7, -v14
	v_fmac_f32_e32 v14, 0x3377d1cf, v4
	v_fmac_f32_e32 v14, 0x3f317217, v4
	v_cmp_lt_f32_e64 vcc, |v4|, s9
	s_nop 1
	v_cndmask_b32_e32 v4, v4, v14, vcc
	v_sub_f32_e32 v4, v4, v11
	v_cmp_gt_f16_sdwa vcc, v5, s6 src0_sel:WORD_1 src1_sel:DWORD
	s_nop 1
	v_cndmask_b32_e32 v4, v4, v13, vcc
	v_mul_f32_e32 v5, 0x4f800000, v4
	v_cmp_gt_f32_e64 s[4:5], s10, v4
	s_and_b64 vcc, exec, s[2:3]
	s_nop 0
	v_cndmask_b32_e64 v4, v4, v5, s[4:5]
	v_sqrt_f32_e32 v5, v4
	s_nop 0
	v_add_u32_e32 v11, -1, v5
	v_add_u32_e32 v13, 1, v5
	v_fma_f32 v14, -v11, v5, v4
	v_fma_f32 v15, -v13, v5, v4
	v_cmp_ge_f32_e64 s[6:7], 0, v14
	s_nop 1
	v_cndmask_b32_e64 v5, v5, v11, s[6:7]
	v_cmp_lt_f32_e64 s[6:7], 0, v15
	s_nop 1
	v_cndmask_b32_e64 v5, v5, v13, s[6:7]
	v_mul_f32_e32 v11, 0x37800000, v5
	v_cndmask_b32_e64 v5, v5, v11, s[4:5]
	v_cmp_class_f32_e64 s[4:5], v4, v3
	s_nop 1
	v_cndmask_b32_e64 v3, v5, v4, s[4:5]
	s_cbranch_vccnz .LBB213_12
; %bb.11:
	global_load_dword v4, v10, s[22:23] offset:12
	s_waitcnt vmcnt(0)
	v_add_f32_e32 v3, v3, v4
.LBB213_12:
	v_cvt_f32_f16_e32 v4, v6
	v_mov_b32_e32 v11, 0x4f800000
	s_mov_b32 s7, 0x3f317217
	s_movk_i32 s6, 0x4d00
	v_mul_f32_e32 v5, 0x3fb8aa3b, v4
	v_exp_f32_e32 v5, v5
	s_nop 0
	v_add_f32_e32 v5, 1.0, v5
	v_cmp_gt_f32_e32 vcc, s8, v5
	s_nop 1
	v_cndmask_b32_e32 v13, 1.0, v11, vcc
	v_mul_f32_e32 v5, v5, v13
	v_log_f32_e32 v5, v5
	v_mov_b32_e32 v13, 0x41b17218
	v_cndmask_b32_e32 v14, 0, v13, vcc
	v_mul_f32_e32 v15, 0x3f317217, v5
	v_fma_f32 v15, v5, s7, -v15
	v_fmac_f32_e32 v15, 0x3377d1cf, v5
	v_fmac_f32_e32 v15, 0x3f317217, v5
	v_cmp_lt_f32_e64 vcc, |v5|, s9
	s_nop 1
	v_cndmask_b32_e32 v5, v5, v15, vcc
	v_sub_f32_e32 v5, v5, v14
	v_cmp_lt_f16_e32 vcc, s6, v6
	s_nop 1
	v_cndmask_b32_e32 v4, v5, v4, vcc
	v_mul_f32_e32 v5, 0x4f800000, v4
	v_cmp_gt_f32_e32 vcc, s10, v4
	s_nop 1
	v_cndmask_b32_e32 v4, v4, v5, vcc
	v_sqrt_f32_e32 v5, v4
	s_nop 0
	v_add_u32_e32 v14, -1, v5
	v_fma_f32 v15, -v14, v5, v4
	v_cmp_ge_f32_e64 s[4:5], 0, v15
	v_add_u32_e32 v15, 1, v5
	s_nop 0
	v_cndmask_b32_e64 v14, v5, v14, s[4:5]
	v_fma_f32 v5, -v15, v5, v4
	v_cmp_lt_f32_e64 s[4:5], 0, v5
	s_nop 1
	v_cndmask_b32_e64 v5, v14, v15, s[4:5]
	v_mul_f32_e32 v14, 0x37800000, v5
	v_cndmask_b32_e32 v14, v5, v14, vcc
	v_mov_b32_e32 v5, 0x260
	v_cmp_class_f32_e64 s[4:5], v4, v5
	s_and_b64 vcc, exec, s[2:3]
	s_nop 0
	v_cndmask_b32_e64 v4, v14, v4, s[4:5]
	s_cbranch_vccnz .LBB213_14
; %bb.13:
	global_load_dword v14, v10, s[22:23] offset:16
	s_waitcnt vmcnt(0)
	v_add_f32_e32 v4, v4, v14
.LBB213_14:
	v_cvt_f32_f16_sdwa v14, v6 dst_sel:DWORD dst_unused:UNUSED_PAD src0_sel:WORD_1
	v_mul_f32_e32 v15, 0x3fb8aa3b, v14
	v_exp_f32_e32 v15, v15
	s_nop 0
	v_add_f32_e32 v15, 1.0, v15
	v_cmp_gt_f32_e32 vcc, s8, v15
	s_nop 1
	v_cndmask_b32_e32 v11, 1.0, v11, vcc
	v_mul_f32_e32 v11, v15, v11
	v_log_f32_e32 v11, v11
	v_cndmask_b32_e32 v13, 0, v13, vcc
	v_mul_f32_e32 v15, 0x3f317217, v11
	v_fma_f32 v15, v11, s7, -v15
	v_fmac_f32_e32 v15, 0x3377d1cf, v11
	v_fmac_f32_e32 v15, 0x3f317217, v11
	v_cmp_lt_f32_e64 vcc, |v11|, s9
	s_nop 1
	v_cndmask_b32_e32 v11, v11, v15, vcc
	v_sub_f32_e32 v11, v11, v13
	v_cmp_gt_f16_sdwa vcc, v6, s6 src0_sel:WORD_1 src1_sel:DWORD
	s_nop 1
	v_cndmask_b32_e32 v6, v11, v14, vcc
	v_mul_f32_e32 v11, 0x4f800000, v6
	v_cmp_gt_f32_e64 s[4:5], s10, v6
	s_and_b64 vcc, exec, s[2:3]
	s_nop 0
	v_cndmask_b32_e64 v6, v6, v11, s[4:5]
	v_sqrt_f32_e32 v11, v6
	s_nop 0
	v_add_u32_e32 v13, -1, v11
	v_add_u32_e32 v14, 1, v11
	v_fma_f32 v15, -v13, v11, v6
	v_fma_f32 v16, -v14, v11, v6
	v_cmp_ge_f32_e64 s[6:7], 0, v15
	s_nop 1
	v_cndmask_b32_e64 v11, v11, v13, s[6:7]
	v_cmp_lt_f32_e64 s[6:7], 0, v16
	s_nop 1
	v_cndmask_b32_e64 v11, v11, v14, s[6:7]
	v_mul_f32_e32 v13, 0x37800000, v11
	v_cndmask_b32_e64 v11, v11, v13, s[4:5]
	v_cmp_class_f32_e64 s[4:5], v6, v5
	s_nop 1
	v_cndmask_b32_e64 v5, v11, v6, s[4:5]
	s_cbranch_vccnz .LBB213_16
; %bb.15:
	global_load_dword v6, v10, s[22:23] offset:20
	s_waitcnt vmcnt(0)
	v_add_f32_e32 v5, v5, v6
.LBB213_16:
	v_cvt_f32_f16_e32 v6, v7
	v_mov_b32_e32 v13, 0x4f800000
	s_mov_b32 s7, 0x3f317217
	s_movk_i32 s6, 0x4d00
	v_mul_f32_e32 v11, 0x3fb8aa3b, v6
	v_exp_f32_e32 v11, v11
	s_nop 0
	v_add_f32_e32 v11, 1.0, v11
	v_cmp_gt_f32_e32 vcc, s8, v11
	s_nop 1
	v_cndmask_b32_e32 v14, 1.0, v13, vcc
	v_mul_f32_e32 v11, v11, v14
	v_log_f32_e32 v11, v11
	v_mov_b32_e32 v14, 0x41b17218
	v_cndmask_b32_e32 v15, 0, v14, vcc
	v_mul_f32_e32 v16, 0x3f317217, v11
	v_fma_f32 v16, v11, s7, -v16
	v_fmac_f32_e32 v16, 0x3377d1cf, v11
	v_fmac_f32_e32 v16, 0x3f317217, v11
	v_cmp_lt_f32_e64 vcc, |v11|, s9
	s_nop 1
	v_cndmask_b32_e32 v11, v11, v16, vcc
	v_sub_f32_e32 v11, v11, v15
	v_cmp_lt_f16_e32 vcc, s6, v7
	s_nop 1
	v_cndmask_b32_e32 v6, v11, v6, vcc
	v_mul_f32_e32 v11, 0x4f800000, v6
	v_cmp_gt_f32_e32 vcc, s10, v6
	s_nop 1
	v_cndmask_b32_e32 v6, v6, v11, vcc
	v_sqrt_f32_e32 v11, v6
	s_nop 0
	v_add_u32_e32 v15, -1, v11
	v_fma_f32 v16, -v15, v11, v6
	v_cmp_ge_f32_e64 s[4:5], 0, v16
	v_add_u32_e32 v16, 1, v11
	s_nop 0
	v_cndmask_b32_e64 v15, v11, v15, s[4:5]
	v_fma_f32 v11, -v16, v11, v6
	v_cmp_lt_f32_e64 s[4:5], 0, v11
	s_nop 1
	v_cndmask_b32_e64 v11, v15, v16, s[4:5]
	v_mul_f32_e32 v15, 0x37800000, v11
	v_cndmask_b32_e32 v15, v11, v15, vcc
	v_mov_b32_e32 v11, 0x260
	v_cmp_class_f32_e64 s[4:5], v6, v11
	s_and_b64 vcc, exec, s[2:3]
	s_nop 0
	v_cndmask_b32_e64 v6, v15, v6, s[4:5]
	s_cbranch_vccnz .LBB213_18
; %bb.17:
	global_load_dword v15, v10, s[22:23] offset:24
	s_waitcnt vmcnt(0)
	v_add_f32_e32 v6, v6, v15
.LBB213_18:
	v_cvt_f32_f16_sdwa v15, v7 dst_sel:DWORD dst_unused:UNUSED_PAD src0_sel:WORD_1
	v_mul_f32_e32 v16, 0x3fb8aa3b, v15
	v_exp_f32_e32 v16, v16
	s_nop 0
	v_add_f32_e32 v16, 1.0, v16
	v_cmp_gt_f32_e32 vcc, s8, v16
	s_nop 1
	v_cndmask_b32_e32 v13, 1.0, v13, vcc
	v_mul_f32_e32 v13, v16, v13
	v_log_f32_e32 v13, v13
	v_cndmask_b32_e32 v14, 0, v14, vcc
	v_mul_f32_e32 v16, 0x3f317217, v13
	v_fma_f32 v16, v13, s7, -v16
	v_fmac_f32_e32 v16, 0x3377d1cf, v13
	v_fmac_f32_e32 v16, 0x3f317217, v13
	v_cmp_lt_f32_e64 vcc, |v13|, s9
	s_nop 1
	v_cndmask_b32_e32 v13, v13, v16, vcc
	v_sub_f32_e32 v13, v13, v14
	v_cmp_gt_f16_sdwa vcc, v7, s6 src0_sel:WORD_1 src1_sel:DWORD
	s_nop 1
	v_cndmask_b32_e32 v7, v13, v15, vcc
	v_mul_f32_e32 v13, 0x4f800000, v7
	v_cmp_gt_f32_e64 s[4:5], s10, v7
	s_and_b64 vcc, exec, s[2:3]
	s_nop 0
	v_cndmask_b32_e64 v7, v7, v13, s[4:5]
	v_sqrt_f32_e32 v13, v7
	s_nop 0
	v_add_u32_e32 v14, -1, v13
	v_add_u32_e32 v15, 1, v13
	v_fma_f32 v16, -v14, v13, v7
	v_fma_f32 v17, -v15, v13, v7
	v_cmp_ge_f32_e64 s[6:7], 0, v16
	s_nop 1
	v_cndmask_b32_e64 v13, v13, v14, s[6:7]
	v_cmp_lt_f32_e64 s[6:7], 0, v17
	s_nop 1
	v_cndmask_b32_e64 v13, v13, v15, s[6:7]
	v_mul_f32_e32 v14, 0x37800000, v13
	v_cndmask_b32_e64 v13, v13, v14, s[4:5]
	v_cmp_class_f32_e64 s[4:5], v7, v11
	s_nop 1
	v_cndmask_b32_e64 v7, v13, v7, s[4:5]
	s_cbranch_vccnz .LBB213_20
; %bb.19:
	global_load_dword v10, v10, s[22:23] offset:28
	s_waitcnt vmcnt(0)
	v_add_f32_e32 v7, v7, v10
.LBB213_20:
	s_load_dwordx4 s[24:27], s[0:1], 0x30
	s_mov_b32 s42, 0
	v_cmp_eq_u32_e64 s[6:7], 0, v9
	s_waitcnt lgkmcnt(0)
	s_bitcmp1_b32 s27, 0
	s_cselect_b64 s[4:5], -1, 0
	s_cmp_gt_i32 s24, 0
	s_cselect_b64 s[38:39], -1, 0
	s_and_b64 vcc, exec, s[38:39]
	s_cbranch_vccz .LBB213_51
; %bb.21:
	v_mbcnt_lo_u32_b32 v10, -1, 0
	v_mbcnt_hi_u32_b32 v10, -1, v10
	v_and_b32_e32 v11, 0x60, v10
	v_add_u32_e32 v11, 32, v11
	v_xor_b32_e32 v13, 16, v10
	v_cmp_lt_i32_e32 vcc, v13, v11
	s_load_dwordx4 s[28:31], s[0:1], 0x20
	v_mul_lo_u32 v14, v8, s24
	v_cndmask_b32_e32 v13, v10, v13, vcc
	v_lshlrev_b32_e32 v15, 2, v13
	v_xor_b32_e32 v13, 8, v10
	v_cmp_lt_i32_e32 vcc, v13, v11
	v_mov_b32_e32 v20, 0x100
	v_mov_b32_e32 v21, 0xc61c4000
	v_cndmask_b32_e32 v13, v10, v13, vcc
	v_lshlrev_b32_e32 v16, 2, v13
	v_xor_b32_e32 v13, 4, v10
	v_cmp_lt_i32_e32 vcc, v13, v11
	v_mov_b32_e32 v22, v8
	s_nop 0
	v_cndmask_b32_e32 v13, v10, v13, vcc
	v_lshlrev_b32_e32 v17, 2, v13
	v_xor_b32_e32 v13, 2, v10
	v_cmp_lt_i32_e32 vcc, v13, v11
	s_nop 1
	v_cndmask_b32_e32 v13, v10, v13, vcc
	v_lshlrev_b32_e32 v18, 2, v13
	v_xor_b32_e32 v13, 1, v10
	v_cmp_lt_i32_e32 vcc, v13, v11
	s_nop 1
	v_cndmask_b32_e32 v10, v10, v13, vcc
	v_lshlrev_b32_e32 v19, 2, v10
	v_mov_b32_e32 v13, 0
	s_branch .LBB213_24
.LBB213_22:                             ;   in Loop: Header=BB213_24 Depth=1
	s_or_b64 exec, exec, s[40:41]
.LBB213_23:                             ;   in Loop: Header=BB213_24 Depth=1
	s_cmp_eq_u32 s24, s42
	v_add_u32_e32 v22, s33, v22
	s_cbranch_scc1 .LBB213_52
.LBB213_24:                             ; =>This Inner Loop Header: Depth=1
	v_cmp_gt_f32_e32 vcc, v1, v0
	s_nop 1
	v_cndmask_b32_e32 v11, v0, v1, vcc
	v_cndmask_b32_e64 v10, 0, 1, vcc
	v_cmp_gt_f32_e32 vcc, v2, v11
	s_nop 1
	v_cndmask_b32_e32 v11, v11, v2, vcc
	v_cndmask_b32_e64 v10, v10, 2, vcc
	;; [unrolled: 4-line block ×6, first 2 shown]
	v_cmp_gt_f32_e32 vcc, v7, v11
	s_nop 1
	v_cndmask_b32_e64 v10, v10, 7, vcc
	v_cndmask_b32_e32 v23, v11, v7, vcc
	ds_bpermute_b32 v11, v15, v23
	v_or_b32_e32 v10, v12, v10
	s_waitcnt lgkmcnt(0)
	ds_bpermute_b32 v24, v15, v10
	s_waitcnt lgkmcnt(0)
	v_cmp_lt_f32_e64 s[8:9], v23, v11
	v_cmp_nlt_f32_e32 vcc, v23, v11
	s_and_saveexec_b64 s[10:11], vcc
; %bb.25:                               ;   in Loop: Header=BB213_24 Depth=1
	v_cmp_eq_f32_e32 vcc, v23, v11
	v_cmp_lt_i32_e64 s[0:1], v24, v10
	s_and_b64 s[0:1], vcc, s[0:1]
	s_andn2_b64 s[8:9], s[8:9], exec
	s_and_b64 s[0:1], s[0:1], exec
	s_or_b64 s[8:9], s[8:9], s[0:1]
; %bb.26:                               ;   in Loop: Header=BB213_24 Depth=1
	s_or_b64 exec, exec, s[10:11]
	s_and_saveexec_b64 s[0:1], s[8:9]
; %bb.27:                               ;   in Loop: Header=BB213_24 Depth=1
	v_mov_b32_e32 v23, v11
	v_mov_b32_e32 v10, v24
; %bb.28:                               ;   in Loop: Header=BB213_24 Depth=1
	s_or_b64 exec, exec, s[0:1]
	ds_bpermute_b32 v11, v16, v23
	ds_bpermute_b32 v24, v16, v10
	s_waitcnt lgkmcnt(1)
	v_cmp_lt_f32_e64 s[8:9], v23, v11
	v_cmp_nlt_f32_e32 vcc, v23, v11
	s_and_saveexec_b64 s[10:11], vcc
	s_cbranch_execz .LBB213_30
; %bb.29:                               ;   in Loop: Header=BB213_24 Depth=1
	v_cmp_eq_f32_e32 vcc, v23, v11
	s_waitcnt lgkmcnt(0)
	v_cmp_lt_i32_e64 s[0:1], v24, v10
	s_and_b64 s[0:1], vcc, s[0:1]
	s_andn2_b64 s[8:9], s[8:9], exec
	s_and_b64 s[0:1], s[0:1], exec
	s_or_b64 s[8:9], s[8:9], s[0:1]
.LBB213_30:                             ;   in Loop: Header=BB213_24 Depth=1
	s_or_b64 exec, exec, s[10:11]
	s_and_saveexec_b64 s[0:1], s[8:9]
	s_cbranch_execz .LBB213_32
; %bb.31:                               ;   in Loop: Header=BB213_24 Depth=1
	v_mov_b32_e32 v23, v11
	s_waitcnt lgkmcnt(0)
	v_mov_b32_e32 v10, v24
.LBB213_32:                             ;   in Loop: Header=BB213_24 Depth=1
	s_or_b64 exec, exec, s[0:1]
	ds_bpermute_b32 v11, v17, v23
	s_waitcnt lgkmcnt(1)
	ds_bpermute_b32 v24, v17, v10
	s_waitcnt lgkmcnt(1)
	v_cmp_lt_f32_e64 s[8:9], v23, v11
	v_cmp_nlt_f32_e32 vcc, v23, v11
	s_and_saveexec_b64 s[10:11], vcc
	s_cbranch_execz .LBB213_34
; %bb.33:                               ;   in Loop: Header=BB213_24 Depth=1
	v_cmp_eq_f32_e32 vcc, v23, v11
	s_waitcnt lgkmcnt(0)
	v_cmp_lt_i32_e64 s[0:1], v24, v10
	s_and_b64 s[0:1], vcc, s[0:1]
	s_andn2_b64 s[8:9], s[8:9], exec
	s_and_b64 s[0:1], s[0:1], exec
	s_or_b64 s[8:9], s[8:9], s[0:1]
.LBB213_34:                             ;   in Loop: Header=BB213_24 Depth=1
	s_or_b64 exec, exec, s[10:11]
	s_and_saveexec_b64 s[0:1], s[8:9]
	s_cbranch_execz .LBB213_36
; %bb.35:                               ;   in Loop: Header=BB213_24 Depth=1
	v_mov_b32_e32 v23, v11
	s_waitcnt lgkmcnt(0)
	v_mov_b32_e32 v10, v24
.LBB213_36:                             ;   in Loop: Header=BB213_24 Depth=1
	s_or_b64 exec, exec, s[0:1]
	ds_bpermute_b32 v11, v18, v23
	s_waitcnt lgkmcnt(1)
	;; [unrolled: 26-line block ×3, first 2 shown]
	ds_bpermute_b32 v24, v19, v10
	s_waitcnt lgkmcnt(1)
	v_cmp_lt_f32_e64 s[8:9], v23, v11
	v_cmp_nlt_f32_e32 vcc, v23, v11
	s_and_saveexec_b64 s[10:11], vcc
	s_cbranch_execnz .LBB213_44
; %bb.41:                               ;   in Loop: Header=BB213_24 Depth=1
	s_or_b64 exec, exec, s[10:11]
	s_and_saveexec_b64 s[0:1], s[8:9]
	s_cbranch_execnz .LBB213_45
.LBB213_42:                             ;   in Loop: Header=BB213_24 Depth=1
	s_or_b64 exec, exec, s[0:1]
	s_and_saveexec_b64 s[8:9], s[6:7]
	s_cbranch_execnz .LBB213_46
.LBB213_43:                             ;   in Loop: Header=BB213_24 Depth=1
	s_or_b64 exec, exec, s[8:9]
	s_add_i32 s42, s42, 1
	s_cmp_ge_i32 s42, s24
	s_cbranch_scc1 .LBB213_23
	s_branch .LBB213_49
.LBB213_44:                             ;   in Loop: Header=BB213_24 Depth=1
	v_cmp_eq_f32_e32 vcc, v23, v11
	s_waitcnt lgkmcnt(0)
	v_cmp_lt_i32_e64 s[0:1], v24, v10
	s_and_b64 s[0:1], vcc, s[0:1]
	s_andn2_b64 s[8:9], s[8:9], exec
	s_and_b64 s[0:1], s[0:1], exec
	s_or_b64 s[8:9], s[8:9], s[0:1]
	s_or_b64 exec, exec, s[10:11]
	s_and_saveexec_b64 s[0:1], s[8:9]
	s_cbranch_execz .LBB213_42
.LBB213_45:                             ;   in Loop: Header=BB213_24 Depth=1
	s_waitcnt lgkmcnt(0)
	v_mov_b32_e32 v10, v24
	v_mov_b32_e32 v23, v11
	s_or_b64 exec, exec, s[0:1]
	s_and_saveexec_b64 s[8:9], s[6:7]
	s_cbranch_execz .LBB213_43
.LBB213_46:                             ;   in Loop: Header=BB213_24 Depth=1
	s_and_b64 vcc, exec, s[2:3]
	s_cbranch_vccnz .LBB213_48
; %bb.47:                               ;   in Loop: Header=BB213_24 Depth=1
	v_ashrrev_i32_e32 v11, 31, v10
	s_waitcnt lgkmcnt(0)
	v_lshl_add_u64 v[24:25], v[10:11], 2, s[22:23]
	global_load_dword v11, v[24:25], off
	s_waitcnt vmcnt(0)
	v_sub_f32_e32 v23, v23, v11
.LBB213_48:                             ;   in Loop: Header=BB213_24 Depth=1
	s_waitcnt lgkmcnt(0)
	v_add_u32_e32 v24, s42, v14
	v_cmp_le_i32_e32 vcc, s25, v10
	v_cmp_gt_i32_e64 s[0:1], s26, v10
	v_ashrrev_i32_e32 v25, 31, v24
	s_and_b64 s[0:1], vcc, s[0:1]
	v_lshlrev_b64 v[24:25], 2, v[24:25]
	v_lshl_add_u64 v[26:27], s[34:35], 0, v[24:25]
	v_subrev_u32_e32 v11, s25, v10
	s_and_b64 vcc, s[36:37], s[0:1]
	global_store_dword v[26:27], v23, off
	v_cndmask_b32_e32 v11, v20, v11, vcc
	v_lshl_add_u64 v[26:27], s[28:29], 0, v[24:25]
	global_store_dword v[26:27], v11, off
	v_add_f32_e32 v11, v13, v23
	v_lshl_add_u64 v[24:25], s[30:31], 0, v[24:25]
	v_cndmask_b32_e64 v13, v13, v11, s[4:5]
	global_store_dword v[24:25], v22, off
	s_or_b64 exec, exec, s[8:9]
	s_add_i32 s42, s42, 1
	s_cmp_ge_i32 s42, s24
	s_cbranch_scc1 .LBB213_23
.LBB213_49:                             ;   in Loop: Header=BB213_24 Depth=1
	v_ashrrev_i32_e32 v11, 31, v10
	v_lshrrev_b32_e32 v23, 29, v11
	s_waitcnt lgkmcnt(0)
	v_add_u32_e32 v24, v10, v23
	v_ashrrev_i32_e32 v23, 3, v24
	v_ashrrev_i32_e32 v24, 31, v24
	v_lshrrev_b32_e32 v24, 27, v24
	v_add_u32_e32 v24, v23, v24
	v_and_b32_e32 v24, 0xffffffe0, v24
	v_sub_u32_e32 v24, v23, v24
	v_cmp_eq_u32_e32 vcc, v9, v24
	s_and_saveexec_b64 s[40:41], vcc
	s_cbranch_execz .LBB213_22
; %bb.50:                               ;   in Loop: Header=BB213_24 Depth=1
	v_add_u32_sdwa v11, v10, v11 dst_sel:DWORD dst_unused:UNUSED_PAD src0_sel:DWORD src1_sel:BYTE_3
	v_lshlrev_b32_e32 v23, 3, v23
	v_sub_u32_e32 v10, v10, v23
	v_ashrrev_i32_e32 v11, 8, v11
	v_lshl_add_u32 v10, v11, 3, v10
	v_cmp_ne_u32_e32 vcc, 6, v10
	v_cmp_ne_u32_e64 s[0:1], 5, v10
	v_cmp_ne_u32_e64 s[8:9], 4, v10
	;; [unrolled: 1-line block ×7, first 2 shown]
	v_cndmask_b32_e32 v6, v21, v6, vcc
	v_cndmask_b32_e64 v5, v21, v5, s[0:1]
	v_cndmask_b32_e64 v7, v21, v7, s[18:19]
	;; [unrolled: 1-line block ×7, first 2 shown]
	s_branch .LBB213_22
.LBB213_51:
	v_mov_b32_e32 v13, 0
.LBB213_52:
	v_cmp_eq_u32_e32 vcc, 0, v9
	s_and_b64 exec, exec, vcc
	s_cbranch_execz .LBB213_65
; %bb.53:
	s_andn2_b64 vcc, exec, s[4:5]
	v_cvt_f32_f64_e32 v0, s[20:21]
	s_cbranch_vccnz .LBB213_55
; %bb.54:
	v_cmp_lt_f32_e32 vcc, 0, v13
	s_nop 1
	v_cndmask_b32_e32 v1, 1.0, v13, vcc
	v_div_scale_f32 v2, s[0:1], v1, v1, v0
	v_rcp_f32_e32 v3, v2
	s_nop 0
	v_fma_f32 v4, -v2, v3, 1.0
	v_fmac_f32_e32 v3, v4, v3
	v_div_scale_f32 v4, vcc, v0, v1, v0
	v_mul_f32_e32 v5, v4, v3
	v_fma_f32 v6, -v2, v5, v4
	v_fmac_f32_e32 v5, v6, v3
	v_fma_f32 v2, -v2, v5, v4
	v_div_fmas_f32 v2, v2, v3, v5
	v_div_fixup_f32 v0, v2, v1, v0
.LBB213_55:
	s_andn2_b64 vcc, exec, s[38:39]
	s_cbranch_vccnz .LBB213_65
; %bb.56:
	v_mul_lo_u32 v2, v8, s24
	s_cmp_gt_u32 s24, 3
	v_ashrrev_i32_e32 v3, 31, v2
	s_cbranch_scc0 .LBB213_60
; %bb.57:
	s_and_b32 s0, s24, 0x7ffffffc
	v_lshl_add_u64 v[4:5], v[2:3], 2, s[34:35]
	v_mov_b32_e32 v1, v0
	v_lshl_add_u64 v[4:5], v[4:5], 0, 8
	s_mov_b32 s1, s0
.LBB213_58:                             ; =>This Inner Loop Header: Depth=1
	global_load_dwordx4 v[6:9], v[4:5], off offset:-8
	s_add_i32 s1, s1, -4
	s_cmp_lg_u32 s1, 0
	s_waitcnt vmcnt(0)
	v_pk_mul_f32 v[6:7], v[0:1], v[6:7]
	v_pk_mul_f32 v[8:9], v[0:1], v[8:9]
	global_store_dwordx4 v[4:5], v[6:9], off offset:-8
	v_lshl_add_u64 v[4:5], v[4:5], 0, 16
	s_cbranch_scc1 .LBB213_58
; %bb.59:
	s_cmp_lg_u32 s0, s24
	s_cselect_b64 s[2:3], -1, 0
	s_branch .LBB213_62
.LBB213_60:
	s_mov_b64 s[2:3], 0
                                        ; implicit-def: $sgpr0
	s_cbranch_execz .LBB213_62
; %bb.61:
	s_mov_b64 s[2:3], -1
	s_mov_b32 s0, 0
.LBB213_62:
	s_andn2_b64 vcc, exec, s[2:3]
	s_cbranch_vccnz .LBB213_65
; %bb.63:
	s_mov_b32 s1, 0
	v_lshl_add_u64 v[2:3], v[2:3], 0, s[0:1]
	s_sub_i32 s2, s24, s0
	v_lshl_add_u64 v[2:3], v[2:3], 2, s[34:35]
.LBB213_64:                             ; =>This Inner Loop Header: Depth=1
	global_load_dword v1, v[2:3], off
	s_add_i32 s2, s2, -1
	s_cmp_lg_u32 s2, 0
	s_waitcnt vmcnt(0)
	v_mul_f32_e32 v1, v0, v1
	global_store_dword v[2:3], v1, off
	v_lshl_add_u64 v[2:3], v[2:3], 0, 4
	s_cbranch_scc1 .LBB213_64
.LBB213_65:
	s_endpgm
	.section	.rodata,"a",@progbits
	.p2align	6, 0x0
	.amdhsa_kernel _ZN4vllm3moe22topkGatingSoftplusSqrtILi8ELi256ELi4ELi16ELi64ELb0Ei6__halfEEvPKT6_PKbPfiPT5_PiiiibdPKfPKS9_SF_
		.amdhsa_group_segment_fixed_size 0
		.amdhsa_private_segment_fixed_size 0
		.amdhsa_kernarg_size 96
		.amdhsa_user_sgpr_count 2
		.amdhsa_user_sgpr_dispatch_ptr 0
		.amdhsa_user_sgpr_queue_ptr 0
		.amdhsa_user_sgpr_kernarg_segment_ptr 1
		.amdhsa_user_sgpr_dispatch_id 0
		.amdhsa_user_sgpr_kernarg_preload_length 0
		.amdhsa_user_sgpr_kernarg_preload_offset 0
		.amdhsa_user_sgpr_private_segment_size 0
		.amdhsa_uses_dynamic_stack 0
		.amdhsa_enable_private_segment 0
		.amdhsa_system_sgpr_workgroup_id_x 1
		.amdhsa_system_sgpr_workgroup_id_y 0
		.amdhsa_system_sgpr_workgroup_id_z 0
		.amdhsa_system_sgpr_workgroup_info 0
		.amdhsa_system_vgpr_workitem_id 1
		.amdhsa_next_free_vgpr 28
		.amdhsa_next_free_sgpr 43
		.amdhsa_accum_offset 28
		.amdhsa_reserve_vcc 1
		.amdhsa_float_round_mode_32 0
		.amdhsa_float_round_mode_16_64 0
		.amdhsa_float_denorm_mode_32 3
		.amdhsa_float_denorm_mode_16_64 3
		.amdhsa_dx10_clamp 1
		.amdhsa_ieee_mode 1
		.amdhsa_fp16_overflow 0
		.amdhsa_tg_split 0
		.amdhsa_exception_fp_ieee_invalid_op 0
		.amdhsa_exception_fp_denorm_src 0
		.amdhsa_exception_fp_ieee_div_zero 0
		.amdhsa_exception_fp_ieee_overflow 0
		.amdhsa_exception_fp_ieee_underflow 0
		.amdhsa_exception_fp_ieee_inexact 0
		.amdhsa_exception_int_div_zero 0
	.end_amdhsa_kernel
	.section	.text._ZN4vllm3moe22topkGatingSoftplusSqrtILi8ELi256ELi4ELi16ELi64ELb0Ei6__halfEEvPKT6_PKbPfiPT5_PiiiibdPKfPKS9_SF_,"axG",@progbits,_ZN4vllm3moe22topkGatingSoftplusSqrtILi8ELi256ELi4ELi16ELi64ELb0Ei6__halfEEvPKT6_PKbPfiPT5_PiiiibdPKfPKS9_SF_,comdat
.Lfunc_end213:
	.size	_ZN4vllm3moe22topkGatingSoftplusSqrtILi8ELi256ELi4ELi16ELi64ELb0Ei6__halfEEvPKT6_PKbPfiPT5_PiiiibdPKfPKS9_SF_, .Lfunc_end213-_ZN4vllm3moe22topkGatingSoftplusSqrtILi8ELi256ELi4ELi16ELi64ELb0Ei6__halfEEvPKT6_PKbPfiPT5_PiiiibdPKfPKS9_SF_
                                        ; -- End function
	.section	.AMDGPU.csdata,"",@progbits
; Kernel info:
; codeLenInByte = 4208
; NumSgprs: 49
; NumVgprs: 28
; NumAgprs: 0
; TotalNumVgprs: 28
; ScratchSize: 0
; MemoryBound: 0
; FloatMode: 240
; IeeeMode: 1
; LDSByteSize: 0 bytes/workgroup (compile time only)
; SGPRBlocks: 6
; VGPRBlocks: 3
; NumSGPRsForWavesPerEU: 49
; NumVGPRsForWavesPerEU: 28
; AccumOffset: 28
; Occupancy: 8
; WaveLimiterHint : 0
; COMPUTE_PGM_RSRC2:SCRATCH_EN: 0
; COMPUTE_PGM_RSRC2:USER_SGPR: 2
; COMPUTE_PGM_RSRC2:TRAP_HANDLER: 0
; COMPUTE_PGM_RSRC2:TGID_X_EN: 1
; COMPUTE_PGM_RSRC2:TGID_Y_EN: 0
; COMPUTE_PGM_RSRC2:TGID_Z_EN: 0
; COMPUTE_PGM_RSRC2:TIDIG_COMP_CNT: 1
; COMPUTE_PGM_RSRC3_GFX90A:ACCUM_OFFSET: 6
; COMPUTE_PGM_RSRC3_GFX90A:TG_SPLIT: 0
	.section	.text._ZN4vllm3moe22topkGatingSoftplusSqrtILi8ELi256ELi4ELi16ELi32ELb1Ei6__halfEEvPKT6_PKbPfiPT5_PiiiibdPKfPKS9_SF_,"axG",@progbits,_ZN4vllm3moe22topkGatingSoftplusSqrtILi8ELi256ELi4ELi16ELi32ELb1Ei6__halfEEvPKT6_PKbPfiPT5_PiiiibdPKfPKS9_SF_,comdat
	.protected	_ZN4vllm3moe22topkGatingSoftplusSqrtILi8ELi256ELi4ELi16ELi32ELb1Ei6__halfEEvPKT6_PKbPfiPT5_PiiiibdPKfPKS9_SF_ ; -- Begin function _ZN4vllm3moe22topkGatingSoftplusSqrtILi8ELi256ELi4ELi16ELi32ELb1Ei6__halfEEvPKT6_PKbPfiPT5_PiiiibdPKfPKS9_SF_
	.globl	_ZN4vllm3moe22topkGatingSoftplusSqrtILi8ELi256ELi4ELi16ELi32ELb1Ei6__halfEEvPKT6_PKbPfiPT5_PiiiibdPKfPKS9_SF_
	.p2align	8
	.type	_ZN4vllm3moe22topkGatingSoftplusSqrtILi8ELi256ELi4ELi16ELi32ELb1Ei6__halfEEvPKT6_PKbPfiPT5_PiiiibdPKfPKS9_SF_,@function
_ZN4vllm3moe22topkGatingSoftplusSqrtILi8ELi256ELi4ELi16ELi32ELb1Ei6__halfEEvPKT6_PKbPfiPT5_PiiiibdPKfPKS9_SF_: ; @_ZN4vllm3moe22topkGatingSoftplusSqrtILi8ELi256ELi4ELi16ELi32ELb1Ei6__halfEEvPKT6_PKbPfiPT5_PiiiibdPKfPKS9_SF_
; %bb.0:
	s_load_dword s3, s[0:1], 0x18
	v_and_b32_e32 v11, 0x3ff, v0
	s_lshl_b32 s2, s2, 2
	v_lshrrev_b32_e32 v1, 5, v11
	v_bfe_u32 v0, v0, 10, 10
	v_add3_u32 v6, s2, v0, v1
	s_waitcnt lgkmcnt(0)
	v_cmp_gt_i32_e32 vcc, s3, v6
	s_and_saveexec_b64 s[2:3], vcc
	s_cbranch_execz .LBB214_31
; %bb.1:
	s_load_dwordx2 s[2:3], s[0:1], 0x0
	s_load_dword s33, s[0:1], 0x30
	v_lshlrev_b32_e32 v0, 8, v6
	v_lshlrev_b32_e32 v2, 3, v11
	v_ashrrev_i32_e32 v1, 31, v0
	v_and_b32_e32 v10, 0xf8, v2
	s_waitcnt lgkmcnt(0)
	v_lshl_add_u64 v[0:1], v[0:1], 1, s[2:3]
	v_lshlrev_b32_e32 v4, 1, v10
	v_mov_b32_e32 v5, 0
	v_lshl_add_u64 v[0:1], v[0:1], 0, v[4:5]
	global_load_dwordx4 v[0:3], v[0:1], off
	s_load_dwordx4 s[8:11], s[0:1], 0x50
	v_ashrrev_i32_e32 v7, 31, v6
	s_mov_b32 s15, 0x800000
	s_mov_b32 s13, 0x3f317217
	;; [unrolled: 1-line block ×3, first 2 shown]
	s_waitcnt lgkmcnt(0)
	v_mov_b32_e32 v8, s8
	v_mov_b32_e32 v9, s9
	v_lshl_add_u64 v[8:9], v[6:7], 2, v[8:9]
	global_load_dword v4, v[8:9], off
	v_mov_b32_e32 v7, 0x4f800000
	v_mov_b32_e32 v16, 0x41b17218
	s_movk_i32 s9, 0x4d00
	s_mov_b32 s12, 0xf800000
	v_mov_b32_e32 v17, 0x260
	s_cmp_gt_i32 s33, 0
	s_mov_b32 s8, 0
	s_waitcnt vmcnt(1)
	v_cvt_f32_f16_e32 v18, v0
	v_cvt_f32_f16_sdwa v19, v0 dst_sel:DWORD dst_unused:UNUSED_PAD src0_sel:WORD_1
	v_cvt_f32_f16_e32 v20, v1
	v_cvt_f32_f16_sdwa v21, v1 dst_sel:DWORD dst_unused:UNUSED_PAD src0_sel:WORD_1
	v_mul_f32_e32 v8, 0x3fb8aa3b, v18
	v_mul_f32_e32 v9, 0x3fb8aa3b, v19
	v_exp_f32_e32 v12, v8
	v_exp_f32_e32 v13, v9
	v_mul_f32_e32 v14, 0x3fb8aa3b, v20
	v_mul_f32_e32 v15, 0x3fb8aa3b, v21
	v_exp_f32_e32 v14, v14
	v_exp_f32_e32 v15, v15
	v_pk_add_f32 v[12:13], v[12:13], 1.0 op_sel_hi:[1,0]
	s_waitcnt vmcnt(0)
	v_mul_lo_u32 v8, v4, s33
	v_cmp_gt_f32_e32 vcc, s15, v13
	v_pk_add_f32 v[14:15], v[14:15], 1.0 op_sel_hi:[1,0]
	v_cmp_gt_f32_e64 s[2:3], s15, v12
	v_cndmask_b32_e32 v4, 1.0, v7, vcc
	v_cmp_gt_f32_e64 s[4:5], s15, v15
	v_cndmask_b32_e64 v22, 1.0, v7, s[2:3]
	v_mul_f32_e32 v4, v13, v4
	v_cndmask_b32_e64 v23, 1.0, v7, s[4:5]
	v_mul_f32_e32 v12, v12, v22
	v_log_f32_e32 v4, v4
	v_mul_f32_e32 v15, v15, v23
	v_log_f32_e32 v12, v12
	v_cmp_gt_f32_e64 s[6:7], s15, v14
	v_log_f32_e32 v15, v15
	v_cndmask_b32_e32 v13, 0, v16, vcc
	v_cndmask_b32_e64 v24, 1.0, v7, s[6:7]
	v_mul_f32_e32 v14, v14, v24
	v_mul_f32_e32 v24, 0x3f317217, v4
	;; [unrolled: 1-line block ×3, first 2 shown]
	v_fma_f32 v24, v4, s13, -v24
	v_mul_f32_e32 v26, 0x3f317217, v15
	v_fma_f32 v25, v12, s13, -v25
	v_fmac_f32_e32 v24, 0x3377d1cf, v4
	v_fma_f32 v26, v15, s13, -v26
	v_fmac_f32_e32 v25, 0x3377d1cf, v12
	v_fmac_f32_e32 v24, 0x3f317217, v4
	v_cmp_lt_f32_e64 vcc, |v4|, s14
	v_fmac_f32_e32 v26, 0x3377d1cf, v15
	v_fmac_f32_e32 v25, 0x3f317217, v12
	v_cndmask_b32_e32 v4, v4, v24, vcc
	v_cmp_lt_f32_e64 vcc, |v12|, s14
	v_cndmask_b32_e64 v22, 0, v16, s[2:3]
	v_fmac_f32_e32 v26, 0x3f317217, v15
	v_cndmask_b32_e32 v12, v12, v25, vcc
	v_cmp_lt_f32_e64 vcc, |v15|, s14
	v_sub_f32_e32 v12, v12, v22
	v_sub_f32_e32 v4, v4, v13
	v_cndmask_b32_e32 v15, v15, v26, vcc
	v_cmp_lt_f16_e32 vcc, s9, v0
	v_cndmask_b32_e64 v23, 0, v16, s[4:5]
	v_log_f32_e32 v14, v14
	v_cndmask_b32_e32 v12, v12, v18, vcc
	v_cmp_gt_f16_sdwa vcc, v0, s9 src0_sel:WORD_1 src1_sel:DWORD
	v_mul_f32_e32 v13, 0x4f800000, v12
	v_cmp_gt_f32_e64 s[2:3], s12, v12
	v_cndmask_b32_e32 v0, v4, v19, vcc
	v_mul_f32_e32 v4, 0x4f800000, v0
	v_cmp_gt_f32_e32 vcc, s12, v0
	v_cndmask_b32_e64 v12, v12, v13, s[2:3]
	v_sqrt_f32_e32 v13, v12
	v_cndmask_b32_e32 v0, v0, v4, vcc
	v_sqrt_f32_e32 v4, v0
	v_sub_f32_e32 v15, v15, v23
	v_add_u32_e32 v22, -1, v13
	v_fma_f32 v26, -v22, v13, v12
	v_add_u32_e32 v18, -1, v4
	v_fma_f32 v24, -v18, v4, v0
	v_add_u32_e32 v19, 1, v4
	v_cmp_ge_f32_e64 s[4:5], 0, v24
	v_add_u32_e32 v23, 1, v13
	v_fma_f32 v25, -v19, v4, v0
	v_cndmask_b32_e64 v4, v4, v18, s[4:5]
	v_cmp_ge_f32_e64 s[4:5], 0, v26
	v_fma_f32 v28, -v23, v13, v12
	v_mul_f32_e32 v27, 0x3f317217, v14
	v_cndmask_b32_e64 v13, v13, v22, s[4:5]
	v_cmp_lt_f32_e64 s[4:5], 0, v25
	v_fma_f32 v27, v14, s13, -v27
	v_fmac_f32_e32 v27, 0x3377d1cf, v14
	v_cndmask_b32_e64 v4, v4, v19, s[4:5]
	v_cmp_lt_f32_e64 s[4:5], 0, v28
	v_mul_f32_e32 v18, 0x37800000, v4
	v_cndmask_b32_e32 v4, v4, v18, vcc
	v_cndmask_b32_e64 v13, v13, v23, s[4:5]
	v_mul_f32_e32 v19, 0x37800000, v13
	v_cmp_class_f32_e32 vcc, v0, v17
	v_cndmask_b32_e64 v18, v13, v19, s[2:3]
	v_fmac_f32_e32 v27, 0x3f317217, v14
	v_cndmask_b32_e32 v13, v4, v0, vcc
	v_cmp_class_f32_e32 vcc, v12, v17
	v_cndmask_b32_e64 v4, 0, v16, s[6:7]
	v_cmp_lt_f16_e64 s[2:3], s9, v1
	v_cndmask_b32_e32 v12, v18, v12, vcc
	v_cmp_lt_f32_e64 vcc, |v14|, s14
	v_cvt_f32_f16_e32 v19, v2
	v_ashrrev_i32_e32 v9, 31, v8
	v_cndmask_b32_e32 v0, v14, v27, vcc
	v_cmp_gt_f16_sdwa vcc, v1, s9 src0_sel:WORD_1 src1_sel:DWORD
	v_sub_f32_e32 v0, v0, v4
	v_cndmask_b32_e64 v0, v0, v20, s[2:3]
	v_cndmask_b32_e32 v14, v15, v21, vcc
	v_mul_f32_e32 v15, 0x4f800000, v14
	v_cmp_gt_f32_e32 vcc, s12, v14
	v_cvt_f32_f16_sdwa v20, v2 dst_sel:DWORD dst_unused:UNUSED_PAD src0_sel:WORD_1
	s_nop 0
	v_cndmask_b32_e32 v14, v14, v15, vcc
	v_sqrt_f32_e32 v15, v14
	s_nop 0
	v_add_u32_e32 v1, -1, v15
	v_fma_f32 v4, -v1, v15, v14
	v_cmp_ge_f32_e64 s[2:3], 0, v4
	v_add_u32_e32 v4, 1, v15
	s_nop 0
	v_cndmask_b32_e64 v1, v15, v1, s[2:3]
	v_fma_f32 v15, -v4, v15, v14
	v_cmp_lt_f32_e64 s[2:3], 0, v15
	v_mul_f32_e32 v15, 0x4f800000, v0
	s_nop 0
	v_cndmask_b32_e64 v1, v1, v4, s[2:3]
	v_cmp_gt_f32_e64 s[2:3], s12, v0
	v_mul_f32_e32 v4, 0x37800000, v1
	v_cndmask_b32_e32 v1, v1, v4, vcc
	v_cndmask_b32_e64 v18, v0, v15, s[2:3]
	v_sqrt_f32_e32 v0, v18
	v_cmp_class_f32_e32 vcc, v14, v17
	s_nop 1
	v_cndmask_b32_e32 v15, v1, v14, vcc
	v_add_u32_e32 v1, -1, v0
	v_fma_f32 v4, -v1, v0, v18
	v_cmp_ge_f32_e32 vcc, 0, v4
	v_add_u32_e32 v14, 1, v0
	v_fma_f32 v21, -v14, v0, v18
	v_cndmask_b32_e32 v4, v0, v1, vcc
	v_mul_f32_e32 v0, 0x3fb8aa3b, v19
	v_mul_f32_e32 v1, 0x3fb8aa3b, v20
	v_exp_f32_e32 v0, v0
	v_exp_f32_e32 v1, v1
	v_cmp_lt_f32_e32 vcc, 0, v21
	v_pk_add_f32 v[0:1], v[0:1], 1.0 op_sel_hi:[1,0]
	s_nop 0
	v_cndmask_b32_e32 v4, v4, v14, vcc
	v_mul_f32_e32 v14, 0x37800000, v4
	v_cmp_gt_f32_e32 vcc, s15, v1
	v_cndmask_b32_e64 v4, v4, v14, s[2:3]
	v_cmp_class_f32_e64 s[2:3], v18, v17
	v_cndmask_b32_e32 v14, 1.0, v7, vcc
	v_mul_f32_e32 v1, v1, v14
	v_log_f32_e32 v1, v1
	v_cndmask_b32_e64 v14, v4, v18, s[2:3]
	v_cmp_gt_f32_e64 s[2:3], s15, v0
	scratch_store_dwordx4 off, v[12:15], off
	v_mul_f32_e32 v4, 0x3f317217, v1
	v_fma_f32 v4, v1, s13, -v4
	v_cndmask_b32_e64 v12, 1.0, v7, s[2:3]
	v_mul_f32_e32 v0, v0, v12
	v_log_f32_e32 v0, v0
	v_fmac_f32_e32 v4, 0x3377d1cf, v1
	v_fmac_f32_e32 v4, 0x3f317217, v1
	v_cmp_lt_f32_e64 s[4:5], |v1|, s14
	v_cvt_f32_f16_sdwa v15, v3 dst_sel:DWORD dst_unused:UNUSED_PAD src0_sel:WORD_1
	v_mul_f32_e32 v13, 0x3fb8aa3b, v15
	v_cndmask_b32_e64 v1, v1, v4, s[4:5]
	v_cndmask_b32_e32 v4, 0, v16, vcc
	v_sub_f32_e32 v1, v1, v4
	v_mul_f32_e32 v4, 0x3f317217, v0
	v_fma_f32 v4, v0, s13, -v4
	v_fmac_f32_e32 v4, 0x3377d1cf, v0
	v_fmac_f32_e32 v4, 0x3f317217, v0
	v_cmp_lt_f32_e64 vcc, |v0|, s14
	v_exp_f32_e32 v13, v13
	s_nop 0
	v_cndmask_b32_e32 v0, v0, v4, vcc
	v_cmp_gt_f16_sdwa vcc, v2, s9 src0_sel:WORD_1 src1_sel:DWORD
	v_cndmask_b32_e64 v4, 0, v16, s[2:3]
	v_cmp_lt_f16_e64 s[2:3], s9, v2
	v_cndmask_b32_e32 v1, v1, v20, vcc
	v_mul_f32_e32 v12, 0x4f800000, v1
	v_cmp_gt_f32_e32 vcc, s12, v1
	v_sub_f32_e32 v0, v0, v4
	v_cndmask_b32_e64 v0, v0, v19, s[2:3]
	v_cndmask_b32_e32 v1, v1, v12, vcc
	v_sqrt_f32_e32 v12, v1
	s_nop 0
	v_add_u32_e32 v2, -1, v12
	v_fma_f32 v4, -v2, v12, v1
	v_cmp_ge_f32_e64 s[2:3], 0, v4
	v_add_u32_e32 v4, 1, v12
	s_nop 0
	v_cndmask_b32_e64 v2, v12, v2, s[2:3]
	v_fma_f32 v12, -v4, v12, v1
	v_cmp_lt_f32_e64 s[2:3], 0, v12
	v_mul_f32_e32 v12, 0x4f800000, v0
	s_nop 0
	v_cndmask_b32_e64 v2, v2, v4, s[2:3]
	v_cmp_gt_f32_e64 s[2:3], s12, v0
	v_mul_f32_e32 v4, 0x37800000, v2
	v_cndmask_b32_e32 v2, v2, v4, vcc
	v_cndmask_b32_e64 v0, v0, v12, s[2:3]
	v_sqrt_f32_e32 v12, v0
	v_cmp_class_f32_e32 vcc, v1, v17
	v_add_u32_e32 v14, 1, v12
	s_nop 0
	v_cndmask_b32_e32 v1, v2, v1, vcc
	v_add_u32_e32 v2, -1, v12
	v_fma_f32 v4, -v2, v12, v0
	v_cmp_ge_f32_e32 vcc, 0, v4
	v_cvt_f32_f16_e32 v4, v3
	v_fma_f32 v18, -v14, v12, v0
	v_cndmask_b32_e32 v2, v12, v2, vcc
	v_cmp_lt_f32_e32 vcc, 0, v18
	v_mul_f32_e32 v12, 0x3fb8aa3b, v4
	v_exp_f32_e32 v12, v12
	v_cndmask_b32_e32 v2, v2, v14, vcc
	v_mul_f32_e32 v14, 0x37800000, v2
	v_cndmask_b32_e64 v2, v2, v14, s[2:3]
	v_pk_add_f32 v[12:13], v[12:13], 1.0 op_sel_hi:[1,0]
	v_cmp_class_f32_e64 s[2:3], v0, v17
	v_cmp_gt_f32_e32 vcc, s15, v13
	s_nop 0
	v_cndmask_b32_e64 v0, v2, v0, s[2:3]
	v_cndmask_b32_e32 v18, 1.0, v7, vcc
	v_mul_f32_e32 v13, v13, v18
	v_log_f32_e32 v13, v13
	v_cmp_gt_f32_e64 s[2:3], s15, v12
	v_mul_f32_e32 v2, 0x3f317217, v13
	s_nop 0
	v_cndmask_b32_e64 v7, 1.0, v7, s[2:3]
	v_mul_f32_e32 v7, v12, v7
	v_fma_f32 v2, v13, s13, -v2
	v_log_f32_e32 v7, v7
	v_fmac_f32_e32 v2, 0x3377d1cf, v13
	v_fmac_f32_e32 v2, 0x3f317217, v13
	v_cmp_lt_f32_e64 s[4:5], |v13|, s14
	v_cndmask_b32_e32 v12, 0, v16, vcc
	v_cmp_lt_f32_e64 vcc, |v7|, s14
	v_cndmask_b32_e64 v2, v13, v2, s[4:5]
	v_sub_f32_e32 v2, v2, v12
	v_mul_f32_e32 v12, 0x3f317217, v7
	v_fma_f32 v12, v7, s13, -v12
	v_fmac_f32_e32 v12, 0x3377d1cf, v7
	v_fmac_f32_e32 v12, 0x3f317217, v7
	v_cndmask_b32_e32 v7, v7, v12, vcc
	v_cmp_gt_f16_sdwa vcc, v3, s9 src0_sel:WORD_1 src1_sel:DWORD
	v_cndmask_b32_e64 v12, 0, v16, s[2:3]
	v_sub_f32_e32 v7, v7, v12
	v_cndmask_b32_e32 v2, v2, v15, vcc
	v_mul_f32_e32 v13, 0x4f800000, v2
	v_cmp_gt_f32_e32 vcc, s12, v2
	v_cmp_lt_f16_e64 s[2:3], s9, v3
	s_cselect_b64 s[4:5], -1, 0
	v_cndmask_b32_e32 v2, v2, v13, vcc
	v_sqrt_f32_e32 v13, v2
	v_cndmask_b32_e64 v3, v7, v4, s[2:3]
	s_cmp_lt_i32 s33, 1
	v_add_u32_e32 v4, -1, v13
	v_fma_f32 v7, -v4, v13, v2
	v_cmp_ge_f32_e64 s[2:3], 0, v7
	v_add_u32_e32 v7, 1, v13
	v_fma_f32 v12, -v7, v13, v2
	v_cndmask_b32_e64 v4, v13, v4, s[2:3]
	v_cmp_lt_f32_e64 s[2:3], 0, v12
	v_mul_f32_e32 v12, 0x4f800000, v3
	s_nop 0
	v_cndmask_b32_e64 v4, v4, v7, s[2:3]
	v_cmp_gt_f32_e64 s[2:3], s12, v3
	v_mul_f32_e32 v7, 0x37800000, v4
	s_nop 0
	v_cndmask_b32_e64 v12, v3, v12, s[2:3]
	v_sqrt_f32_e32 v13, v12
	v_cndmask_b32_e32 v3, v4, v7, vcc
	v_cmp_class_f32_e32 vcc, v2, v17
	s_nop 1
	v_cndmask_b32_e32 v3, v3, v2, vcc
	v_add_u32_e32 v2, -1, v13
	v_fma_f32 v4, -v2, v13, v12
	v_cmp_ge_f32_e32 vcc, 0, v4
	v_add_u32_e32 v4, 1, v13
	v_fma_f32 v7, -v4, v13, v12
	v_cndmask_b32_e32 v2, v13, v2, vcc
	v_cmp_lt_f32_e32 vcc, 0, v7
	s_nop 1
	v_cndmask_b32_e32 v2, v2, v4, vcc
	v_mul_f32_e32 v4, 0x37800000, v2
	v_cndmask_b32_e64 v2, v2, v4, s[2:3]
	v_cmp_class_f32_e32 vcc, v12, v17
	s_nop 1
	v_cndmask_b32_e32 v2, v2, v12, vcc
	scratch_store_dwordx4 off, v[0:3], off offset:16
	s_nop 1
	v_lshl_add_u64 v[2:3], v[8:9], 2, s[10:11]
	v_mul_lo_u32 v0, v6, s33
	s_cbranch_scc1 .LBB214_28
; %bb.2:
	s_load_dwordx2 s[6:7], s[0:1], 0x20
	s_cmp_lt_u32 s33, 4
	v_and_b32_e32 v4, 31, v11
	s_cbranch_scc1 .LBB214_21
; %bb.3:
	v_lshlrev_b32_e32 v5, 3, v4
	s_mov_b32 s11, 0
	s_and_b32 s8, s33, 0x7ffffffc
	v_ashrrev_i32_e32 v1, 31, v0
	v_sub_u32_e32 v11, 0, v5
	v_mov_b32_e32 v5, 0
	s_mov_b32 s10, s11
	s_branch .LBB214_5
.LBB214_4:                              ;   in Loop: Header=BB214_5 Depth=1
	s_or_b64 exec, exec, s[12:13]
	s_add_i32 s10, s10, 4
	s_cmp_eq_u32 s10, s8
	s_cbranch_scc1 .LBB214_21
.LBB214_5:                              ; =>This Loop Header: Depth=1
                                        ;     Child Loop BB214_7 Depth 2
                                        ;     Child Loop BB214_11 Depth 2
	;; [unrolled: 1-line block ×4, first 2 shown]
	v_lshl_add_u64 v[6:7], s[10:11], 2, v[2:3]
	global_load_dword v12, v[6:7], off
	v_add_u32_e32 v8, s10, v0
	v_ashrrev_i32_e32 v9, 31, v8
	v_mov_b32_e32 v13, 0
	s_mov_b64 s[12:13], 0
	s_waitcnt lgkmcnt(0)
	v_lshl_add_u64 v[8:9], v[8:9], 2, s[6:7]
	s_mov_b32 s9, 0
	s_waitcnt vmcnt(0)
	v_add_u32_e32 v14, v11, v12
	s_branch .LBB214_7
.LBB214_6:                              ;   in Loop: Header=BB214_7 Depth=2
	s_or_b64 exec, exec, s[14:15]
	s_add_i32 s16, s9, 1
	s_cmp_gt_u32 s9, 6
	s_cselect_b64 s[2:3], -1, 0
	s_xor_b64 s[14:15], vcc, -1
	s_or_b64 s[2:3], s[14:15], s[2:3]
	s_and_b64 s[2:3], exec, s[2:3]
	v_add_u32_e32 v13, 4, v13
	s_or_b64 s[12:13], s[2:3], s[12:13]
	s_mov_b32 s9, s16
	s_andn2_b64 exec, exec, s[12:13]
	s_cbranch_execz .LBB214_9
.LBB214_7:                              ;   Parent Loop BB214_5 Depth=1
                                        ; =>  This Inner Loop Header: Depth=2
	v_cmp_ne_u32_e32 vcc, s9, v14
	v_cmp_eq_u32_e64 s[2:3], s9, v14
	s_and_saveexec_b64 s[14:15], s[2:3]
	s_cbranch_execz .LBB214_6
; %bb.8:                                ;   in Loop: Header=BB214_7 Depth=2
	scratch_load_dword v15, v13, off
	s_waitcnt vmcnt(0)
	v_add_f32_e32 v5, v5, v15
	global_store_dword v[8:9], v12, off
	s_branch .LBB214_6
.LBB214_9:                              ;   in Loop: Header=BB214_5 Depth=1
	s_or_b64 exec, exec, s[12:13]
	global_load_dword v12, v[6:7], off offset:4
	s_ashr_i32 s3, s10, 31
	s_mov_b32 s2, s10
	v_lshl_add_u64 v[8:9], s[2:3], 0, v[0:1]
	v_mov_b32_e32 v13, 0
	s_mov_b32 s9, 0
	v_lshl_add_u64 v[8:9], v[8:9], 2, s[6:7]
	s_mov_b64 s[12:13], 0
	s_waitcnt vmcnt(0)
	v_add_u32_e32 v14, v11, v12
	s_branch .LBB214_11
.LBB214_10:                             ;   in Loop: Header=BB214_11 Depth=2
	s_or_b64 exec, exec, s[14:15]
	s_add_i32 s16, s9, 1
	s_cmp_gt_u32 s9, 6
	s_cselect_b64 s[2:3], -1, 0
	s_xor_b64 s[14:15], vcc, -1
	s_or_b64 s[2:3], s[14:15], s[2:3]
	s_and_b64 s[2:3], exec, s[2:3]
	v_add_u32_e32 v13, 4, v13
	s_or_b64 s[12:13], s[2:3], s[12:13]
	s_mov_b32 s9, s16
	s_andn2_b64 exec, exec, s[12:13]
	s_cbranch_execz .LBB214_13
.LBB214_11:                             ;   Parent Loop BB214_5 Depth=1
                                        ; =>  This Inner Loop Header: Depth=2
	v_cmp_ne_u32_e32 vcc, s9, v14
	v_cmp_eq_u32_e64 s[2:3], s9, v14
	s_and_saveexec_b64 s[14:15], s[2:3]
	s_cbranch_execz .LBB214_10
; %bb.12:                               ;   in Loop: Header=BB214_11 Depth=2
	scratch_load_dword v15, v13, off
	s_waitcnt vmcnt(0)
	v_add_f32_e32 v5, v5, v15
	global_store_dword v[8:9], v12, off offset:4
	s_branch .LBB214_10
.LBB214_13:                             ;   in Loop: Header=BB214_5 Depth=1
	s_or_b64 exec, exec, s[12:13]
	global_load_dword v12, v[6:7], off offset:8
	v_mov_b32_e32 v13, 0
	s_mov_b32 s9, 0
	s_mov_b64 s[12:13], 0
	s_waitcnt vmcnt(0)
	v_add_u32_e32 v14, v11, v12
	s_branch .LBB214_15
.LBB214_14:                             ;   in Loop: Header=BB214_15 Depth=2
	s_or_b64 exec, exec, s[14:15]
	s_add_i32 s16, s9, 1
	s_cmp_gt_u32 s9, 6
	s_cselect_b64 s[2:3], -1, 0
	s_xor_b64 s[14:15], vcc, -1
	s_or_b64 s[2:3], s[14:15], s[2:3]
	s_and_b64 s[2:3], exec, s[2:3]
	v_add_u32_e32 v13, 4, v13
	s_or_b64 s[12:13], s[2:3], s[12:13]
	s_mov_b32 s9, s16
	s_andn2_b64 exec, exec, s[12:13]
	s_cbranch_execz .LBB214_17
.LBB214_15:                             ;   Parent Loop BB214_5 Depth=1
                                        ; =>  This Inner Loop Header: Depth=2
	v_cmp_ne_u32_e32 vcc, s9, v14
	v_cmp_eq_u32_e64 s[2:3], s9, v14
	s_and_saveexec_b64 s[14:15], s[2:3]
	s_cbranch_execz .LBB214_14
; %bb.16:                               ;   in Loop: Header=BB214_15 Depth=2
	scratch_load_dword v15, v13, off
	s_waitcnt vmcnt(0)
	v_add_f32_e32 v5, v5, v15
	global_store_dword v[8:9], v12, off offset:8
	s_branch .LBB214_14
.LBB214_17:                             ;   in Loop: Header=BB214_5 Depth=1
	s_or_b64 exec, exec, s[12:13]
	global_load_dword v6, v[6:7], off offset:12
	v_mov_b32_e32 v7, 0
	s_mov_b32 s9, 0
	s_mov_b64 s[12:13], 0
	s_waitcnt vmcnt(0)
	v_add_u32_e32 v12, v11, v6
	s_branch .LBB214_19
.LBB214_18:                             ;   in Loop: Header=BB214_19 Depth=2
	s_or_b64 exec, exec, s[14:15]
	s_add_i32 s16, s9, 1
	s_cmp_gt_u32 s9, 6
	s_cselect_b64 s[2:3], -1, 0
	s_xor_b64 s[14:15], vcc, -1
	s_or_b64 s[2:3], s[14:15], s[2:3]
	s_and_b64 s[2:3], exec, s[2:3]
	v_add_u32_e32 v7, 4, v7
	s_or_b64 s[12:13], s[2:3], s[12:13]
	s_mov_b32 s9, s16
	s_andn2_b64 exec, exec, s[12:13]
	s_cbranch_execz .LBB214_4
.LBB214_19:                             ;   Parent Loop BB214_5 Depth=1
                                        ; =>  This Inner Loop Header: Depth=2
	v_cmp_ne_u32_e32 vcc, s9, v12
	v_cmp_eq_u32_e64 s[2:3], s9, v12
	s_and_saveexec_b64 s[14:15], s[2:3]
	s_cbranch_execz .LBB214_18
; %bb.20:                               ;   in Loop: Header=BB214_19 Depth=2
	scratch_load_dword v13, v7, off
	s_waitcnt vmcnt(0)
	v_add_f32_e32 v5, v5, v13
	global_store_dword v[8:9], v6, off offset:12
	s_branch .LBB214_18
.LBB214_21:
	s_and_b32 s14, s33, 3
	s_cmp_eq_u32 s14, 0
	s_mov_b32 s9, 0
	s_cbranch_scc1 .LBB214_28
; %bb.22:
	v_lshlrev_b32_e32 v1, 3, v4
	v_sub_u32_e32 v1, 0, v1
	s_mov_b32 s15, s9
	s_branch .LBB214_24
.LBB214_23:                             ;   in Loop: Header=BB214_24 Depth=1
	s_or_b64 exec, exec, s[10:11]
	s_add_i32 s8, s8, 1
	s_add_i32 s15, s15, 1
	s_cmp_lg_u32 s15, s14
	s_cbranch_scc0 .LBB214_28
.LBB214_24:                             ; =>This Loop Header: Depth=1
                                        ;     Child Loop BB214_26 Depth 2
	v_lshl_add_u64 v[6:7], s[8:9], 2, v[2:3]
	global_load_dword v4, v[6:7], off
	v_add_u32_e32 v6, s8, v0
	v_ashrrev_i32_e32 v7, 31, v6
	v_mov_b32_e32 v8, 0
	s_mov_b32 s16, 0
	s_waitcnt lgkmcnt(0)
	v_lshl_add_u64 v[6:7], v[6:7], 2, s[6:7]
	s_mov_b64 s[10:11], 0
	s_waitcnt vmcnt(0)
	v_add_u32_e32 v9, v1, v4
	s_branch .LBB214_26
.LBB214_25:                             ;   in Loop: Header=BB214_26 Depth=2
	s_or_b64 exec, exec, s[12:13]
	s_add_i32 s17, s16, 1
	s_cmp_gt_u32 s16, 6
	s_cselect_b64 s[2:3], -1, 0
	s_xor_b64 s[12:13], vcc, -1
	s_or_b64 s[2:3], s[12:13], s[2:3]
	s_and_b64 s[2:3], exec, s[2:3]
	v_add_u32_e32 v8, 4, v8
	s_or_b64 s[10:11], s[2:3], s[10:11]
	s_mov_b32 s16, s17
	s_andn2_b64 exec, exec, s[10:11]
	s_cbranch_execz .LBB214_23
.LBB214_26:                             ;   Parent Loop BB214_24 Depth=1
                                        ; =>  This Inner Loop Header: Depth=2
	v_cmp_ne_u32_e32 vcc, s16, v9
	v_cmp_eq_u32_e64 s[2:3], s16, v9
	s_and_saveexec_b64 s[12:13], s[2:3]
	s_cbranch_execz .LBB214_25
; %bb.27:                               ;   in Loop: Header=BB214_26 Depth=2
	scratch_load_dword v11, v8, off
	s_waitcnt vmcnt(0)
	v_add_f32_e32 v5, v5, v11
	global_store_dword v[6:7], v4, off
	s_branch .LBB214_25
.LBB214_28:
	s_waitcnt lgkmcnt(0)
	s_load_dword s6, s[0:1], 0x3c
	s_waitcnt lgkmcnt(0)
	s_bitcmp1_b32 s6, 0
	s_cselect_b64 s[2:3], -1, 0
	s_bitcmp0_b32 s6, 0
	s_cbranch_scc0 .LBB214_32
; %bb.29:
	s_load_dwordx2 s[6:7], s[0:1], 0x40
	s_andn2_b64 vcc, exec, s[2:3]
	s_waitcnt lgkmcnt(0)
	v_cvt_f32_f64_e32 v8, s[6:7]
	s_cbranch_vccz .LBB214_33
.LBB214_30:
	s_andn2_b64 vcc, exec, s[4:5]
	s_cbranch_vccz .LBB214_34
.LBB214_31:
	s_endpgm
.LBB214_32:
	v_mbcnt_lo_u32_b32 v1, -1, 0
	v_mbcnt_hi_u32_b32 v1, -1, v1
	v_and_b32_e32 v4, 0x60, v1
	v_add_u32_e32 v4, 32, v4
	v_xor_b32_e32 v6, 16, v1
	v_cmp_lt_i32_e32 vcc, v6, v4
	v_xor_b32_e32 v7, 8, v1
	s_nop 0
	v_cndmask_b32_e32 v6, v1, v6, vcc
	v_lshlrev_b32_e32 v6, 2, v6
	ds_bpermute_b32 v6, v6, v5
	v_cmp_lt_i32_e32 vcc, v7, v4
	s_waitcnt lgkmcnt(0)
	v_add_f32_e32 v5, v5, v6
	v_cndmask_b32_e32 v6, v1, v7, vcc
	v_lshlrev_b32_e32 v6, 2, v6
	ds_bpermute_b32 v6, v6, v5
	v_xor_b32_e32 v7, 4, v1
	v_cmp_lt_i32_e32 vcc, v7, v4
	s_waitcnt lgkmcnt(0)
	v_add_f32_e32 v5, v5, v6
	v_cndmask_b32_e32 v6, v1, v7, vcc
	v_lshlrev_b32_e32 v6, 2, v6
	ds_bpermute_b32 v6, v6, v5
	v_xor_b32_e32 v7, 2, v1
	;; [unrolled: 7-line block ×3, first 2 shown]
	v_cmp_lt_i32_e32 vcc, v7, v4
	s_waitcnt lgkmcnt(0)
	v_add_f32_e32 v5, v5, v6
	v_cndmask_b32_e32 v1, v1, v7, vcc
	v_lshlrev_b32_e32 v1, 2, v1
	ds_bpermute_b32 v1, v1, v5
	s_waitcnt lgkmcnt(0)
	v_add_f32_e32 v5, v5, v1
	s_load_dwordx2 s[6:7], s[0:1], 0x40
	s_andn2_b64 vcc, exec, s[2:3]
	s_waitcnt lgkmcnt(0)
	v_cvt_f32_f64_e32 v8, s[6:7]
	s_cbranch_vccnz .LBB214_30
.LBB214_33:
	v_cmp_lt_f32_e32 vcc, 0, v5
	s_nop 1
	v_cndmask_b32_e32 v1, 1.0, v5, vcc
	v_div_scale_f32 v4, s[2:3], v1, v1, v8
	v_rcp_f32_e32 v5, v4
	s_nop 0
	v_fma_f32 v6, -v4, v5, 1.0
	v_fmac_f32_e32 v5, v6, v5
	v_div_scale_f32 v6, vcc, v8, v1, v8
	v_mul_f32_e32 v7, v6, v5
	v_fma_f32 v9, -v4, v7, v6
	v_fmac_f32_e32 v7, v9, v5
	v_fma_f32 v4, -v4, v7, v6
	v_div_fmas_f32 v4, v4, v5, v7
	v_div_fixup_f32 v8, v4, v1, v8
	s_andn2_b64 vcc, exec, s[4:5]
	s_cbranch_vccnz .LBB214_31
.LBB214_34:
	s_load_dwordx2 s[12:13], s[0:1], 0x10
	v_mov_b32_e32 v1, 0
	v_or_b32_e32 v20, 4, v1
	v_or_b32_e32 v18, 8, v1
	;; [unrolled: 1-line block ×3, first 2 shown]
	v_add_u32_e32 v14, 16, v1
	v_add_u32_e32 v12, 20, v1
	;; [unrolled: 1-line block ×4, first 2 shown]
	v_or_b32_e32 v23, 1, v10
	v_or_b32_e32 v22, 2, v10
	;; [unrolled: 1-line block ×7, first 2 shown]
	s_cmp_eq_u32 s33, 1
	s_mov_b32 s14, 0
	s_cbranch_scc1 .LBB214_69
; %bb.35:
	v_ashrrev_i32_e32 v1, 31, v0
	s_waitcnt lgkmcnt(0)
	v_lshl_add_u64 v[4:5], v[0:1], 2, s[12:13]
	s_and_b32 s14, s33, 0x7ffffffe
	v_lshl_add_u64 v[4:5], v[4:5], 0, 4
	v_lshl_add_u64 v[6:7], v[2:3], 0, 4
	s_mov_b32 s15, 0
	s_branch .LBB214_37
.LBB214_36:                             ;   in Loop: Header=BB214_37 Depth=1
	s_or_b64 exec, exec, s[0:1]
	s_add_i32 s15, s15, 2
	v_lshl_add_u64 v[4:5], v[4:5], 0, 8
	s_cmp_eq_u32 s14, s15
	v_lshl_add_u64 v[6:7], v[6:7], 0, 8
	s_cbranch_scc1 .LBB214_69
.LBB214_37:                             ; =>This Inner Loop Header: Depth=1
	global_load_dword v24, v[6:7], off offset:-4
	v_mov_b32_e32 v1, 0
	s_waitcnt vmcnt(0)
	v_cmp_eq_u32_e32 vcc, v24, v10
	v_cmp_ne_u32_e64 s[0:1], v24, v10
	s_and_saveexec_b64 s[16:17], s[0:1]
	s_cbranch_execz .LBB214_51
; %bb.38:                               ;   in Loop: Header=BB214_37 Depth=1
	v_cmp_eq_u32_e64 s[0:1], v24, v23
	v_cmp_ne_u32_e64 s[2:3], v24, v23
	v_mov_b32_e32 v1, v20
	s_and_saveexec_b64 s[18:19], s[2:3]
	s_cbranch_execz .LBB214_50
; %bb.39:                               ;   in Loop: Header=BB214_37 Depth=1
	v_cmp_eq_u32_e64 s[2:3], v24, v22
	v_cmp_ne_u32_e64 s[4:5], v24, v22
	v_mov_b32_e32 v1, v18
	;; [unrolled: 6-line block ×6, first 2 shown]
	s_and_saveexec_b64 s[30:31], s[10:11]
	s_xor_b64 s[30:31], exec, s[30:31]
; %bb.44:                               ;   in Loop: Header=BB214_37 Depth=1
	v_cmp_eq_u32_e64 s[10:11], v24, v13
	s_andn2_b64 s[28:29], s[28:29], exec
	s_and_b64 s[10:11], s[10:11], exec
	s_or_b64 s[28:29], s[28:29], s[10:11]
	v_mov_b32_e32 v1, v11
; %bb.45:                               ;   in Loop: Header=BB214_37 Depth=1
	s_or_b64 exec, exec, s[30:31]
	s_andn2_b64 s[8:9], s[8:9], exec
	s_and_b64 s[10:11], s[28:29], exec
	s_or_b64 s[8:9], s[8:9], s[10:11]
.LBB214_46:                             ;   in Loop: Header=BB214_37 Depth=1
	s_or_b64 exec, exec, s[26:27]
	s_andn2_b64 s[6:7], s[6:7], exec
	s_and_b64 s[8:9], s[8:9], exec
	s_or_b64 s[6:7], s[6:7], s[8:9]
.LBB214_47:                             ;   in Loop: Header=BB214_37 Depth=1
	s_or_b64 exec, exec, s[24:25]
	s_andn2_b64 s[4:5], s[4:5], exec
	s_and_b64 s[6:7], s[6:7], exec
	s_or_b64 s[4:5], s[4:5], s[6:7]
.LBB214_48:                             ;   in Loop: Header=BB214_37 Depth=1
	s_or_b64 exec, exec, s[22:23]
	s_andn2_b64 s[2:3], s[2:3], exec
	s_and_b64 s[4:5], s[4:5], exec
	s_or_b64 s[2:3], s[2:3], s[4:5]
.LBB214_49:                             ;   in Loop: Header=BB214_37 Depth=1
	s_or_b64 exec, exec, s[20:21]
	s_andn2_b64 s[0:1], s[0:1], exec
	s_and_b64 s[2:3], s[2:3], exec
	s_or_b64 s[0:1], s[0:1], s[2:3]
.LBB214_50:                             ;   in Loop: Header=BB214_37 Depth=1
	s_or_b64 exec, exec, s[18:19]
	s_andn2_b64 s[2:3], vcc, exec
	s_and_b64 s[0:1], s[0:1], exec
	s_or_b64 vcc, s[2:3], s[0:1]
.LBB214_51:                             ;   in Loop: Header=BB214_37 Depth=1
	s_or_b64 exec, exec, s[16:17]
	s_and_saveexec_b64 s[0:1], vcc
	s_cbranch_execz .LBB214_53
; %bb.52:                               ;   in Loop: Header=BB214_37 Depth=1
	scratch_load_dword v1, v1, off
	v_add_u32_e32 v24, s15, v0
	v_ashrrev_i32_e32 v25, 31, v24
	v_lshl_add_u64 v[24:25], v[24:25], 2, s[12:13]
	s_waitcnt vmcnt(0)
	v_mul_f32_e32 v1, v8, v1
	global_store_dword v[24:25], v1, off
.LBB214_53:                             ;   in Loop: Header=BB214_37 Depth=1
	s_or_b64 exec, exec, s[0:1]
	global_load_dword v24, v[6:7], off
	v_mov_b32_e32 v1, 0
	s_waitcnt vmcnt(0)
	v_cmp_eq_u32_e64 s[8:9], v24, v10
	v_cmp_ne_u32_e32 vcc, v24, v10
	s_and_saveexec_b64 s[10:11], vcc
	s_cbranch_execz .LBB214_67
; %bb.54:                               ;   in Loop: Header=BB214_37 Depth=1
	v_cmp_eq_u32_e32 vcc, v24, v23
	v_cmp_ne_u32_e64 s[0:1], v24, v23
	v_mov_b32_e32 v1, v20
	s_and_saveexec_b64 s[16:17], s[0:1]
	s_cbranch_execz .LBB214_66
; %bb.55:                               ;   in Loop: Header=BB214_37 Depth=1
	v_cmp_eq_u32_e64 s[0:1], v24, v22
	v_cmp_ne_u32_e64 s[2:3], v24, v22
	v_mov_b32_e32 v1, v18
	s_and_saveexec_b64 s[18:19], s[2:3]
	s_cbranch_execz .LBB214_65
; %bb.56:                               ;   in Loop: Header=BB214_37 Depth=1
	v_cmp_eq_u32_e64 s[2:3], v24, v21
	;; [unrolled: 6-line block ×5, first 2 shown]
	v_cmp_ne_u32_e64 s[6:7], v24, v15
	v_mov_b32_e32 v1, v9
	s_and_saveexec_b64 s[30:31], s[6:7]
; %bb.60:                               ;   in Loop: Header=BB214_37 Depth=1
	v_cmp_eq_u32_e64 s[6:7], v24, v13
	s_andn2_b64 s[28:29], s[28:29], exec
	s_and_b64 s[6:7], s[6:7], exec
	s_or_b64 s[28:29], s[28:29], s[6:7]
	v_mov_b32_e32 v1, v11
; %bb.61:                               ;   in Loop: Header=BB214_37 Depth=1
	s_or_b64 exec, exec, s[30:31]
	s_andn2_b64 s[6:7], s[24:25], exec
	s_and_b64 s[24:25], s[28:29], exec
	s_or_b64 s[24:25], s[6:7], s[24:25]
.LBB214_62:                             ;   in Loop: Header=BB214_37 Depth=1
	s_or_b64 exec, exec, s[26:27]
	s_andn2_b64 s[4:5], s[4:5], exec
	s_and_b64 s[6:7], s[24:25], exec
	s_or_b64 s[4:5], s[4:5], s[6:7]
.LBB214_63:                             ;   in Loop: Header=BB214_37 Depth=1
	s_or_b64 exec, exec, s[22:23]
	s_andn2_b64 s[2:3], s[2:3], exec
	s_and_b64 s[4:5], s[4:5], exec
	s_or_b64 s[2:3], s[2:3], s[4:5]
.LBB214_64:                             ;   in Loop: Header=BB214_37 Depth=1
	s_or_b64 exec, exec, s[20:21]
	s_andn2_b64 s[0:1], s[0:1], exec
	s_and_b64 s[2:3], s[2:3], exec
	s_or_b64 s[0:1], s[0:1], s[2:3]
.LBB214_65:                             ;   in Loop: Header=BB214_37 Depth=1
	s_or_b64 exec, exec, s[18:19]
	s_andn2_b64 s[2:3], vcc, exec
	s_and_b64 s[0:1], s[0:1], exec
	s_or_b64 vcc, s[2:3], s[0:1]
.LBB214_66:                             ;   in Loop: Header=BB214_37 Depth=1
	s_or_b64 exec, exec, s[16:17]
	s_andn2_b64 s[0:1], s[8:9], exec
	s_and_b64 s[2:3], vcc, exec
	s_or_b64 s[8:9], s[0:1], s[2:3]
.LBB214_67:                             ;   in Loop: Header=BB214_37 Depth=1
	s_or_b64 exec, exec, s[10:11]
	s_and_saveexec_b64 s[0:1], s[8:9]
	s_cbranch_execz .LBB214_36
; %bb.68:                               ;   in Loop: Header=BB214_37 Depth=1
	scratch_load_dword v1, v1, off
	s_waitcnt vmcnt(0)
	v_mul_f32_e32 v1, v8, v1
	global_store_dword v[4:5], v1, off
	s_branch .LBB214_36
.LBB214_69:
	s_bitcmp0_b32 s33, 0
	s_mov_b32 s15, 0
	s_cbranch_scc1 .LBB214_31
; %bb.70:
	v_lshl_add_u64 v[2:3], s[14:15], 2, v[2:3]
	global_load_dword v1, v[2:3], off
	v_mov_b32_e32 v2, 0
	s_waitcnt vmcnt(0)
	v_cmp_eq_u32_e64 s[8:9], v1, v10
	v_cmp_ne_u32_e32 vcc, v1, v10
	s_and_saveexec_b64 s[10:11], vcc
	s_cbranch_execz .LBB214_84
; %bb.71:
	v_cmp_eq_u32_e32 vcc, v1, v23
	v_cmp_ne_u32_e64 s[0:1], v1, v23
	s_and_saveexec_b64 s[16:17], s[0:1]
	s_cbranch_execz .LBB214_83
; %bb.72:
	v_cmp_eq_u32_e64 s[0:1], v1, v22
	v_cmp_ne_u32_e64 s[2:3], v1, v22
	s_and_saveexec_b64 s[18:19], s[2:3]
	s_cbranch_execz .LBB214_82
; %bb.73:
	v_cmp_eq_u32_e64 s[2:3], v1, v21
	;; [unrolled: 5-line block ×5, first 2 shown]
	v_cmp_ne_u32_e64 s[6:7], v1, v15
	s_and_saveexec_b64 s[30:31], s[6:7]
; %bb.77:
	v_cmp_eq_u32_e64 s[6:7], v1, v13
	s_andn2_b64 s[28:29], s[28:29], exec
	s_and_b64 s[6:7], s[6:7], exec
	s_or_b64 s[28:29], s[28:29], s[6:7]
	v_mov_b32_e32 v9, v11
; %bb.78:
	s_or_b64 exec, exec, s[30:31]
	s_andn2_b64 s[6:7], s[24:25], exec
	s_and_b64 s[24:25], s[28:29], exec
	s_or_b64 s[24:25], s[6:7], s[24:25]
	v_mov_b32_e32 v12, v9
.LBB214_79:
	s_or_b64 exec, exec, s[26:27]
	s_andn2_b64 s[4:5], s[4:5], exec
	s_and_b64 s[6:7], s[24:25], exec
	s_or_b64 s[4:5], s[4:5], s[6:7]
	v_mov_b32_e32 v14, v12
.LBB214_80:
	s_or_b64 exec, exec, s[22:23]
	s_andn2_b64 s[2:3], s[2:3], exec
	s_and_b64 s[4:5], s[4:5], exec
	s_or_b64 s[2:3], s[2:3], s[4:5]
	v_mov_b32_e32 v16, v14
.LBB214_81:
	s_or_b64 exec, exec, s[20:21]
	s_andn2_b64 s[0:1], s[0:1], exec
	s_and_b64 s[2:3], s[2:3], exec
	s_or_b64 s[0:1], s[0:1], s[2:3]
	v_mov_b32_e32 v18, v16
.LBB214_82:
	s_or_b64 exec, exec, s[18:19]
	s_andn2_b64 s[2:3], vcc, exec
	s_and_b64 s[0:1], s[0:1], exec
	s_or_b64 vcc, s[2:3], s[0:1]
	v_mov_b32_e32 v20, v18
.LBB214_83:
	s_or_b64 exec, exec, s[16:17]
	s_andn2_b64 s[0:1], s[8:9], exec
	s_and_b64 s[2:3], vcc, exec
	s_or_b64 s[8:9], s[0:1], s[2:3]
	v_mov_b32_e32 v2, v20
.LBB214_84:
	s_or_b64 exec, exec, s[10:11]
	s_and_b64 exec, exec, s[8:9]
	s_cbranch_execz .LBB214_31
; %bb.85:
	scratch_load_dword v2, v2, off
	v_add_u32_e32 v0, s14, v0
	v_ashrrev_i32_e32 v1, 31, v0
	s_waitcnt lgkmcnt(0)
	v_lshl_add_u64 v[0:1], v[0:1], 2, s[12:13]
	s_waitcnt vmcnt(0)
	v_mul_f32_e32 v2, v8, v2
	global_store_dword v[0:1], v2, off
	s_endpgm
	.section	.rodata,"a",@progbits
	.p2align	6, 0x0
	.amdhsa_kernel _ZN4vllm3moe22topkGatingSoftplusSqrtILi8ELi256ELi4ELi16ELi32ELb1Ei6__halfEEvPKT6_PKbPfiPT5_PiiiibdPKfPKS9_SF_
		.amdhsa_group_segment_fixed_size 0
		.amdhsa_private_segment_fixed_size 48
		.amdhsa_kernarg_size 96
		.amdhsa_user_sgpr_count 2
		.amdhsa_user_sgpr_dispatch_ptr 0
		.amdhsa_user_sgpr_queue_ptr 0
		.amdhsa_user_sgpr_kernarg_segment_ptr 1
		.amdhsa_user_sgpr_dispatch_id 0
		.amdhsa_user_sgpr_kernarg_preload_length 0
		.amdhsa_user_sgpr_kernarg_preload_offset 0
		.amdhsa_user_sgpr_private_segment_size 0
		.amdhsa_uses_dynamic_stack 0
		.amdhsa_enable_private_segment 1
		.amdhsa_system_sgpr_workgroup_id_x 1
		.amdhsa_system_sgpr_workgroup_id_y 0
		.amdhsa_system_sgpr_workgroup_id_z 0
		.amdhsa_system_sgpr_workgroup_info 0
		.amdhsa_system_vgpr_workitem_id 1
		.amdhsa_next_free_vgpr 29
		.amdhsa_next_free_sgpr 34
		.amdhsa_accum_offset 32
		.amdhsa_reserve_vcc 1
		.amdhsa_float_round_mode_32 0
		.amdhsa_float_round_mode_16_64 0
		.amdhsa_float_denorm_mode_32 3
		.amdhsa_float_denorm_mode_16_64 3
		.amdhsa_dx10_clamp 1
		.amdhsa_ieee_mode 1
		.amdhsa_fp16_overflow 0
		.amdhsa_tg_split 0
		.amdhsa_exception_fp_ieee_invalid_op 0
		.amdhsa_exception_fp_denorm_src 0
		.amdhsa_exception_fp_ieee_div_zero 0
		.amdhsa_exception_fp_ieee_overflow 0
		.amdhsa_exception_fp_ieee_underflow 0
		.amdhsa_exception_fp_ieee_inexact 0
		.amdhsa_exception_int_div_zero 0
	.end_amdhsa_kernel
	.section	.text._ZN4vllm3moe22topkGatingSoftplusSqrtILi8ELi256ELi4ELi16ELi32ELb1Ei6__halfEEvPKT6_PKbPfiPT5_PiiiibdPKfPKS9_SF_,"axG",@progbits,_ZN4vllm3moe22topkGatingSoftplusSqrtILi8ELi256ELi4ELi16ELi32ELb1Ei6__halfEEvPKT6_PKbPfiPT5_PiiiibdPKfPKS9_SF_,comdat
.Lfunc_end214:
	.size	_ZN4vllm3moe22topkGatingSoftplusSqrtILi8ELi256ELi4ELi16ELi32ELb1Ei6__halfEEvPKT6_PKbPfiPT5_PiiiibdPKfPKS9_SF_, .Lfunc_end214-_ZN4vllm3moe22topkGatingSoftplusSqrtILi8ELi256ELi4ELi16ELi32ELb1Ei6__halfEEvPKT6_PKbPfiPT5_PiiiibdPKfPKS9_SF_
                                        ; -- End function
	.section	.AMDGPU.csdata,"",@progbits
; Kernel info:
; codeLenInByte = 4580
; NumSgprs: 40
; NumVgprs: 29
; NumAgprs: 0
; TotalNumVgprs: 29
; ScratchSize: 48
; MemoryBound: 0
; FloatMode: 240
; IeeeMode: 1
; LDSByteSize: 0 bytes/workgroup (compile time only)
; SGPRBlocks: 4
; VGPRBlocks: 3
; NumSGPRsForWavesPerEU: 40
; NumVGPRsForWavesPerEU: 29
; AccumOffset: 32
; Occupancy: 8
; WaveLimiterHint : 1
; COMPUTE_PGM_RSRC2:SCRATCH_EN: 1
; COMPUTE_PGM_RSRC2:USER_SGPR: 2
; COMPUTE_PGM_RSRC2:TRAP_HANDLER: 0
; COMPUTE_PGM_RSRC2:TGID_X_EN: 1
; COMPUTE_PGM_RSRC2:TGID_Y_EN: 0
; COMPUTE_PGM_RSRC2:TGID_Z_EN: 0
; COMPUTE_PGM_RSRC2:TIDIG_COMP_CNT: 1
; COMPUTE_PGM_RSRC3_GFX90A:ACCUM_OFFSET: 7
; COMPUTE_PGM_RSRC3_GFX90A:TG_SPLIT: 0
	.section	.text._ZN4vllm3moe22topkGatingSoftplusSqrtILi8ELi256ELi4ELi16ELi32ELb0Ei6__halfEEvPKT6_PKbPfiPT5_PiiiibdPKfPKS9_SF_,"axG",@progbits,_ZN4vllm3moe22topkGatingSoftplusSqrtILi8ELi256ELi4ELi16ELi32ELb0Ei6__halfEEvPKT6_PKbPfiPT5_PiiiibdPKfPKS9_SF_,comdat
	.protected	_ZN4vllm3moe22topkGatingSoftplusSqrtILi8ELi256ELi4ELi16ELi32ELb0Ei6__halfEEvPKT6_PKbPfiPT5_PiiiibdPKfPKS9_SF_ ; -- Begin function _ZN4vllm3moe22topkGatingSoftplusSqrtILi8ELi256ELi4ELi16ELi32ELb0Ei6__halfEEvPKT6_PKbPfiPT5_PiiiibdPKfPKS9_SF_
	.globl	_ZN4vllm3moe22topkGatingSoftplusSqrtILi8ELi256ELi4ELi16ELi32ELb0Ei6__halfEEvPKT6_PKbPfiPT5_PiiiibdPKfPKS9_SF_
	.p2align	8
	.type	_ZN4vllm3moe22topkGatingSoftplusSqrtILi8ELi256ELi4ELi16ELi32ELb0Ei6__halfEEvPKT6_PKbPfiPT5_PiiiibdPKfPKS9_SF_,@function
_ZN4vllm3moe22topkGatingSoftplusSqrtILi8ELi256ELi4ELi16ELi32ELb0Ei6__halfEEvPKT6_PKbPfiPT5_PiiiibdPKfPKS9_SF_: ; @_ZN4vllm3moe22topkGatingSoftplusSqrtILi8ELi256ELi4ELi16ELi32ELb0Ei6__halfEEvPKT6_PKbPfiPT5_PiiiibdPKfPKS9_SF_
; %bb.0:
	s_load_dword s33, s[0:1], 0x18
	v_and_b32_e32 v1, 0x3ff, v0
	s_lshl_b32 s2, s2, 2
	v_lshrrev_b32_e32 v2, 5, v1
	v_bfe_u32 v0, v0, 10, 10
	v_add3_u32 v8, s2, v0, v2
	s_waitcnt lgkmcnt(0)
	v_cmp_gt_i32_e32 vcc, s33, v8
	s_and_saveexec_b64 s[2:3], vcc
	s_cbranch_execz .LBB215_65
; %bb.1:
	s_load_dwordx4 s[4:7], s[0:1], 0x0
	s_load_dwordx2 s[34:35], s[0:1], 0x10
	s_waitcnt lgkmcnt(0)
	s_cmp_eq_u64 s[6:7], 0
	s_cbranch_scc1 .LBB215_3
; %bb.2:
	v_ashrrev_i32_e32 v9, 31, v8
	v_lshl_add_u64 v[2:3], s[6:7], 0, v[8:9]
	global_load_ubyte v0, v[2:3], off
	s_waitcnt vmcnt(0)
	v_and_b32_e32 v0, 1, v0
	v_cmp_eq_u32_e32 vcc, 1, v0
	s_xor_b64 s[2:3], vcc, -1
	s_orn2_b64 s[36:37], s[2:3], exec
	s_branch .LBB215_4
.LBB215_3:
	s_mov_b64 s[36:37], -1
.LBB215_4:
	v_lshlrev_b32_e32 v4, 8, v8
	v_mov_b32_e32 v2, s4
	v_mov_b32_e32 v3, s5
	v_ashrrev_i32_e32 v5, 31, v4
	v_and_b32_e32 v9, 31, v1
	v_lshl_add_u64 v[2:3], v[4:5], 1, v[2:3]
	v_mov_b32_e32 v1, 0
	v_lshlrev_b32_e32 v0, 4, v9
	v_lshl_add_u64 v[0:1], v[2:3], 0, v[0:1]
	global_load_dwordx4 v[4:7], v[0:1], off
	s_mov_b32 s12, 0x800000
	v_mov_b32_e32 v2, 0x4f800000
	s_mov_b32 s9, 0x3f317217
	s_mov_b32 s10, 0x7f800000
	v_mov_b32_e32 v3, 0x41b17218
	s_movk_i32 s8, 0x4d00
	s_mov_b32 s11, 0xf800000
	s_load_dwordx4 s[20:23], s[0:1], 0x40
	v_lshlrev_b32_e32 v12, 3, v9
	s_waitcnt lgkmcnt(0)
	s_cmp_lg_u64 s[22:23], 0
	s_cselect_b64 s[6:7], -1, 0
	s_and_b64 s[2:3], exec, s[6:7]
	s_waitcnt vmcnt(0)
	v_cvt_f32_f16_e32 v0, v4
	v_mul_f32_e32 v1, 0x3fb8aa3b, v0
	v_exp_f32_e32 v10, v1
	v_mov_b32_e32 v1, 0x260
	v_add_f32_e32 v10, 1.0, v10
	v_cmp_gt_f32_e32 vcc, s12, v10
	s_nop 1
	v_cndmask_b32_e32 v11, 1.0, v2, vcc
	v_mul_f32_e32 v10, v10, v11
	v_log_f32_e32 v11, v10
	v_cndmask_b32_e32 v13, 0, v3, vcc
	v_lshlrev_b32_e32 v10, 2, v12
	v_mul_f32_e32 v14, 0x3f317217, v11
	v_fma_f32 v14, v11, s9, -v14
	v_fmac_f32_e32 v14, 0x3377d1cf, v11
	v_fmac_f32_e32 v14, 0x3f317217, v11
	v_cmp_lt_f32_e64 vcc, |v11|, s10
	s_nop 1
	v_cndmask_b32_e32 v11, v11, v14, vcc
	v_sub_f32_e32 v11, v11, v13
	v_cmp_lt_f16_e32 vcc, s8, v4
	s_nop 1
	v_cndmask_b32_e32 v0, v11, v0, vcc
	v_mul_f32_e32 v11, 0x4f800000, v0
	v_cmp_gt_f32_e32 vcc, s11, v0
	s_nop 1
	v_cndmask_b32_e32 v0, v0, v11, vcc
	v_sqrt_f32_e32 v11, v0
	s_nop 0
	v_add_u32_e32 v13, -1, v11
	v_add_u32_e32 v14, 1, v11
	v_fma_f32 v15, -v13, v11, v0
	v_fma_f32 v16, -v14, v11, v0
	v_cmp_ge_f32_e64 s[4:5], 0, v15
	s_nop 1
	v_cndmask_b32_e64 v11, v11, v13, s[4:5]
	v_cmp_lt_f32_e64 s[4:5], 0, v16
	s_nop 1
	v_cndmask_b32_e64 v11, v11, v14, s[4:5]
	v_mul_f32_e32 v13, 0x37800000, v11
	v_cndmask_b32_e32 v11, v11, v13, vcc
	v_cmp_class_f32_e32 vcc, v0, v1
	s_nop 1
	v_cndmask_b32_e32 v0, v11, v0, vcc
	s_mov_b64 vcc, s[2:3]
	s_cbranch_vccz .LBB215_6
; %bb.5:
	global_load_dword v11, v10, s[22:23]
	s_waitcnt vmcnt(0)
	v_add_f32_e32 v0, v0, v11
.LBB215_6:
	v_cvt_f32_f16_sdwa v11, v4 dst_sel:DWORD dst_unused:UNUSED_PAD src0_sel:WORD_1
	v_mul_f32_e32 v13, 0x3fb8aa3b, v11
	v_exp_f32_e32 v13, v13
	s_nop 0
	v_add_f32_e32 v13, 1.0, v13
	v_cmp_gt_f32_e32 vcc, s12, v13
	s_nop 1
	v_cndmask_b32_e32 v2, 1.0, v2, vcc
	v_mul_f32_e32 v2, v13, v2
	v_log_f32_e32 v2, v2
	v_cndmask_b32_e32 v3, 0, v3, vcc
	v_mul_f32_e32 v13, 0x3f317217, v2
	v_fma_f32 v13, v2, s9, -v13
	v_fmac_f32_e32 v13, 0x3377d1cf, v2
	v_fmac_f32_e32 v13, 0x3f317217, v2
	v_cmp_lt_f32_e64 vcc, |v2|, s10
	s_nop 1
	v_cndmask_b32_e32 v2, v2, v13, vcc
	v_sub_f32_e32 v2, v2, v3
	v_cmp_gt_f16_sdwa vcc, v4, s8 src0_sel:WORD_1 src1_sel:DWORD
	v_cndmask_b32_e64 v4, 0, 1, s[6:7]
	v_cmp_ne_u32_e64 s[2:3], 1, v4
	v_cndmask_b32_e32 v2, v2, v11, vcc
	v_mul_f32_e32 v3, 0x4f800000, v2
	v_cmp_gt_f32_e64 s[4:5], s11, v2
	s_andn2_b64 vcc, exec, s[6:7]
	s_nop 0
	v_cndmask_b32_e64 v2, v2, v3, s[4:5]
	v_sqrt_f32_e32 v3, v2
	s_nop 0
	v_add_u32_e32 v4, -1, v3
	v_add_u32_e32 v11, 1, v3
	v_fma_f32 v13, -v4, v3, v2
	v_fma_f32 v14, -v11, v3, v2
	v_cmp_ge_f32_e64 s[6:7], 0, v13
	s_nop 1
	v_cndmask_b32_e64 v3, v3, v4, s[6:7]
	v_cmp_lt_f32_e64 s[6:7], 0, v14
	s_nop 1
	v_cndmask_b32_e64 v3, v3, v11, s[6:7]
	v_mul_f32_e32 v4, 0x37800000, v3
	v_cndmask_b32_e64 v3, v3, v4, s[4:5]
	v_cmp_class_f32_e64 s[4:5], v2, v1
	s_nop 1
	v_cndmask_b32_e64 v1, v3, v2, s[4:5]
	s_cbranch_vccnz .LBB215_8
; %bb.7:
	global_load_dword v2, v10, s[22:23] offset:4
	s_waitcnt vmcnt(0)
	v_add_f32_e32 v1, v1, v2
.LBB215_8:
	v_cvt_f32_f16_e32 v2, v5
	s_mov_b32 s8, 0x800000
	v_mov_b32_e32 v4, 0x4f800000
	s_mov_b32 s7, 0x3f317217
	v_mul_f32_e32 v3, 0x3fb8aa3b, v2
	v_exp_f32_e32 v3, v3
	s_mov_b32 s9, 0x7f800000
	s_movk_i32 s6, 0x4d00
	s_mov_b32 s10, 0xf800000
	v_add_f32_e32 v3, 1.0, v3
	v_cmp_gt_f32_e32 vcc, s8, v3
	s_nop 1
	v_cndmask_b32_e32 v11, 1.0, v4, vcc
	v_mul_f32_e32 v3, v3, v11
	v_log_f32_e32 v3, v3
	v_mov_b32_e32 v11, 0x41b17218
	v_cndmask_b32_e32 v13, 0, v11, vcc
	v_mul_f32_e32 v14, 0x3f317217, v3
	v_fma_f32 v14, v3, s7, -v14
	v_fmac_f32_e32 v14, 0x3377d1cf, v3
	v_fmac_f32_e32 v14, 0x3f317217, v3
	v_cmp_lt_f32_e64 vcc, |v3|, s9
	s_nop 1
	v_cndmask_b32_e32 v3, v3, v14, vcc
	v_sub_f32_e32 v3, v3, v13
	v_cmp_lt_f16_e32 vcc, s6, v5
	s_nop 1
	v_cndmask_b32_e32 v2, v3, v2, vcc
	v_mul_f32_e32 v3, 0x4f800000, v2
	v_cmp_gt_f32_e32 vcc, s10, v2
	s_nop 1
	v_cndmask_b32_e32 v2, v2, v3, vcc
	v_sqrt_f32_e32 v3, v2
	s_nop 0
	v_add_u32_e32 v13, -1, v3
	v_fma_f32 v14, -v13, v3, v2
	v_cmp_ge_f32_e64 s[4:5], 0, v14
	v_add_u32_e32 v14, 1, v3
	s_nop 0
	v_cndmask_b32_e64 v13, v3, v13, s[4:5]
	v_fma_f32 v3, -v14, v3, v2
	v_cmp_lt_f32_e64 s[4:5], 0, v3
	s_nop 1
	v_cndmask_b32_e64 v3, v13, v14, s[4:5]
	v_mul_f32_e32 v13, 0x37800000, v3
	v_cndmask_b32_e32 v13, v3, v13, vcc
	v_mov_b32_e32 v3, 0x260
	v_cmp_class_f32_e64 s[4:5], v2, v3
	s_and_b64 vcc, exec, s[2:3]
	s_nop 0
	v_cndmask_b32_e64 v2, v13, v2, s[4:5]
	s_cbranch_vccnz .LBB215_10
; %bb.9:
	global_load_dword v13, v10, s[22:23] offset:8
	s_waitcnt vmcnt(0)
	v_add_f32_e32 v2, v2, v13
.LBB215_10:
	v_cvt_f32_f16_sdwa v13, v5 dst_sel:DWORD dst_unused:UNUSED_PAD src0_sel:WORD_1
	v_mul_f32_e32 v14, 0x3fb8aa3b, v13
	v_exp_f32_e32 v14, v14
	s_nop 0
	v_add_f32_e32 v14, 1.0, v14
	v_cmp_gt_f32_e32 vcc, s8, v14
	s_nop 1
	v_cndmask_b32_e32 v4, 1.0, v4, vcc
	v_mul_f32_e32 v4, v14, v4
	v_log_f32_e32 v4, v4
	v_cndmask_b32_e32 v11, 0, v11, vcc
	v_mul_f32_e32 v14, 0x3f317217, v4
	v_fma_f32 v14, v4, s7, -v14
	v_fmac_f32_e32 v14, 0x3377d1cf, v4
	v_fmac_f32_e32 v14, 0x3f317217, v4
	v_cmp_lt_f32_e64 vcc, |v4|, s9
	s_nop 1
	v_cndmask_b32_e32 v4, v4, v14, vcc
	v_sub_f32_e32 v4, v4, v11
	v_cmp_gt_f16_sdwa vcc, v5, s6 src0_sel:WORD_1 src1_sel:DWORD
	s_nop 1
	v_cndmask_b32_e32 v4, v4, v13, vcc
	v_mul_f32_e32 v5, 0x4f800000, v4
	v_cmp_gt_f32_e64 s[4:5], s10, v4
	s_and_b64 vcc, exec, s[2:3]
	s_nop 0
	v_cndmask_b32_e64 v4, v4, v5, s[4:5]
	v_sqrt_f32_e32 v5, v4
	s_nop 0
	v_add_u32_e32 v11, -1, v5
	v_add_u32_e32 v13, 1, v5
	v_fma_f32 v14, -v11, v5, v4
	v_fma_f32 v15, -v13, v5, v4
	v_cmp_ge_f32_e64 s[6:7], 0, v14
	s_nop 1
	v_cndmask_b32_e64 v5, v5, v11, s[6:7]
	v_cmp_lt_f32_e64 s[6:7], 0, v15
	s_nop 1
	v_cndmask_b32_e64 v5, v5, v13, s[6:7]
	v_mul_f32_e32 v11, 0x37800000, v5
	v_cndmask_b32_e64 v5, v5, v11, s[4:5]
	v_cmp_class_f32_e64 s[4:5], v4, v3
	s_nop 1
	v_cndmask_b32_e64 v3, v5, v4, s[4:5]
	s_cbranch_vccnz .LBB215_12
; %bb.11:
	global_load_dword v4, v10, s[22:23] offset:12
	s_waitcnt vmcnt(0)
	v_add_f32_e32 v3, v3, v4
.LBB215_12:
	v_cvt_f32_f16_e32 v4, v6
	v_mov_b32_e32 v11, 0x4f800000
	s_mov_b32 s7, 0x3f317217
	s_movk_i32 s6, 0x4d00
	v_mul_f32_e32 v5, 0x3fb8aa3b, v4
	v_exp_f32_e32 v5, v5
	s_nop 0
	v_add_f32_e32 v5, 1.0, v5
	v_cmp_gt_f32_e32 vcc, s8, v5
	s_nop 1
	v_cndmask_b32_e32 v13, 1.0, v11, vcc
	v_mul_f32_e32 v5, v5, v13
	v_log_f32_e32 v5, v5
	v_mov_b32_e32 v13, 0x41b17218
	v_cndmask_b32_e32 v14, 0, v13, vcc
	v_mul_f32_e32 v15, 0x3f317217, v5
	v_fma_f32 v15, v5, s7, -v15
	v_fmac_f32_e32 v15, 0x3377d1cf, v5
	v_fmac_f32_e32 v15, 0x3f317217, v5
	v_cmp_lt_f32_e64 vcc, |v5|, s9
	s_nop 1
	v_cndmask_b32_e32 v5, v5, v15, vcc
	v_sub_f32_e32 v5, v5, v14
	v_cmp_lt_f16_e32 vcc, s6, v6
	s_nop 1
	v_cndmask_b32_e32 v4, v5, v4, vcc
	v_mul_f32_e32 v5, 0x4f800000, v4
	v_cmp_gt_f32_e32 vcc, s10, v4
	s_nop 1
	v_cndmask_b32_e32 v4, v4, v5, vcc
	v_sqrt_f32_e32 v5, v4
	s_nop 0
	v_add_u32_e32 v14, -1, v5
	v_fma_f32 v15, -v14, v5, v4
	v_cmp_ge_f32_e64 s[4:5], 0, v15
	v_add_u32_e32 v15, 1, v5
	s_nop 0
	v_cndmask_b32_e64 v14, v5, v14, s[4:5]
	v_fma_f32 v5, -v15, v5, v4
	v_cmp_lt_f32_e64 s[4:5], 0, v5
	s_nop 1
	v_cndmask_b32_e64 v5, v14, v15, s[4:5]
	v_mul_f32_e32 v14, 0x37800000, v5
	v_cndmask_b32_e32 v14, v5, v14, vcc
	v_mov_b32_e32 v5, 0x260
	v_cmp_class_f32_e64 s[4:5], v4, v5
	s_and_b64 vcc, exec, s[2:3]
	s_nop 0
	v_cndmask_b32_e64 v4, v14, v4, s[4:5]
	s_cbranch_vccnz .LBB215_14
; %bb.13:
	global_load_dword v14, v10, s[22:23] offset:16
	s_waitcnt vmcnt(0)
	v_add_f32_e32 v4, v4, v14
.LBB215_14:
	v_cvt_f32_f16_sdwa v14, v6 dst_sel:DWORD dst_unused:UNUSED_PAD src0_sel:WORD_1
	v_mul_f32_e32 v15, 0x3fb8aa3b, v14
	v_exp_f32_e32 v15, v15
	s_nop 0
	v_add_f32_e32 v15, 1.0, v15
	v_cmp_gt_f32_e32 vcc, s8, v15
	s_nop 1
	v_cndmask_b32_e32 v11, 1.0, v11, vcc
	v_mul_f32_e32 v11, v15, v11
	v_log_f32_e32 v11, v11
	v_cndmask_b32_e32 v13, 0, v13, vcc
	v_mul_f32_e32 v15, 0x3f317217, v11
	v_fma_f32 v15, v11, s7, -v15
	v_fmac_f32_e32 v15, 0x3377d1cf, v11
	v_fmac_f32_e32 v15, 0x3f317217, v11
	v_cmp_lt_f32_e64 vcc, |v11|, s9
	s_nop 1
	v_cndmask_b32_e32 v11, v11, v15, vcc
	v_sub_f32_e32 v11, v11, v13
	v_cmp_gt_f16_sdwa vcc, v6, s6 src0_sel:WORD_1 src1_sel:DWORD
	s_nop 1
	v_cndmask_b32_e32 v6, v11, v14, vcc
	v_mul_f32_e32 v11, 0x4f800000, v6
	v_cmp_gt_f32_e64 s[4:5], s10, v6
	s_and_b64 vcc, exec, s[2:3]
	s_nop 0
	v_cndmask_b32_e64 v6, v6, v11, s[4:5]
	v_sqrt_f32_e32 v11, v6
	s_nop 0
	v_add_u32_e32 v13, -1, v11
	v_add_u32_e32 v14, 1, v11
	v_fma_f32 v15, -v13, v11, v6
	v_fma_f32 v16, -v14, v11, v6
	v_cmp_ge_f32_e64 s[6:7], 0, v15
	s_nop 1
	v_cndmask_b32_e64 v11, v11, v13, s[6:7]
	v_cmp_lt_f32_e64 s[6:7], 0, v16
	s_nop 1
	v_cndmask_b32_e64 v11, v11, v14, s[6:7]
	v_mul_f32_e32 v13, 0x37800000, v11
	v_cndmask_b32_e64 v11, v11, v13, s[4:5]
	v_cmp_class_f32_e64 s[4:5], v6, v5
	s_nop 1
	v_cndmask_b32_e64 v5, v11, v6, s[4:5]
	s_cbranch_vccnz .LBB215_16
; %bb.15:
	global_load_dword v6, v10, s[22:23] offset:20
	s_waitcnt vmcnt(0)
	v_add_f32_e32 v5, v5, v6
.LBB215_16:
	v_cvt_f32_f16_e32 v6, v7
	v_mov_b32_e32 v13, 0x4f800000
	s_mov_b32 s7, 0x3f317217
	s_movk_i32 s6, 0x4d00
	v_mul_f32_e32 v11, 0x3fb8aa3b, v6
	v_exp_f32_e32 v11, v11
	s_nop 0
	v_add_f32_e32 v11, 1.0, v11
	v_cmp_gt_f32_e32 vcc, s8, v11
	s_nop 1
	v_cndmask_b32_e32 v14, 1.0, v13, vcc
	v_mul_f32_e32 v11, v11, v14
	v_log_f32_e32 v11, v11
	v_mov_b32_e32 v14, 0x41b17218
	v_cndmask_b32_e32 v15, 0, v14, vcc
	v_mul_f32_e32 v16, 0x3f317217, v11
	v_fma_f32 v16, v11, s7, -v16
	v_fmac_f32_e32 v16, 0x3377d1cf, v11
	v_fmac_f32_e32 v16, 0x3f317217, v11
	v_cmp_lt_f32_e64 vcc, |v11|, s9
	s_nop 1
	v_cndmask_b32_e32 v11, v11, v16, vcc
	v_sub_f32_e32 v11, v11, v15
	v_cmp_lt_f16_e32 vcc, s6, v7
	s_nop 1
	v_cndmask_b32_e32 v6, v11, v6, vcc
	v_mul_f32_e32 v11, 0x4f800000, v6
	v_cmp_gt_f32_e32 vcc, s10, v6
	s_nop 1
	v_cndmask_b32_e32 v6, v6, v11, vcc
	v_sqrt_f32_e32 v11, v6
	s_nop 0
	v_add_u32_e32 v15, -1, v11
	v_fma_f32 v16, -v15, v11, v6
	v_cmp_ge_f32_e64 s[4:5], 0, v16
	v_add_u32_e32 v16, 1, v11
	s_nop 0
	v_cndmask_b32_e64 v15, v11, v15, s[4:5]
	v_fma_f32 v11, -v16, v11, v6
	v_cmp_lt_f32_e64 s[4:5], 0, v11
	s_nop 1
	v_cndmask_b32_e64 v11, v15, v16, s[4:5]
	v_mul_f32_e32 v15, 0x37800000, v11
	v_cndmask_b32_e32 v15, v11, v15, vcc
	v_mov_b32_e32 v11, 0x260
	v_cmp_class_f32_e64 s[4:5], v6, v11
	s_and_b64 vcc, exec, s[2:3]
	s_nop 0
	v_cndmask_b32_e64 v6, v15, v6, s[4:5]
	s_cbranch_vccnz .LBB215_18
; %bb.17:
	global_load_dword v15, v10, s[22:23] offset:24
	s_waitcnt vmcnt(0)
	v_add_f32_e32 v6, v6, v15
.LBB215_18:
	v_cvt_f32_f16_sdwa v15, v7 dst_sel:DWORD dst_unused:UNUSED_PAD src0_sel:WORD_1
	v_mul_f32_e32 v16, 0x3fb8aa3b, v15
	v_exp_f32_e32 v16, v16
	s_nop 0
	v_add_f32_e32 v16, 1.0, v16
	v_cmp_gt_f32_e32 vcc, s8, v16
	s_nop 1
	v_cndmask_b32_e32 v13, 1.0, v13, vcc
	v_mul_f32_e32 v13, v16, v13
	v_log_f32_e32 v13, v13
	v_cndmask_b32_e32 v14, 0, v14, vcc
	v_mul_f32_e32 v16, 0x3f317217, v13
	v_fma_f32 v16, v13, s7, -v16
	v_fmac_f32_e32 v16, 0x3377d1cf, v13
	v_fmac_f32_e32 v16, 0x3f317217, v13
	v_cmp_lt_f32_e64 vcc, |v13|, s9
	s_nop 1
	v_cndmask_b32_e32 v13, v13, v16, vcc
	v_sub_f32_e32 v13, v13, v14
	v_cmp_gt_f16_sdwa vcc, v7, s6 src0_sel:WORD_1 src1_sel:DWORD
	s_nop 1
	v_cndmask_b32_e32 v7, v13, v15, vcc
	v_mul_f32_e32 v13, 0x4f800000, v7
	v_cmp_gt_f32_e64 s[4:5], s10, v7
	s_and_b64 vcc, exec, s[2:3]
	s_nop 0
	v_cndmask_b32_e64 v7, v7, v13, s[4:5]
	v_sqrt_f32_e32 v13, v7
	s_nop 0
	v_add_u32_e32 v14, -1, v13
	v_add_u32_e32 v15, 1, v13
	v_fma_f32 v16, -v14, v13, v7
	v_fma_f32 v17, -v15, v13, v7
	v_cmp_ge_f32_e64 s[6:7], 0, v16
	s_nop 1
	v_cndmask_b32_e64 v13, v13, v14, s[6:7]
	v_cmp_lt_f32_e64 s[6:7], 0, v17
	s_nop 1
	v_cndmask_b32_e64 v13, v13, v15, s[6:7]
	v_mul_f32_e32 v14, 0x37800000, v13
	v_cndmask_b32_e64 v13, v13, v14, s[4:5]
	v_cmp_class_f32_e64 s[4:5], v7, v11
	s_nop 1
	v_cndmask_b32_e64 v7, v13, v7, s[4:5]
	s_cbranch_vccnz .LBB215_20
; %bb.19:
	global_load_dword v10, v10, s[22:23] offset:28
	s_waitcnt vmcnt(0)
	v_add_f32_e32 v7, v7, v10
.LBB215_20:
	s_load_dwordx4 s[24:27], s[0:1], 0x30
	s_mov_b32 s42, 0
	v_cmp_eq_u32_e64 s[6:7], 0, v9
	s_waitcnt lgkmcnt(0)
	s_bitcmp1_b32 s27, 0
	s_cselect_b64 s[4:5], -1, 0
	s_cmp_gt_i32 s24, 0
	s_cselect_b64 s[38:39], -1, 0
	s_and_b64 vcc, exec, s[38:39]
	s_cbranch_vccz .LBB215_51
; %bb.21:
	v_mbcnt_lo_u32_b32 v10, -1, 0
	v_mbcnt_hi_u32_b32 v10, -1, v10
	v_and_b32_e32 v11, 0x60, v10
	v_add_u32_e32 v11, 32, v11
	v_xor_b32_e32 v13, 16, v10
	v_cmp_lt_i32_e32 vcc, v13, v11
	s_load_dwordx4 s[28:31], s[0:1], 0x20
	v_mul_lo_u32 v14, v8, s24
	v_cndmask_b32_e32 v13, v10, v13, vcc
	v_lshlrev_b32_e32 v15, 2, v13
	v_xor_b32_e32 v13, 8, v10
	v_cmp_lt_i32_e32 vcc, v13, v11
	v_mov_b32_e32 v20, 0x100
	v_mov_b32_e32 v21, 0xc61c4000
	v_cndmask_b32_e32 v13, v10, v13, vcc
	v_lshlrev_b32_e32 v16, 2, v13
	v_xor_b32_e32 v13, 4, v10
	v_cmp_lt_i32_e32 vcc, v13, v11
	v_mov_b32_e32 v22, v8
	s_nop 0
	v_cndmask_b32_e32 v13, v10, v13, vcc
	v_lshlrev_b32_e32 v17, 2, v13
	v_xor_b32_e32 v13, 2, v10
	v_cmp_lt_i32_e32 vcc, v13, v11
	s_nop 1
	v_cndmask_b32_e32 v13, v10, v13, vcc
	v_lshlrev_b32_e32 v18, 2, v13
	v_xor_b32_e32 v13, 1, v10
	v_cmp_lt_i32_e32 vcc, v13, v11
	s_nop 1
	v_cndmask_b32_e32 v10, v10, v13, vcc
	v_lshlrev_b32_e32 v19, 2, v10
	v_mov_b32_e32 v13, 0
	s_branch .LBB215_24
.LBB215_22:                             ;   in Loop: Header=BB215_24 Depth=1
	s_or_b64 exec, exec, s[40:41]
.LBB215_23:                             ;   in Loop: Header=BB215_24 Depth=1
	s_cmp_eq_u32 s24, s42
	v_add_u32_e32 v22, s33, v22
	s_cbranch_scc1 .LBB215_52
.LBB215_24:                             ; =>This Inner Loop Header: Depth=1
	v_cmp_gt_f32_e32 vcc, v1, v0
	s_nop 1
	v_cndmask_b32_e32 v11, v0, v1, vcc
	v_cndmask_b32_e64 v10, 0, 1, vcc
	v_cmp_gt_f32_e32 vcc, v2, v11
	s_nop 1
	v_cndmask_b32_e32 v11, v11, v2, vcc
	v_cndmask_b32_e64 v10, v10, 2, vcc
	v_cmp_gt_f32_e32 vcc, v3, v11
	s_nop 1
	v_cndmask_b32_e32 v11, v11, v3, vcc
	v_cndmask_b32_e64 v10, v10, 3, vcc
	v_cmp_gt_f32_e32 vcc, v4, v11
	s_nop 1
	v_cndmask_b32_e32 v11, v11, v4, vcc
	v_cndmask_b32_e64 v10, v10, 4, vcc
	v_cmp_gt_f32_e32 vcc, v5, v11
	s_nop 1
	v_cndmask_b32_e32 v11, v11, v5, vcc
	v_cndmask_b32_e64 v10, v10, 5, vcc
	v_cmp_gt_f32_e32 vcc, v6, v11
	s_nop 1
	v_cndmask_b32_e32 v11, v11, v6, vcc
	v_cndmask_b32_e64 v10, v10, 6, vcc
	v_cmp_gt_f32_e32 vcc, v7, v11
	s_nop 1
	v_cndmask_b32_e64 v10, v10, 7, vcc
	v_cndmask_b32_e32 v23, v11, v7, vcc
	ds_bpermute_b32 v11, v15, v23
	v_or_b32_e32 v10, v12, v10
	s_waitcnt lgkmcnt(0)
	ds_bpermute_b32 v24, v15, v10
	s_waitcnt lgkmcnt(0)
	v_cmp_lt_f32_e64 s[8:9], v23, v11
	v_cmp_nlt_f32_e32 vcc, v23, v11
	s_and_saveexec_b64 s[10:11], vcc
; %bb.25:                               ;   in Loop: Header=BB215_24 Depth=1
	v_cmp_eq_f32_e32 vcc, v23, v11
	v_cmp_lt_i32_e64 s[0:1], v24, v10
	s_and_b64 s[0:1], vcc, s[0:1]
	s_andn2_b64 s[8:9], s[8:9], exec
	s_and_b64 s[0:1], s[0:1], exec
	s_or_b64 s[8:9], s[8:9], s[0:1]
; %bb.26:                               ;   in Loop: Header=BB215_24 Depth=1
	s_or_b64 exec, exec, s[10:11]
	s_and_saveexec_b64 s[0:1], s[8:9]
; %bb.27:                               ;   in Loop: Header=BB215_24 Depth=1
	v_mov_b32_e32 v23, v11
	v_mov_b32_e32 v10, v24
; %bb.28:                               ;   in Loop: Header=BB215_24 Depth=1
	s_or_b64 exec, exec, s[0:1]
	ds_bpermute_b32 v11, v16, v23
	ds_bpermute_b32 v24, v16, v10
	s_waitcnt lgkmcnt(1)
	v_cmp_lt_f32_e64 s[8:9], v23, v11
	v_cmp_nlt_f32_e32 vcc, v23, v11
	s_and_saveexec_b64 s[10:11], vcc
	s_cbranch_execz .LBB215_30
; %bb.29:                               ;   in Loop: Header=BB215_24 Depth=1
	v_cmp_eq_f32_e32 vcc, v23, v11
	s_waitcnt lgkmcnt(0)
	v_cmp_lt_i32_e64 s[0:1], v24, v10
	s_and_b64 s[0:1], vcc, s[0:1]
	s_andn2_b64 s[8:9], s[8:9], exec
	s_and_b64 s[0:1], s[0:1], exec
	s_or_b64 s[8:9], s[8:9], s[0:1]
.LBB215_30:                             ;   in Loop: Header=BB215_24 Depth=1
	s_or_b64 exec, exec, s[10:11]
	s_and_saveexec_b64 s[0:1], s[8:9]
	s_cbranch_execz .LBB215_32
; %bb.31:                               ;   in Loop: Header=BB215_24 Depth=1
	v_mov_b32_e32 v23, v11
	s_waitcnt lgkmcnt(0)
	v_mov_b32_e32 v10, v24
.LBB215_32:                             ;   in Loop: Header=BB215_24 Depth=1
	s_or_b64 exec, exec, s[0:1]
	ds_bpermute_b32 v11, v17, v23
	s_waitcnt lgkmcnt(1)
	ds_bpermute_b32 v24, v17, v10
	s_waitcnt lgkmcnt(1)
	v_cmp_lt_f32_e64 s[8:9], v23, v11
	v_cmp_nlt_f32_e32 vcc, v23, v11
	s_and_saveexec_b64 s[10:11], vcc
	s_cbranch_execz .LBB215_34
; %bb.33:                               ;   in Loop: Header=BB215_24 Depth=1
	v_cmp_eq_f32_e32 vcc, v23, v11
	s_waitcnt lgkmcnt(0)
	v_cmp_lt_i32_e64 s[0:1], v24, v10
	s_and_b64 s[0:1], vcc, s[0:1]
	s_andn2_b64 s[8:9], s[8:9], exec
	s_and_b64 s[0:1], s[0:1], exec
	s_or_b64 s[8:9], s[8:9], s[0:1]
.LBB215_34:                             ;   in Loop: Header=BB215_24 Depth=1
	s_or_b64 exec, exec, s[10:11]
	s_and_saveexec_b64 s[0:1], s[8:9]
	s_cbranch_execz .LBB215_36
; %bb.35:                               ;   in Loop: Header=BB215_24 Depth=1
	v_mov_b32_e32 v23, v11
	s_waitcnt lgkmcnt(0)
	v_mov_b32_e32 v10, v24
.LBB215_36:                             ;   in Loop: Header=BB215_24 Depth=1
	s_or_b64 exec, exec, s[0:1]
	ds_bpermute_b32 v11, v18, v23
	s_waitcnt lgkmcnt(1)
	;; [unrolled: 26-line block ×3, first 2 shown]
	ds_bpermute_b32 v24, v19, v10
	s_waitcnt lgkmcnt(1)
	v_cmp_lt_f32_e64 s[8:9], v23, v11
	v_cmp_nlt_f32_e32 vcc, v23, v11
	s_and_saveexec_b64 s[10:11], vcc
	s_cbranch_execnz .LBB215_44
; %bb.41:                               ;   in Loop: Header=BB215_24 Depth=1
	s_or_b64 exec, exec, s[10:11]
	s_and_saveexec_b64 s[0:1], s[8:9]
	s_cbranch_execnz .LBB215_45
.LBB215_42:                             ;   in Loop: Header=BB215_24 Depth=1
	s_or_b64 exec, exec, s[0:1]
	s_and_saveexec_b64 s[8:9], s[6:7]
	s_cbranch_execnz .LBB215_46
.LBB215_43:                             ;   in Loop: Header=BB215_24 Depth=1
	s_or_b64 exec, exec, s[8:9]
	s_add_i32 s42, s42, 1
	s_cmp_ge_i32 s42, s24
	s_cbranch_scc1 .LBB215_23
	s_branch .LBB215_49
.LBB215_44:                             ;   in Loop: Header=BB215_24 Depth=1
	v_cmp_eq_f32_e32 vcc, v23, v11
	s_waitcnt lgkmcnt(0)
	v_cmp_lt_i32_e64 s[0:1], v24, v10
	s_and_b64 s[0:1], vcc, s[0:1]
	s_andn2_b64 s[8:9], s[8:9], exec
	s_and_b64 s[0:1], s[0:1], exec
	s_or_b64 s[8:9], s[8:9], s[0:1]
	s_or_b64 exec, exec, s[10:11]
	s_and_saveexec_b64 s[0:1], s[8:9]
	s_cbranch_execz .LBB215_42
.LBB215_45:                             ;   in Loop: Header=BB215_24 Depth=1
	s_waitcnt lgkmcnt(0)
	v_mov_b32_e32 v10, v24
	v_mov_b32_e32 v23, v11
	s_or_b64 exec, exec, s[0:1]
	s_and_saveexec_b64 s[8:9], s[6:7]
	s_cbranch_execz .LBB215_43
.LBB215_46:                             ;   in Loop: Header=BB215_24 Depth=1
	s_and_b64 vcc, exec, s[2:3]
	s_cbranch_vccnz .LBB215_48
; %bb.47:                               ;   in Loop: Header=BB215_24 Depth=1
	v_ashrrev_i32_e32 v11, 31, v10
	s_waitcnt lgkmcnt(0)
	v_lshl_add_u64 v[24:25], v[10:11], 2, s[22:23]
	global_load_dword v11, v[24:25], off
	s_waitcnt vmcnt(0)
	v_sub_f32_e32 v23, v23, v11
.LBB215_48:                             ;   in Loop: Header=BB215_24 Depth=1
	s_waitcnt lgkmcnt(0)
	v_add_u32_e32 v24, s42, v14
	v_cmp_le_i32_e32 vcc, s25, v10
	v_cmp_gt_i32_e64 s[0:1], s26, v10
	v_ashrrev_i32_e32 v25, 31, v24
	s_and_b64 s[0:1], vcc, s[0:1]
	v_lshlrev_b64 v[24:25], 2, v[24:25]
	v_lshl_add_u64 v[26:27], s[34:35], 0, v[24:25]
	v_subrev_u32_e32 v11, s25, v10
	s_and_b64 vcc, s[36:37], s[0:1]
	global_store_dword v[26:27], v23, off
	v_cndmask_b32_e32 v11, v20, v11, vcc
	v_lshl_add_u64 v[26:27], s[28:29], 0, v[24:25]
	global_store_dword v[26:27], v11, off
	v_add_f32_e32 v11, v13, v23
	v_lshl_add_u64 v[24:25], s[30:31], 0, v[24:25]
	v_cndmask_b32_e64 v13, v13, v11, s[4:5]
	global_store_dword v[24:25], v22, off
	s_or_b64 exec, exec, s[8:9]
	s_add_i32 s42, s42, 1
	s_cmp_ge_i32 s42, s24
	s_cbranch_scc1 .LBB215_23
.LBB215_49:                             ;   in Loop: Header=BB215_24 Depth=1
	v_ashrrev_i32_e32 v11, 31, v10
	v_lshrrev_b32_e32 v23, 29, v11
	s_waitcnt lgkmcnt(0)
	v_add_u32_e32 v24, v10, v23
	v_ashrrev_i32_e32 v23, 3, v24
	v_ashrrev_i32_e32 v24, 31, v24
	v_lshrrev_b32_e32 v24, 27, v24
	v_add_u32_e32 v24, v23, v24
	v_and_b32_e32 v24, 0xffffffe0, v24
	v_sub_u32_e32 v24, v23, v24
	v_cmp_eq_u32_e32 vcc, v9, v24
	s_and_saveexec_b64 s[40:41], vcc
	s_cbranch_execz .LBB215_22
; %bb.50:                               ;   in Loop: Header=BB215_24 Depth=1
	v_add_u32_sdwa v11, v10, v11 dst_sel:DWORD dst_unused:UNUSED_PAD src0_sel:DWORD src1_sel:BYTE_3
	v_lshlrev_b32_e32 v23, 3, v23
	v_sub_u32_e32 v10, v10, v23
	v_ashrrev_i32_e32 v11, 8, v11
	v_lshl_add_u32 v10, v11, 3, v10
	v_cmp_ne_u32_e32 vcc, 6, v10
	v_cmp_ne_u32_e64 s[0:1], 5, v10
	v_cmp_ne_u32_e64 s[8:9], 4, v10
	;; [unrolled: 1-line block ×7, first 2 shown]
	v_cndmask_b32_e32 v6, v21, v6, vcc
	v_cndmask_b32_e64 v5, v21, v5, s[0:1]
	v_cndmask_b32_e64 v7, v21, v7, s[18:19]
	;; [unrolled: 1-line block ×7, first 2 shown]
	s_branch .LBB215_22
.LBB215_51:
	v_mov_b32_e32 v13, 0
.LBB215_52:
	v_cmp_eq_u32_e32 vcc, 0, v9
	s_and_b64 exec, exec, vcc
	s_cbranch_execz .LBB215_65
; %bb.53:
	s_andn2_b64 vcc, exec, s[4:5]
	v_cvt_f32_f64_e32 v0, s[20:21]
	s_cbranch_vccnz .LBB215_55
; %bb.54:
	v_cmp_lt_f32_e32 vcc, 0, v13
	s_nop 1
	v_cndmask_b32_e32 v1, 1.0, v13, vcc
	v_div_scale_f32 v2, s[0:1], v1, v1, v0
	v_rcp_f32_e32 v3, v2
	s_nop 0
	v_fma_f32 v4, -v2, v3, 1.0
	v_fmac_f32_e32 v3, v4, v3
	v_div_scale_f32 v4, vcc, v0, v1, v0
	v_mul_f32_e32 v5, v4, v3
	v_fma_f32 v6, -v2, v5, v4
	v_fmac_f32_e32 v5, v6, v3
	v_fma_f32 v2, -v2, v5, v4
	v_div_fmas_f32 v2, v2, v3, v5
	v_div_fixup_f32 v0, v2, v1, v0
.LBB215_55:
	s_andn2_b64 vcc, exec, s[38:39]
	s_cbranch_vccnz .LBB215_65
; %bb.56:
	v_mul_lo_u32 v2, v8, s24
	s_cmp_gt_u32 s24, 3
	v_ashrrev_i32_e32 v3, 31, v2
	s_cbranch_scc0 .LBB215_60
; %bb.57:
	s_and_b32 s0, s24, 0x7ffffffc
	v_lshl_add_u64 v[4:5], v[2:3], 2, s[34:35]
	v_mov_b32_e32 v1, v0
	v_lshl_add_u64 v[4:5], v[4:5], 0, 8
	s_mov_b32 s1, s0
.LBB215_58:                             ; =>This Inner Loop Header: Depth=1
	global_load_dwordx4 v[6:9], v[4:5], off offset:-8
	s_add_i32 s1, s1, -4
	s_cmp_lg_u32 s1, 0
	s_waitcnt vmcnt(0)
	v_pk_mul_f32 v[6:7], v[0:1], v[6:7]
	v_pk_mul_f32 v[8:9], v[0:1], v[8:9]
	global_store_dwordx4 v[4:5], v[6:9], off offset:-8
	v_lshl_add_u64 v[4:5], v[4:5], 0, 16
	s_cbranch_scc1 .LBB215_58
; %bb.59:
	s_cmp_lg_u32 s0, s24
	s_cselect_b64 s[2:3], -1, 0
	s_branch .LBB215_62
.LBB215_60:
	s_mov_b64 s[2:3], 0
                                        ; implicit-def: $sgpr0
	s_cbranch_execz .LBB215_62
; %bb.61:
	s_mov_b64 s[2:3], -1
	s_mov_b32 s0, 0
.LBB215_62:
	s_andn2_b64 vcc, exec, s[2:3]
	s_cbranch_vccnz .LBB215_65
; %bb.63:
	s_mov_b32 s1, 0
	v_lshl_add_u64 v[2:3], v[2:3], 0, s[0:1]
	s_sub_i32 s2, s24, s0
	v_lshl_add_u64 v[2:3], v[2:3], 2, s[34:35]
.LBB215_64:                             ; =>This Inner Loop Header: Depth=1
	global_load_dword v1, v[2:3], off
	s_add_i32 s2, s2, -1
	s_cmp_lg_u32 s2, 0
	s_waitcnt vmcnt(0)
	v_mul_f32_e32 v1, v0, v1
	global_store_dword v[2:3], v1, off
	v_lshl_add_u64 v[2:3], v[2:3], 0, 4
	s_cbranch_scc1 .LBB215_64
.LBB215_65:
	s_endpgm
	.section	.rodata,"a",@progbits
	.p2align	6, 0x0
	.amdhsa_kernel _ZN4vllm3moe22topkGatingSoftplusSqrtILi8ELi256ELi4ELi16ELi32ELb0Ei6__halfEEvPKT6_PKbPfiPT5_PiiiibdPKfPKS9_SF_
		.amdhsa_group_segment_fixed_size 0
		.amdhsa_private_segment_fixed_size 0
		.amdhsa_kernarg_size 96
		.amdhsa_user_sgpr_count 2
		.amdhsa_user_sgpr_dispatch_ptr 0
		.amdhsa_user_sgpr_queue_ptr 0
		.amdhsa_user_sgpr_kernarg_segment_ptr 1
		.amdhsa_user_sgpr_dispatch_id 0
		.amdhsa_user_sgpr_kernarg_preload_length 0
		.amdhsa_user_sgpr_kernarg_preload_offset 0
		.amdhsa_user_sgpr_private_segment_size 0
		.amdhsa_uses_dynamic_stack 0
		.amdhsa_enable_private_segment 0
		.amdhsa_system_sgpr_workgroup_id_x 1
		.amdhsa_system_sgpr_workgroup_id_y 0
		.amdhsa_system_sgpr_workgroup_id_z 0
		.amdhsa_system_sgpr_workgroup_info 0
		.amdhsa_system_vgpr_workitem_id 1
		.amdhsa_next_free_vgpr 28
		.amdhsa_next_free_sgpr 43
		.amdhsa_accum_offset 28
		.amdhsa_reserve_vcc 1
		.amdhsa_float_round_mode_32 0
		.amdhsa_float_round_mode_16_64 0
		.amdhsa_float_denorm_mode_32 3
		.amdhsa_float_denorm_mode_16_64 3
		.amdhsa_dx10_clamp 1
		.amdhsa_ieee_mode 1
		.amdhsa_fp16_overflow 0
		.amdhsa_tg_split 0
		.amdhsa_exception_fp_ieee_invalid_op 0
		.amdhsa_exception_fp_denorm_src 0
		.amdhsa_exception_fp_ieee_div_zero 0
		.amdhsa_exception_fp_ieee_overflow 0
		.amdhsa_exception_fp_ieee_underflow 0
		.amdhsa_exception_fp_ieee_inexact 0
		.amdhsa_exception_int_div_zero 0
	.end_amdhsa_kernel
	.section	.text._ZN4vllm3moe22topkGatingSoftplusSqrtILi8ELi256ELi4ELi16ELi32ELb0Ei6__halfEEvPKT6_PKbPfiPT5_PiiiibdPKfPKS9_SF_,"axG",@progbits,_ZN4vllm3moe22topkGatingSoftplusSqrtILi8ELi256ELi4ELi16ELi32ELb0Ei6__halfEEvPKT6_PKbPfiPT5_PiiiibdPKfPKS9_SF_,comdat
.Lfunc_end215:
	.size	_ZN4vllm3moe22topkGatingSoftplusSqrtILi8ELi256ELi4ELi16ELi32ELb0Ei6__halfEEvPKT6_PKbPfiPT5_PiiiibdPKfPKS9_SF_, .Lfunc_end215-_ZN4vllm3moe22topkGatingSoftplusSqrtILi8ELi256ELi4ELi16ELi32ELb0Ei6__halfEEvPKT6_PKbPfiPT5_PiiiibdPKfPKS9_SF_
                                        ; -- End function
	.section	.AMDGPU.csdata,"",@progbits
; Kernel info:
; codeLenInByte = 4204
; NumSgprs: 49
; NumVgprs: 28
; NumAgprs: 0
; TotalNumVgprs: 28
; ScratchSize: 0
; MemoryBound: 0
; FloatMode: 240
; IeeeMode: 1
; LDSByteSize: 0 bytes/workgroup (compile time only)
; SGPRBlocks: 6
; VGPRBlocks: 3
; NumSGPRsForWavesPerEU: 49
; NumVGPRsForWavesPerEU: 28
; AccumOffset: 28
; Occupancy: 8
; WaveLimiterHint : 0
; COMPUTE_PGM_RSRC2:SCRATCH_EN: 0
; COMPUTE_PGM_RSRC2:USER_SGPR: 2
; COMPUTE_PGM_RSRC2:TRAP_HANDLER: 0
; COMPUTE_PGM_RSRC2:TGID_X_EN: 1
; COMPUTE_PGM_RSRC2:TGID_Y_EN: 0
; COMPUTE_PGM_RSRC2:TGID_Z_EN: 0
; COMPUTE_PGM_RSRC2:TIDIG_COMP_CNT: 1
; COMPUTE_PGM_RSRC3_GFX90A:ACCUM_OFFSET: 6
; COMPUTE_PGM_RSRC3_GFX90A:TG_SPLIT: 0
	.section	.text._ZN4vllm3moe22topkGatingSoftplusSqrtILi8ELi512ELi4ELi16ELi64ELb1Ei6__halfEEvPKT6_PKbPfiPT5_PiiiibdPKfPKS9_SF_,"axG",@progbits,_ZN4vllm3moe22topkGatingSoftplusSqrtILi8ELi512ELi4ELi16ELi64ELb1Ei6__halfEEvPKT6_PKbPfiPT5_PiiiibdPKfPKS9_SF_,comdat
	.protected	_ZN4vllm3moe22topkGatingSoftplusSqrtILi8ELi512ELi4ELi16ELi64ELb1Ei6__halfEEvPKT6_PKbPfiPT5_PiiiibdPKfPKS9_SF_ ; -- Begin function _ZN4vllm3moe22topkGatingSoftplusSqrtILi8ELi512ELi4ELi16ELi64ELb1Ei6__halfEEvPKT6_PKbPfiPT5_PiiiibdPKfPKS9_SF_
	.globl	_ZN4vllm3moe22topkGatingSoftplusSqrtILi8ELi512ELi4ELi16ELi64ELb1Ei6__halfEEvPKT6_PKbPfiPT5_PiiiibdPKfPKS9_SF_
	.p2align	8
	.type	_ZN4vllm3moe22topkGatingSoftplusSqrtILi8ELi512ELi4ELi16ELi64ELb1Ei6__halfEEvPKT6_PKbPfiPT5_PiiiibdPKfPKS9_SF_,@function
_ZN4vllm3moe22topkGatingSoftplusSqrtILi8ELi512ELi4ELi16ELi64ELb1Ei6__halfEEvPKT6_PKbPfiPT5_PiiiibdPKfPKS9_SF_: ; @_ZN4vllm3moe22topkGatingSoftplusSqrtILi8ELi512ELi4ELi16ELi64ELb1Ei6__halfEEvPKT6_PKbPfiPT5_PiiiibdPKfPKS9_SF_
; %bb.0:
	s_load_dword s3, s[0:1], 0x18
	v_and_b32_e32 v11, 0x3ff, v0
	s_lshl_b32 s2, s2, 2
	v_lshrrev_b32_e32 v1, 6, v11
	v_bfe_u32 v0, v0, 10, 10
	v_add3_u32 v6, s2, v0, v1
	s_waitcnt lgkmcnt(0)
	v_cmp_gt_i32_e32 vcc, s3, v6
	s_and_saveexec_b64 s[2:3], vcc
	s_cbranch_execz .LBB216_31
; %bb.1:
	s_load_dwordx2 s[2:3], s[0:1], 0x0
	s_load_dword s33, s[0:1], 0x30
	v_lshlrev_b32_e32 v0, 9, v6
	v_lshlrev_b32_e32 v2, 3, v11
	v_ashrrev_i32_e32 v1, 31, v0
	v_and_b32_e32 v10, 0x1f8, v2
	s_waitcnt lgkmcnt(0)
	v_lshl_add_u64 v[0:1], v[0:1], 1, s[2:3]
	v_lshlrev_b32_e32 v4, 1, v10
	v_mov_b32_e32 v5, 0
	v_lshl_add_u64 v[0:1], v[0:1], 0, v[4:5]
	global_load_dwordx4 v[0:3], v[0:1], off
	s_load_dwordx4 s[8:11], s[0:1], 0x50
	v_ashrrev_i32_e32 v7, 31, v6
	s_mov_b32 s15, 0x800000
	s_mov_b32 s13, 0x3f317217
	;; [unrolled: 1-line block ×3, first 2 shown]
	s_waitcnt lgkmcnt(0)
	v_mov_b32_e32 v8, s8
	v_mov_b32_e32 v9, s9
	v_lshl_add_u64 v[8:9], v[6:7], 2, v[8:9]
	global_load_dword v4, v[8:9], off
	v_mov_b32_e32 v7, 0x4f800000
	v_mov_b32_e32 v16, 0x41b17218
	s_movk_i32 s9, 0x4d00
	s_mov_b32 s12, 0xf800000
	v_mov_b32_e32 v17, 0x260
	s_cmp_gt_i32 s33, 0
	s_mov_b32 s8, 0
	s_waitcnt vmcnt(1)
	v_cvt_f32_f16_e32 v18, v0
	v_cvt_f32_f16_sdwa v19, v0 dst_sel:DWORD dst_unused:UNUSED_PAD src0_sel:WORD_1
	v_cvt_f32_f16_e32 v20, v1
	v_cvt_f32_f16_sdwa v21, v1 dst_sel:DWORD dst_unused:UNUSED_PAD src0_sel:WORD_1
	v_mul_f32_e32 v8, 0x3fb8aa3b, v18
	v_mul_f32_e32 v9, 0x3fb8aa3b, v19
	v_exp_f32_e32 v12, v8
	v_exp_f32_e32 v13, v9
	v_mul_f32_e32 v14, 0x3fb8aa3b, v20
	v_mul_f32_e32 v15, 0x3fb8aa3b, v21
	v_exp_f32_e32 v14, v14
	v_exp_f32_e32 v15, v15
	v_pk_add_f32 v[12:13], v[12:13], 1.0 op_sel_hi:[1,0]
	s_waitcnt vmcnt(0)
	v_mul_lo_u32 v8, v4, s33
	v_cmp_gt_f32_e32 vcc, s15, v13
	v_pk_add_f32 v[14:15], v[14:15], 1.0 op_sel_hi:[1,0]
	v_cmp_gt_f32_e64 s[2:3], s15, v12
	v_cndmask_b32_e32 v4, 1.0, v7, vcc
	v_cmp_gt_f32_e64 s[4:5], s15, v15
	v_cndmask_b32_e64 v22, 1.0, v7, s[2:3]
	v_mul_f32_e32 v4, v13, v4
	v_cndmask_b32_e64 v23, 1.0, v7, s[4:5]
	v_mul_f32_e32 v12, v12, v22
	v_log_f32_e32 v4, v4
	v_mul_f32_e32 v15, v15, v23
	v_log_f32_e32 v12, v12
	v_cmp_gt_f32_e64 s[6:7], s15, v14
	v_log_f32_e32 v15, v15
	v_cndmask_b32_e32 v13, 0, v16, vcc
	v_cndmask_b32_e64 v24, 1.0, v7, s[6:7]
	v_mul_f32_e32 v14, v14, v24
	v_mul_f32_e32 v24, 0x3f317217, v4
	;; [unrolled: 1-line block ×3, first 2 shown]
	v_fma_f32 v24, v4, s13, -v24
	v_mul_f32_e32 v26, 0x3f317217, v15
	v_fma_f32 v25, v12, s13, -v25
	v_fmac_f32_e32 v24, 0x3377d1cf, v4
	v_fma_f32 v26, v15, s13, -v26
	v_fmac_f32_e32 v25, 0x3377d1cf, v12
	v_fmac_f32_e32 v24, 0x3f317217, v4
	v_cmp_lt_f32_e64 vcc, |v4|, s14
	v_fmac_f32_e32 v26, 0x3377d1cf, v15
	v_fmac_f32_e32 v25, 0x3f317217, v12
	v_cndmask_b32_e32 v4, v4, v24, vcc
	v_cmp_lt_f32_e64 vcc, |v12|, s14
	v_cndmask_b32_e64 v22, 0, v16, s[2:3]
	v_fmac_f32_e32 v26, 0x3f317217, v15
	v_cndmask_b32_e32 v12, v12, v25, vcc
	v_cmp_lt_f32_e64 vcc, |v15|, s14
	v_sub_f32_e32 v12, v12, v22
	v_sub_f32_e32 v4, v4, v13
	v_cndmask_b32_e32 v15, v15, v26, vcc
	v_cmp_lt_f16_e32 vcc, s9, v0
	v_cndmask_b32_e64 v23, 0, v16, s[4:5]
	v_log_f32_e32 v14, v14
	v_cndmask_b32_e32 v12, v12, v18, vcc
	v_cmp_gt_f16_sdwa vcc, v0, s9 src0_sel:WORD_1 src1_sel:DWORD
	v_mul_f32_e32 v13, 0x4f800000, v12
	v_cmp_gt_f32_e64 s[2:3], s12, v12
	v_cndmask_b32_e32 v0, v4, v19, vcc
	v_mul_f32_e32 v4, 0x4f800000, v0
	v_cmp_gt_f32_e32 vcc, s12, v0
	v_cndmask_b32_e64 v12, v12, v13, s[2:3]
	v_sqrt_f32_e32 v13, v12
	v_cndmask_b32_e32 v0, v0, v4, vcc
	v_sqrt_f32_e32 v4, v0
	v_sub_f32_e32 v15, v15, v23
	v_add_u32_e32 v22, -1, v13
	v_fma_f32 v26, -v22, v13, v12
	v_add_u32_e32 v18, -1, v4
	v_fma_f32 v24, -v18, v4, v0
	v_add_u32_e32 v19, 1, v4
	v_cmp_ge_f32_e64 s[4:5], 0, v24
	v_add_u32_e32 v23, 1, v13
	v_fma_f32 v25, -v19, v4, v0
	v_cndmask_b32_e64 v4, v4, v18, s[4:5]
	v_cmp_ge_f32_e64 s[4:5], 0, v26
	v_fma_f32 v28, -v23, v13, v12
	v_mul_f32_e32 v27, 0x3f317217, v14
	v_cndmask_b32_e64 v13, v13, v22, s[4:5]
	v_cmp_lt_f32_e64 s[4:5], 0, v25
	v_fma_f32 v27, v14, s13, -v27
	v_fmac_f32_e32 v27, 0x3377d1cf, v14
	v_cndmask_b32_e64 v4, v4, v19, s[4:5]
	v_cmp_lt_f32_e64 s[4:5], 0, v28
	v_mul_f32_e32 v18, 0x37800000, v4
	v_cndmask_b32_e32 v4, v4, v18, vcc
	v_cndmask_b32_e64 v13, v13, v23, s[4:5]
	v_mul_f32_e32 v19, 0x37800000, v13
	v_cmp_class_f32_e32 vcc, v0, v17
	v_cndmask_b32_e64 v18, v13, v19, s[2:3]
	v_fmac_f32_e32 v27, 0x3f317217, v14
	v_cndmask_b32_e32 v13, v4, v0, vcc
	v_cmp_class_f32_e32 vcc, v12, v17
	v_cndmask_b32_e64 v4, 0, v16, s[6:7]
	v_cmp_lt_f16_e64 s[2:3], s9, v1
	v_cndmask_b32_e32 v12, v18, v12, vcc
	v_cmp_lt_f32_e64 vcc, |v14|, s14
	v_cvt_f32_f16_e32 v19, v2
	v_ashrrev_i32_e32 v9, 31, v8
	v_cndmask_b32_e32 v0, v14, v27, vcc
	v_cmp_gt_f16_sdwa vcc, v1, s9 src0_sel:WORD_1 src1_sel:DWORD
	v_sub_f32_e32 v0, v0, v4
	v_cndmask_b32_e64 v0, v0, v20, s[2:3]
	v_cndmask_b32_e32 v14, v15, v21, vcc
	v_mul_f32_e32 v15, 0x4f800000, v14
	v_cmp_gt_f32_e32 vcc, s12, v14
	v_cvt_f32_f16_sdwa v20, v2 dst_sel:DWORD dst_unused:UNUSED_PAD src0_sel:WORD_1
	s_nop 0
	v_cndmask_b32_e32 v14, v14, v15, vcc
	v_sqrt_f32_e32 v15, v14
	s_nop 0
	v_add_u32_e32 v1, -1, v15
	v_fma_f32 v4, -v1, v15, v14
	v_cmp_ge_f32_e64 s[2:3], 0, v4
	v_add_u32_e32 v4, 1, v15
	s_nop 0
	v_cndmask_b32_e64 v1, v15, v1, s[2:3]
	v_fma_f32 v15, -v4, v15, v14
	v_cmp_lt_f32_e64 s[2:3], 0, v15
	v_mul_f32_e32 v15, 0x4f800000, v0
	s_nop 0
	v_cndmask_b32_e64 v1, v1, v4, s[2:3]
	v_cmp_gt_f32_e64 s[2:3], s12, v0
	v_mul_f32_e32 v4, 0x37800000, v1
	v_cndmask_b32_e32 v1, v1, v4, vcc
	v_cndmask_b32_e64 v18, v0, v15, s[2:3]
	v_sqrt_f32_e32 v0, v18
	v_cmp_class_f32_e32 vcc, v14, v17
	s_nop 1
	v_cndmask_b32_e32 v15, v1, v14, vcc
	v_add_u32_e32 v1, -1, v0
	v_fma_f32 v4, -v1, v0, v18
	v_cmp_ge_f32_e32 vcc, 0, v4
	v_add_u32_e32 v14, 1, v0
	v_fma_f32 v21, -v14, v0, v18
	v_cndmask_b32_e32 v4, v0, v1, vcc
	v_mul_f32_e32 v0, 0x3fb8aa3b, v19
	v_mul_f32_e32 v1, 0x3fb8aa3b, v20
	v_exp_f32_e32 v0, v0
	v_exp_f32_e32 v1, v1
	v_cmp_lt_f32_e32 vcc, 0, v21
	v_pk_add_f32 v[0:1], v[0:1], 1.0 op_sel_hi:[1,0]
	s_nop 0
	v_cndmask_b32_e32 v4, v4, v14, vcc
	v_mul_f32_e32 v14, 0x37800000, v4
	v_cmp_gt_f32_e32 vcc, s15, v1
	v_cndmask_b32_e64 v4, v4, v14, s[2:3]
	v_cmp_class_f32_e64 s[2:3], v18, v17
	v_cndmask_b32_e32 v14, 1.0, v7, vcc
	v_mul_f32_e32 v1, v1, v14
	v_log_f32_e32 v1, v1
	v_cndmask_b32_e64 v14, v4, v18, s[2:3]
	v_cmp_gt_f32_e64 s[2:3], s15, v0
	scratch_store_dwordx4 off, v[12:15], off
	v_mul_f32_e32 v4, 0x3f317217, v1
	v_fma_f32 v4, v1, s13, -v4
	v_cndmask_b32_e64 v12, 1.0, v7, s[2:3]
	v_mul_f32_e32 v0, v0, v12
	v_log_f32_e32 v0, v0
	v_fmac_f32_e32 v4, 0x3377d1cf, v1
	v_fmac_f32_e32 v4, 0x3f317217, v1
	v_cmp_lt_f32_e64 s[4:5], |v1|, s14
	v_cvt_f32_f16_sdwa v15, v3 dst_sel:DWORD dst_unused:UNUSED_PAD src0_sel:WORD_1
	v_mul_f32_e32 v13, 0x3fb8aa3b, v15
	v_cndmask_b32_e64 v1, v1, v4, s[4:5]
	v_cndmask_b32_e32 v4, 0, v16, vcc
	v_sub_f32_e32 v1, v1, v4
	v_mul_f32_e32 v4, 0x3f317217, v0
	v_fma_f32 v4, v0, s13, -v4
	v_fmac_f32_e32 v4, 0x3377d1cf, v0
	v_fmac_f32_e32 v4, 0x3f317217, v0
	v_cmp_lt_f32_e64 vcc, |v0|, s14
	v_exp_f32_e32 v13, v13
	s_nop 0
	v_cndmask_b32_e32 v0, v0, v4, vcc
	v_cmp_gt_f16_sdwa vcc, v2, s9 src0_sel:WORD_1 src1_sel:DWORD
	v_cndmask_b32_e64 v4, 0, v16, s[2:3]
	v_cmp_lt_f16_e64 s[2:3], s9, v2
	v_cndmask_b32_e32 v1, v1, v20, vcc
	v_mul_f32_e32 v12, 0x4f800000, v1
	v_cmp_gt_f32_e32 vcc, s12, v1
	v_sub_f32_e32 v0, v0, v4
	v_cndmask_b32_e64 v0, v0, v19, s[2:3]
	v_cndmask_b32_e32 v1, v1, v12, vcc
	v_sqrt_f32_e32 v12, v1
	s_nop 0
	v_add_u32_e32 v2, -1, v12
	v_fma_f32 v4, -v2, v12, v1
	v_cmp_ge_f32_e64 s[2:3], 0, v4
	v_add_u32_e32 v4, 1, v12
	s_nop 0
	v_cndmask_b32_e64 v2, v12, v2, s[2:3]
	v_fma_f32 v12, -v4, v12, v1
	v_cmp_lt_f32_e64 s[2:3], 0, v12
	v_mul_f32_e32 v12, 0x4f800000, v0
	s_nop 0
	v_cndmask_b32_e64 v2, v2, v4, s[2:3]
	v_cmp_gt_f32_e64 s[2:3], s12, v0
	v_mul_f32_e32 v4, 0x37800000, v2
	v_cndmask_b32_e32 v2, v2, v4, vcc
	v_cndmask_b32_e64 v0, v0, v12, s[2:3]
	v_sqrt_f32_e32 v12, v0
	v_cmp_class_f32_e32 vcc, v1, v17
	v_add_u32_e32 v14, 1, v12
	s_nop 0
	v_cndmask_b32_e32 v1, v2, v1, vcc
	v_add_u32_e32 v2, -1, v12
	v_fma_f32 v4, -v2, v12, v0
	v_cmp_ge_f32_e32 vcc, 0, v4
	v_cvt_f32_f16_e32 v4, v3
	v_fma_f32 v18, -v14, v12, v0
	v_cndmask_b32_e32 v2, v12, v2, vcc
	v_cmp_lt_f32_e32 vcc, 0, v18
	v_mul_f32_e32 v12, 0x3fb8aa3b, v4
	v_exp_f32_e32 v12, v12
	v_cndmask_b32_e32 v2, v2, v14, vcc
	v_mul_f32_e32 v14, 0x37800000, v2
	v_cndmask_b32_e64 v2, v2, v14, s[2:3]
	v_pk_add_f32 v[12:13], v[12:13], 1.0 op_sel_hi:[1,0]
	v_cmp_class_f32_e64 s[2:3], v0, v17
	v_cmp_gt_f32_e32 vcc, s15, v13
	s_nop 0
	v_cndmask_b32_e64 v0, v2, v0, s[2:3]
	v_cndmask_b32_e32 v18, 1.0, v7, vcc
	v_mul_f32_e32 v13, v13, v18
	v_log_f32_e32 v13, v13
	v_cmp_gt_f32_e64 s[2:3], s15, v12
	v_mul_f32_e32 v2, 0x3f317217, v13
	s_nop 0
	v_cndmask_b32_e64 v7, 1.0, v7, s[2:3]
	v_mul_f32_e32 v7, v12, v7
	v_fma_f32 v2, v13, s13, -v2
	v_log_f32_e32 v7, v7
	v_fmac_f32_e32 v2, 0x3377d1cf, v13
	v_fmac_f32_e32 v2, 0x3f317217, v13
	v_cmp_lt_f32_e64 s[4:5], |v13|, s14
	v_cndmask_b32_e32 v12, 0, v16, vcc
	v_cmp_lt_f32_e64 vcc, |v7|, s14
	v_cndmask_b32_e64 v2, v13, v2, s[4:5]
	v_sub_f32_e32 v2, v2, v12
	v_mul_f32_e32 v12, 0x3f317217, v7
	v_fma_f32 v12, v7, s13, -v12
	v_fmac_f32_e32 v12, 0x3377d1cf, v7
	v_fmac_f32_e32 v12, 0x3f317217, v7
	v_cndmask_b32_e32 v7, v7, v12, vcc
	v_cmp_gt_f16_sdwa vcc, v3, s9 src0_sel:WORD_1 src1_sel:DWORD
	v_cndmask_b32_e64 v12, 0, v16, s[2:3]
	v_sub_f32_e32 v7, v7, v12
	v_cndmask_b32_e32 v2, v2, v15, vcc
	v_mul_f32_e32 v13, 0x4f800000, v2
	v_cmp_gt_f32_e32 vcc, s12, v2
	v_cmp_lt_f16_e64 s[2:3], s9, v3
	s_cselect_b64 s[4:5], -1, 0
	v_cndmask_b32_e32 v2, v2, v13, vcc
	v_sqrt_f32_e32 v13, v2
	v_cndmask_b32_e64 v3, v7, v4, s[2:3]
	s_cmp_lt_i32 s33, 1
	v_add_u32_e32 v4, -1, v13
	v_fma_f32 v7, -v4, v13, v2
	v_cmp_ge_f32_e64 s[2:3], 0, v7
	v_add_u32_e32 v7, 1, v13
	v_fma_f32 v12, -v7, v13, v2
	v_cndmask_b32_e64 v4, v13, v4, s[2:3]
	v_cmp_lt_f32_e64 s[2:3], 0, v12
	v_mul_f32_e32 v12, 0x4f800000, v3
	s_nop 0
	v_cndmask_b32_e64 v4, v4, v7, s[2:3]
	v_cmp_gt_f32_e64 s[2:3], s12, v3
	v_mul_f32_e32 v7, 0x37800000, v4
	s_nop 0
	v_cndmask_b32_e64 v12, v3, v12, s[2:3]
	v_sqrt_f32_e32 v13, v12
	v_cndmask_b32_e32 v3, v4, v7, vcc
	v_cmp_class_f32_e32 vcc, v2, v17
	s_nop 1
	v_cndmask_b32_e32 v3, v3, v2, vcc
	v_add_u32_e32 v2, -1, v13
	v_fma_f32 v4, -v2, v13, v12
	v_cmp_ge_f32_e32 vcc, 0, v4
	v_add_u32_e32 v4, 1, v13
	v_fma_f32 v7, -v4, v13, v12
	v_cndmask_b32_e32 v2, v13, v2, vcc
	v_cmp_lt_f32_e32 vcc, 0, v7
	s_nop 1
	v_cndmask_b32_e32 v2, v2, v4, vcc
	v_mul_f32_e32 v4, 0x37800000, v2
	v_cndmask_b32_e64 v2, v2, v4, s[2:3]
	v_cmp_class_f32_e32 vcc, v12, v17
	s_nop 1
	v_cndmask_b32_e32 v2, v2, v12, vcc
	scratch_store_dwordx4 off, v[0:3], off offset:16
	s_nop 1
	v_lshl_add_u64 v[2:3], v[8:9], 2, s[10:11]
	v_mul_lo_u32 v0, v6, s33
	s_cbranch_scc1 .LBB216_28
; %bb.2:
	s_load_dwordx2 s[6:7], s[0:1], 0x20
	s_cmp_lt_u32 s33, 4
	v_and_b32_e32 v4, 63, v11
	s_cbranch_scc1 .LBB216_21
; %bb.3:
	v_lshlrev_b32_e32 v5, 3, v4
	s_mov_b32 s11, 0
	s_and_b32 s8, s33, 0x7ffffffc
	v_ashrrev_i32_e32 v1, 31, v0
	v_sub_u32_e32 v11, 0, v5
	v_mov_b32_e32 v5, 0
	s_mov_b32 s10, s11
	s_branch .LBB216_5
.LBB216_4:                              ;   in Loop: Header=BB216_5 Depth=1
	s_or_b64 exec, exec, s[12:13]
	s_add_i32 s10, s10, 4
	s_cmp_eq_u32 s10, s8
	s_cbranch_scc1 .LBB216_21
.LBB216_5:                              ; =>This Loop Header: Depth=1
                                        ;     Child Loop BB216_7 Depth 2
                                        ;     Child Loop BB216_11 Depth 2
	;; [unrolled: 1-line block ×4, first 2 shown]
	v_lshl_add_u64 v[6:7], s[10:11], 2, v[2:3]
	global_load_dword v12, v[6:7], off
	v_add_u32_e32 v8, s10, v0
	v_ashrrev_i32_e32 v9, 31, v8
	v_mov_b32_e32 v13, 0
	s_mov_b64 s[12:13], 0
	s_waitcnt lgkmcnt(0)
	v_lshl_add_u64 v[8:9], v[8:9], 2, s[6:7]
	s_mov_b32 s9, 0
	s_waitcnt vmcnt(0)
	v_add_u32_e32 v14, v11, v12
	s_branch .LBB216_7
.LBB216_6:                              ;   in Loop: Header=BB216_7 Depth=2
	s_or_b64 exec, exec, s[14:15]
	s_add_i32 s16, s9, 1
	s_cmp_gt_u32 s9, 6
	s_cselect_b64 s[2:3], -1, 0
	s_xor_b64 s[14:15], vcc, -1
	s_or_b64 s[2:3], s[14:15], s[2:3]
	s_and_b64 s[2:3], exec, s[2:3]
	v_add_u32_e32 v13, 4, v13
	s_or_b64 s[12:13], s[2:3], s[12:13]
	s_mov_b32 s9, s16
	s_andn2_b64 exec, exec, s[12:13]
	s_cbranch_execz .LBB216_9
.LBB216_7:                              ;   Parent Loop BB216_5 Depth=1
                                        ; =>  This Inner Loop Header: Depth=2
	v_cmp_ne_u32_e32 vcc, s9, v14
	v_cmp_eq_u32_e64 s[2:3], s9, v14
	s_and_saveexec_b64 s[14:15], s[2:3]
	s_cbranch_execz .LBB216_6
; %bb.8:                                ;   in Loop: Header=BB216_7 Depth=2
	scratch_load_dword v15, v13, off
	s_waitcnt vmcnt(0)
	v_add_f32_e32 v5, v5, v15
	global_store_dword v[8:9], v12, off
	s_branch .LBB216_6
.LBB216_9:                              ;   in Loop: Header=BB216_5 Depth=1
	s_or_b64 exec, exec, s[12:13]
	global_load_dword v12, v[6:7], off offset:4
	s_ashr_i32 s3, s10, 31
	s_mov_b32 s2, s10
	v_lshl_add_u64 v[8:9], s[2:3], 0, v[0:1]
	v_mov_b32_e32 v13, 0
	s_mov_b32 s9, 0
	v_lshl_add_u64 v[8:9], v[8:9], 2, s[6:7]
	s_mov_b64 s[12:13], 0
	s_waitcnt vmcnt(0)
	v_add_u32_e32 v14, v11, v12
	s_branch .LBB216_11
.LBB216_10:                             ;   in Loop: Header=BB216_11 Depth=2
	s_or_b64 exec, exec, s[14:15]
	s_add_i32 s16, s9, 1
	s_cmp_gt_u32 s9, 6
	s_cselect_b64 s[2:3], -1, 0
	s_xor_b64 s[14:15], vcc, -1
	s_or_b64 s[2:3], s[14:15], s[2:3]
	s_and_b64 s[2:3], exec, s[2:3]
	v_add_u32_e32 v13, 4, v13
	s_or_b64 s[12:13], s[2:3], s[12:13]
	s_mov_b32 s9, s16
	s_andn2_b64 exec, exec, s[12:13]
	s_cbranch_execz .LBB216_13
.LBB216_11:                             ;   Parent Loop BB216_5 Depth=1
                                        ; =>  This Inner Loop Header: Depth=2
	v_cmp_ne_u32_e32 vcc, s9, v14
	v_cmp_eq_u32_e64 s[2:3], s9, v14
	s_and_saveexec_b64 s[14:15], s[2:3]
	s_cbranch_execz .LBB216_10
; %bb.12:                               ;   in Loop: Header=BB216_11 Depth=2
	scratch_load_dword v15, v13, off
	s_waitcnt vmcnt(0)
	v_add_f32_e32 v5, v5, v15
	global_store_dword v[8:9], v12, off offset:4
	s_branch .LBB216_10
.LBB216_13:                             ;   in Loop: Header=BB216_5 Depth=1
	s_or_b64 exec, exec, s[12:13]
	global_load_dword v12, v[6:7], off offset:8
	v_mov_b32_e32 v13, 0
	s_mov_b32 s9, 0
	s_mov_b64 s[12:13], 0
	s_waitcnt vmcnt(0)
	v_add_u32_e32 v14, v11, v12
	s_branch .LBB216_15
.LBB216_14:                             ;   in Loop: Header=BB216_15 Depth=2
	s_or_b64 exec, exec, s[14:15]
	s_add_i32 s16, s9, 1
	s_cmp_gt_u32 s9, 6
	s_cselect_b64 s[2:3], -1, 0
	s_xor_b64 s[14:15], vcc, -1
	s_or_b64 s[2:3], s[14:15], s[2:3]
	s_and_b64 s[2:3], exec, s[2:3]
	v_add_u32_e32 v13, 4, v13
	s_or_b64 s[12:13], s[2:3], s[12:13]
	s_mov_b32 s9, s16
	s_andn2_b64 exec, exec, s[12:13]
	s_cbranch_execz .LBB216_17
.LBB216_15:                             ;   Parent Loop BB216_5 Depth=1
                                        ; =>  This Inner Loop Header: Depth=2
	v_cmp_ne_u32_e32 vcc, s9, v14
	v_cmp_eq_u32_e64 s[2:3], s9, v14
	s_and_saveexec_b64 s[14:15], s[2:3]
	s_cbranch_execz .LBB216_14
; %bb.16:                               ;   in Loop: Header=BB216_15 Depth=2
	scratch_load_dword v15, v13, off
	s_waitcnt vmcnt(0)
	v_add_f32_e32 v5, v5, v15
	global_store_dword v[8:9], v12, off offset:8
	s_branch .LBB216_14
.LBB216_17:                             ;   in Loop: Header=BB216_5 Depth=1
	s_or_b64 exec, exec, s[12:13]
	global_load_dword v6, v[6:7], off offset:12
	v_mov_b32_e32 v7, 0
	s_mov_b32 s9, 0
	s_mov_b64 s[12:13], 0
	s_waitcnt vmcnt(0)
	v_add_u32_e32 v12, v11, v6
	s_branch .LBB216_19
.LBB216_18:                             ;   in Loop: Header=BB216_19 Depth=2
	s_or_b64 exec, exec, s[14:15]
	s_add_i32 s16, s9, 1
	s_cmp_gt_u32 s9, 6
	s_cselect_b64 s[2:3], -1, 0
	s_xor_b64 s[14:15], vcc, -1
	s_or_b64 s[2:3], s[14:15], s[2:3]
	s_and_b64 s[2:3], exec, s[2:3]
	v_add_u32_e32 v7, 4, v7
	s_or_b64 s[12:13], s[2:3], s[12:13]
	s_mov_b32 s9, s16
	s_andn2_b64 exec, exec, s[12:13]
	s_cbranch_execz .LBB216_4
.LBB216_19:                             ;   Parent Loop BB216_5 Depth=1
                                        ; =>  This Inner Loop Header: Depth=2
	v_cmp_ne_u32_e32 vcc, s9, v12
	v_cmp_eq_u32_e64 s[2:3], s9, v12
	s_and_saveexec_b64 s[14:15], s[2:3]
	s_cbranch_execz .LBB216_18
; %bb.20:                               ;   in Loop: Header=BB216_19 Depth=2
	scratch_load_dword v13, v7, off
	s_waitcnt vmcnt(0)
	v_add_f32_e32 v5, v5, v13
	global_store_dword v[8:9], v6, off offset:12
	s_branch .LBB216_18
.LBB216_21:
	s_and_b32 s14, s33, 3
	s_cmp_eq_u32 s14, 0
	s_mov_b32 s9, 0
	s_cbranch_scc1 .LBB216_28
; %bb.22:
	v_lshlrev_b32_e32 v1, 3, v4
	v_sub_u32_e32 v1, 0, v1
	s_mov_b32 s15, s9
	s_branch .LBB216_24
.LBB216_23:                             ;   in Loop: Header=BB216_24 Depth=1
	s_or_b64 exec, exec, s[10:11]
	s_add_i32 s8, s8, 1
	s_add_i32 s15, s15, 1
	s_cmp_lg_u32 s15, s14
	s_cbranch_scc0 .LBB216_28
.LBB216_24:                             ; =>This Loop Header: Depth=1
                                        ;     Child Loop BB216_26 Depth 2
	v_lshl_add_u64 v[6:7], s[8:9], 2, v[2:3]
	global_load_dword v4, v[6:7], off
	v_add_u32_e32 v6, s8, v0
	v_ashrrev_i32_e32 v7, 31, v6
	v_mov_b32_e32 v8, 0
	s_mov_b32 s16, 0
	s_waitcnt lgkmcnt(0)
	v_lshl_add_u64 v[6:7], v[6:7], 2, s[6:7]
	s_mov_b64 s[10:11], 0
	s_waitcnt vmcnt(0)
	v_add_u32_e32 v9, v1, v4
	s_branch .LBB216_26
.LBB216_25:                             ;   in Loop: Header=BB216_26 Depth=2
	s_or_b64 exec, exec, s[12:13]
	s_add_i32 s17, s16, 1
	s_cmp_gt_u32 s16, 6
	s_cselect_b64 s[2:3], -1, 0
	s_xor_b64 s[12:13], vcc, -1
	s_or_b64 s[2:3], s[12:13], s[2:3]
	s_and_b64 s[2:3], exec, s[2:3]
	v_add_u32_e32 v8, 4, v8
	s_or_b64 s[10:11], s[2:3], s[10:11]
	s_mov_b32 s16, s17
	s_andn2_b64 exec, exec, s[10:11]
	s_cbranch_execz .LBB216_23
.LBB216_26:                             ;   Parent Loop BB216_24 Depth=1
                                        ; =>  This Inner Loop Header: Depth=2
	v_cmp_ne_u32_e32 vcc, s16, v9
	v_cmp_eq_u32_e64 s[2:3], s16, v9
	s_and_saveexec_b64 s[12:13], s[2:3]
	s_cbranch_execz .LBB216_25
; %bb.27:                               ;   in Loop: Header=BB216_26 Depth=2
	scratch_load_dword v11, v8, off
	s_waitcnt vmcnt(0)
	v_add_f32_e32 v5, v5, v11
	global_store_dword v[6:7], v4, off
	s_branch .LBB216_25
.LBB216_28:
	s_waitcnt lgkmcnt(0)
	s_load_dword s6, s[0:1], 0x3c
	s_waitcnt lgkmcnt(0)
	s_bitcmp1_b32 s6, 0
	s_cselect_b64 s[2:3], -1, 0
	s_bitcmp0_b32 s6, 0
	s_cbranch_scc0 .LBB216_32
; %bb.29:
	s_load_dwordx2 s[6:7], s[0:1], 0x40
	s_andn2_b64 vcc, exec, s[2:3]
	s_waitcnt lgkmcnt(0)
	v_cvt_f32_f64_e32 v8, s[6:7]
	s_cbranch_vccz .LBB216_33
.LBB216_30:
	s_andn2_b64 vcc, exec, s[4:5]
	s_cbranch_vccz .LBB216_34
.LBB216_31:
	s_endpgm
.LBB216_32:
	v_mbcnt_lo_u32_b32 v1, -1, 0
	v_mbcnt_hi_u32_b32 v1, -1, v1
	v_and_b32_e32 v4, 64, v1
	v_add_u32_e32 v4, 64, v4
	v_xor_b32_e32 v6, 32, v1
	v_cmp_lt_i32_e32 vcc, v6, v4
	v_xor_b32_e32 v7, 16, v1
	s_nop 0
	v_cndmask_b32_e32 v6, v1, v6, vcc
	v_lshlrev_b32_e32 v6, 2, v6
	ds_bpermute_b32 v6, v6, v5
	v_cmp_lt_i32_e32 vcc, v7, v4
	s_waitcnt lgkmcnt(0)
	v_add_f32_e32 v5, v5, v6
	v_cndmask_b32_e32 v6, v1, v7, vcc
	v_lshlrev_b32_e32 v6, 2, v6
	ds_bpermute_b32 v6, v6, v5
	v_xor_b32_e32 v7, 8, v1
	v_cmp_lt_i32_e32 vcc, v7, v4
	s_waitcnt lgkmcnt(0)
	v_add_f32_e32 v5, v5, v6
	v_cndmask_b32_e32 v6, v1, v7, vcc
	v_lshlrev_b32_e32 v6, 2, v6
	ds_bpermute_b32 v6, v6, v5
	v_xor_b32_e32 v7, 4, v1
	;; [unrolled: 7-line block ×4, first 2 shown]
	v_cmp_lt_i32_e32 vcc, v7, v4
	s_waitcnt lgkmcnt(0)
	v_add_f32_e32 v5, v5, v6
	v_cndmask_b32_e32 v1, v1, v7, vcc
	v_lshlrev_b32_e32 v1, 2, v1
	ds_bpermute_b32 v1, v1, v5
	s_waitcnt lgkmcnt(0)
	v_add_f32_e32 v5, v5, v1
	s_load_dwordx2 s[6:7], s[0:1], 0x40
	s_andn2_b64 vcc, exec, s[2:3]
	s_waitcnt lgkmcnt(0)
	v_cvt_f32_f64_e32 v8, s[6:7]
	s_cbranch_vccnz .LBB216_30
.LBB216_33:
	v_cmp_lt_f32_e32 vcc, 0, v5
	s_nop 1
	v_cndmask_b32_e32 v1, 1.0, v5, vcc
	v_div_scale_f32 v4, s[2:3], v1, v1, v8
	v_rcp_f32_e32 v5, v4
	s_nop 0
	v_fma_f32 v6, -v4, v5, 1.0
	v_fmac_f32_e32 v5, v6, v5
	v_div_scale_f32 v6, vcc, v8, v1, v8
	v_mul_f32_e32 v7, v6, v5
	v_fma_f32 v9, -v4, v7, v6
	v_fmac_f32_e32 v7, v9, v5
	v_fma_f32 v4, -v4, v7, v6
	v_div_fmas_f32 v4, v4, v5, v7
	v_div_fixup_f32 v8, v4, v1, v8
	s_andn2_b64 vcc, exec, s[4:5]
	s_cbranch_vccnz .LBB216_31
.LBB216_34:
	s_load_dwordx2 s[12:13], s[0:1], 0x10
	v_mov_b32_e32 v1, 0
	v_or_b32_e32 v20, 4, v1
	v_or_b32_e32 v18, 8, v1
	;; [unrolled: 1-line block ×3, first 2 shown]
	v_add_u32_e32 v14, 16, v1
	v_add_u32_e32 v12, 20, v1
	;; [unrolled: 1-line block ×4, first 2 shown]
	v_or_b32_e32 v23, 1, v10
	v_or_b32_e32 v22, 2, v10
	;; [unrolled: 1-line block ×7, first 2 shown]
	s_cmp_eq_u32 s33, 1
	s_mov_b32 s14, 0
	s_cbranch_scc1 .LBB216_69
; %bb.35:
	v_ashrrev_i32_e32 v1, 31, v0
	s_waitcnt lgkmcnt(0)
	v_lshl_add_u64 v[4:5], v[0:1], 2, s[12:13]
	s_and_b32 s14, s33, 0x7ffffffe
	v_lshl_add_u64 v[4:5], v[4:5], 0, 4
	v_lshl_add_u64 v[6:7], v[2:3], 0, 4
	s_mov_b32 s15, 0
	s_branch .LBB216_37
.LBB216_36:                             ;   in Loop: Header=BB216_37 Depth=1
	s_or_b64 exec, exec, s[0:1]
	s_add_i32 s15, s15, 2
	v_lshl_add_u64 v[4:5], v[4:5], 0, 8
	s_cmp_eq_u32 s14, s15
	v_lshl_add_u64 v[6:7], v[6:7], 0, 8
	s_cbranch_scc1 .LBB216_69
.LBB216_37:                             ; =>This Inner Loop Header: Depth=1
	global_load_dword v24, v[6:7], off offset:-4
	v_mov_b32_e32 v1, 0
	s_waitcnt vmcnt(0)
	v_cmp_eq_u32_e32 vcc, v24, v10
	v_cmp_ne_u32_e64 s[0:1], v24, v10
	s_and_saveexec_b64 s[16:17], s[0:1]
	s_cbranch_execz .LBB216_51
; %bb.38:                               ;   in Loop: Header=BB216_37 Depth=1
	v_cmp_eq_u32_e64 s[0:1], v24, v23
	v_cmp_ne_u32_e64 s[2:3], v24, v23
	v_mov_b32_e32 v1, v20
	s_and_saveexec_b64 s[18:19], s[2:3]
	s_cbranch_execz .LBB216_50
; %bb.39:                               ;   in Loop: Header=BB216_37 Depth=1
	v_cmp_eq_u32_e64 s[2:3], v24, v22
	v_cmp_ne_u32_e64 s[4:5], v24, v22
	v_mov_b32_e32 v1, v18
	;; [unrolled: 6-line block ×6, first 2 shown]
	s_and_saveexec_b64 s[30:31], s[10:11]
	s_xor_b64 s[30:31], exec, s[30:31]
; %bb.44:                               ;   in Loop: Header=BB216_37 Depth=1
	v_cmp_eq_u32_e64 s[10:11], v24, v13
	s_andn2_b64 s[28:29], s[28:29], exec
	s_and_b64 s[10:11], s[10:11], exec
	s_or_b64 s[28:29], s[28:29], s[10:11]
	v_mov_b32_e32 v1, v11
; %bb.45:                               ;   in Loop: Header=BB216_37 Depth=1
	s_or_b64 exec, exec, s[30:31]
	s_andn2_b64 s[8:9], s[8:9], exec
	s_and_b64 s[10:11], s[28:29], exec
	s_or_b64 s[8:9], s[8:9], s[10:11]
.LBB216_46:                             ;   in Loop: Header=BB216_37 Depth=1
	s_or_b64 exec, exec, s[26:27]
	s_andn2_b64 s[6:7], s[6:7], exec
	s_and_b64 s[8:9], s[8:9], exec
	s_or_b64 s[6:7], s[6:7], s[8:9]
.LBB216_47:                             ;   in Loop: Header=BB216_37 Depth=1
	s_or_b64 exec, exec, s[24:25]
	s_andn2_b64 s[4:5], s[4:5], exec
	s_and_b64 s[6:7], s[6:7], exec
	s_or_b64 s[4:5], s[4:5], s[6:7]
.LBB216_48:                             ;   in Loop: Header=BB216_37 Depth=1
	s_or_b64 exec, exec, s[22:23]
	s_andn2_b64 s[2:3], s[2:3], exec
	s_and_b64 s[4:5], s[4:5], exec
	s_or_b64 s[2:3], s[2:3], s[4:5]
.LBB216_49:                             ;   in Loop: Header=BB216_37 Depth=1
	s_or_b64 exec, exec, s[20:21]
	s_andn2_b64 s[0:1], s[0:1], exec
	s_and_b64 s[2:3], s[2:3], exec
	s_or_b64 s[0:1], s[0:1], s[2:3]
.LBB216_50:                             ;   in Loop: Header=BB216_37 Depth=1
	s_or_b64 exec, exec, s[18:19]
	s_andn2_b64 s[2:3], vcc, exec
	s_and_b64 s[0:1], s[0:1], exec
	s_or_b64 vcc, s[2:3], s[0:1]
.LBB216_51:                             ;   in Loop: Header=BB216_37 Depth=1
	s_or_b64 exec, exec, s[16:17]
	s_and_saveexec_b64 s[0:1], vcc
	s_cbranch_execz .LBB216_53
; %bb.52:                               ;   in Loop: Header=BB216_37 Depth=1
	scratch_load_dword v1, v1, off
	v_add_u32_e32 v24, s15, v0
	v_ashrrev_i32_e32 v25, 31, v24
	v_lshl_add_u64 v[24:25], v[24:25], 2, s[12:13]
	s_waitcnt vmcnt(0)
	v_mul_f32_e32 v1, v8, v1
	global_store_dword v[24:25], v1, off
.LBB216_53:                             ;   in Loop: Header=BB216_37 Depth=1
	s_or_b64 exec, exec, s[0:1]
	global_load_dword v24, v[6:7], off
	v_mov_b32_e32 v1, 0
	s_waitcnt vmcnt(0)
	v_cmp_eq_u32_e64 s[8:9], v24, v10
	v_cmp_ne_u32_e32 vcc, v24, v10
	s_and_saveexec_b64 s[10:11], vcc
	s_cbranch_execz .LBB216_67
; %bb.54:                               ;   in Loop: Header=BB216_37 Depth=1
	v_cmp_eq_u32_e32 vcc, v24, v23
	v_cmp_ne_u32_e64 s[0:1], v24, v23
	v_mov_b32_e32 v1, v20
	s_and_saveexec_b64 s[16:17], s[0:1]
	s_cbranch_execz .LBB216_66
; %bb.55:                               ;   in Loop: Header=BB216_37 Depth=1
	v_cmp_eq_u32_e64 s[0:1], v24, v22
	v_cmp_ne_u32_e64 s[2:3], v24, v22
	v_mov_b32_e32 v1, v18
	s_and_saveexec_b64 s[18:19], s[2:3]
	s_cbranch_execz .LBB216_65
; %bb.56:                               ;   in Loop: Header=BB216_37 Depth=1
	v_cmp_eq_u32_e64 s[2:3], v24, v21
	;; [unrolled: 6-line block ×5, first 2 shown]
	v_cmp_ne_u32_e64 s[6:7], v24, v15
	v_mov_b32_e32 v1, v9
	s_and_saveexec_b64 s[30:31], s[6:7]
; %bb.60:                               ;   in Loop: Header=BB216_37 Depth=1
	v_cmp_eq_u32_e64 s[6:7], v24, v13
	s_andn2_b64 s[28:29], s[28:29], exec
	s_and_b64 s[6:7], s[6:7], exec
	s_or_b64 s[28:29], s[28:29], s[6:7]
	v_mov_b32_e32 v1, v11
; %bb.61:                               ;   in Loop: Header=BB216_37 Depth=1
	s_or_b64 exec, exec, s[30:31]
	s_andn2_b64 s[6:7], s[24:25], exec
	s_and_b64 s[24:25], s[28:29], exec
	s_or_b64 s[24:25], s[6:7], s[24:25]
.LBB216_62:                             ;   in Loop: Header=BB216_37 Depth=1
	s_or_b64 exec, exec, s[26:27]
	s_andn2_b64 s[4:5], s[4:5], exec
	s_and_b64 s[6:7], s[24:25], exec
	s_or_b64 s[4:5], s[4:5], s[6:7]
.LBB216_63:                             ;   in Loop: Header=BB216_37 Depth=1
	s_or_b64 exec, exec, s[22:23]
	s_andn2_b64 s[2:3], s[2:3], exec
	s_and_b64 s[4:5], s[4:5], exec
	s_or_b64 s[2:3], s[2:3], s[4:5]
.LBB216_64:                             ;   in Loop: Header=BB216_37 Depth=1
	s_or_b64 exec, exec, s[20:21]
	s_andn2_b64 s[0:1], s[0:1], exec
	s_and_b64 s[2:3], s[2:3], exec
	s_or_b64 s[0:1], s[0:1], s[2:3]
.LBB216_65:                             ;   in Loop: Header=BB216_37 Depth=1
	s_or_b64 exec, exec, s[18:19]
	s_andn2_b64 s[2:3], vcc, exec
	s_and_b64 s[0:1], s[0:1], exec
	s_or_b64 vcc, s[2:3], s[0:1]
.LBB216_66:                             ;   in Loop: Header=BB216_37 Depth=1
	s_or_b64 exec, exec, s[16:17]
	s_andn2_b64 s[0:1], s[8:9], exec
	s_and_b64 s[2:3], vcc, exec
	s_or_b64 s[8:9], s[0:1], s[2:3]
.LBB216_67:                             ;   in Loop: Header=BB216_37 Depth=1
	s_or_b64 exec, exec, s[10:11]
	s_and_saveexec_b64 s[0:1], s[8:9]
	s_cbranch_execz .LBB216_36
; %bb.68:                               ;   in Loop: Header=BB216_37 Depth=1
	scratch_load_dword v1, v1, off
	s_waitcnt vmcnt(0)
	v_mul_f32_e32 v1, v8, v1
	global_store_dword v[4:5], v1, off
	s_branch .LBB216_36
.LBB216_69:
	s_bitcmp0_b32 s33, 0
	s_mov_b32 s15, 0
	s_cbranch_scc1 .LBB216_31
; %bb.70:
	v_lshl_add_u64 v[2:3], s[14:15], 2, v[2:3]
	global_load_dword v1, v[2:3], off
	v_mov_b32_e32 v2, 0
	s_waitcnt vmcnt(0)
	v_cmp_eq_u32_e64 s[8:9], v1, v10
	v_cmp_ne_u32_e32 vcc, v1, v10
	s_and_saveexec_b64 s[10:11], vcc
	s_cbranch_execz .LBB216_84
; %bb.71:
	v_cmp_eq_u32_e32 vcc, v1, v23
	v_cmp_ne_u32_e64 s[0:1], v1, v23
	s_and_saveexec_b64 s[16:17], s[0:1]
	s_cbranch_execz .LBB216_83
; %bb.72:
	v_cmp_eq_u32_e64 s[0:1], v1, v22
	v_cmp_ne_u32_e64 s[2:3], v1, v22
	s_and_saveexec_b64 s[18:19], s[2:3]
	s_cbranch_execz .LBB216_82
; %bb.73:
	v_cmp_eq_u32_e64 s[2:3], v1, v21
	;; [unrolled: 5-line block ×5, first 2 shown]
	v_cmp_ne_u32_e64 s[6:7], v1, v15
	s_and_saveexec_b64 s[30:31], s[6:7]
; %bb.77:
	v_cmp_eq_u32_e64 s[6:7], v1, v13
	s_andn2_b64 s[28:29], s[28:29], exec
	s_and_b64 s[6:7], s[6:7], exec
	s_or_b64 s[28:29], s[28:29], s[6:7]
	v_mov_b32_e32 v9, v11
; %bb.78:
	s_or_b64 exec, exec, s[30:31]
	s_andn2_b64 s[6:7], s[24:25], exec
	s_and_b64 s[24:25], s[28:29], exec
	s_or_b64 s[24:25], s[6:7], s[24:25]
	v_mov_b32_e32 v12, v9
.LBB216_79:
	s_or_b64 exec, exec, s[26:27]
	s_andn2_b64 s[4:5], s[4:5], exec
	s_and_b64 s[6:7], s[24:25], exec
	s_or_b64 s[4:5], s[4:5], s[6:7]
	v_mov_b32_e32 v14, v12
.LBB216_80:
	s_or_b64 exec, exec, s[22:23]
	s_andn2_b64 s[2:3], s[2:3], exec
	s_and_b64 s[4:5], s[4:5], exec
	s_or_b64 s[2:3], s[2:3], s[4:5]
	v_mov_b32_e32 v16, v14
.LBB216_81:
	s_or_b64 exec, exec, s[20:21]
	s_andn2_b64 s[0:1], s[0:1], exec
	s_and_b64 s[2:3], s[2:3], exec
	s_or_b64 s[0:1], s[0:1], s[2:3]
	v_mov_b32_e32 v18, v16
.LBB216_82:
	s_or_b64 exec, exec, s[18:19]
	s_andn2_b64 s[2:3], vcc, exec
	s_and_b64 s[0:1], s[0:1], exec
	s_or_b64 vcc, s[2:3], s[0:1]
	v_mov_b32_e32 v20, v18
.LBB216_83:
	s_or_b64 exec, exec, s[16:17]
	s_andn2_b64 s[0:1], s[8:9], exec
	s_and_b64 s[2:3], vcc, exec
	s_or_b64 s[8:9], s[0:1], s[2:3]
	v_mov_b32_e32 v2, v20
.LBB216_84:
	s_or_b64 exec, exec, s[10:11]
	s_and_b64 exec, exec, s[8:9]
	s_cbranch_execz .LBB216_31
; %bb.85:
	scratch_load_dword v2, v2, off
	v_add_u32_e32 v0, s14, v0
	v_ashrrev_i32_e32 v1, 31, v0
	s_waitcnt lgkmcnt(0)
	v_lshl_add_u64 v[0:1], v[0:1], 2, s[12:13]
	s_waitcnt vmcnt(0)
	v_mul_f32_e32 v2, v8, v2
	global_store_dword v[0:1], v2, off
	s_endpgm
	.section	.rodata,"a",@progbits
	.p2align	6, 0x0
	.amdhsa_kernel _ZN4vllm3moe22topkGatingSoftplusSqrtILi8ELi512ELi4ELi16ELi64ELb1Ei6__halfEEvPKT6_PKbPfiPT5_PiiiibdPKfPKS9_SF_
		.amdhsa_group_segment_fixed_size 0
		.amdhsa_private_segment_fixed_size 48
		.amdhsa_kernarg_size 96
		.amdhsa_user_sgpr_count 2
		.amdhsa_user_sgpr_dispatch_ptr 0
		.amdhsa_user_sgpr_queue_ptr 0
		.amdhsa_user_sgpr_kernarg_segment_ptr 1
		.amdhsa_user_sgpr_dispatch_id 0
		.amdhsa_user_sgpr_kernarg_preload_length 0
		.amdhsa_user_sgpr_kernarg_preload_offset 0
		.amdhsa_user_sgpr_private_segment_size 0
		.amdhsa_uses_dynamic_stack 0
		.amdhsa_enable_private_segment 1
		.amdhsa_system_sgpr_workgroup_id_x 1
		.amdhsa_system_sgpr_workgroup_id_y 0
		.amdhsa_system_sgpr_workgroup_id_z 0
		.amdhsa_system_sgpr_workgroup_info 0
		.amdhsa_system_vgpr_workitem_id 1
		.amdhsa_next_free_vgpr 29
		.amdhsa_next_free_sgpr 34
		.amdhsa_accum_offset 32
		.amdhsa_reserve_vcc 1
		.amdhsa_float_round_mode_32 0
		.amdhsa_float_round_mode_16_64 0
		.amdhsa_float_denorm_mode_32 3
		.amdhsa_float_denorm_mode_16_64 3
		.amdhsa_dx10_clamp 1
		.amdhsa_ieee_mode 1
		.amdhsa_fp16_overflow 0
		.amdhsa_tg_split 0
		.amdhsa_exception_fp_ieee_invalid_op 0
		.amdhsa_exception_fp_denorm_src 0
		.amdhsa_exception_fp_ieee_div_zero 0
		.amdhsa_exception_fp_ieee_overflow 0
		.amdhsa_exception_fp_ieee_underflow 0
		.amdhsa_exception_fp_ieee_inexact 0
		.amdhsa_exception_int_div_zero 0
	.end_amdhsa_kernel
	.section	.text._ZN4vllm3moe22topkGatingSoftplusSqrtILi8ELi512ELi4ELi16ELi64ELb1Ei6__halfEEvPKT6_PKbPfiPT5_PiiiibdPKfPKS9_SF_,"axG",@progbits,_ZN4vllm3moe22topkGatingSoftplusSqrtILi8ELi512ELi4ELi16ELi64ELb1Ei6__halfEEvPKT6_PKbPfiPT5_PiiiibdPKfPKS9_SF_,comdat
.Lfunc_end216:
	.size	_ZN4vllm3moe22topkGatingSoftplusSqrtILi8ELi512ELi4ELi16ELi64ELb1Ei6__halfEEvPKT6_PKbPfiPT5_PiiiibdPKfPKS9_SF_, .Lfunc_end216-_ZN4vllm3moe22topkGatingSoftplusSqrtILi8ELi512ELi4ELi16ELi64ELb1Ei6__halfEEvPKT6_PKbPfiPT5_PiiiibdPKfPKS9_SF_
                                        ; -- End function
	.section	.AMDGPU.csdata,"",@progbits
; Kernel info:
; codeLenInByte = 4608
; NumSgprs: 40
; NumVgprs: 29
; NumAgprs: 0
; TotalNumVgprs: 29
; ScratchSize: 48
; MemoryBound: 0
; FloatMode: 240
; IeeeMode: 1
; LDSByteSize: 0 bytes/workgroup (compile time only)
; SGPRBlocks: 4
; VGPRBlocks: 3
; NumSGPRsForWavesPerEU: 40
; NumVGPRsForWavesPerEU: 29
; AccumOffset: 32
; Occupancy: 8
; WaveLimiterHint : 1
; COMPUTE_PGM_RSRC2:SCRATCH_EN: 1
; COMPUTE_PGM_RSRC2:USER_SGPR: 2
; COMPUTE_PGM_RSRC2:TRAP_HANDLER: 0
; COMPUTE_PGM_RSRC2:TGID_X_EN: 1
; COMPUTE_PGM_RSRC2:TGID_Y_EN: 0
; COMPUTE_PGM_RSRC2:TGID_Z_EN: 0
; COMPUTE_PGM_RSRC2:TIDIG_COMP_CNT: 1
; COMPUTE_PGM_RSRC3_GFX90A:ACCUM_OFFSET: 7
; COMPUTE_PGM_RSRC3_GFX90A:TG_SPLIT: 0
	.section	.text._ZN4vllm3moe22topkGatingSoftplusSqrtILi8ELi512ELi4ELi16ELi64ELb0Ei6__halfEEvPKT6_PKbPfiPT5_PiiiibdPKfPKS9_SF_,"axG",@progbits,_ZN4vllm3moe22topkGatingSoftplusSqrtILi8ELi512ELi4ELi16ELi64ELb0Ei6__halfEEvPKT6_PKbPfiPT5_PiiiibdPKfPKS9_SF_,comdat
	.protected	_ZN4vllm3moe22topkGatingSoftplusSqrtILi8ELi512ELi4ELi16ELi64ELb0Ei6__halfEEvPKT6_PKbPfiPT5_PiiiibdPKfPKS9_SF_ ; -- Begin function _ZN4vllm3moe22topkGatingSoftplusSqrtILi8ELi512ELi4ELi16ELi64ELb0Ei6__halfEEvPKT6_PKbPfiPT5_PiiiibdPKfPKS9_SF_
	.globl	_ZN4vllm3moe22topkGatingSoftplusSqrtILi8ELi512ELi4ELi16ELi64ELb0Ei6__halfEEvPKT6_PKbPfiPT5_PiiiibdPKfPKS9_SF_
	.p2align	8
	.type	_ZN4vllm3moe22topkGatingSoftplusSqrtILi8ELi512ELi4ELi16ELi64ELb0Ei6__halfEEvPKT6_PKbPfiPT5_PiiiibdPKfPKS9_SF_,@function
_ZN4vllm3moe22topkGatingSoftplusSqrtILi8ELi512ELi4ELi16ELi64ELb0Ei6__halfEEvPKT6_PKbPfiPT5_PiiiibdPKfPKS9_SF_: ; @_ZN4vllm3moe22topkGatingSoftplusSqrtILi8ELi512ELi4ELi16ELi64ELb0Ei6__halfEEvPKT6_PKbPfiPT5_PiiiibdPKfPKS9_SF_
; %bb.0:
	s_load_dword s33, s[0:1], 0x18
	v_and_b32_e32 v1, 0x3ff, v0
	s_lshl_b32 s2, s2, 2
	v_lshrrev_b32_e32 v2, 6, v1
	v_bfe_u32 v0, v0, 10, 10
	v_add3_u32 v8, s2, v0, v2
	s_waitcnt lgkmcnt(0)
	v_cmp_gt_i32_e32 vcc, s33, v8
	s_and_saveexec_b64 s[2:3], vcc
	s_cbranch_execz .LBB217_69
; %bb.1:
	s_load_dwordx4 s[4:7], s[0:1], 0x0
	s_load_dwordx2 s[34:35], s[0:1], 0x10
	s_waitcnt lgkmcnt(0)
	s_cmp_eq_u64 s[6:7], 0
	s_cbranch_scc1 .LBB217_3
; %bb.2:
	v_ashrrev_i32_e32 v9, 31, v8
	v_lshl_add_u64 v[2:3], s[6:7], 0, v[8:9]
	global_load_ubyte v0, v[2:3], off
	s_waitcnt vmcnt(0)
	v_and_b32_e32 v0, 1, v0
	v_cmp_eq_u32_e32 vcc, 1, v0
	s_xor_b64 s[2:3], vcc, -1
	s_orn2_b64 s[36:37], s[2:3], exec
	s_branch .LBB217_4
.LBB217_3:
	s_mov_b64 s[36:37], -1
.LBB217_4:
	v_lshlrev_b32_e32 v4, 9, v8
	v_mov_b32_e32 v2, s4
	v_mov_b32_e32 v3, s5
	v_ashrrev_i32_e32 v5, 31, v4
	v_and_b32_e32 v9, 63, v1
	v_lshl_add_u64 v[2:3], v[4:5], 1, v[2:3]
	v_mov_b32_e32 v1, 0
	v_lshlrev_b32_e32 v0, 4, v9
	v_lshl_add_u64 v[0:1], v[2:3], 0, v[0:1]
	global_load_dwordx4 v[4:7], v[0:1], off
	s_mov_b32 s12, 0x800000
	v_mov_b32_e32 v2, 0x4f800000
	s_mov_b32 s9, 0x3f317217
	s_mov_b32 s10, 0x7f800000
	v_mov_b32_e32 v3, 0x41b17218
	s_movk_i32 s8, 0x4d00
	s_mov_b32 s11, 0xf800000
	s_load_dwordx4 s[20:23], s[0:1], 0x40
	v_lshlrev_b32_e32 v12, 3, v9
	s_waitcnt lgkmcnt(0)
	s_cmp_lg_u64 s[22:23], 0
	s_cselect_b64 s[6:7], -1, 0
	s_and_b64 s[2:3], exec, s[6:7]
	s_waitcnt vmcnt(0)
	v_cvt_f32_f16_e32 v0, v4
	v_mul_f32_e32 v1, 0x3fb8aa3b, v0
	v_exp_f32_e32 v10, v1
	v_mov_b32_e32 v1, 0x260
	v_add_f32_e32 v10, 1.0, v10
	v_cmp_gt_f32_e32 vcc, s12, v10
	s_nop 1
	v_cndmask_b32_e32 v11, 1.0, v2, vcc
	v_mul_f32_e32 v10, v10, v11
	v_log_f32_e32 v11, v10
	v_cndmask_b32_e32 v13, 0, v3, vcc
	v_lshlrev_b32_e32 v10, 2, v12
	v_mul_f32_e32 v14, 0x3f317217, v11
	v_fma_f32 v14, v11, s9, -v14
	v_fmac_f32_e32 v14, 0x3377d1cf, v11
	v_fmac_f32_e32 v14, 0x3f317217, v11
	v_cmp_lt_f32_e64 vcc, |v11|, s10
	s_nop 1
	v_cndmask_b32_e32 v11, v11, v14, vcc
	v_sub_f32_e32 v11, v11, v13
	v_cmp_lt_f16_e32 vcc, s8, v4
	s_nop 1
	v_cndmask_b32_e32 v0, v11, v0, vcc
	v_mul_f32_e32 v11, 0x4f800000, v0
	v_cmp_gt_f32_e32 vcc, s11, v0
	s_nop 1
	v_cndmask_b32_e32 v0, v0, v11, vcc
	v_sqrt_f32_e32 v11, v0
	s_nop 0
	v_add_u32_e32 v13, -1, v11
	v_add_u32_e32 v14, 1, v11
	v_fma_f32 v15, -v13, v11, v0
	v_fma_f32 v16, -v14, v11, v0
	v_cmp_ge_f32_e64 s[4:5], 0, v15
	s_nop 1
	v_cndmask_b32_e64 v11, v11, v13, s[4:5]
	v_cmp_lt_f32_e64 s[4:5], 0, v16
	s_nop 1
	v_cndmask_b32_e64 v11, v11, v14, s[4:5]
	v_mul_f32_e32 v13, 0x37800000, v11
	v_cndmask_b32_e32 v11, v11, v13, vcc
	v_cmp_class_f32_e32 vcc, v0, v1
	s_nop 1
	v_cndmask_b32_e32 v0, v11, v0, vcc
	s_mov_b64 vcc, s[2:3]
	s_cbranch_vccz .LBB217_6
; %bb.5:
	global_load_dword v11, v10, s[22:23]
	s_waitcnt vmcnt(0)
	v_add_f32_e32 v0, v0, v11
.LBB217_6:
	v_cvt_f32_f16_sdwa v11, v4 dst_sel:DWORD dst_unused:UNUSED_PAD src0_sel:WORD_1
	v_mul_f32_e32 v13, 0x3fb8aa3b, v11
	v_exp_f32_e32 v13, v13
	s_nop 0
	v_add_f32_e32 v13, 1.0, v13
	v_cmp_gt_f32_e32 vcc, s12, v13
	s_nop 1
	v_cndmask_b32_e32 v2, 1.0, v2, vcc
	v_mul_f32_e32 v2, v13, v2
	v_log_f32_e32 v2, v2
	v_cndmask_b32_e32 v3, 0, v3, vcc
	v_mul_f32_e32 v13, 0x3f317217, v2
	v_fma_f32 v13, v2, s9, -v13
	v_fmac_f32_e32 v13, 0x3377d1cf, v2
	v_fmac_f32_e32 v13, 0x3f317217, v2
	v_cmp_lt_f32_e64 vcc, |v2|, s10
	s_nop 1
	v_cndmask_b32_e32 v2, v2, v13, vcc
	v_sub_f32_e32 v2, v2, v3
	v_cmp_gt_f16_sdwa vcc, v4, s8 src0_sel:WORD_1 src1_sel:DWORD
	v_cndmask_b32_e64 v4, 0, 1, s[6:7]
	v_cmp_ne_u32_e64 s[2:3], 1, v4
	v_cndmask_b32_e32 v2, v2, v11, vcc
	v_mul_f32_e32 v3, 0x4f800000, v2
	v_cmp_gt_f32_e64 s[4:5], s11, v2
	s_andn2_b64 vcc, exec, s[6:7]
	s_nop 0
	v_cndmask_b32_e64 v2, v2, v3, s[4:5]
	v_sqrt_f32_e32 v3, v2
	s_nop 0
	v_add_u32_e32 v4, -1, v3
	v_add_u32_e32 v11, 1, v3
	v_fma_f32 v13, -v4, v3, v2
	v_fma_f32 v14, -v11, v3, v2
	v_cmp_ge_f32_e64 s[6:7], 0, v13
	s_nop 1
	v_cndmask_b32_e64 v3, v3, v4, s[6:7]
	v_cmp_lt_f32_e64 s[6:7], 0, v14
	s_nop 1
	v_cndmask_b32_e64 v3, v3, v11, s[6:7]
	v_mul_f32_e32 v4, 0x37800000, v3
	v_cndmask_b32_e64 v3, v3, v4, s[4:5]
	v_cmp_class_f32_e64 s[4:5], v2, v1
	s_nop 1
	v_cndmask_b32_e64 v1, v3, v2, s[4:5]
	s_cbranch_vccnz .LBB217_8
; %bb.7:
	global_load_dword v2, v10, s[22:23] offset:4
	s_waitcnt vmcnt(0)
	v_add_f32_e32 v1, v1, v2
.LBB217_8:
	v_cvt_f32_f16_e32 v2, v5
	s_mov_b32 s8, 0x800000
	v_mov_b32_e32 v4, 0x4f800000
	s_mov_b32 s7, 0x3f317217
	v_mul_f32_e32 v3, 0x3fb8aa3b, v2
	v_exp_f32_e32 v3, v3
	s_mov_b32 s9, 0x7f800000
	s_movk_i32 s6, 0x4d00
	s_mov_b32 s10, 0xf800000
	v_add_f32_e32 v3, 1.0, v3
	v_cmp_gt_f32_e32 vcc, s8, v3
	s_nop 1
	v_cndmask_b32_e32 v11, 1.0, v4, vcc
	v_mul_f32_e32 v3, v3, v11
	v_log_f32_e32 v3, v3
	v_mov_b32_e32 v11, 0x41b17218
	v_cndmask_b32_e32 v13, 0, v11, vcc
	v_mul_f32_e32 v14, 0x3f317217, v3
	v_fma_f32 v14, v3, s7, -v14
	v_fmac_f32_e32 v14, 0x3377d1cf, v3
	v_fmac_f32_e32 v14, 0x3f317217, v3
	v_cmp_lt_f32_e64 vcc, |v3|, s9
	s_nop 1
	v_cndmask_b32_e32 v3, v3, v14, vcc
	v_sub_f32_e32 v3, v3, v13
	v_cmp_lt_f16_e32 vcc, s6, v5
	s_nop 1
	v_cndmask_b32_e32 v2, v3, v2, vcc
	v_mul_f32_e32 v3, 0x4f800000, v2
	v_cmp_gt_f32_e32 vcc, s10, v2
	s_nop 1
	v_cndmask_b32_e32 v2, v2, v3, vcc
	v_sqrt_f32_e32 v3, v2
	s_nop 0
	v_add_u32_e32 v13, -1, v3
	v_fma_f32 v14, -v13, v3, v2
	v_cmp_ge_f32_e64 s[4:5], 0, v14
	v_add_u32_e32 v14, 1, v3
	s_nop 0
	v_cndmask_b32_e64 v13, v3, v13, s[4:5]
	v_fma_f32 v3, -v14, v3, v2
	v_cmp_lt_f32_e64 s[4:5], 0, v3
	s_nop 1
	v_cndmask_b32_e64 v3, v13, v14, s[4:5]
	v_mul_f32_e32 v13, 0x37800000, v3
	v_cndmask_b32_e32 v13, v3, v13, vcc
	v_mov_b32_e32 v3, 0x260
	v_cmp_class_f32_e64 s[4:5], v2, v3
	s_and_b64 vcc, exec, s[2:3]
	s_nop 0
	v_cndmask_b32_e64 v2, v13, v2, s[4:5]
	s_cbranch_vccnz .LBB217_10
; %bb.9:
	global_load_dword v13, v10, s[22:23] offset:8
	s_waitcnt vmcnt(0)
	v_add_f32_e32 v2, v2, v13
.LBB217_10:
	v_cvt_f32_f16_sdwa v13, v5 dst_sel:DWORD dst_unused:UNUSED_PAD src0_sel:WORD_1
	v_mul_f32_e32 v14, 0x3fb8aa3b, v13
	v_exp_f32_e32 v14, v14
	s_nop 0
	v_add_f32_e32 v14, 1.0, v14
	v_cmp_gt_f32_e32 vcc, s8, v14
	s_nop 1
	v_cndmask_b32_e32 v4, 1.0, v4, vcc
	v_mul_f32_e32 v4, v14, v4
	v_log_f32_e32 v4, v4
	v_cndmask_b32_e32 v11, 0, v11, vcc
	v_mul_f32_e32 v14, 0x3f317217, v4
	v_fma_f32 v14, v4, s7, -v14
	v_fmac_f32_e32 v14, 0x3377d1cf, v4
	v_fmac_f32_e32 v14, 0x3f317217, v4
	v_cmp_lt_f32_e64 vcc, |v4|, s9
	s_nop 1
	v_cndmask_b32_e32 v4, v4, v14, vcc
	v_sub_f32_e32 v4, v4, v11
	v_cmp_gt_f16_sdwa vcc, v5, s6 src0_sel:WORD_1 src1_sel:DWORD
	s_nop 1
	v_cndmask_b32_e32 v4, v4, v13, vcc
	v_mul_f32_e32 v5, 0x4f800000, v4
	v_cmp_gt_f32_e64 s[4:5], s10, v4
	s_and_b64 vcc, exec, s[2:3]
	s_nop 0
	v_cndmask_b32_e64 v4, v4, v5, s[4:5]
	v_sqrt_f32_e32 v5, v4
	s_nop 0
	v_add_u32_e32 v11, -1, v5
	v_add_u32_e32 v13, 1, v5
	v_fma_f32 v14, -v11, v5, v4
	v_fma_f32 v15, -v13, v5, v4
	v_cmp_ge_f32_e64 s[6:7], 0, v14
	s_nop 1
	v_cndmask_b32_e64 v5, v5, v11, s[6:7]
	v_cmp_lt_f32_e64 s[6:7], 0, v15
	s_nop 1
	v_cndmask_b32_e64 v5, v5, v13, s[6:7]
	v_mul_f32_e32 v11, 0x37800000, v5
	v_cndmask_b32_e64 v5, v5, v11, s[4:5]
	v_cmp_class_f32_e64 s[4:5], v4, v3
	s_nop 1
	v_cndmask_b32_e64 v3, v5, v4, s[4:5]
	s_cbranch_vccnz .LBB217_12
; %bb.11:
	global_load_dword v4, v10, s[22:23] offset:12
	s_waitcnt vmcnt(0)
	v_add_f32_e32 v3, v3, v4
.LBB217_12:
	v_cvt_f32_f16_e32 v4, v6
	v_mov_b32_e32 v11, 0x4f800000
	s_mov_b32 s7, 0x3f317217
	s_movk_i32 s6, 0x4d00
	v_mul_f32_e32 v5, 0x3fb8aa3b, v4
	v_exp_f32_e32 v5, v5
	s_nop 0
	v_add_f32_e32 v5, 1.0, v5
	v_cmp_gt_f32_e32 vcc, s8, v5
	s_nop 1
	v_cndmask_b32_e32 v13, 1.0, v11, vcc
	v_mul_f32_e32 v5, v5, v13
	v_log_f32_e32 v5, v5
	v_mov_b32_e32 v13, 0x41b17218
	v_cndmask_b32_e32 v14, 0, v13, vcc
	v_mul_f32_e32 v15, 0x3f317217, v5
	v_fma_f32 v15, v5, s7, -v15
	v_fmac_f32_e32 v15, 0x3377d1cf, v5
	v_fmac_f32_e32 v15, 0x3f317217, v5
	v_cmp_lt_f32_e64 vcc, |v5|, s9
	s_nop 1
	v_cndmask_b32_e32 v5, v5, v15, vcc
	v_sub_f32_e32 v5, v5, v14
	v_cmp_lt_f16_e32 vcc, s6, v6
	s_nop 1
	v_cndmask_b32_e32 v4, v5, v4, vcc
	v_mul_f32_e32 v5, 0x4f800000, v4
	v_cmp_gt_f32_e32 vcc, s10, v4
	s_nop 1
	v_cndmask_b32_e32 v4, v4, v5, vcc
	v_sqrt_f32_e32 v5, v4
	s_nop 0
	v_add_u32_e32 v14, -1, v5
	v_fma_f32 v15, -v14, v5, v4
	v_cmp_ge_f32_e64 s[4:5], 0, v15
	v_add_u32_e32 v15, 1, v5
	s_nop 0
	v_cndmask_b32_e64 v14, v5, v14, s[4:5]
	v_fma_f32 v5, -v15, v5, v4
	v_cmp_lt_f32_e64 s[4:5], 0, v5
	s_nop 1
	v_cndmask_b32_e64 v5, v14, v15, s[4:5]
	v_mul_f32_e32 v14, 0x37800000, v5
	v_cndmask_b32_e32 v14, v5, v14, vcc
	v_mov_b32_e32 v5, 0x260
	v_cmp_class_f32_e64 s[4:5], v4, v5
	s_and_b64 vcc, exec, s[2:3]
	s_nop 0
	v_cndmask_b32_e64 v4, v14, v4, s[4:5]
	s_cbranch_vccnz .LBB217_14
; %bb.13:
	global_load_dword v14, v10, s[22:23] offset:16
	s_waitcnt vmcnt(0)
	v_add_f32_e32 v4, v4, v14
.LBB217_14:
	v_cvt_f32_f16_sdwa v14, v6 dst_sel:DWORD dst_unused:UNUSED_PAD src0_sel:WORD_1
	v_mul_f32_e32 v15, 0x3fb8aa3b, v14
	v_exp_f32_e32 v15, v15
	s_nop 0
	v_add_f32_e32 v15, 1.0, v15
	v_cmp_gt_f32_e32 vcc, s8, v15
	s_nop 1
	v_cndmask_b32_e32 v11, 1.0, v11, vcc
	v_mul_f32_e32 v11, v15, v11
	v_log_f32_e32 v11, v11
	v_cndmask_b32_e32 v13, 0, v13, vcc
	v_mul_f32_e32 v15, 0x3f317217, v11
	v_fma_f32 v15, v11, s7, -v15
	v_fmac_f32_e32 v15, 0x3377d1cf, v11
	v_fmac_f32_e32 v15, 0x3f317217, v11
	v_cmp_lt_f32_e64 vcc, |v11|, s9
	s_nop 1
	v_cndmask_b32_e32 v11, v11, v15, vcc
	v_sub_f32_e32 v11, v11, v13
	v_cmp_gt_f16_sdwa vcc, v6, s6 src0_sel:WORD_1 src1_sel:DWORD
	s_nop 1
	v_cndmask_b32_e32 v6, v11, v14, vcc
	v_mul_f32_e32 v11, 0x4f800000, v6
	v_cmp_gt_f32_e64 s[4:5], s10, v6
	s_and_b64 vcc, exec, s[2:3]
	s_nop 0
	v_cndmask_b32_e64 v6, v6, v11, s[4:5]
	v_sqrt_f32_e32 v11, v6
	s_nop 0
	v_add_u32_e32 v13, -1, v11
	v_add_u32_e32 v14, 1, v11
	v_fma_f32 v15, -v13, v11, v6
	v_fma_f32 v16, -v14, v11, v6
	v_cmp_ge_f32_e64 s[6:7], 0, v15
	s_nop 1
	v_cndmask_b32_e64 v11, v11, v13, s[6:7]
	v_cmp_lt_f32_e64 s[6:7], 0, v16
	s_nop 1
	v_cndmask_b32_e64 v11, v11, v14, s[6:7]
	v_mul_f32_e32 v13, 0x37800000, v11
	v_cndmask_b32_e64 v11, v11, v13, s[4:5]
	v_cmp_class_f32_e64 s[4:5], v6, v5
	s_nop 1
	v_cndmask_b32_e64 v5, v11, v6, s[4:5]
	s_cbranch_vccnz .LBB217_16
; %bb.15:
	global_load_dword v6, v10, s[22:23] offset:20
	s_waitcnt vmcnt(0)
	v_add_f32_e32 v5, v5, v6
.LBB217_16:
	v_cvt_f32_f16_e32 v6, v7
	v_mov_b32_e32 v13, 0x4f800000
	s_mov_b32 s7, 0x3f317217
	s_movk_i32 s6, 0x4d00
	v_mul_f32_e32 v11, 0x3fb8aa3b, v6
	v_exp_f32_e32 v11, v11
	s_nop 0
	v_add_f32_e32 v11, 1.0, v11
	v_cmp_gt_f32_e32 vcc, s8, v11
	s_nop 1
	v_cndmask_b32_e32 v14, 1.0, v13, vcc
	v_mul_f32_e32 v11, v11, v14
	v_log_f32_e32 v11, v11
	v_mov_b32_e32 v14, 0x41b17218
	v_cndmask_b32_e32 v15, 0, v14, vcc
	v_mul_f32_e32 v16, 0x3f317217, v11
	v_fma_f32 v16, v11, s7, -v16
	v_fmac_f32_e32 v16, 0x3377d1cf, v11
	v_fmac_f32_e32 v16, 0x3f317217, v11
	v_cmp_lt_f32_e64 vcc, |v11|, s9
	s_nop 1
	v_cndmask_b32_e32 v11, v11, v16, vcc
	v_sub_f32_e32 v11, v11, v15
	v_cmp_lt_f16_e32 vcc, s6, v7
	s_nop 1
	v_cndmask_b32_e32 v6, v11, v6, vcc
	v_mul_f32_e32 v11, 0x4f800000, v6
	v_cmp_gt_f32_e32 vcc, s10, v6
	s_nop 1
	v_cndmask_b32_e32 v6, v6, v11, vcc
	v_sqrt_f32_e32 v11, v6
	s_nop 0
	v_add_u32_e32 v15, -1, v11
	v_fma_f32 v16, -v15, v11, v6
	v_cmp_ge_f32_e64 s[4:5], 0, v16
	v_add_u32_e32 v16, 1, v11
	s_nop 0
	v_cndmask_b32_e64 v15, v11, v15, s[4:5]
	v_fma_f32 v11, -v16, v11, v6
	v_cmp_lt_f32_e64 s[4:5], 0, v11
	s_nop 1
	v_cndmask_b32_e64 v11, v15, v16, s[4:5]
	v_mul_f32_e32 v15, 0x37800000, v11
	v_cndmask_b32_e32 v15, v11, v15, vcc
	v_mov_b32_e32 v11, 0x260
	v_cmp_class_f32_e64 s[4:5], v6, v11
	s_and_b64 vcc, exec, s[2:3]
	s_nop 0
	v_cndmask_b32_e64 v6, v15, v6, s[4:5]
	s_cbranch_vccnz .LBB217_18
; %bb.17:
	global_load_dword v15, v10, s[22:23] offset:24
	s_waitcnt vmcnt(0)
	v_add_f32_e32 v6, v6, v15
.LBB217_18:
	v_cvt_f32_f16_sdwa v15, v7 dst_sel:DWORD dst_unused:UNUSED_PAD src0_sel:WORD_1
	v_mul_f32_e32 v16, 0x3fb8aa3b, v15
	v_exp_f32_e32 v16, v16
	s_nop 0
	v_add_f32_e32 v16, 1.0, v16
	v_cmp_gt_f32_e32 vcc, s8, v16
	s_nop 1
	v_cndmask_b32_e32 v13, 1.0, v13, vcc
	v_mul_f32_e32 v13, v16, v13
	v_log_f32_e32 v13, v13
	v_cndmask_b32_e32 v14, 0, v14, vcc
	v_mul_f32_e32 v16, 0x3f317217, v13
	v_fma_f32 v16, v13, s7, -v16
	v_fmac_f32_e32 v16, 0x3377d1cf, v13
	v_fmac_f32_e32 v16, 0x3f317217, v13
	v_cmp_lt_f32_e64 vcc, |v13|, s9
	s_nop 1
	v_cndmask_b32_e32 v13, v13, v16, vcc
	v_sub_f32_e32 v13, v13, v14
	v_cmp_gt_f16_sdwa vcc, v7, s6 src0_sel:WORD_1 src1_sel:DWORD
	s_nop 1
	v_cndmask_b32_e32 v7, v13, v15, vcc
	v_mul_f32_e32 v13, 0x4f800000, v7
	v_cmp_gt_f32_e64 s[4:5], s10, v7
	s_and_b64 vcc, exec, s[2:3]
	s_nop 0
	v_cndmask_b32_e64 v7, v7, v13, s[4:5]
	v_sqrt_f32_e32 v13, v7
	s_nop 0
	v_add_u32_e32 v14, -1, v13
	v_add_u32_e32 v15, 1, v13
	v_fma_f32 v16, -v14, v13, v7
	v_fma_f32 v17, -v15, v13, v7
	v_cmp_ge_f32_e64 s[6:7], 0, v16
	s_nop 1
	v_cndmask_b32_e64 v13, v13, v14, s[6:7]
	v_cmp_lt_f32_e64 s[6:7], 0, v17
	s_nop 1
	v_cndmask_b32_e64 v13, v13, v15, s[6:7]
	v_mul_f32_e32 v14, 0x37800000, v13
	v_cndmask_b32_e64 v13, v13, v14, s[4:5]
	v_cmp_class_f32_e64 s[4:5], v7, v11
	s_nop 1
	v_cndmask_b32_e64 v7, v13, v7, s[4:5]
	s_cbranch_vccnz .LBB217_20
; %bb.19:
	global_load_dword v10, v10, s[22:23] offset:28
	s_waitcnt vmcnt(0)
	v_add_f32_e32 v7, v7, v10
.LBB217_20:
	s_load_dwordx4 s[24:27], s[0:1], 0x30
	s_mov_b32 s42, 0
	v_cmp_eq_u32_e64 s[6:7], 0, v9
	s_waitcnt lgkmcnt(0)
	s_bitcmp1_b32 s27, 0
	s_cselect_b64 s[4:5], -1, 0
	s_cmp_gt_i32 s24, 0
	s_cselect_b64 s[38:39], -1, 0
	s_and_b64 vcc, exec, s[38:39]
	s_cbranch_vccz .LBB217_55
; %bb.21:
	v_mbcnt_lo_u32_b32 v10, -1, 0
	v_mbcnt_hi_u32_b32 v10, -1, v10
	v_and_b32_e32 v11, 64, v10
	v_add_u32_e32 v11, 64, v11
	v_xor_b32_e32 v13, 32, v10
	v_cmp_lt_i32_e32 vcc, v13, v11
	s_load_dwordx4 s[28:31], s[0:1], 0x20
	v_mul_lo_u32 v14, v8, s24
	v_cndmask_b32_e32 v13, v10, v13, vcc
	v_lshlrev_b32_e32 v15, 2, v13
	v_xor_b32_e32 v13, 16, v10
	v_cmp_lt_i32_e32 vcc, v13, v11
	v_mov_b32_e32 v21, 0x200
	v_mov_b32_e32 v22, 0xc61c4000
	v_cndmask_b32_e32 v13, v10, v13, vcc
	v_lshlrev_b32_e32 v16, 2, v13
	v_xor_b32_e32 v13, 8, v10
	v_cmp_lt_i32_e32 vcc, v13, v11
	v_mov_b32_e32 v23, v8
	s_nop 0
	v_cndmask_b32_e32 v13, v10, v13, vcc
	v_lshlrev_b32_e32 v17, 2, v13
	v_xor_b32_e32 v13, 4, v10
	v_cmp_lt_i32_e32 vcc, v13, v11
	s_nop 1
	v_cndmask_b32_e32 v13, v10, v13, vcc
	v_lshlrev_b32_e32 v18, 2, v13
	v_xor_b32_e32 v13, 2, v10
	v_cmp_lt_i32_e32 vcc, v13, v11
	;; [unrolled: 5-line block ×3, first 2 shown]
	s_nop 1
	v_cndmask_b32_e32 v10, v10, v13, vcc
	v_lshlrev_b32_e32 v20, 2, v10
	v_mov_b32_e32 v13, 0
	s_branch .LBB217_24
.LBB217_22:                             ;   in Loop: Header=BB217_24 Depth=1
	s_or_b64 exec, exec, s[40:41]
.LBB217_23:                             ;   in Loop: Header=BB217_24 Depth=1
	s_cmp_eq_u32 s24, s42
	v_add_u32_e32 v23, s33, v23
	s_cbranch_scc1 .LBB217_56
.LBB217_24:                             ; =>This Inner Loop Header: Depth=1
	v_cmp_gt_f32_e32 vcc, v1, v0
	s_nop 1
	v_cndmask_b32_e32 v11, v0, v1, vcc
	v_cndmask_b32_e64 v10, 0, 1, vcc
	v_cmp_gt_f32_e32 vcc, v2, v11
	s_nop 1
	v_cndmask_b32_e32 v11, v11, v2, vcc
	v_cndmask_b32_e64 v10, v10, 2, vcc
	;; [unrolled: 4-line block ×6, first 2 shown]
	v_cmp_gt_f32_e32 vcc, v7, v11
	s_nop 1
	v_cndmask_b32_e64 v10, v10, 7, vcc
	v_cndmask_b32_e32 v24, v11, v7, vcc
	ds_bpermute_b32 v11, v15, v24
	v_or_b32_e32 v10, v12, v10
	s_waitcnt lgkmcnt(0)
	ds_bpermute_b32 v25, v15, v10
	s_waitcnt lgkmcnt(0)
	v_cmp_lt_f32_e64 s[8:9], v24, v11
	v_cmp_nlt_f32_e32 vcc, v24, v11
	s_and_saveexec_b64 s[10:11], vcc
; %bb.25:                               ;   in Loop: Header=BB217_24 Depth=1
	v_cmp_eq_f32_e32 vcc, v24, v11
	v_cmp_lt_i32_e64 s[0:1], v25, v10
	s_and_b64 s[0:1], vcc, s[0:1]
	s_andn2_b64 s[8:9], s[8:9], exec
	s_and_b64 s[0:1], s[0:1], exec
	s_or_b64 s[8:9], s[8:9], s[0:1]
; %bb.26:                               ;   in Loop: Header=BB217_24 Depth=1
	s_or_b64 exec, exec, s[10:11]
	s_and_saveexec_b64 s[0:1], s[8:9]
; %bb.27:                               ;   in Loop: Header=BB217_24 Depth=1
	v_mov_b32_e32 v24, v11
	v_mov_b32_e32 v10, v25
; %bb.28:                               ;   in Loop: Header=BB217_24 Depth=1
	s_or_b64 exec, exec, s[0:1]
	ds_bpermute_b32 v11, v16, v24
	ds_bpermute_b32 v25, v16, v10
	s_waitcnt lgkmcnt(1)
	v_cmp_lt_f32_e64 s[8:9], v24, v11
	v_cmp_nlt_f32_e32 vcc, v24, v11
	s_and_saveexec_b64 s[10:11], vcc
	s_cbranch_execz .LBB217_30
; %bb.29:                               ;   in Loop: Header=BB217_24 Depth=1
	v_cmp_eq_f32_e32 vcc, v24, v11
	s_waitcnt lgkmcnt(0)
	v_cmp_lt_i32_e64 s[0:1], v25, v10
	s_and_b64 s[0:1], vcc, s[0:1]
	s_andn2_b64 s[8:9], s[8:9], exec
	s_and_b64 s[0:1], s[0:1], exec
	s_or_b64 s[8:9], s[8:9], s[0:1]
.LBB217_30:                             ;   in Loop: Header=BB217_24 Depth=1
	s_or_b64 exec, exec, s[10:11]
	s_and_saveexec_b64 s[0:1], s[8:9]
	s_cbranch_execz .LBB217_32
; %bb.31:                               ;   in Loop: Header=BB217_24 Depth=1
	v_mov_b32_e32 v24, v11
	s_waitcnt lgkmcnt(0)
	v_mov_b32_e32 v10, v25
.LBB217_32:                             ;   in Loop: Header=BB217_24 Depth=1
	s_or_b64 exec, exec, s[0:1]
	ds_bpermute_b32 v11, v17, v24
	s_waitcnt lgkmcnt(1)
	ds_bpermute_b32 v25, v17, v10
	s_waitcnt lgkmcnt(1)
	v_cmp_lt_f32_e64 s[8:9], v24, v11
	v_cmp_nlt_f32_e32 vcc, v24, v11
	s_and_saveexec_b64 s[10:11], vcc
	s_cbranch_execz .LBB217_34
; %bb.33:                               ;   in Loop: Header=BB217_24 Depth=1
	v_cmp_eq_f32_e32 vcc, v24, v11
	s_waitcnt lgkmcnt(0)
	v_cmp_lt_i32_e64 s[0:1], v25, v10
	s_and_b64 s[0:1], vcc, s[0:1]
	s_andn2_b64 s[8:9], s[8:9], exec
	s_and_b64 s[0:1], s[0:1], exec
	s_or_b64 s[8:9], s[8:9], s[0:1]
.LBB217_34:                             ;   in Loop: Header=BB217_24 Depth=1
	s_or_b64 exec, exec, s[10:11]
	s_and_saveexec_b64 s[0:1], s[8:9]
	s_cbranch_execz .LBB217_36
; %bb.35:                               ;   in Loop: Header=BB217_24 Depth=1
	v_mov_b32_e32 v24, v11
	s_waitcnt lgkmcnt(0)
	v_mov_b32_e32 v10, v25
.LBB217_36:                             ;   in Loop: Header=BB217_24 Depth=1
	s_or_b64 exec, exec, s[0:1]
	ds_bpermute_b32 v11, v18, v24
	s_waitcnt lgkmcnt(1)
	;; [unrolled: 26-line block ×4, first 2 shown]
	ds_bpermute_b32 v25, v20, v10
	s_waitcnt lgkmcnt(1)
	v_cmp_lt_f32_e64 s[8:9], v24, v11
	v_cmp_nlt_f32_e32 vcc, v24, v11
	s_and_saveexec_b64 s[10:11], vcc
	s_cbranch_execnz .LBB217_48
; %bb.45:                               ;   in Loop: Header=BB217_24 Depth=1
	s_or_b64 exec, exec, s[10:11]
	s_and_saveexec_b64 s[0:1], s[8:9]
	s_cbranch_execnz .LBB217_49
.LBB217_46:                             ;   in Loop: Header=BB217_24 Depth=1
	s_or_b64 exec, exec, s[0:1]
	s_and_saveexec_b64 s[8:9], s[6:7]
	s_cbranch_execnz .LBB217_50
.LBB217_47:                             ;   in Loop: Header=BB217_24 Depth=1
	s_or_b64 exec, exec, s[8:9]
	s_add_i32 s42, s42, 1
	s_cmp_ge_i32 s42, s24
	s_cbranch_scc1 .LBB217_23
	s_branch .LBB217_53
.LBB217_48:                             ;   in Loop: Header=BB217_24 Depth=1
	v_cmp_eq_f32_e32 vcc, v24, v11
	s_waitcnt lgkmcnt(0)
	v_cmp_lt_i32_e64 s[0:1], v25, v10
	s_and_b64 s[0:1], vcc, s[0:1]
	s_andn2_b64 s[8:9], s[8:9], exec
	s_and_b64 s[0:1], s[0:1], exec
	s_or_b64 s[8:9], s[8:9], s[0:1]
	s_or_b64 exec, exec, s[10:11]
	s_and_saveexec_b64 s[0:1], s[8:9]
	s_cbranch_execz .LBB217_46
.LBB217_49:                             ;   in Loop: Header=BB217_24 Depth=1
	s_waitcnt lgkmcnt(0)
	v_mov_b32_e32 v10, v25
	v_mov_b32_e32 v24, v11
	s_or_b64 exec, exec, s[0:1]
	s_and_saveexec_b64 s[8:9], s[6:7]
	s_cbranch_execz .LBB217_47
.LBB217_50:                             ;   in Loop: Header=BB217_24 Depth=1
	s_and_b64 vcc, exec, s[2:3]
	s_cbranch_vccnz .LBB217_52
; %bb.51:                               ;   in Loop: Header=BB217_24 Depth=1
	v_ashrrev_i32_e32 v11, 31, v10
	v_lshl_add_u64 v[26:27], v[10:11], 2, s[22:23]
	global_load_dword v11, v[26:27], off
	s_waitcnt vmcnt(0)
	v_sub_f32_e32 v24, v24, v11
.LBB217_52:                             ;   in Loop: Header=BB217_24 Depth=1
	v_add_u32_e32 v26, s42, v14
	v_cmp_le_i32_e32 vcc, s25, v10
	v_cmp_gt_i32_e64 s[0:1], s26, v10
	v_ashrrev_i32_e32 v27, 31, v26
	s_and_b64 s[0:1], vcc, s[0:1]
	v_lshlrev_b64 v[26:27], 2, v[26:27]
	v_lshl_add_u64 v[28:29], s[34:35], 0, v[26:27]
	v_subrev_u32_e32 v11, s25, v10
	s_and_b64 vcc, s[36:37], s[0:1]
	global_store_dword v[28:29], v24, off
	v_cndmask_b32_e32 v11, v21, v11, vcc
	v_lshl_add_u64 v[28:29], s[28:29], 0, v[26:27]
	global_store_dword v[28:29], v11, off
	v_add_f32_e32 v11, v13, v24
	v_lshl_add_u64 v[26:27], s[30:31], 0, v[26:27]
	v_cndmask_b32_e64 v13, v13, v11, s[4:5]
	global_store_dword v[26:27], v23, off
	s_or_b64 exec, exec, s[8:9]
	s_add_i32 s42, s42, 1
	s_cmp_ge_i32 s42, s24
	s_cbranch_scc1 .LBB217_23
.LBB217_53:                             ;   in Loop: Header=BB217_24 Depth=1
	v_ashrrev_i32_e32 v24, 31, v10
	v_lshrrev_b32_e32 v11, 29, v24
	s_waitcnt lgkmcnt(0)
	v_add_u32_e32 v25, v10, v11
	v_ashrrev_i32_e32 v11, 3, v25
	v_ashrrev_i32_e32 v25, 31, v25
	v_lshrrev_b32_e32 v25, 26, v25
	v_add_u32_e32 v25, v11, v25
	v_and_b32_e32 v25, 0xffffffc0, v25
	v_sub_u32_e32 v25, v11, v25
	v_cmp_eq_u32_e32 vcc, v9, v25
	s_and_saveexec_b64 s[40:41], vcc
	s_cbranch_execz .LBB217_22
; %bb.54:                               ;   in Loop: Header=BB217_24 Depth=1
	v_lshrrev_b32_e32 v24, 23, v24
	v_add_u32_e32 v24, v10, v24
	v_lshlrev_b32_e32 v11, 3, v11
	v_sub_u32_e32 v10, v10, v11
	v_ashrrev_i32_e32 v11, 9, v24
	v_lshl_add_u32 v10, v11, 3, v10
	v_cmp_ne_u32_e32 vcc, 6, v10
	v_cmp_ne_u32_e64 s[0:1], 5, v10
	v_cmp_ne_u32_e64 s[8:9], 4, v10
	;; [unrolled: 1-line block ×7, first 2 shown]
	v_cndmask_b32_e32 v6, v22, v6, vcc
	v_cndmask_b32_e64 v5, v22, v5, s[0:1]
	v_cndmask_b32_e64 v7, v22, v7, s[18:19]
	v_cndmask_b32_e64 v4, v22, v4, s[8:9]
	v_cndmask_b32_e64 v3, v22, v3, s[10:11]
	v_cndmask_b32_e64 v2, v22, v2, s[12:13]
	v_cndmask_b32_e64 v1, v22, v1, s[14:15]
	v_cndmask_b32_e64 v0, v22, v0, s[16:17]
	s_branch .LBB217_22
.LBB217_55:
	v_mov_b32_e32 v13, 0
.LBB217_56:
	v_cmp_eq_u32_e32 vcc, 0, v9
	s_and_b64 exec, exec, vcc
	s_cbranch_execz .LBB217_69
; %bb.57:
	s_andn2_b64 vcc, exec, s[4:5]
	v_cvt_f32_f64_e32 v0, s[20:21]
	s_cbranch_vccnz .LBB217_59
; %bb.58:
	v_cmp_lt_f32_e32 vcc, 0, v13
	s_nop 1
	v_cndmask_b32_e32 v1, 1.0, v13, vcc
	v_div_scale_f32 v2, s[0:1], v1, v1, v0
	v_rcp_f32_e32 v3, v2
	s_nop 0
	v_fma_f32 v4, -v2, v3, 1.0
	v_fmac_f32_e32 v3, v4, v3
	v_div_scale_f32 v4, vcc, v0, v1, v0
	v_mul_f32_e32 v5, v4, v3
	v_fma_f32 v6, -v2, v5, v4
	v_fmac_f32_e32 v5, v6, v3
	v_fma_f32 v2, -v2, v5, v4
	v_div_fmas_f32 v2, v2, v3, v5
	v_div_fixup_f32 v0, v2, v1, v0
.LBB217_59:
	s_andn2_b64 vcc, exec, s[38:39]
	s_cbranch_vccnz .LBB217_69
; %bb.60:
	v_mul_lo_u32 v2, v8, s24
	s_cmp_gt_u32 s24, 3
	v_ashrrev_i32_e32 v3, 31, v2
	s_cbranch_scc0 .LBB217_64
; %bb.61:
	s_and_b32 s0, s24, 0x7ffffffc
	v_lshl_add_u64 v[4:5], v[2:3], 2, s[34:35]
	v_mov_b32_e32 v1, v0
	v_lshl_add_u64 v[4:5], v[4:5], 0, 8
	s_mov_b32 s1, s0
.LBB217_62:                             ; =>This Inner Loop Header: Depth=1
	global_load_dwordx4 v[6:9], v[4:5], off offset:-8
	s_add_i32 s1, s1, -4
	s_cmp_lg_u32 s1, 0
	s_waitcnt vmcnt(0)
	v_pk_mul_f32 v[6:7], v[0:1], v[6:7]
	v_pk_mul_f32 v[8:9], v[0:1], v[8:9]
	global_store_dwordx4 v[4:5], v[6:9], off offset:-8
	v_lshl_add_u64 v[4:5], v[4:5], 0, 16
	s_cbranch_scc1 .LBB217_62
; %bb.63:
	s_cmp_lg_u32 s0, s24
	s_cselect_b64 s[2:3], -1, 0
	s_branch .LBB217_66
.LBB217_64:
	s_mov_b64 s[2:3], 0
                                        ; implicit-def: $sgpr0
	s_cbranch_execz .LBB217_66
; %bb.65:
	s_mov_b64 s[2:3], -1
	s_mov_b32 s0, 0
.LBB217_66:
	s_andn2_b64 vcc, exec, s[2:3]
	s_cbranch_vccnz .LBB217_69
; %bb.67:
	s_mov_b32 s1, 0
	v_lshl_add_u64 v[2:3], v[2:3], 0, s[0:1]
	s_sub_i32 s2, s24, s0
	v_lshl_add_u64 v[2:3], v[2:3], 2, s[34:35]
.LBB217_68:                             ; =>This Inner Loop Header: Depth=1
	global_load_dword v1, v[2:3], off
	s_add_i32 s2, s2, -1
	s_cmp_lg_u32 s2, 0
	s_waitcnt vmcnt(0)
	v_mul_f32_e32 v1, v0, v1
	global_store_dword v[2:3], v1, off
	v_lshl_add_u64 v[2:3], v[2:3], 0, 4
	s_cbranch_scc1 .LBB217_68
.LBB217_69:
	s_endpgm
	.section	.rodata,"a",@progbits
	.p2align	6, 0x0
	.amdhsa_kernel _ZN4vllm3moe22topkGatingSoftplusSqrtILi8ELi512ELi4ELi16ELi64ELb0Ei6__halfEEvPKT6_PKbPfiPT5_PiiiibdPKfPKS9_SF_
		.amdhsa_group_segment_fixed_size 0
		.amdhsa_private_segment_fixed_size 0
		.amdhsa_kernarg_size 96
		.amdhsa_user_sgpr_count 2
		.amdhsa_user_sgpr_dispatch_ptr 0
		.amdhsa_user_sgpr_queue_ptr 0
		.amdhsa_user_sgpr_kernarg_segment_ptr 1
		.amdhsa_user_sgpr_dispatch_id 0
		.amdhsa_user_sgpr_kernarg_preload_length 0
		.amdhsa_user_sgpr_kernarg_preload_offset 0
		.amdhsa_user_sgpr_private_segment_size 0
		.amdhsa_uses_dynamic_stack 0
		.amdhsa_enable_private_segment 0
		.amdhsa_system_sgpr_workgroup_id_x 1
		.amdhsa_system_sgpr_workgroup_id_y 0
		.amdhsa_system_sgpr_workgroup_id_z 0
		.amdhsa_system_sgpr_workgroup_info 0
		.amdhsa_system_vgpr_workitem_id 1
		.amdhsa_next_free_vgpr 30
		.amdhsa_next_free_sgpr 43
		.amdhsa_accum_offset 32
		.amdhsa_reserve_vcc 1
		.amdhsa_float_round_mode_32 0
		.amdhsa_float_round_mode_16_64 0
		.amdhsa_float_denorm_mode_32 3
		.amdhsa_float_denorm_mode_16_64 3
		.amdhsa_dx10_clamp 1
		.amdhsa_ieee_mode 1
		.amdhsa_fp16_overflow 0
		.amdhsa_tg_split 0
		.amdhsa_exception_fp_ieee_invalid_op 0
		.amdhsa_exception_fp_denorm_src 0
		.amdhsa_exception_fp_ieee_div_zero 0
		.amdhsa_exception_fp_ieee_overflow 0
		.amdhsa_exception_fp_ieee_underflow 0
		.amdhsa_exception_fp_ieee_inexact 0
		.amdhsa_exception_int_div_zero 0
	.end_amdhsa_kernel
	.section	.text._ZN4vllm3moe22topkGatingSoftplusSqrtILi8ELi512ELi4ELi16ELi64ELb0Ei6__halfEEvPKT6_PKbPfiPT5_PiiiibdPKfPKS9_SF_,"axG",@progbits,_ZN4vllm3moe22topkGatingSoftplusSqrtILi8ELi512ELi4ELi16ELi64ELb0Ei6__halfEEvPKT6_PKbPfiPT5_PiiiibdPKfPKS9_SF_,comdat
.Lfunc_end217:
	.size	_ZN4vllm3moe22topkGatingSoftplusSqrtILi8ELi512ELi4ELi16ELi64ELb0Ei6__halfEEvPKT6_PKbPfiPT5_PiiiibdPKfPKS9_SF_, .Lfunc_end217-_ZN4vllm3moe22topkGatingSoftplusSqrtILi8ELi512ELi4ELi16ELi64ELb0Ei6__halfEEvPKT6_PKbPfiPT5_PiiiibdPKfPKS9_SF_
                                        ; -- End function
	.section	.AMDGPU.csdata,"",@progbits
; Kernel info:
; codeLenInByte = 4316
; NumSgprs: 49
; NumVgprs: 30
; NumAgprs: 0
; TotalNumVgprs: 30
; ScratchSize: 0
; MemoryBound: 0
; FloatMode: 240
; IeeeMode: 1
; LDSByteSize: 0 bytes/workgroup (compile time only)
; SGPRBlocks: 6
; VGPRBlocks: 3
; NumSGPRsForWavesPerEU: 49
; NumVGPRsForWavesPerEU: 30
; AccumOffset: 32
; Occupancy: 8
; WaveLimiterHint : 0
; COMPUTE_PGM_RSRC2:SCRATCH_EN: 0
; COMPUTE_PGM_RSRC2:USER_SGPR: 2
; COMPUTE_PGM_RSRC2:TRAP_HANDLER: 0
; COMPUTE_PGM_RSRC2:TGID_X_EN: 1
; COMPUTE_PGM_RSRC2:TGID_Y_EN: 0
; COMPUTE_PGM_RSRC2:TGID_Z_EN: 0
; COMPUTE_PGM_RSRC2:TIDIG_COMP_CNT: 1
; COMPUTE_PGM_RSRC3_GFX90A:ACCUM_OFFSET: 7
; COMPUTE_PGM_RSRC3_GFX90A:TG_SPLIT: 0
	.section	.text._ZN4vllm3moe22topkGatingSoftplusSqrtILi16ELi512ELi4ELi16ELi32ELb1Ei6__halfEEvPKT6_PKbPfiPT5_PiiiibdPKfPKS9_SF_,"axG",@progbits,_ZN4vllm3moe22topkGatingSoftplusSqrtILi16ELi512ELi4ELi16ELi32ELb1Ei6__halfEEvPKT6_PKbPfiPT5_PiiiibdPKfPKS9_SF_,comdat
	.protected	_ZN4vllm3moe22topkGatingSoftplusSqrtILi16ELi512ELi4ELi16ELi32ELb1Ei6__halfEEvPKT6_PKbPfiPT5_PiiiibdPKfPKS9_SF_ ; -- Begin function _ZN4vllm3moe22topkGatingSoftplusSqrtILi16ELi512ELi4ELi16ELi32ELb1Ei6__halfEEvPKT6_PKbPfiPT5_PiiiibdPKfPKS9_SF_
	.globl	_ZN4vllm3moe22topkGatingSoftplusSqrtILi16ELi512ELi4ELi16ELi32ELb1Ei6__halfEEvPKT6_PKbPfiPT5_PiiiibdPKfPKS9_SF_
	.p2align	8
	.type	_ZN4vllm3moe22topkGatingSoftplusSqrtILi16ELi512ELi4ELi16ELi32ELb1Ei6__halfEEvPKT6_PKbPfiPT5_PiiiibdPKfPKS9_SF_,@function
_ZN4vllm3moe22topkGatingSoftplusSqrtILi16ELi512ELi4ELi16ELi32ELb1Ei6__halfEEvPKT6_PKbPfiPT5_PiiiibdPKfPKS9_SF_: ; @_ZN4vllm3moe22topkGatingSoftplusSqrtILi16ELi512ELi4ELi16ELi32ELb1Ei6__halfEEvPKT6_PKbPfiPT5_PiiiibdPKfPKS9_SF_
; %bb.0:
	s_load_dword s3, s[0:1], 0x18
	v_and_b32_e32 v1, 0x3ff, v0
	s_lshl_b32 s2, s2, 2
	v_lshrrev_b32_e32 v2, 5, v1
	v_bfe_u32 v0, v0, 10, 10
	v_add3_u32 v2, s2, v0, v2
	s_waitcnt lgkmcnt(0)
	v_cmp_gt_i32_e32 vcc, s3, v2
	s_and_saveexec_b64 s[2:3], vcc
	s_cbranch_execz .LBB218_67
; %bb.1:
	s_load_dwordx2 s[2:3], s[0:1], 0x0
	s_load_dword s33, s[0:1], 0x30
	v_lshlrev_b32_e32 v0, 9, v2
	v_lshlrev_b32_e32 v3, 3, v1
	v_ashrrev_i32_e32 v1, 31, v0
	v_and_b32_e32 v10, 0xf8, v3
	s_waitcnt lgkmcnt(0)
	v_lshl_add_u64 v[4:5], v[0:1], 1, s[2:3]
	v_lshlrev_b32_e32 v0, 1, v10
	v_mov_b32_e32 v1, 0
	v_lshl_add_u64 v[4:5], v[4:5], 0, v[0:1]
	global_load_dwordx4 v[16:19], v[4:5], off
	global_load_dwordx4 v[20:23], v[4:5], off offset:512
	s_mov_b32 s11, 0x800000
	v_mov_b32_e32 v0, 0x4f800000
	s_load_dwordx4 s[4:7], s[0:1], 0x50
	s_mov_b32 s9, 0x3f317217
	v_ashrrev_i32_e32 v3, 31, v2
	s_mov_b32 s10, 0x7f800000
	s_movk_i32 s13, 0x4d00
	s_waitcnt lgkmcnt(0)
	v_mov_b32_e32 v4, s4
	v_mov_b32_e32 v5, s5
	v_lshl_add_u64 v[4:5], v[2:3], 2, v[4:5]
	v_mov_b32_e32 v3, 0x41b17218
	s_mov_b32 s12, 0xf800000
	v_mov_b32_e32 v8, 0x260
	global_load_dword v6, v[4:5], off
	v_mov_b32_e32 v4, s6
	s_mov_b32 s6, 0x41a00000
	v_mov_b32_e32 v5, s7
	s_cmp_gt_i32 s33, 0
	s_mov_b32 s8, 0
	s_waitcnt vmcnt(2)
	v_cvt_f32_f16_e32 v26, v19
	s_waitcnt vmcnt(1)
	v_cvt_f32_f16_e32 v28, v20
	v_cvt_f32_f16_e32 v30, v21
	v_cvt_f32_f16_sdwa v31, v20 dst_sel:DWORD dst_unused:UNUSED_PAD src0_sel:WORD_1
	v_cvt_f32_f16_sdwa v13, v21 dst_sel:DWORD dst_unused:UNUSED_PAD src0_sel:WORD_1
	v_cvt_f32_f16_e32 v20, v16
	v_cvt_f32_f16_sdwa v21, v16 dst_sel:DWORD dst_unused:UNUSED_PAD src0_sel:WORD_1
	v_cvt_f32_f16_sdwa v29, v19 dst_sel:DWORD dst_unused:UNUSED_PAD src0_sel:WORD_1
	v_cvt_f32_f16_e32 v24, v18
	v_mul_f32_e32 v7, 0x3fb8aa3b, v20
	v_mul_f32_e32 v19, 0x3fb8aa3b, v21
	v_cvt_f32_f16_sdwa v27, v18 dst_sel:DWORD dst_unused:UNUSED_PAD src0_sel:WORD_1
	v_exp_f32_e32 v18, v7
	v_exp_f32_e32 v19, v19
	v_cvt_f32_f16_e32 v15, v17
	v_cvt_f32_f16_sdwa v9, v23 dst_sel:DWORD dst_unused:UNUSED_PAD src0_sel:WORD_1
	v_cvt_f32_f16_e32 v12, v23
	v_pk_add_f32 v[18:19], v[18:19], 1.0 op_sel_hi:[1,0]
	v_cvt_f32_f16_e32 v14, v22
	v_cmp_gt_f32_e32 vcc, s11, v19
	v_cmp_gt_f32_e64 s[2:3], s11, v18
	v_cvt_f32_f16_sdwa v11, v22 dst_sel:DWORD dst_unused:UNUSED_PAD src0_sel:WORD_1
	v_cndmask_b32_e32 v23, 1.0, v0, vcc
	v_cndmask_b32_e64 v32, 1.0, v0, s[2:3]
	v_mul_f32_e32 v19, v19, v23
	v_mul_f32_e32 v18, v18, v32
	v_log_f32_e32 v19, v19
	v_log_f32_e32 v18, v18
	v_mul_f32_e32 v22, 0x3fb8aa3b, v15
	v_exp_f32_e32 v22, v22
	v_mul_f32_e32 v34, 0x3f317217, v19
	v_mul_f32_e32 v35, 0x3f317217, v18
	v_fma_f32 v34, v19, s9, -v34
	v_fma_f32 v35, v18, s9, -v35
	v_fmac_f32_e32 v34, 0x3377d1cf, v19
	v_add_f32_e32 v22, 1.0, v22
	v_cndmask_b32_e32 v23, 0, v3, vcc
	v_fmac_f32_e32 v35, 0x3377d1cf, v18
	v_fmac_f32_e32 v34, 0x3f317217, v19
	v_cmp_lt_f32_e64 vcc, |v19|, s10
	v_cmp_gt_f32_e64 s[4:5], s11, v22
	v_fmac_f32_e32 v35, 0x3f317217, v18
	v_cndmask_b32_e32 v19, v19, v34, vcc
	v_cmp_lt_f32_e64 vcc, |v18|, s10
	v_cndmask_b32_e64 v33, 1.0, v0, s[4:5]
	v_cndmask_b32_e64 v32, 0, v3, s[2:3]
	v_cndmask_b32_e32 v18, v18, v35, vcc
	v_mul_f32_e32 v22, v22, v33
	v_sub_f32_e32 v18, v18, v32
	v_cmp_lt_f16_e32 vcc, s13, v16
	v_log_f32_e32 v22, v22
	v_sub_f32_e32 v19, v19, v23
	v_cndmask_b32_e32 v18, v18, v20, vcc
	v_cmp_gt_f16_sdwa vcc, v16, s13 src0_sel:WORD_1 src1_sel:DWORD
	v_mul_f32_e32 v20, 0x4f800000, v18
	v_cmp_gt_f32_e64 s[2:3], s12, v18
	v_cndmask_b32_e32 v16, v19, v21, vcc
	v_mul_f32_e32 v19, 0x4f800000, v16
	v_cmp_gt_f32_e32 vcc, s12, v16
	v_mul_f32_e32 v36, 0x3f317217, v22
	v_cndmask_b32_e64 v18, v18, v20, s[2:3]
	v_cndmask_b32_e32 v16, v16, v19, vcc
	v_sqrt_f32_e32 v19, v16
	v_fma_f32 v36, v22, s9, -v36
	v_sqrt_f32_e32 v20, v18
	v_fmac_f32_e32 v36, 0x3377d1cf, v22
	v_cndmask_b32_e64 v33, 0, v3, s[4:5]
	v_fmac_f32_e32 v36, 0x3f317217, v22
	v_cmp_lt_f32_e64 s[4:5], |v22|, s10
	v_add_u32_e32 v32, -1, v20
	v_add_u32_e32 v23, 1, v19
	v_cndmask_b32_e64 v21, v22, v36, s[4:5]
	v_add_u32_e32 v22, -1, v19
	v_fma_f32 v35, -v22, v19, v16
	v_fma_f32 v37, -v32, v20, v18
	v_cmp_ge_f32_e64 s[4:5], 0, v35
	v_add_u32_e32 v34, 1, v20
	v_fma_f32 v36, -v23, v19, v16
	v_cndmask_b32_e64 v19, v19, v22, s[4:5]
	v_cmp_ge_f32_e64 s[4:5], 0, v37
	v_fma_f32 v38, -v34, v20, v18
	v_cvt_f32_f16_sdwa v25, v17 dst_sel:DWORD dst_unused:UNUSED_PAD src0_sel:WORD_1
	v_cndmask_b32_e64 v20, v20, v32, s[4:5]
	v_cmp_lt_f32_e64 s[4:5], 0, v36
	s_waitcnt vmcnt(0)
	v_mul_lo_u32 v6, v6, s33
	v_ashrrev_i32_e32 v7, 31, v6
	v_cndmask_b32_e64 v19, v19, v23, s[4:5]
	v_mul_f32_e32 v22, 0x37800000, v19
	v_cndmask_b32_e32 v19, v19, v22, vcc
	v_cmp_class_f32_e32 vcc, v16, v8
	v_cmp_lt_f32_e64 s[4:5], 0, v38
	v_lshl_add_u64 v[4:5], v[6:7], 2, v[4:5]
	v_cndmask_b32_e32 v19, v19, v16, vcc
	v_sub_f32_e32 v16, v21, v33
	v_cmp_lt_f16_e32 vcc, s13, v17
	v_cndmask_b32_e64 v20, v20, v34, s[4:5]
	v_mul_f32_e32 v23, 0x37800000, v20
	v_cndmask_b32_e32 v15, v16, v15, vcc
	v_mul_f32_e32 v16, 0x4f800000, v15
	v_cmp_gt_f32_e32 vcc, s12, v15
	v_cndmask_b32_e64 v17, v20, v23, s[2:3]
	v_cmp_class_f32_e64 s[2:3], v18, v8
	v_cndmask_b32_e32 v15, v15, v16, vcc
	v_sqrt_f32_e32 v16, v15
	v_cndmask_b32_e64 v18, v17, v18, s[2:3]
	v_add_u32_e32 v17, -1, v16
	v_fma_f32 v20, -v17, v16, v15
	v_cmp_ge_f32_e64 s[2:3], 0, v20
	v_add_u32_e32 v21, 1, v16
	v_fma_f32 v22, -v21, v16, v15
	v_cndmask_b32_e64 v20, v16, v17, s[2:3]
	v_mul_f32_e32 v16, 0x3fb8aa3b, v25
	v_mul_f32_e32 v17, 0x3fb8aa3b, v24
	v_exp_f32_e32 v16, v16
	v_exp_f32_e32 v17, v17
	v_cmp_lt_f32_e64 s[2:3], 0, v22
	v_pk_add_f32 v[16:17], v[16:17], 1.0 op_sel_hi:[1,0]
	s_nop 0
	v_cndmask_b32_e64 v20, v20, v21, s[2:3]
	v_mul_f32_e32 v21, 0x37800000, v20
	v_cndmask_b32_e32 v20, v20, v21, vcc
	v_cmp_gt_f32_e32 vcc, s11, v17
	v_cmp_class_f32_e64 s[2:3], v15, v8
	s_nop 0
	v_cndmask_b32_e32 v21, 1.0, v0, vcc
	v_mul_f32_e32 v17, v17, v21
	v_log_f32_e32 v17, v17
	v_cndmask_b32_e64 v20, v20, v15, s[2:3]
	v_cmp_gt_f32_e64 s[2:3], s11, v16
	scratch_store_dwordx3 off, v[18:20], off
	v_mul_f32_e32 v15, 0x3f317217, v17
	v_fma_f32 v15, v17, s9, -v15
	v_cndmask_b32_e64 v18, 1.0, v0, s[2:3]
	v_mul_f32_e32 v16, v16, v18
	v_log_f32_e32 v16, v16
	v_fmac_f32_e32 v15, 0x3377d1cf, v17
	v_fmac_f32_e32 v15, 0x3f317217, v17
	v_cmp_lt_f32_e64 s[4:5], |v17|, s10
	s_nop 1
	v_cndmask_b32_e64 v15, v17, v15, s[4:5]
	v_cndmask_b32_e32 v17, 0, v3, vcc
	v_sub_f32_e32 v15, v15, v17
	v_mul_f32_e32 v17, 0x3f317217, v16
	v_fma_f32 v17, v16, s9, -v17
	v_fmac_f32_e32 v17, 0x3377d1cf, v16
	v_fmac_f32_e32 v17, 0x3f317217, v16
	v_cmp_lt_f32_e64 vcc, |v16|, s10
	s_nop 1
	v_cndmask_b32_e32 v16, v16, v17, vcc
	v_cmp_lt_f32_e32 vcc, s6, v24
	v_cndmask_b32_e64 v17, 0, v3, s[2:3]
	v_sub_f32_e32 v16, v16, v17
	v_cndmask_b32_e32 v15, v15, v24, vcc
	v_mul_f32_e32 v18, 0x4f800000, v15
	v_cmp_gt_f32_e32 vcc, s12, v15
	v_cmp_lt_f32_e64 s[2:3], s6, v25
	s_nop 0
	v_cndmask_b32_e32 v15, v15, v18, vcc
	v_sqrt_f32_e32 v18, v15
	v_cndmask_b32_e64 v16, v16, v25, s[2:3]
	v_add_u32_e32 v17, -1, v18
	v_fma_f32 v19, -v17, v18, v15
	v_cmp_ge_f32_e64 s[2:3], 0, v19
	v_add_u32_e32 v19, 1, v18
	s_nop 0
	v_cndmask_b32_e64 v17, v18, v17, s[2:3]
	v_fma_f32 v18, -v19, v18, v15
	v_cmp_lt_f32_e64 s[2:3], 0, v18
	s_nop 1
	v_cndmask_b32_e64 v17, v17, v19, s[2:3]
	v_mul_f32_e32 v19, 0x4f800000, v16
	v_cmp_gt_f32_e64 s[2:3], s12, v16
	v_mul_f32_e32 v18, 0x37800000, v17
	v_cndmask_b32_e32 v17, v17, v18, vcc
	v_cndmask_b32_e64 v16, v16, v19, s[2:3]
	v_sqrt_f32_e32 v19, v16
	v_cmp_class_f32_e32 vcc, v15, v8
	v_add_u32_e32 v20, 1, v19
	s_nop 0
	v_cndmask_b32_e32 v17, v17, v15, vcc
	v_add_u32_e32 v15, -1, v19
	v_fma_f32 v18, -v15, v19, v16
	v_cmp_ge_f32_e32 vcc, 0, v18
	v_fma_f32 v21, -v20, v19, v16
	v_mul_f32_e32 v18, 0x3fb8aa3b, v27
	v_cndmask_b32_e32 v15, v19, v15, vcc
	v_mul_f32_e32 v19, 0x3fb8aa3b, v26
	v_exp_f32_e32 v18, v18
	v_exp_f32_e32 v19, v19
	v_cmp_lt_f32_e32 vcc, 0, v21
	v_pk_add_f32 v[18:19], v[18:19], 1.0 op_sel_hi:[1,0]
	s_nop 0
	v_cndmask_b32_e32 v15, v15, v20, vcc
	v_cmp_gt_f32_e32 vcc, s11, v19
	v_mul_f32_e32 v20, 0x37800000, v15
	v_cndmask_b32_e64 v15, v15, v20, s[2:3]
	v_cndmask_b32_e32 v21, 1.0, v0, vcc
	v_mul_f32_e32 v19, v19, v21
	v_log_f32_e32 v19, v19
	v_cmp_class_f32_e64 s[2:3], v16, v8
	v_cmp_lt_f32_e64 s[4:5], |v19|, s10
	s_nop 0
	v_cndmask_b32_e64 v16, v15, v16, s[2:3]
	v_cmp_gt_f32_e64 s[2:3], s11, v18
	v_mul_f32_e32 v15, 0x3f317217, v19
	v_fma_f32 v15, v19, s9, -v15
	v_cndmask_b32_e64 v20, 1.0, v0, s[2:3]
	v_mul_f32_e32 v18, v18, v20
	v_log_f32_e32 v18, v18
	v_fmac_f32_e32 v15, 0x3377d1cf, v19
	v_fmac_f32_e32 v15, 0x3f317217, v19
	v_cndmask_b32_e64 v15, v19, v15, s[4:5]
	v_cndmask_b32_e32 v19, 0, v3, vcc
	v_sub_f32_e32 v15, v15, v19
	v_mul_f32_e32 v19, 0x3f317217, v18
	v_fma_f32 v19, v18, s9, -v19
	v_fmac_f32_e32 v19, 0x3377d1cf, v18
	v_fmac_f32_e32 v19, 0x3f317217, v18
	v_cmp_lt_f32_e64 vcc, |v18|, s10
	s_nop 1
	v_cndmask_b32_e32 v18, v18, v19, vcc
	v_cmp_lt_f32_e32 vcc, s6, v26
	v_cndmask_b32_e64 v19, 0, v3, s[2:3]
	v_sub_f32_e32 v18, v18, v19
	v_cndmask_b32_e32 v15, v15, v26, vcc
	v_mul_f32_e32 v20, 0x4f800000, v15
	v_cmp_gt_f32_e32 vcc, s12, v15
	v_cmp_lt_f32_e64 s[2:3], s6, v27
	s_nop 0
	v_cndmask_b32_e32 v15, v15, v20, vcc
	v_sqrt_f32_e32 v20, v15
	v_cndmask_b32_e64 v18, v18, v27, s[2:3]
	v_add_u32_e32 v19, -1, v20
	v_fma_f32 v21, -v19, v20, v15
	v_cmp_ge_f32_e64 s[2:3], 0, v21
	v_add_u32_e32 v21, 1, v20
	s_nop 0
	v_cndmask_b32_e64 v19, v20, v19, s[2:3]
	v_fma_f32 v20, -v21, v20, v15
	v_cmp_lt_f32_e64 s[2:3], 0, v20
	s_nop 1
	v_cndmask_b32_e64 v19, v19, v21, s[2:3]
	v_mul_f32_e32 v21, 0x4f800000, v18
	v_cmp_gt_f32_e64 s[2:3], s12, v18
	v_mul_f32_e32 v20, 0x37800000, v19
	v_cndmask_b32_e32 v19, v19, v20, vcc
	v_cndmask_b32_e64 v18, v18, v21, s[2:3]
	v_sqrt_f32_e32 v21, v18
	v_cmp_class_f32_e32 vcc, v15, v8
	v_add_u32_e32 v22, 1, v21
	s_nop 0
	v_cndmask_b32_e32 v19, v19, v15, vcc
	v_add_u32_e32 v15, -1, v21
	v_fma_f32 v20, -v15, v21, v18
	v_cmp_ge_f32_e32 vcc, 0, v20
	v_fma_f32 v23, -v22, v21, v18
	v_mul_f32_e32 v20, 0x3fb8aa3b, v29
	v_cndmask_b32_e32 v15, v21, v15, vcc
	v_mul_f32_e32 v21, 0x3fb8aa3b, v28
	v_exp_f32_e32 v20, v20
	v_exp_f32_e32 v21, v21
	v_cmp_lt_f32_e32 vcc, 0, v23
	v_pk_add_f32 v[20:21], v[20:21], 1.0 op_sel_hi:[1,0]
	s_nop 0
	v_cndmask_b32_e32 v15, v15, v22, vcc
	v_mul_f32_e32 v22, 0x37800000, v15
	v_cmp_gt_f32_e32 vcc, s11, v21
	v_cndmask_b32_e64 v15, v15, v22, s[2:3]
	v_cmp_class_f32_e64 s[2:3], v18, v8
	v_cndmask_b32_e32 v22, 1.0, v0, vcc
	v_mul_f32_e32 v21, v21, v22
	v_log_f32_e32 v21, v21
	v_cndmask_b32_e64 v18, v15, v18, s[2:3]
	v_cmp_gt_f32_e64 s[2:3], s11, v20
	scratch_store_dwordx4 off, v[16:19], off offset:12
	v_mul_f32_e32 v15, 0x3f317217, v21
	v_fma_f32 v15, v21, s9, -v15
	v_cndmask_b32_e64 v16, 1.0, v0, s[2:3]
	v_mul_f32_e32 v16, v20, v16
	v_log_f32_e32 v16, v16
	v_fmac_f32_e32 v15, 0x3377d1cf, v21
	v_fmac_f32_e32 v15, 0x3f317217, v21
	v_cmp_lt_f32_e64 s[4:5], |v21|, s10
	v_cndmask_b32_e32 v17, 0, v3, vcc
	v_cmp_lt_f32_e64 vcc, |v16|, s10
	v_cndmask_b32_e64 v15, v21, v15, s[4:5]
	v_sub_f32_e32 v15, v15, v17
	v_mul_f32_e32 v17, 0x3f317217, v16
	v_fma_f32 v17, v16, s9, -v17
	v_fmac_f32_e32 v17, 0x3377d1cf, v16
	v_fmac_f32_e32 v17, 0x3f317217, v16
	v_cndmask_b32_e32 v16, v16, v17, vcc
	v_cmp_lt_f32_e32 vcc, s6, v28
	v_cndmask_b32_e64 v17, 0, v3, s[2:3]
	v_sub_f32_e32 v16, v16, v17
	v_cndmask_b32_e32 v15, v15, v28, vcc
	v_mul_f32_e32 v18, 0x4f800000, v15
	v_cmp_gt_f32_e32 vcc, s12, v15
	v_cmp_lt_f32_e64 s[2:3], s6, v29
	s_nop 0
	v_cndmask_b32_e32 v15, v15, v18, vcc
	v_sqrt_f32_e32 v18, v15
	v_cndmask_b32_e64 v16, v16, v29, s[2:3]
	v_add_u32_e32 v17, -1, v18
	v_fma_f32 v19, -v17, v18, v15
	v_cmp_ge_f32_e64 s[2:3], 0, v19
	v_add_u32_e32 v19, 1, v18
	s_nop 0
	v_cndmask_b32_e64 v17, v18, v17, s[2:3]
	v_fma_f32 v18, -v19, v18, v15
	v_cmp_lt_f32_e64 s[2:3], 0, v18
	s_nop 1
	v_cndmask_b32_e64 v17, v17, v19, s[2:3]
	v_mul_f32_e32 v19, 0x4f800000, v16
	v_cmp_gt_f32_e64 s[2:3], s12, v16
	v_mul_f32_e32 v18, 0x37800000, v17
	v_cndmask_b32_e32 v17, v17, v18, vcc
	v_cndmask_b32_e64 v16, v16, v19, s[2:3]
	v_sqrt_f32_e32 v19, v16
	v_cmp_class_f32_e32 vcc, v15, v8
	v_add_u32_e32 v20, 1, v19
	s_nop 0
	v_cndmask_b32_e32 v17, v17, v15, vcc
	v_add_u32_e32 v15, -1, v19
	v_fma_f32 v18, -v15, v19, v16
	v_cmp_ge_f32_e32 vcc, 0, v18
	v_fma_f32 v21, -v20, v19, v16
	v_mul_f32_e32 v18, 0x3fb8aa3b, v31
	v_cndmask_b32_e32 v15, v19, v15, vcc
	v_mul_f32_e32 v19, 0x3fb8aa3b, v30
	v_exp_f32_e32 v18, v18
	v_exp_f32_e32 v19, v19
	v_cmp_lt_f32_e32 vcc, 0, v21
	v_pk_add_f32 v[18:19], v[18:19], 1.0 op_sel_hi:[1,0]
	s_nop 0
	v_cndmask_b32_e32 v15, v15, v20, vcc
	v_cmp_gt_f32_e32 vcc, s11, v19
	v_mul_f32_e32 v20, 0x37800000, v15
	v_cndmask_b32_e64 v15, v15, v20, s[2:3]
	v_cndmask_b32_e32 v21, 1.0, v0, vcc
	v_mul_f32_e32 v19, v19, v21
	v_log_f32_e32 v19, v19
	v_cmp_class_f32_e64 s[2:3], v16, v8
	v_cmp_lt_f32_e64 s[4:5], |v19|, s10
	s_nop 0
	v_cndmask_b32_e64 v16, v15, v16, s[2:3]
	v_cmp_gt_f32_e64 s[2:3], s11, v18
	v_mul_f32_e32 v15, 0x3f317217, v19
	v_fma_f32 v15, v19, s9, -v15
	v_cndmask_b32_e64 v20, 1.0, v0, s[2:3]
	v_mul_f32_e32 v18, v18, v20
	v_log_f32_e32 v18, v18
	v_fmac_f32_e32 v15, 0x3377d1cf, v19
	v_fmac_f32_e32 v15, 0x3f317217, v19
	v_cndmask_b32_e64 v15, v19, v15, s[4:5]
	v_cndmask_b32_e32 v19, 0, v3, vcc
	v_sub_f32_e32 v15, v15, v19
	v_mul_f32_e32 v19, 0x3f317217, v18
	v_fma_f32 v19, v18, s9, -v19
	v_fmac_f32_e32 v19, 0x3377d1cf, v18
	v_fmac_f32_e32 v19, 0x3f317217, v18
	v_cmp_lt_f32_e64 vcc, |v18|, s10
	s_nop 1
	v_cndmask_b32_e32 v18, v18, v19, vcc
	v_cmp_lt_f32_e32 vcc, s6, v30
	v_cndmask_b32_e64 v19, 0, v3, s[2:3]
	v_sub_f32_e32 v18, v18, v19
	v_cndmask_b32_e32 v15, v15, v30, vcc
	v_mul_f32_e32 v20, 0x4f800000, v15
	v_cmp_gt_f32_e32 vcc, s12, v15
	v_cmp_lt_f32_e64 s[2:3], s6, v31
	s_nop 0
	v_cndmask_b32_e32 v15, v15, v20, vcc
	v_sqrt_f32_e32 v20, v15
	v_cndmask_b32_e64 v18, v18, v31, s[2:3]
	v_add_u32_e32 v19, -1, v20
	v_fma_f32 v21, -v19, v20, v15
	v_cmp_ge_f32_e64 s[2:3], 0, v21
	v_add_u32_e32 v21, 1, v20
	s_nop 0
	v_cndmask_b32_e64 v19, v20, v19, s[2:3]
	v_fma_f32 v20, -v21, v20, v15
	v_cmp_lt_f32_e64 s[2:3], 0, v20
	s_nop 1
	v_cndmask_b32_e64 v19, v19, v21, s[2:3]
	v_mul_f32_e32 v21, 0x4f800000, v18
	v_cmp_gt_f32_e64 s[2:3], s12, v18
	v_mul_f32_e32 v20, 0x37800000, v19
	v_cndmask_b32_e32 v19, v19, v20, vcc
	v_cndmask_b32_e64 v18, v18, v21, s[2:3]
	v_sqrt_f32_e32 v21, v18
	v_cmp_class_f32_e32 vcc, v15, v8
	v_add_u32_e32 v22, 1, v21
	s_nop 0
	v_cndmask_b32_e32 v19, v19, v15, vcc
	v_add_u32_e32 v15, -1, v21
	v_fma_f32 v20, -v15, v21, v18
	v_cmp_ge_f32_e32 vcc, 0, v20
	v_fma_f32 v23, -v22, v21, v18
	v_mul_f32_e32 v20, 0x3fb8aa3b, v13
	v_cndmask_b32_e32 v15, v21, v15, vcc
	v_mul_f32_e32 v21, 0x3fb8aa3b, v14
	v_exp_f32_e32 v20, v20
	v_exp_f32_e32 v21, v21
	v_cmp_lt_f32_e32 vcc, 0, v23
	v_pk_add_f32 v[20:21], v[20:21], 1.0 op_sel_hi:[1,0]
	s_nop 0
	v_cndmask_b32_e32 v15, v15, v22, vcc
	v_mul_f32_e32 v22, 0x37800000, v15
	v_cmp_gt_f32_e32 vcc, s11, v21
	v_cndmask_b32_e64 v15, v15, v22, s[2:3]
	v_cmp_class_f32_e64 s[2:3], v18, v8
	v_cndmask_b32_e32 v22, 1.0, v0, vcc
	v_mul_f32_e32 v21, v21, v22
	v_log_f32_e32 v21, v21
	v_cndmask_b32_e64 v18, v15, v18, s[2:3]
	v_cmp_gt_f32_e64 s[2:3], s11, v20
	scratch_store_dwordx4 off, v[16:19], off offset:28
	v_mul_f32_e32 v15, 0x3f317217, v21
	v_fma_f32 v15, v21, s9, -v15
	v_cndmask_b32_e64 v16, 1.0, v0, s[2:3]
	v_mul_f32_e32 v16, v20, v16
	v_log_f32_e32 v16, v16
	v_fmac_f32_e32 v15, 0x3377d1cf, v21
	v_fmac_f32_e32 v15, 0x3f317217, v21
	v_cmp_lt_f32_e64 s[4:5], |v21|, s10
	v_cndmask_b32_e32 v17, 0, v3, vcc
	v_cmp_lt_f32_e64 vcc, |v16|, s10
	v_cndmask_b32_e64 v15, v21, v15, s[4:5]
	v_sub_f32_e32 v15, v15, v17
	v_mul_f32_e32 v17, 0x3f317217, v16
	v_fma_f32 v17, v16, s9, -v17
	v_fmac_f32_e32 v17, 0x3377d1cf, v16
	v_fmac_f32_e32 v17, 0x3f317217, v16
	v_cndmask_b32_e32 v16, v16, v17, vcc
	v_cmp_lt_f32_e32 vcc, s6, v14
	v_cndmask_b32_e64 v17, 0, v3, s[2:3]
	v_sub_f32_e32 v16, v16, v17
	v_cndmask_b32_e32 v14, v15, v14, vcc
	v_mul_f32_e32 v15, 0x4f800000, v14
	v_cmp_gt_f32_e32 vcc, s12, v14
	v_cmp_lt_f32_e64 s[2:3], s6, v13
	s_nop 0
	v_cndmask_b32_e32 v14, v14, v15, vcc
	v_sqrt_f32_e32 v15, v14
	v_cndmask_b32_e64 v13, v16, v13, s[2:3]
	v_add_u32_e32 v16, -1, v15
	v_fma_f32 v17, -v16, v15, v14
	v_cmp_ge_f32_e64 s[2:3], 0, v17
	v_add_u32_e32 v17, 1, v15
	s_nop 0
	v_cndmask_b32_e64 v16, v15, v16, s[2:3]
	v_fma_f32 v15, -v17, v15, v14
	v_cmp_lt_f32_e64 s[2:3], 0, v15
	s_nop 1
	v_cndmask_b32_e64 v15, v16, v17, s[2:3]
	v_mul_f32_e32 v17, 0x4f800000, v13
	v_cmp_gt_f32_e64 s[2:3], s12, v13
	v_mul_f32_e32 v16, 0x37800000, v15
	v_cndmask_b32_e32 v15, v15, v16, vcc
	v_cndmask_b32_e64 v13, v13, v17, s[2:3]
	v_sqrt_f32_e32 v17, v13
	v_cmp_class_f32_e32 vcc, v14, v8
	v_add_u32_e32 v18, 1, v17
	s_nop 0
	v_cndmask_b32_e32 v15, v15, v14, vcc
	v_add_u32_e32 v14, -1, v17
	v_fma_f32 v16, -v14, v17, v13
	v_cmp_ge_f32_e32 vcc, 0, v16
	v_fma_f32 v19, -v18, v17, v13
	v_mul_f32_e32 v16, 0x3fb8aa3b, v11
	v_cndmask_b32_e32 v14, v17, v14, vcc
	v_mul_f32_e32 v17, 0x3fb8aa3b, v12
	v_exp_f32_e32 v16, v16
	v_exp_f32_e32 v17, v17
	v_cmp_lt_f32_e32 vcc, 0, v19
	v_pk_add_f32 v[16:17], v[16:17], 1.0 op_sel_hi:[1,0]
	s_nop 0
	v_cndmask_b32_e32 v14, v14, v18, vcc
	v_cmp_gt_f32_e32 vcc, s11, v17
	v_mul_f32_e32 v18, 0x37800000, v14
	v_cndmask_b32_e64 v14, v14, v18, s[2:3]
	v_cndmask_b32_e32 v19, 1.0, v0, vcc
	v_mul_f32_e32 v17, v17, v19
	v_log_f32_e32 v17, v17
	v_cmp_class_f32_e64 s[2:3], v13, v8
	v_cmp_lt_f32_e64 s[4:5], |v17|, s10
	s_nop 0
	v_cndmask_b32_e64 v14, v14, v13, s[2:3]
	v_cmp_gt_f32_e64 s[2:3], s11, v16
	v_mul_f32_e32 v13, 0x3f317217, v17
	v_fma_f32 v13, v17, s9, -v13
	v_cndmask_b32_e64 v18, 1.0, v0, s[2:3]
	v_mul_f32_e32 v16, v16, v18
	v_log_f32_e32 v16, v16
	v_fmac_f32_e32 v13, 0x3377d1cf, v17
	v_fmac_f32_e32 v13, 0x3f317217, v17
	v_cndmask_b32_e64 v13, v17, v13, s[4:5]
	v_cndmask_b32_e32 v17, 0, v3, vcc
	v_sub_f32_e32 v13, v13, v17
	v_mul_f32_e32 v17, 0x3f317217, v16
	v_fma_f32 v17, v16, s9, -v17
	v_fmac_f32_e32 v17, 0x3377d1cf, v16
	v_fmac_f32_e32 v17, 0x3f317217, v16
	v_cmp_lt_f32_e64 vcc, |v16|, s10
	s_nop 1
	v_cndmask_b32_e32 v16, v16, v17, vcc
	v_cmp_lt_f32_e32 vcc, s6, v12
	v_cndmask_b32_e64 v17, 0, v3, s[2:3]
	v_sub_f32_e32 v16, v16, v17
	v_cndmask_b32_e32 v12, v13, v12, vcc
	v_mul_f32_e32 v13, 0x4f800000, v12
	v_cmp_gt_f32_e32 vcc, s12, v12
	v_cmp_lt_f32_e64 s[2:3], s6, v11
	s_nop 0
	v_cndmask_b32_e32 v12, v12, v13, vcc
	v_sqrt_f32_e32 v13, v12
	v_cndmask_b32_e64 v11, v16, v11, s[2:3]
	v_add_u32_e32 v16, -1, v13
	v_fma_f32 v17, -v16, v13, v12
	v_cmp_ge_f32_e64 s[2:3], 0, v17
	v_add_u32_e32 v17, 1, v13
	s_nop 0
	v_cndmask_b32_e64 v16, v13, v16, s[2:3]
	v_fma_f32 v13, -v17, v13, v12
	v_cmp_lt_f32_e64 s[2:3], 0, v13
	s_nop 1
	v_cndmask_b32_e64 v13, v16, v17, s[2:3]
	v_mul_f32_e32 v17, 0x4f800000, v11
	v_cmp_gt_f32_e64 s[2:3], s12, v11
	v_mul_f32_e32 v16, 0x37800000, v13
	v_cndmask_b32_e32 v13, v13, v16, vcc
	v_cndmask_b32_e64 v11, v11, v17, s[2:3]
	v_sqrt_f32_e32 v18, v11
	v_mul_f32_e32 v16, 0x3fb8aa3b, v9
	v_exp_f32_e32 v16, v16
	v_cmp_class_f32_e32 vcc, v12, v8
	v_add_f32_e32 v16, 1.0, v16
	s_nop 0
	v_cndmask_b32_e32 v17, v13, v12, vcc
	v_add_u32_e32 v12, -1, v18
	v_fma_f32 v13, -v12, v18, v11
	v_cmp_ge_f32_e32 vcc, 0, v13
	v_add_u32_e32 v13, 1, v18
	s_nop 0
	v_cndmask_b32_e32 v12, v18, v12, vcc
	v_cmp_gt_f32_e32 vcc, s11, v16
	v_fma_f32 v18, -v13, v18, v11
	v_cmp_lt_f32_e64 s[4:5], 0, v18
	v_cndmask_b32_e32 v0, 1.0, v0, vcc
	v_mul_f32_e32 v0, v16, v0
	v_log_f32_e32 v0, v0
	v_cndmask_b32_e64 v12, v12, v13, s[4:5]
	v_mul_f32_e32 v13, 0x37800000, v12
	v_cndmask_b32_e64 v12, v12, v13, s[2:3]
	v_mul_f32_e32 v13, 0x3f317217, v0
	v_fma_f32 v13, v0, s9, -v13
	v_fmac_f32_e32 v13, 0x3377d1cf, v0
	v_fmac_f32_e32 v13, 0x3f317217, v0
	v_cmp_lt_f32_e64 s[2:3], |v0|, s10
	v_cndmask_b32_e32 v3, 0, v3, vcc
	v_cmp_lt_f32_e32 vcc, s6, v9
	v_cndmask_b32_e64 v0, v0, v13, s[2:3]
	v_sub_f32_e32 v0, v0, v3
	v_cndmask_b32_e32 v0, v0, v9, vcc
	v_mul_f32_e32 v3, 0x4f800000, v0
	v_cmp_gt_f32_e32 vcc, s12, v0
	v_cmp_class_f32_e64 s[2:3], v11, v8
	s_cselect_b64 s[4:5], -1, 0
	v_cndmask_b32_e32 v0, v0, v3, vcc
	v_sqrt_f32_e32 v3, v0
	v_cndmask_b32_e64 v16, v12, v11, s[2:3]
	s_cmp_lt_i32 s33, 1
	scratch_store_dwordx4 off, v[14:17], off offset:44
	v_add_u32_e32 v9, -1, v3
	v_fma_f32 v11, -v9, v3, v0
	v_cmp_ge_f32_e64 s[2:3], 0, v11
	v_add_u32_e32 v11, 1, v3
	s_nop 0
	v_cndmask_b32_e64 v9, v3, v9, s[2:3]
	v_fma_f32 v3, -v11, v3, v0
	v_cmp_lt_f32_e64 s[2:3], 0, v3
	s_nop 1
	v_cndmask_b32_e64 v3, v9, v11, s[2:3]
	v_mul_f32_e32 v9, 0x37800000, v3
	v_cndmask_b32_e32 v3, v3, v9, vcc
	v_cmp_class_f32_e32 vcc, v0, v8
	s_nop 1
	v_cndmask_b32_e32 v0, v3, v0, vcc
	scratch_store_dword off, v0, off offset:60
	v_mul_lo_u32 v0, v2, s33
	s_cbranch_scc1 .LBB218_28
; %bb.2:
	s_load_dwordx2 s[6:7], s[0:1], 0x20
	s_cmp_lt_u32 s33, 4
	v_mul_lo_u32 v2, v2, s33
	s_cbranch_scc1 .LBB218_21
; %bb.3:
	s_mov_b32 s11, 0
	s_and_b32 s8, s33, 0x7ffffffc
	v_ashrrev_i32_e32 v3, 31, v2
	v_mov_b32_e32 v1, 0
	s_mov_b32 s10, s11
	s_branch .LBB218_5
.LBB218_4:                              ;   in Loop: Header=BB218_5 Depth=1
	s_or_b64 exec, exec, s[12:13]
	s_add_i32 s10, s10, 4
	s_cmp_eq_u32 s10, s8
	s_cbranch_scc1 .LBB218_21
.LBB218_5:                              ; =>This Loop Header: Depth=1
                                        ;     Child Loop BB218_7 Depth 2
                                        ;     Child Loop BB218_11 Depth 2
	;; [unrolled: 1-line block ×4, first 2 shown]
	v_lshl_add_u64 v[6:7], s[10:11], 2, v[4:5]
	global_load_dword v11, v[6:7], off
	v_add_u32_e32 v8, s10, v2
	v_ashrrev_i32_e32 v9, 31, v8
	s_waitcnt lgkmcnt(0)
	v_lshl_add_u64 v[8:9], v[8:9], 2, s[6:7]
	v_mov_b32_e32 v12, 0
	s_mov_b64 s[12:13], 0
	s_mov_b32 s9, 0
	s_mov_b32 s16, 0
	s_branch .LBB218_7
.LBB218_6:                              ;   in Loop: Header=BB218_7 Depth=2
	s_or_b64 exec, exec, s[14:15]
	s_add_i32 s17, s16, 1
	s_cmp_gt_u32 s16, 14
	s_cselect_b64 s[2:3], -1, 0
	s_xor_b64 s[14:15], vcc, -1
	s_or_b64 s[2:3], s[14:15], s[2:3]
	s_add_i32 s9, s9, 32
	s_and_b64 s[2:3], exec, s[2:3]
	v_add_u32_e32 v12, 4, v12
	s_or_b64 s[12:13], s[2:3], s[12:13]
	s_mov_b32 s16, s17
	s_andn2_b64 exec, exec, s[12:13]
	s_cbranch_execz .LBB218_9
.LBB218_7:                              ;   Parent Loop BB218_5 Depth=1
                                        ; =>  This Inner Loop Header: Depth=2
	s_and_b32 s2, s16, 7
	s_and_b32 s3, s9, 0x100
	s_or_b32 s2, s2, s3
	v_or_b32_e32 v13, s2, v10
	s_waitcnt vmcnt(0)
	v_cmp_ne_u32_e32 vcc, v11, v13
	v_cmp_eq_u32_e64 s[2:3], v11, v13
	s_and_saveexec_b64 s[14:15], s[2:3]
	s_cbranch_execz .LBB218_6
; %bb.8:                                ;   in Loop: Header=BB218_7 Depth=2
	scratch_load_dword v13, v12, off
	s_waitcnt vmcnt(0)
	v_add_f32_e32 v1, v1, v13
	global_store_dword v[8:9], v11, off
	s_branch .LBB218_6
.LBB218_9:                              ;   in Loop: Header=BB218_5 Depth=1
	s_or_b64 exec, exec, s[12:13]
	global_load_dword v11, v[6:7], off offset:4
	s_ashr_i32 s3, s10, 31
	s_mov_b32 s2, s10
	v_lshl_add_u64 v[8:9], s[2:3], 0, v[2:3]
	v_lshl_add_u64 v[8:9], v[8:9], 2, s[6:7]
	v_mov_b32_e32 v12, 0
	s_mov_b32 s9, 0
	s_mov_b64 s[12:13], 0
	s_mov_b32 s16, 0
	s_branch .LBB218_11
.LBB218_10:                             ;   in Loop: Header=BB218_11 Depth=2
	s_or_b64 exec, exec, s[14:15]
	s_add_i32 s17, s16, 1
	s_cmp_gt_u32 s16, 14
	s_cselect_b64 s[2:3], -1, 0
	s_xor_b64 s[14:15], vcc, -1
	s_or_b64 s[2:3], s[14:15], s[2:3]
	s_add_i32 s9, s9, 32
	s_and_b64 s[2:3], exec, s[2:3]
	v_add_u32_e32 v12, 4, v12
	s_or_b64 s[12:13], s[2:3], s[12:13]
	s_mov_b32 s16, s17
	s_andn2_b64 exec, exec, s[12:13]
	s_cbranch_execz .LBB218_13
.LBB218_11:                             ;   Parent Loop BB218_5 Depth=1
                                        ; =>  This Inner Loop Header: Depth=2
	s_and_b32 s2, s16, 7
	s_and_b32 s3, s9, 0x100
	s_or_b32 s2, s2, s3
	v_or_b32_e32 v13, s2, v10
	s_waitcnt vmcnt(0)
	v_cmp_ne_u32_e32 vcc, v11, v13
	v_cmp_eq_u32_e64 s[2:3], v11, v13
	s_and_saveexec_b64 s[14:15], s[2:3]
	s_cbranch_execz .LBB218_10
; %bb.12:                               ;   in Loop: Header=BB218_11 Depth=2
	scratch_load_dword v13, v12, off
	s_waitcnt vmcnt(0)
	v_add_f32_e32 v1, v1, v13
	global_store_dword v[8:9], v11, off offset:4
	s_branch .LBB218_10
.LBB218_13:                             ;   in Loop: Header=BB218_5 Depth=1
	s_or_b64 exec, exec, s[12:13]
	global_load_dword v11, v[6:7], off offset:8
	v_mov_b32_e32 v12, 0
	s_mov_b32 s9, 0
	s_mov_b64 s[12:13], 0
	s_mov_b32 s16, 0
	s_branch .LBB218_15
.LBB218_14:                             ;   in Loop: Header=BB218_15 Depth=2
	s_or_b64 exec, exec, s[14:15]
	s_add_i32 s17, s16, 1
	s_cmp_gt_u32 s16, 14
	s_cselect_b64 s[2:3], -1, 0
	s_xor_b64 s[14:15], vcc, -1
	s_or_b64 s[2:3], s[14:15], s[2:3]
	s_add_i32 s9, s9, 32
	s_and_b64 s[2:3], exec, s[2:3]
	v_add_u32_e32 v12, 4, v12
	s_or_b64 s[12:13], s[2:3], s[12:13]
	s_mov_b32 s16, s17
	s_andn2_b64 exec, exec, s[12:13]
	s_cbranch_execz .LBB218_17
.LBB218_15:                             ;   Parent Loop BB218_5 Depth=1
                                        ; =>  This Inner Loop Header: Depth=2
	s_and_b32 s2, s16, 7
	s_and_b32 s3, s9, 0x100
	s_or_b32 s2, s2, s3
	v_or_b32_e32 v13, s2, v10
	s_waitcnt vmcnt(0)
	v_cmp_ne_u32_e32 vcc, v11, v13
	v_cmp_eq_u32_e64 s[2:3], v11, v13
	s_and_saveexec_b64 s[14:15], s[2:3]
	s_cbranch_execz .LBB218_14
; %bb.16:                               ;   in Loop: Header=BB218_15 Depth=2
	scratch_load_dword v13, v12, off
	s_waitcnt vmcnt(0)
	v_add_f32_e32 v1, v1, v13
	global_store_dword v[8:9], v11, off offset:8
	s_branch .LBB218_14
.LBB218_17:                             ;   in Loop: Header=BB218_5 Depth=1
	s_or_b64 exec, exec, s[12:13]
	global_load_dword v6, v[6:7], off offset:12
	v_mov_b32_e32 v7, 0
	s_mov_b32 s9, 0
	s_mov_b64 s[12:13], 0
	s_mov_b32 s16, 0
	s_branch .LBB218_19
.LBB218_18:                             ;   in Loop: Header=BB218_19 Depth=2
	s_or_b64 exec, exec, s[14:15]
	s_add_i32 s17, s16, 1
	s_cmp_gt_u32 s16, 14
	s_cselect_b64 s[2:3], -1, 0
	s_xor_b64 s[14:15], vcc, -1
	s_or_b64 s[2:3], s[14:15], s[2:3]
	s_add_i32 s9, s9, 32
	s_and_b64 s[2:3], exec, s[2:3]
	v_add_u32_e32 v7, 4, v7
	s_or_b64 s[12:13], s[2:3], s[12:13]
	s_mov_b32 s16, s17
	s_andn2_b64 exec, exec, s[12:13]
	s_cbranch_execz .LBB218_4
.LBB218_19:                             ;   Parent Loop BB218_5 Depth=1
                                        ; =>  This Inner Loop Header: Depth=2
	s_and_b32 s2, s16, 7
	s_and_b32 s3, s9, 0x100
	s_or_b32 s2, s2, s3
	v_or_b32_e32 v11, s2, v10
	s_waitcnt vmcnt(0)
	v_cmp_ne_u32_e32 vcc, v6, v11
	v_cmp_eq_u32_e64 s[2:3], v6, v11
	s_and_saveexec_b64 s[14:15], s[2:3]
	s_cbranch_execz .LBB218_18
; %bb.20:                               ;   in Loop: Header=BB218_19 Depth=2
	scratch_load_dword v11, v7, off
	s_waitcnt vmcnt(0)
	v_add_f32_e32 v1, v1, v11
	global_store_dword v[8:9], v6, off offset:12
	s_branch .LBB218_18
.LBB218_21:
	s_and_b32 s14, s33, 3
	s_cmp_eq_u32 s14, 0
	s_mov_b32 s9, 0
	s_cbranch_scc1 .LBB218_28
; %bb.22:
	s_mov_b32 s15, s9
	s_branch .LBB218_24
.LBB218_23:                             ;   in Loop: Header=BB218_24 Depth=1
	s_or_b64 exec, exec, s[10:11]
	s_add_i32 s8, s8, 1
	s_add_i32 s15, s15, 1
	s_cmp_lg_u32 s15, s14
	s_cbranch_scc0 .LBB218_28
.LBB218_24:                             ; =>This Loop Header: Depth=1
                                        ;     Child Loop BB218_26 Depth 2
	v_lshl_add_u64 v[6:7], s[8:9], 2, v[4:5]
	global_load_dword v3, v[6:7], off
	v_add_u32_e32 v6, s8, v2
	v_ashrrev_i32_e32 v7, 31, v6
	s_waitcnt lgkmcnt(0)
	v_lshl_add_u64 v[6:7], v[6:7], 2, s[6:7]
	v_mov_b32_e32 v8, 0
	s_mov_b32 s16, 0
	s_mov_b64 s[10:11], 0
	s_mov_b32 s17, 0
	s_branch .LBB218_26
.LBB218_25:                             ;   in Loop: Header=BB218_26 Depth=2
	s_or_b64 exec, exec, s[12:13]
	s_add_i32 s18, s17, 1
	s_cmp_gt_u32 s17, 14
	s_cselect_b64 s[2:3], -1, 0
	s_xor_b64 s[12:13], vcc, -1
	s_or_b64 s[2:3], s[12:13], s[2:3]
	s_add_i32 s16, s16, 32
	s_and_b64 s[2:3], exec, s[2:3]
	v_add_u32_e32 v8, 4, v8
	s_or_b64 s[10:11], s[2:3], s[10:11]
	s_mov_b32 s17, s18
	s_andn2_b64 exec, exec, s[10:11]
	s_cbranch_execz .LBB218_23
.LBB218_26:                             ;   Parent Loop BB218_24 Depth=1
                                        ; =>  This Inner Loop Header: Depth=2
	s_and_b32 s2, s17, 7
	s_and_b32 s3, s16, 0x100
	s_or_b32 s2, s2, s3
	v_or_b32_e32 v9, s2, v10
	s_waitcnt vmcnt(0)
	v_cmp_ne_u32_e32 vcc, v3, v9
	v_cmp_eq_u32_e64 s[2:3], v3, v9
	s_and_saveexec_b64 s[12:13], s[2:3]
	s_cbranch_execz .LBB218_25
; %bb.27:                               ;   in Loop: Header=BB218_26 Depth=2
	scratch_load_dword v9, v8, off
	s_waitcnt vmcnt(0)
	v_add_f32_e32 v1, v1, v9
	global_store_dword v[6:7], v3, off
	s_branch .LBB218_25
.LBB218_28:
	s_waitcnt lgkmcnt(0)
	s_load_dword s6, s[0:1], 0x3c
	s_waitcnt lgkmcnt(0)
	s_bitcmp1_b32 s6, 0
	s_cselect_b64 s[2:3], -1, 0
	s_bitcmp0_b32 s6, 0
	s_cbranch_scc0 .LBB218_31
; %bb.29:
	s_load_dwordx2 s[6:7], s[0:1], 0x40
	s_andn2_b64 vcc, exec, s[2:3]
	s_waitcnt lgkmcnt(0)
	v_cvt_f32_f64_e32 v2, s[6:7]
	s_cbranch_vccz .LBB218_32
.LBB218_30:
	s_andn2_b64 vcc, exec, s[4:5]
	s_cbranch_vccz .LBB218_33
	s_branch .LBB218_67
.LBB218_31:
	v_mbcnt_lo_u32_b32 v2, -1, 0
	v_mbcnt_hi_u32_b32 v2, -1, v2
	v_and_b32_e32 v3, 0x60, v2
	v_add_u32_e32 v3, 32, v3
	v_xor_b32_e32 v6, 16, v2
	v_cmp_lt_i32_e32 vcc, v6, v3
	v_xor_b32_e32 v7, 8, v2
	s_nop 0
	v_cndmask_b32_e32 v6, v2, v6, vcc
	v_lshlrev_b32_e32 v6, 2, v6
	ds_bpermute_b32 v6, v6, v1
	v_cmp_lt_i32_e32 vcc, v7, v3
	s_waitcnt lgkmcnt(0)
	v_add_f32_e32 v1, v1, v6
	v_cndmask_b32_e32 v6, v2, v7, vcc
	v_lshlrev_b32_e32 v6, 2, v6
	ds_bpermute_b32 v6, v6, v1
	v_xor_b32_e32 v7, 4, v2
	v_cmp_lt_i32_e32 vcc, v7, v3
	s_waitcnt lgkmcnt(0)
	v_add_f32_e32 v1, v1, v6
	v_cndmask_b32_e32 v6, v2, v7, vcc
	v_lshlrev_b32_e32 v6, 2, v6
	ds_bpermute_b32 v6, v6, v1
	v_xor_b32_e32 v7, 2, v2
	;; [unrolled: 7-line block ×3, first 2 shown]
	v_cmp_lt_i32_e32 vcc, v7, v3
	s_waitcnt lgkmcnt(0)
	v_add_f32_e32 v1, v1, v6
	v_cndmask_b32_e32 v2, v2, v7, vcc
	v_lshlrev_b32_e32 v2, 2, v2
	ds_bpermute_b32 v2, v2, v1
	s_waitcnt lgkmcnt(0)
	v_add_f32_e32 v1, v1, v2
	s_load_dwordx2 s[6:7], s[0:1], 0x40
	s_andn2_b64 vcc, exec, s[2:3]
	s_waitcnt lgkmcnt(0)
	v_cvt_f32_f64_e32 v2, s[6:7]
	s_cbranch_vccnz .LBB218_30
.LBB218_32:
	v_cmp_lt_f32_e32 vcc, 0, v1
	s_nop 1
	v_cndmask_b32_e32 v1, 1.0, v1, vcc
	v_div_scale_f32 v3, s[2:3], v1, v1, v2
	v_rcp_f32_e32 v6, v3
	s_nop 0
	v_fma_f32 v7, -v3, v6, 1.0
	v_fmac_f32_e32 v6, v7, v6
	v_div_scale_f32 v7, vcc, v2, v1, v2
	v_mul_f32_e32 v8, v7, v6
	v_fma_f32 v9, -v3, v8, v7
	v_fmac_f32_e32 v8, v9, v6
	v_fma_f32 v3, -v3, v8, v7
	v_div_fmas_f32 v3, v3, v6, v8
	v_div_fixup_f32 v2, v3, v1, v2
	s_andn2_b64 vcc, exec, s[4:5]
	s_cbranch_vccnz .LBB218_67
.LBB218_33:
	s_load_dwordx2 s[28:29], s[0:1], 0x10
	v_mov_b32_e32 v1, 0
	v_or_b32_e32 v3, 4, v1
	v_or_b32_e32 v6, 8, v1
	;; [unrolled: 1-line block ×3, first 2 shown]
	v_add_u32_e32 v8, 16, v1
	v_add_u32_e32 v9, 20, v1
	v_add_u32_e32 v11, 24, v1
	v_add_u32_e32 v12, 28, v1
	v_add_u32_e32 v13, 32, v1
	v_add_u32_e32 v14, 36, v1
	v_add_u32_e32 v15, 40, v1
	v_add_u32_e32 v16, 44, v1
	v_add_u32_e32 v17, 48, v1
	v_add_u32_e32 v18, 52, v1
	v_add_u32_e32 v19, 56, v1
	v_add_u32_e32 v20, 60, v1
	v_or_b32_e32 v21, 1, v10
	v_or_b32_e32 v22, 2, v10
	;; [unrolled: 1-line block ×15, first 2 shown]
	s_branch .LBB218_35
.LBB218_34:                             ;   in Loop: Header=BB218_35 Depth=1
	s_or_b64 exec, exec, s[0:1]
	s_add_i32 s33, s33, -1
	v_add_u32_e32 v0, 1, v0
	s_cmp_eq_u32 s33, 0
	v_lshl_add_u64 v[4:5], v[4:5], 0, 4
	s_cbranch_scc1 .LBB218_67
.LBB218_35:                             ; =>This Inner Loop Header: Depth=1
	global_load_dword v36, v[4:5], off
	v_mov_b32_e32 v1, 0
	s_waitcnt vmcnt(0)
	v_cmp_eq_u32_e32 vcc, v36, v10
	v_cmp_ne_u32_e64 s[0:1], v36, v10
	s_and_saveexec_b64 s[30:31], s[0:1]
	s_cbranch_execz .LBB218_65
; %bb.36:                               ;   in Loop: Header=BB218_35 Depth=1
	v_cmp_eq_u32_e64 s[0:1], v36, v21
	v_cmp_ne_u32_e64 s[2:3], v36, v21
	v_mov_b32_e32 v1, v3
	s_and_saveexec_b64 s[34:35], s[2:3]
	s_cbranch_execz .LBB218_64
; %bb.37:                               ;   in Loop: Header=BB218_35 Depth=1
	v_cmp_eq_u32_e64 s[2:3], v36, v22
	v_cmp_ne_u32_e64 s[4:5], v36, v22
	v_mov_b32_e32 v1, v6
	;; [unrolled: 6-line block ×14, first 2 shown]
	s_and_saveexec_b64 s[62:63], s[26:27]
	s_xor_b64 s[62:63], exec, s[62:63]
; %bb.50:                               ;   in Loop: Header=BB218_35 Depth=1
	v_cmp_eq_u32_e64 s[26:27], v36, v35
	s_andn2_b64 s[60:61], s[60:61], exec
	s_and_b64 s[26:27], s[26:27], exec
	s_or_b64 s[60:61], s[60:61], s[26:27]
	v_mov_b32_e32 v1, v20
; %bb.51:                               ;   in Loop: Header=BB218_35 Depth=1
	s_or_b64 exec, exec, s[62:63]
	s_andn2_b64 s[24:25], s[24:25], exec
	s_and_b64 s[26:27], s[60:61], exec
	s_or_b64 s[24:25], s[24:25], s[26:27]
.LBB218_52:                             ;   in Loop: Header=BB218_35 Depth=1
	s_or_b64 exec, exec, s[58:59]
	s_andn2_b64 s[22:23], s[22:23], exec
	s_and_b64 s[24:25], s[24:25], exec
	s_or_b64 s[22:23], s[22:23], s[24:25]
.LBB218_53:                             ;   in Loop: Header=BB218_35 Depth=1
	s_or_b64 exec, exec, s[56:57]
	s_andn2_b64 s[20:21], s[20:21], exec
	s_and_b64 s[22:23], s[22:23], exec
	s_or_b64 s[20:21], s[20:21], s[22:23]
.LBB218_54:                             ;   in Loop: Header=BB218_35 Depth=1
	s_or_b64 exec, exec, s[54:55]
	s_andn2_b64 s[18:19], s[18:19], exec
	s_and_b64 s[20:21], s[20:21], exec
	s_or_b64 s[18:19], s[18:19], s[20:21]
.LBB218_55:                             ;   in Loop: Header=BB218_35 Depth=1
	s_or_b64 exec, exec, s[52:53]
	s_andn2_b64 s[16:17], s[16:17], exec
	s_and_b64 s[18:19], s[18:19], exec
	s_or_b64 s[16:17], s[16:17], s[18:19]
.LBB218_56:                             ;   in Loop: Header=BB218_35 Depth=1
	s_or_b64 exec, exec, s[50:51]
	s_andn2_b64 s[14:15], s[14:15], exec
	s_and_b64 s[16:17], s[16:17], exec
	s_or_b64 s[14:15], s[14:15], s[16:17]
.LBB218_57:                             ;   in Loop: Header=BB218_35 Depth=1
	s_or_b64 exec, exec, s[48:49]
	s_andn2_b64 s[12:13], s[12:13], exec
	s_and_b64 s[14:15], s[14:15], exec
	s_or_b64 s[12:13], s[12:13], s[14:15]
.LBB218_58:                             ;   in Loop: Header=BB218_35 Depth=1
	s_or_b64 exec, exec, s[46:47]
	s_andn2_b64 s[10:11], s[10:11], exec
	s_and_b64 s[12:13], s[12:13], exec
	s_or_b64 s[10:11], s[10:11], s[12:13]
.LBB218_59:                             ;   in Loop: Header=BB218_35 Depth=1
	s_or_b64 exec, exec, s[44:45]
	s_andn2_b64 s[8:9], s[8:9], exec
	s_and_b64 s[10:11], s[10:11], exec
	s_or_b64 s[8:9], s[8:9], s[10:11]
.LBB218_60:                             ;   in Loop: Header=BB218_35 Depth=1
	s_or_b64 exec, exec, s[42:43]
	s_andn2_b64 s[6:7], s[6:7], exec
	s_and_b64 s[8:9], s[8:9], exec
	s_or_b64 s[6:7], s[6:7], s[8:9]
.LBB218_61:                             ;   in Loop: Header=BB218_35 Depth=1
	s_or_b64 exec, exec, s[40:41]
	s_andn2_b64 s[4:5], s[4:5], exec
	s_and_b64 s[6:7], s[6:7], exec
	s_or_b64 s[4:5], s[4:5], s[6:7]
.LBB218_62:                             ;   in Loop: Header=BB218_35 Depth=1
	s_or_b64 exec, exec, s[38:39]
	s_andn2_b64 s[2:3], s[2:3], exec
	s_and_b64 s[4:5], s[4:5], exec
	s_or_b64 s[2:3], s[2:3], s[4:5]
.LBB218_63:                             ;   in Loop: Header=BB218_35 Depth=1
	s_or_b64 exec, exec, s[36:37]
	s_andn2_b64 s[0:1], s[0:1], exec
	s_and_b64 s[2:3], s[2:3], exec
	s_or_b64 s[0:1], s[0:1], s[2:3]
.LBB218_64:                             ;   in Loop: Header=BB218_35 Depth=1
	s_or_b64 exec, exec, s[34:35]
	s_andn2_b64 s[2:3], vcc, exec
	s_and_b64 s[0:1], s[0:1], exec
	s_or_b64 vcc, s[2:3], s[0:1]
.LBB218_65:                             ;   in Loop: Header=BB218_35 Depth=1
	s_or_b64 exec, exec, s[30:31]
	s_and_saveexec_b64 s[0:1], vcc
	s_cbranch_execz .LBB218_34
; %bb.66:                               ;   in Loop: Header=BB218_35 Depth=1
	scratch_load_dword v36, v1, off
	v_ashrrev_i32_e32 v1, 31, v0
	s_waitcnt vmcnt(0)
	v_mul_f32_e32 v38, v2, v36
	s_waitcnt lgkmcnt(0)
	v_lshl_add_u64 v[36:37], v[0:1], 2, s[28:29]
	global_store_dword v[36:37], v38, off
	s_branch .LBB218_34
.LBB218_67:
	s_endpgm
	.section	.rodata,"a",@progbits
	.p2align	6, 0x0
	.amdhsa_kernel _ZN4vllm3moe22topkGatingSoftplusSqrtILi16ELi512ELi4ELi16ELi32ELb1Ei6__halfEEvPKT6_PKbPfiPT5_PiiiibdPKfPKS9_SF_
		.amdhsa_group_segment_fixed_size 0
		.amdhsa_private_segment_fixed_size 80
		.amdhsa_kernarg_size 96
		.amdhsa_user_sgpr_count 2
		.amdhsa_user_sgpr_dispatch_ptr 0
		.amdhsa_user_sgpr_queue_ptr 0
		.amdhsa_user_sgpr_kernarg_segment_ptr 1
		.amdhsa_user_sgpr_dispatch_id 0
		.amdhsa_user_sgpr_kernarg_preload_length 0
		.amdhsa_user_sgpr_kernarg_preload_offset 0
		.amdhsa_user_sgpr_private_segment_size 0
		.amdhsa_uses_dynamic_stack 0
		.amdhsa_enable_private_segment 1
		.amdhsa_system_sgpr_workgroup_id_x 1
		.amdhsa_system_sgpr_workgroup_id_y 0
		.amdhsa_system_sgpr_workgroup_id_z 0
		.amdhsa_system_sgpr_workgroup_info 0
		.amdhsa_system_vgpr_workitem_id 1
		.amdhsa_next_free_vgpr 39
		.amdhsa_next_free_sgpr 64
		.amdhsa_accum_offset 40
		.amdhsa_reserve_vcc 1
		.amdhsa_float_round_mode_32 0
		.amdhsa_float_round_mode_16_64 0
		.amdhsa_float_denorm_mode_32 3
		.amdhsa_float_denorm_mode_16_64 3
		.amdhsa_dx10_clamp 1
		.amdhsa_ieee_mode 1
		.amdhsa_fp16_overflow 0
		.amdhsa_tg_split 0
		.amdhsa_exception_fp_ieee_invalid_op 0
		.amdhsa_exception_fp_denorm_src 0
		.amdhsa_exception_fp_ieee_div_zero 0
		.amdhsa_exception_fp_ieee_overflow 0
		.amdhsa_exception_fp_ieee_underflow 0
		.amdhsa_exception_fp_ieee_inexact 0
		.amdhsa_exception_int_div_zero 0
	.end_amdhsa_kernel
	.section	.text._ZN4vllm3moe22topkGatingSoftplusSqrtILi16ELi512ELi4ELi16ELi32ELb1Ei6__halfEEvPKT6_PKbPfiPT5_PiiiibdPKfPKS9_SF_,"axG",@progbits,_ZN4vllm3moe22topkGatingSoftplusSqrtILi16ELi512ELi4ELi16ELi32ELb1Ei6__halfEEvPKT6_PKbPfiPT5_PiiiibdPKfPKS9_SF_,comdat
.Lfunc_end218:
	.size	_ZN4vllm3moe22topkGatingSoftplusSqrtILi16ELi512ELi4ELi16ELi32ELb1Ei6__halfEEvPKT6_PKbPfiPT5_PiiiibdPKfPKS9_SF_, .Lfunc_end218-_ZN4vllm3moe22topkGatingSoftplusSqrtILi16ELi512ELi4ELi16ELi32ELb1Ei6__halfEEvPKT6_PKbPfiPT5_PiiiibdPKfPKS9_SF_
                                        ; -- End function
	.section	.AMDGPU.csdata,"",@progbits
; Kernel info:
; codeLenInByte = 6144
; NumSgprs: 70
; NumVgprs: 39
; NumAgprs: 0
; TotalNumVgprs: 39
; ScratchSize: 80
; MemoryBound: 0
; FloatMode: 240
; IeeeMode: 1
; LDSByteSize: 0 bytes/workgroup (compile time only)
; SGPRBlocks: 8
; VGPRBlocks: 4
; NumSGPRsForWavesPerEU: 70
; NumVGPRsForWavesPerEU: 39
; AccumOffset: 40
; Occupancy: 8
; WaveLimiterHint : 1
; COMPUTE_PGM_RSRC2:SCRATCH_EN: 1
; COMPUTE_PGM_RSRC2:USER_SGPR: 2
; COMPUTE_PGM_RSRC2:TRAP_HANDLER: 0
; COMPUTE_PGM_RSRC2:TGID_X_EN: 1
; COMPUTE_PGM_RSRC2:TGID_Y_EN: 0
; COMPUTE_PGM_RSRC2:TGID_Z_EN: 0
; COMPUTE_PGM_RSRC2:TIDIG_COMP_CNT: 1
; COMPUTE_PGM_RSRC3_GFX90A:ACCUM_OFFSET: 9
; COMPUTE_PGM_RSRC3_GFX90A:TG_SPLIT: 0
	.section	.text._ZN4vllm3moe22topkGatingSoftplusSqrtILi16ELi512ELi4ELi16ELi32ELb0Ei6__halfEEvPKT6_PKbPfiPT5_PiiiibdPKfPKS9_SF_,"axG",@progbits,_ZN4vllm3moe22topkGatingSoftplusSqrtILi16ELi512ELi4ELi16ELi32ELb0Ei6__halfEEvPKT6_PKbPfiPT5_PiiiibdPKfPKS9_SF_,comdat
	.protected	_ZN4vllm3moe22topkGatingSoftplusSqrtILi16ELi512ELi4ELi16ELi32ELb0Ei6__halfEEvPKT6_PKbPfiPT5_PiiiibdPKfPKS9_SF_ ; -- Begin function _ZN4vllm3moe22topkGatingSoftplusSqrtILi16ELi512ELi4ELi16ELi32ELb0Ei6__halfEEvPKT6_PKbPfiPT5_PiiiibdPKfPKS9_SF_
	.globl	_ZN4vllm3moe22topkGatingSoftplusSqrtILi16ELi512ELi4ELi16ELi32ELb0Ei6__halfEEvPKT6_PKbPfiPT5_PiiiibdPKfPKS9_SF_
	.p2align	8
	.type	_ZN4vllm3moe22topkGatingSoftplusSqrtILi16ELi512ELi4ELi16ELi32ELb0Ei6__halfEEvPKT6_PKbPfiPT5_PiiiibdPKfPKS9_SF_,@function
_ZN4vllm3moe22topkGatingSoftplusSqrtILi16ELi512ELi4ELi16ELi32ELb0Ei6__halfEEvPKT6_PKbPfiPT5_PiiiibdPKfPKS9_SF_: ; @_ZN4vllm3moe22topkGatingSoftplusSqrtILi16ELi512ELi4ELi16ELi32ELb0Ei6__halfEEvPKT6_PKbPfiPT5_PiiiibdPKfPKS9_SF_
; %bb.0:
	s_load_dword s33, s[0:1], 0x18
	v_and_b32_e32 v1, 0x3ff, v0
	s_lshl_b32 s2, s2, 2
	v_lshrrev_b32_e32 v2, 5, v1
	v_bfe_u32 v0, v0, 10, 10
	v_add3_u32 v16, s2, v0, v2
	s_waitcnt lgkmcnt(0)
	v_cmp_gt_i32_e32 vcc, s33, v16
	s_and_saveexec_b64 s[2:3], vcc
	s_cbranch_execz .LBB219_81
; %bb.1:
	s_load_dwordx4 s[4:7], s[0:1], 0x0
	s_load_dwordx2 s[38:39], s[0:1], 0x10
	s_waitcnt lgkmcnt(0)
	s_cmp_eq_u64 s[6:7], 0
	s_cbranch_scc1 .LBB219_3
; %bb.2:
	v_ashrrev_i32_e32 v17, 31, v16
	v_lshl_add_u64 v[2:3], s[6:7], 0, v[16:17]
	global_load_ubyte v0, v[2:3], off
	s_waitcnt vmcnt(0)
	v_and_b32_e32 v0, 1, v0
	v_cmp_eq_u32_e32 vcc, 1, v0
	s_xor_b64 s[2:3], vcc, -1
	s_orn2_b64 s[52:53], s[2:3], exec
	s_branch .LBB219_4
.LBB219_3:
	s_mov_b64 s[52:53], -1
.LBB219_4:
	v_lshlrev_b32_e32 v4, 9, v16
	v_mov_b32_e32 v2, s4
	v_mov_b32_e32 v3, s5
	v_ashrrev_i32_e32 v5, 31, v4
	v_and_b32_e32 v17, 31, v1
	v_lshl_add_u64 v[2:3], v[4:5], 1, v[2:3]
	v_mov_b32_e32 v1, 0
	v_lshlrev_b32_e32 v0, 4, v17
	v_lshl_add_u64 v[0:1], v[2:3], 0, v[0:1]
	global_load_dwordx4 v[4:7], v[0:1], off
	global_load_dwordx4 v[12:15], v[0:1], off offset:512
	s_mov_b32 s12, 0x800000
	v_mov_b32_e32 v2, 0x4f800000
	s_mov_b32 s9, 0x3f317217
	s_mov_b32 s10, 0x7f800000
	v_mov_b32_e32 v3, 0x41b17218
	s_movk_i32 s8, 0x4d00
	s_mov_b32 s11, 0xf800000
	s_load_dwordx4 s[40:43], s[0:1], 0x40
	v_lshlrev_b32_e32 v20, 3, v17
	v_lshlrev_b32_e32 v18, 2, v20
	s_waitcnt lgkmcnt(0)
	s_cmp_lg_u64 s[42:43], 0
	s_cselect_b64 s[6:7], -1, 0
	s_and_b64 s[2:3], exec, s[6:7]
	s_waitcnt vmcnt(1)
	v_cvt_f32_f16_e32 v0, v4
	v_mul_f32_e32 v1, 0x3fb8aa3b, v0
	v_exp_f32_e32 v8, v1
	v_mov_b32_e32 v1, 0x260
	v_add_f32_e32 v8, 1.0, v8
	v_cmp_gt_f32_e32 vcc, s12, v8
	s_nop 1
	v_cndmask_b32_e32 v9, 1.0, v2, vcc
	v_mul_f32_e32 v8, v8, v9
	v_log_f32_e32 v8, v8
	v_cndmask_b32_e32 v9, 0, v3, vcc
	v_mul_f32_e32 v10, 0x3f317217, v8
	v_fma_f32 v10, v8, s9, -v10
	v_fmac_f32_e32 v10, 0x3377d1cf, v8
	v_fmac_f32_e32 v10, 0x3f317217, v8
	v_cmp_lt_f32_e64 vcc, |v8|, s10
	s_nop 1
	v_cndmask_b32_e32 v8, v8, v10, vcc
	v_sub_f32_e32 v8, v8, v9
	v_cmp_lt_f16_e32 vcc, s8, v4
	s_nop 1
	v_cndmask_b32_e32 v0, v8, v0, vcc
	v_mul_f32_e32 v8, 0x4f800000, v0
	v_cmp_gt_f32_e32 vcc, s11, v0
	s_nop 1
	v_cndmask_b32_e32 v0, v0, v8, vcc
	v_sqrt_f32_e32 v8, v0
	s_nop 0
	v_add_u32_e32 v9, -1, v8
	v_add_u32_e32 v10, 1, v8
	v_fma_f32 v11, -v9, v8, v0
	v_fma_f32 v19, -v10, v8, v0
	v_cmp_ge_f32_e64 s[4:5], 0, v11
	s_nop 1
	v_cndmask_b32_e64 v8, v8, v9, s[4:5]
	v_cmp_lt_f32_e64 s[4:5], 0, v19
	s_nop 1
	v_cndmask_b32_e64 v8, v8, v10, s[4:5]
	v_mul_f32_e32 v9, 0x37800000, v8
	v_cndmask_b32_e32 v8, v8, v9, vcc
	v_cmp_class_f32_e32 vcc, v0, v1
	s_nop 1
	v_cndmask_b32_e32 v0, v8, v0, vcc
	s_mov_b64 vcc, s[2:3]
	s_cbranch_vccz .LBB219_6
; %bb.5:
	global_load_dword v8, v18, s[42:43]
	s_waitcnt vmcnt(0)
	v_add_f32_e32 v0, v0, v8
.LBB219_6:
	v_cvt_f32_f16_sdwa v8, v4 dst_sel:DWORD dst_unused:UNUSED_PAD src0_sel:WORD_1
	v_mul_f32_e32 v9, 0x3fb8aa3b, v8
	v_exp_f32_e32 v9, v9
	s_nop 0
	v_add_f32_e32 v9, 1.0, v9
	v_cmp_gt_f32_e32 vcc, s12, v9
	s_nop 1
	v_cndmask_b32_e32 v2, 1.0, v2, vcc
	v_mul_f32_e32 v2, v9, v2
	v_log_f32_e32 v2, v2
	v_cndmask_b32_e32 v3, 0, v3, vcc
	v_mul_f32_e32 v9, 0x3f317217, v2
	v_fma_f32 v9, v2, s9, -v9
	v_fmac_f32_e32 v9, 0x3377d1cf, v2
	v_fmac_f32_e32 v9, 0x3f317217, v2
	v_cmp_lt_f32_e64 vcc, |v2|, s10
	s_nop 1
	v_cndmask_b32_e32 v2, v2, v9, vcc
	v_sub_f32_e32 v2, v2, v3
	v_cmp_gt_f16_sdwa vcc, v4, s8 src0_sel:WORD_1 src1_sel:DWORD
	v_cndmask_b32_e64 v4, 0, 1, s[6:7]
	v_cmp_ne_u32_e64 s[2:3], 1, v4
	v_cndmask_b32_e32 v2, v2, v8, vcc
	v_mul_f32_e32 v3, 0x4f800000, v2
	v_cmp_gt_f32_e64 s[4:5], s11, v2
	s_andn2_b64 vcc, exec, s[6:7]
	s_nop 0
	v_cndmask_b32_e64 v2, v2, v3, s[4:5]
	v_sqrt_f32_e32 v3, v2
	s_nop 0
	v_add_u32_e32 v4, -1, v3
	v_add_u32_e32 v8, 1, v3
	v_fma_f32 v9, -v4, v3, v2
	v_fma_f32 v10, -v8, v3, v2
	v_cmp_ge_f32_e64 s[6:7], 0, v9
	s_nop 1
	v_cndmask_b32_e64 v3, v3, v4, s[6:7]
	v_cmp_lt_f32_e64 s[6:7], 0, v10
	s_nop 1
	v_cndmask_b32_e64 v3, v3, v8, s[6:7]
	v_mul_f32_e32 v4, 0x37800000, v3
	v_cndmask_b32_e64 v3, v3, v4, s[4:5]
	v_cmp_class_f32_e64 s[4:5], v2, v1
	s_nop 1
	v_cndmask_b32_e64 v1, v3, v2, s[4:5]
	s_cbranch_vccnz .LBB219_8
; %bb.7:
	global_load_dword v2, v18, s[42:43] offset:4
	s_waitcnt vmcnt(0)
	v_add_f32_e32 v1, v1, v2
.LBB219_8:
	v_cvt_f32_f16_e32 v2, v5
	s_mov_b32 s8, 0x800000
	v_mov_b32_e32 v4, 0x4f800000
	s_mov_b32 s7, 0x3f317217
	v_mul_f32_e32 v3, 0x3fb8aa3b, v2
	v_exp_f32_e32 v3, v3
	s_mov_b32 s9, 0x7f800000
	s_movk_i32 s6, 0x4d00
	s_mov_b32 s10, 0xf800000
	v_add_f32_e32 v3, 1.0, v3
	v_cmp_gt_f32_e32 vcc, s8, v3
	s_nop 1
	v_cndmask_b32_e32 v8, 1.0, v4, vcc
	v_mul_f32_e32 v3, v3, v8
	v_log_f32_e32 v3, v3
	v_mov_b32_e32 v8, 0x41b17218
	v_cndmask_b32_e32 v9, 0, v8, vcc
	v_mul_f32_e32 v10, 0x3f317217, v3
	v_fma_f32 v10, v3, s7, -v10
	v_fmac_f32_e32 v10, 0x3377d1cf, v3
	v_fmac_f32_e32 v10, 0x3f317217, v3
	v_cmp_lt_f32_e64 vcc, |v3|, s9
	s_nop 1
	v_cndmask_b32_e32 v3, v3, v10, vcc
	v_sub_f32_e32 v3, v3, v9
	v_cmp_lt_f16_e32 vcc, s6, v5
	s_nop 1
	v_cndmask_b32_e32 v2, v3, v2, vcc
	v_mul_f32_e32 v3, 0x4f800000, v2
	v_cmp_gt_f32_e32 vcc, s10, v2
	s_nop 1
	v_cndmask_b32_e32 v2, v2, v3, vcc
	v_sqrt_f32_e32 v3, v2
	s_nop 0
	v_add_u32_e32 v9, -1, v3
	v_fma_f32 v10, -v9, v3, v2
	v_cmp_ge_f32_e64 s[4:5], 0, v10
	v_add_u32_e32 v10, 1, v3
	s_nop 0
	v_cndmask_b32_e64 v9, v3, v9, s[4:5]
	v_fma_f32 v3, -v10, v3, v2
	v_cmp_lt_f32_e64 s[4:5], 0, v3
	s_nop 1
	v_cndmask_b32_e64 v3, v9, v10, s[4:5]
	v_mul_f32_e32 v9, 0x37800000, v3
	v_cndmask_b32_e32 v9, v3, v9, vcc
	v_mov_b32_e32 v3, 0x260
	v_cmp_class_f32_e64 s[4:5], v2, v3
	s_and_b64 vcc, exec, s[2:3]
	s_nop 0
	v_cndmask_b32_e64 v2, v9, v2, s[4:5]
	s_cbranch_vccnz .LBB219_10
; %bb.9:
	global_load_dword v9, v18, s[42:43] offset:8
	s_waitcnt vmcnt(0)
	v_add_f32_e32 v2, v2, v9
.LBB219_10:
	v_cvt_f32_f16_sdwa v9, v5 dst_sel:DWORD dst_unused:UNUSED_PAD src0_sel:WORD_1
	v_mul_f32_e32 v10, 0x3fb8aa3b, v9
	v_exp_f32_e32 v10, v10
	s_nop 0
	v_add_f32_e32 v10, 1.0, v10
	v_cmp_gt_f32_e32 vcc, s8, v10
	s_nop 1
	v_cndmask_b32_e32 v4, 1.0, v4, vcc
	v_mul_f32_e32 v4, v10, v4
	v_log_f32_e32 v4, v4
	v_cndmask_b32_e32 v8, 0, v8, vcc
	v_mul_f32_e32 v10, 0x3f317217, v4
	v_fma_f32 v10, v4, s7, -v10
	v_fmac_f32_e32 v10, 0x3377d1cf, v4
	v_fmac_f32_e32 v10, 0x3f317217, v4
	v_cmp_lt_f32_e64 vcc, |v4|, s9
	s_nop 1
	v_cndmask_b32_e32 v4, v4, v10, vcc
	v_sub_f32_e32 v4, v4, v8
	v_cmp_gt_f16_sdwa vcc, v5, s6 src0_sel:WORD_1 src1_sel:DWORD
	s_nop 1
	v_cndmask_b32_e32 v4, v4, v9, vcc
	v_mul_f32_e32 v5, 0x4f800000, v4
	v_cmp_gt_f32_e64 s[4:5], s10, v4
	s_and_b64 vcc, exec, s[2:3]
	s_nop 0
	v_cndmask_b32_e64 v4, v4, v5, s[4:5]
	v_sqrt_f32_e32 v5, v4
	s_nop 0
	v_add_u32_e32 v8, -1, v5
	v_add_u32_e32 v9, 1, v5
	v_fma_f32 v10, -v8, v5, v4
	v_fma_f32 v11, -v9, v5, v4
	v_cmp_ge_f32_e64 s[6:7], 0, v10
	s_nop 1
	v_cndmask_b32_e64 v5, v5, v8, s[6:7]
	v_cmp_lt_f32_e64 s[6:7], 0, v11
	s_nop 1
	v_cndmask_b32_e64 v5, v5, v9, s[6:7]
	v_mul_f32_e32 v8, 0x37800000, v5
	v_cndmask_b32_e64 v5, v5, v8, s[4:5]
	v_cmp_class_f32_e64 s[4:5], v4, v3
	s_nop 1
	v_cndmask_b32_e64 v3, v5, v4, s[4:5]
	s_cbranch_vccnz .LBB219_12
; %bb.11:
	global_load_dword v4, v18, s[42:43] offset:12
	s_waitcnt vmcnt(0)
	v_add_f32_e32 v3, v3, v4
.LBB219_12:
	v_cvt_f32_f16_e32 v4, v6
	v_mov_b32_e32 v8, 0x4f800000
	s_mov_b32 s7, 0x3f317217
	s_movk_i32 s6, 0x4d00
	v_mul_f32_e32 v5, 0x3fb8aa3b, v4
	v_exp_f32_e32 v5, v5
	s_nop 0
	v_add_f32_e32 v5, 1.0, v5
	v_cmp_gt_f32_e32 vcc, s8, v5
	s_nop 1
	v_cndmask_b32_e32 v9, 1.0, v8, vcc
	v_mul_f32_e32 v5, v5, v9
	v_log_f32_e32 v5, v5
	v_mov_b32_e32 v9, 0x41b17218
	v_cndmask_b32_e32 v10, 0, v9, vcc
	v_mul_f32_e32 v11, 0x3f317217, v5
	v_fma_f32 v11, v5, s7, -v11
	v_fmac_f32_e32 v11, 0x3377d1cf, v5
	v_fmac_f32_e32 v11, 0x3f317217, v5
	v_cmp_lt_f32_e64 vcc, |v5|, s9
	s_nop 1
	v_cndmask_b32_e32 v5, v5, v11, vcc
	v_sub_f32_e32 v5, v5, v10
	v_cmp_lt_f16_e32 vcc, s6, v6
	s_nop 1
	v_cndmask_b32_e32 v4, v5, v4, vcc
	v_mul_f32_e32 v5, 0x4f800000, v4
	v_cmp_gt_f32_e32 vcc, s10, v4
	s_nop 1
	v_cndmask_b32_e32 v4, v4, v5, vcc
	v_sqrt_f32_e32 v5, v4
	s_nop 0
	v_add_u32_e32 v10, -1, v5
	v_fma_f32 v11, -v10, v5, v4
	v_cmp_ge_f32_e64 s[4:5], 0, v11
	v_add_u32_e32 v11, 1, v5
	s_nop 0
	v_cndmask_b32_e64 v10, v5, v10, s[4:5]
	v_fma_f32 v5, -v11, v5, v4
	v_cmp_lt_f32_e64 s[4:5], 0, v5
	s_nop 1
	v_cndmask_b32_e64 v5, v10, v11, s[4:5]
	v_mul_f32_e32 v10, 0x37800000, v5
	v_cndmask_b32_e32 v10, v5, v10, vcc
	v_mov_b32_e32 v5, 0x260
	v_cmp_class_f32_e64 s[4:5], v4, v5
	s_and_b64 vcc, exec, s[2:3]
	s_nop 0
	v_cndmask_b32_e64 v4, v10, v4, s[4:5]
	s_cbranch_vccnz .LBB219_14
; %bb.13:
	global_load_dword v10, v18, s[42:43] offset:16
	s_waitcnt vmcnt(0)
	v_add_f32_e32 v4, v4, v10
.LBB219_14:
	v_cvt_f32_f16_sdwa v10, v6 dst_sel:DWORD dst_unused:UNUSED_PAD src0_sel:WORD_1
	v_mul_f32_e32 v11, 0x3fb8aa3b, v10
	v_exp_f32_e32 v11, v11
	s_nop 0
	v_add_f32_e32 v11, 1.0, v11
	v_cmp_gt_f32_e32 vcc, s8, v11
	s_nop 1
	v_cndmask_b32_e32 v8, 1.0, v8, vcc
	v_mul_f32_e32 v8, v11, v8
	v_log_f32_e32 v8, v8
	v_cndmask_b32_e32 v9, 0, v9, vcc
	v_mul_f32_e32 v11, 0x3f317217, v8
	v_fma_f32 v11, v8, s7, -v11
	v_fmac_f32_e32 v11, 0x3377d1cf, v8
	v_fmac_f32_e32 v11, 0x3f317217, v8
	v_cmp_lt_f32_e64 vcc, |v8|, s9
	s_nop 1
	v_cndmask_b32_e32 v8, v8, v11, vcc
	v_sub_f32_e32 v8, v8, v9
	v_cmp_gt_f16_sdwa vcc, v6, s6 src0_sel:WORD_1 src1_sel:DWORD
	s_nop 1
	v_cndmask_b32_e32 v6, v8, v10, vcc
	v_mul_f32_e32 v8, 0x4f800000, v6
	v_cmp_gt_f32_e64 s[4:5], s10, v6
	s_and_b64 vcc, exec, s[2:3]
	s_nop 0
	v_cndmask_b32_e64 v6, v6, v8, s[4:5]
	v_sqrt_f32_e32 v8, v6
	s_nop 0
	v_add_u32_e32 v9, -1, v8
	v_add_u32_e32 v10, 1, v8
	v_fma_f32 v11, -v9, v8, v6
	v_fma_f32 v19, -v10, v8, v6
	v_cmp_ge_f32_e64 s[6:7], 0, v11
	s_nop 1
	v_cndmask_b32_e64 v8, v8, v9, s[6:7]
	v_cmp_lt_f32_e64 s[6:7], 0, v19
	s_nop 1
	v_cndmask_b32_e64 v8, v8, v10, s[6:7]
	v_mul_f32_e32 v9, 0x37800000, v8
	v_cndmask_b32_e64 v8, v8, v9, s[4:5]
	v_cmp_class_f32_e64 s[4:5], v6, v5
	s_nop 1
	v_cndmask_b32_e64 v5, v8, v6, s[4:5]
	s_cbranch_vccnz .LBB219_16
; %bb.15:
	global_load_dword v6, v18, s[42:43] offset:20
	s_waitcnt vmcnt(0)
	v_add_f32_e32 v5, v5, v6
.LBB219_16:
	v_cvt_f32_f16_e32 v6, v7
	v_mov_b32_e32 v9, 0x4f800000
	s_mov_b32 s7, 0x3f317217
	s_movk_i32 s6, 0x4d00
	v_mul_f32_e32 v8, 0x3fb8aa3b, v6
	v_exp_f32_e32 v8, v8
	s_nop 0
	v_add_f32_e32 v8, 1.0, v8
	v_cmp_gt_f32_e32 vcc, s8, v8
	s_nop 1
	v_cndmask_b32_e32 v10, 1.0, v9, vcc
	v_mul_f32_e32 v8, v8, v10
	v_log_f32_e32 v8, v8
	v_mov_b32_e32 v10, 0x41b17218
	v_cndmask_b32_e32 v11, 0, v10, vcc
	v_mul_f32_e32 v19, 0x3f317217, v8
	v_fma_f32 v19, v8, s7, -v19
	v_fmac_f32_e32 v19, 0x3377d1cf, v8
	v_fmac_f32_e32 v19, 0x3f317217, v8
	v_cmp_lt_f32_e64 vcc, |v8|, s9
	s_nop 1
	v_cndmask_b32_e32 v8, v8, v19, vcc
	v_sub_f32_e32 v8, v8, v11
	v_cmp_lt_f16_e32 vcc, s6, v7
	s_nop 1
	v_cndmask_b32_e32 v6, v8, v6, vcc
	v_mul_f32_e32 v8, 0x4f800000, v6
	v_cmp_gt_f32_e32 vcc, s10, v6
	s_nop 1
	v_cndmask_b32_e32 v6, v6, v8, vcc
	v_sqrt_f32_e32 v8, v6
	s_nop 0
	v_add_u32_e32 v11, -1, v8
	v_fma_f32 v19, -v11, v8, v6
	v_cmp_ge_f32_e64 s[4:5], 0, v19
	v_add_u32_e32 v19, 1, v8
	s_nop 0
	v_cndmask_b32_e64 v11, v8, v11, s[4:5]
	v_fma_f32 v8, -v19, v8, v6
	v_cmp_lt_f32_e64 s[4:5], 0, v8
	s_nop 1
	v_cndmask_b32_e64 v8, v11, v19, s[4:5]
	v_mul_f32_e32 v11, 0x37800000, v8
	v_cndmask_b32_e32 v11, v8, v11, vcc
	v_mov_b32_e32 v8, 0x260
	v_cmp_class_f32_e64 s[4:5], v6, v8
	s_and_b64 vcc, exec, s[2:3]
	s_nop 0
	v_cndmask_b32_e64 v6, v11, v6, s[4:5]
	s_cbranch_vccnz .LBB219_18
; %bb.17:
	global_load_dword v11, v18, s[42:43] offset:24
	s_waitcnt vmcnt(0)
	v_add_f32_e32 v6, v6, v11
.LBB219_18:
	v_cvt_f32_f16_sdwa v11, v7 dst_sel:DWORD dst_unused:UNUSED_PAD src0_sel:WORD_1
	v_mul_f32_e32 v19, 0x3fb8aa3b, v11
	v_exp_f32_e32 v19, v19
	s_nop 0
	v_add_f32_e32 v19, 1.0, v19
	v_cmp_gt_f32_e32 vcc, s8, v19
	s_nop 1
	v_cndmask_b32_e32 v9, 1.0, v9, vcc
	v_mul_f32_e32 v9, v19, v9
	v_log_f32_e32 v9, v9
	v_cndmask_b32_e32 v10, 0, v10, vcc
	v_mul_f32_e32 v19, 0x3f317217, v9
	v_fma_f32 v19, v9, s7, -v19
	v_fmac_f32_e32 v19, 0x3377d1cf, v9
	v_fmac_f32_e32 v19, 0x3f317217, v9
	v_cmp_lt_f32_e64 vcc, |v9|, s9
	s_nop 1
	v_cndmask_b32_e32 v9, v9, v19, vcc
	v_sub_f32_e32 v9, v9, v10
	v_cmp_gt_f16_sdwa vcc, v7, s6 src0_sel:WORD_1 src1_sel:DWORD
	s_nop 1
	v_cndmask_b32_e32 v7, v9, v11, vcc
	v_mul_f32_e32 v9, 0x4f800000, v7
	v_cmp_gt_f32_e64 s[4:5], s10, v7
	s_and_b64 vcc, exec, s[2:3]
	s_nop 0
	v_cndmask_b32_e64 v7, v7, v9, s[4:5]
	v_sqrt_f32_e32 v9, v7
	s_nop 0
	v_add_u32_e32 v10, -1, v9
	v_add_u32_e32 v11, 1, v9
	v_fma_f32 v19, -v10, v9, v7
	v_fma_f32 v21, -v11, v9, v7
	v_cmp_ge_f32_e64 s[6:7], 0, v19
	s_nop 1
	v_cndmask_b32_e64 v9, v9, v10, s[6:7]
	v_cmp_lt_f32_e64 s[6:7], 0, v21
	s_nop 1
	v_cndmask_b32_e64 v9, v9, v11, s[6:7]
	v_mul_f32_e32 v10, 0x37800000, v9
	v_cndmask_b32_e64 v9, v9, v10, s[4:5]
	v_cmp_class_f32_e64 s[4:5], v7, v8
	s_nop 1
	v_cndmask_b32_e64 v7, v9, v7, s[4:5]
	s_cbranch_vccnz .LBB219_20
; %bb.19:
	global_load_dword v8, v18, s[42:43] offset:28
	s_waitcnt vmcnt(0)
	v_add_f32_e32 v7, v7, v8
.LBB219_20:
	s_waitcnt vmcnt(0)
	v_cvt_f32_f16_e32 v8, v12
	v_mov_b32_e32 v10, 0x4f800000
	s_mov_b32 s7, 0x3f317217
	s_movk_i32 s6, 0x4d00
	v_mul_f32_e32 v9, 0x3fb8aa3b, v8
	v_exp_f32_e32 v9, v9
	s_nop 0
	v_add_f32_e32 v9, 1.0, v9
	v_cmp_gt_f32_e32 vcc, s8, v9
	s_nop 1
	v_cndmask_b32_e32 v11, 1.0, v10, vcc
	v_mul_f32_e32 v9, v9, v11
	v_log_f32_e32 v9, v9
	v_mov_b32_e32 v11, 0x41b17218
	v_cndmask_b32_e32 v19, 0, v11, vcc
	v_mul_f32_e32 v21, 0x3f317217, v9
	v_fma_f32 v21, v9, s7, -v21
	v_fmac_f32_e32 v21, 0x3377d1cf, v9
	v_fmac_f32_e32 v21, 0x3f317217, v9
	v_cmp_lt_f32_e64 vcc, |v9|, s9
	s_nop 1
	v_cndmask_b32_e32 v9, v9, v21, vcc
	v_sub_f32_e32 v9, v9, v19
	v_cmp_lt_f16_e32 vcc, s6, v12
	s_nop 1
	v_cndmask_b32_e32 v8, v9, v8, vcc
	v_mul_f32_e32 v9, 0x4f800000, v8
	v_cmp_gt_f32_e32 vcc, s10, v8
	s_nop 1
	v_cndmask_b32_e32 v8, v8, v9, vcc
	v_sqrt_f32_e32 v9, v8
	s_nop 0
	v_add_u32_e32 v19, -1, v9
	v_fma_f32 v21, -v19, v9, v8
	v_cmp_ge_f32_e64 s[4:5], 0, v21
	v_add_u32_e32 v21, 1, v9
	s_nop 0
	v_cndmask_b32_e64 v19, v9, v19, s[4:5]
	v_fma_f32 v9, -v21, v9, v8
	v_cmp_lt_f32_e64 s[4:5], 0, v9
	s_nop 1
	v_cndmask_b32_e64 v9, v19, v21, s[4:5]
	v_mul_f32_e32 v19, 0x37800000, v9
	v_cndmask_b32_e32 v19, v9, v19, vcc
	v_mov_b32_e32 v9, 0x260
	v_cmp_class_f32_e64 s[4:5], v8, v9
	s_and_b64 vcc, exec, s[2:3]
	s_nop 0
	v_cndmask_b32_e64 v8, v19, v8, s[4:5]
	s_cbranch_vccnz .LBB219_22
; %bb.21:
	global_load_dword v19, v18, s[42:43] offset:1024
	s_waitcnt vmcnt(0)
	v_add_f32_e32 v8, v8, v19
.LBB219_22:
	v_cvt_f32_f16_sdwa v19, v12 dst_sel:DWORD dst_unused:UNUSED_PAD src0_sel:WORD_1
	v_mul_f32_e32 v21, 0x3fb8aa3b, v19
	v_exp_f32_e32 v21, v21
	s_nop 0
	v_add_f32_e32 v21, 1.0, v21
	v_cmp_gt_f32_e32 vcc, s8, v21
	s_nop 1
	v_cndmask_b32_e32 v10, 1.0, v10, vcc
	v_mul_f32_e32 v10, v21, v10
	v_log_f32_e32 v10, v10
	v_cndmask_b32_e32 v11, 0, v11, vcc
	v_mul_f32_e32 v21, 0x3f317217, v10
	v_fma_f32 v21, v10, s7, -v21
	v_fmac_f32_e32 v21, 0x3377d1cf, v10
	v_fmac_f32_e32 v21, 0x3f317217, v10
	v_cmp_lt_f32_e64 vcc, |v10|, s9
	s_nop 1
	v_cndmask_b32_e32 v10, v10, v21, vcc
	v_sub_f32_e32 v10, v10, v11
	v_cmp_gt_f16_sdwa vcc, v12, s6 src0_sel:WORD_1 src1_sel:DWORD
	s_nop 1
	v_cndmask_b32_e32 v10, v10, v19, vcc
	v_mul_f32_e32 v11, 0x4f800000, v10
	v_cmp_gt_f32_e64 s[4:5], s10, v10
	s_and_b64 vcc, exec, s[2:3]
	s_nop 0
	v_cndmask_b32_e64 v10, v10, v11, s[4:5]
	v_sqrt_f32_e32 v11, v10
	s_nop 0
	v_add_u32_e32 v12, -1, v11
	v_add_u32_e32 v19, 1, v11
	v_fma_f32 v21, -v12, v11, v10
	v_fma_f32 v22, -v19, v11, v10
	v_cmp_ge_f32_e64 s[6:7], 0, v21
	s_nop 1
	v_cndmask_b32_e64 v11, v11, v12, s[6:7]
	v_cmp_lt_f32_e64 s[6:7], 0, v22
	s_nop 1
	v_cndmask_b32_e64 v11, v11, v19, s[6:7]
	v_mul_f32_e32 v12, 0x37800000, v11
	v_cndmask_b32_e64 v11, v11, v12, s[4:5]
	v_cmp_class_f32_e64 s[4:5], v10, v9
	s_nop 1
	v_cndmask_b32_e64 v9, v11, v10, s[4:5]
	s_cbranch_vccnz .LBB219_24
; %bb.23:
	global_load_dword v10, v18, s[42:43] offset:1028
	s_waitcnt vmcnt(0)
	v_add_f32_e32 v9, v9, v10
.LBB219_24:
	v_cvt_f32_f16_e32 v10, v13
	v_mov_b32_e32 v12, 0x4f800000
	s_mov_b32 s7, 0x3f317217
	s_movk_i32 s6, 0x4d00
	v_mul_f32_e32 v11, 0x3fb8aa3b, v10
	v_exp_f32_e32 v11, v11
	s_nop 0
	v_add_f32_e32 v11, 1.0, v11
	v_cmp_gt_f32_e32 vcc, s8, v11
	s_nop 1
	v_cndmask_b32_e32 v19, 1.0, v12, vcc
	v_mul_f32_e32 v11, v11, v19
	v_log_f32_e32 v11, v11
	v_mov_b32_e32 v19, 0x41b17218
	v_cndmask_b32_e32 v21, 0, v19, vcc
	v_mul_f32_e32 v22, 0x3f317217, v11
	v_fma_f32 v22, v11, s7, -v22
	v_fmac_f32_e32 v22, 0x3377d1cf, v11
	v_fmac_f32_e32 v22, 0x3f317217, v11
	v_cmp_lt_f32_e64 vcc, |v11|, s9
	s_nop 1
	v_cndmask_b32_e32 v11, v11, v22, vcc
	v_sub_f32_e32 v11, v11, v21
	v_cmp_lt_f16_e32 vcc, s6, v13
	s_nop 1
	v_cndmask_b32_e32 v10, v11, v10, vcc
	v_mul_f32_e32 v11, 0x4f800000, v10
	v_cmp_gt_f32_e32 vcc, s10, v10
	s_nop 1
	v_cndmask_b32_e32 v10, v10, v11, vcc
	v_sqrt_f32_e32 v11, v10
	s_nop 0
	v_add_u32_e32 v21, -1, v11
	v_fma_f32 v22, -v21, v11, v10
	v_cmp_ge_f32_e64 s[4:5], 0, v22
	v_add_u32_e32 v22, 1, v11
	s_nop 0
	v_cndmask_b32_e64 v21, v11, v21, s[4:5]
	v_fma_f32 v11, -v22, v11, v10
	v_cmp_lt_f32_e64 s[4:5], 0, v11
	s_nop 1
	v_cndmask_b32_e64 v11, v21, v22, s[4:5]
	v_mul_f32_e32 v21, 0x37800000, v11
	v_cndmask_b32_e32 v21, v11, v21, vcc
	v_mov_b32_e32 v11, 0x260
	v_cmp_class_f32_e64 s[4:5], v10, v11
	s_and_b64 vcc, exec, s[2:3]
	s_nop 0
	v_cndmask_b32_e64 v10, v21, v10, s[4:5]
	s_cbranch_vccnz .LBB219_26
; %bb.25:
	global_load_dword v21, v18, s[42:43] offset:1032
	s_waitcnt vmcnt(0)
	v_add_f32_e32 v10, v10, v21
.LBB219_26:
	v_cvt_f32_f16_sdwa v21, v13 dst_sel:DWORD dst_unused:UNUSED_PAD src0_sel:WORD_1
	v_mul_f32_e32 v22, 0x3fb8aa3b, v21
	v_exp_f32_e32 v22, v22
	s_nop 0
	v_add_f32_e32 v22, 1.0, v22
	v_cmp_gt_f32_e32 vcc, s8, v22
	s_nop 1
	v_cndmask_b32_e32 v12, 1.0, v12, vcc
	v_mul_f32_e32 v12, v22, v12
	v_log_f32_e32 v12, v12
	v_cndmask_b32_e32 v19, 0, v19, vcc
	v_mul_f32_e32 v22, 0x3f317217, v12
	v_fma_f32 v22, v12, s7, -v22
	v_fmac_f32_e32 v22, 0x3377d1cf, v12
	v_fmac_f32_e32 v22, 0x3f317217, v12
	v_cmp_lt_f32_e64 vcc, |v12|, s9
	s_nop 1
	v_cndmask_b32_e32 v12, v12, v22, vcc
	v_sub_f32_e32 v12, v12, v19
	v_cmp_gt_f16_sdwa vcc, v13, s6 src0_sel:WORD_1 src1_sel:DWORD
	s_nop 1
	v_cndmask_b32_e32 v12, v12, v21, vcc
	v_mul_f32_e32 v13, 0x4f800000, v12
	v_cmp_gt_f32_e64 s[4:5], s10, v12
	s_and_b64 vcc, exec, s[2:3]
	s_nop 0
	v_cndmask_b32_e64 v12, v12, v13, s[4:5]
	v_sqrt_f32_e32 v13, v12
	s_nop 0
	v_add_u32_e32 v19, -1, v13
	v_add_u32_e32 v21, 1, v13
	v_fma_f32 v22, -v19, v13, v12
	v_fma_f32 v23, -v21, v13, v12
	v_cmp_ge_f32_e64 s[6:7], 0, v22
	s_nop 1
	v_cndmask_b32_e64 v13, v13, v19, s[6:7]
	v_cmp_lt_f32_e64 s[6:7], 0, v23
	s_nop 1
	v_cndmask_b32_e64 v13, v13, v21, s[6:7]
	v_mul_f32_e32 v19, 0x37800000, v13
	v_cndmask_b32_e64 v13, v13, v19, s[4:5]
	v_cmp_class_f32_e64 s[4:5], v12, v11
	s_nop 1
	v_cndmask_b32_e64 v11, v13, v12, s[4:5]
	s_cbranch_vccnz .LBB219_28
; %bb.27:
	global_load_dword v12, v18, s[42:43] offset:1036
	s_waitcnt vmcnt(0)
	v_add_f32_e32 v11, v11, v12
.LBB219_28:
	v_cvt_f32_f16_e32 v12, v14
	v_mov_b32_e32 v19, 0x4f800000
	s_mov_b32 s7, 0x3f317217
	s_movk_i32 s6, 0x4d00
	v_mul_f32_e32 v13, 0x3fb8aa3b, v12
	v_exp_f32_e32 v13, v13
	s_nop 0
	v_add_f32_e32 v13, 1.0, v13
	v_cmp_gt_f32_e32 vcc, s8, v13
	s_nop 1
	v_cndmask_b32_e32 v21, 1.0, v19, vcc
	v_mul_f32_e32 v13, v13, v21
	v_log_f32_e32 v13, v13
	v_mov_b32_e32 v21, 0x41b17218
	v_cndmask_b32_e32 v22, 0, v21, vcc
	v_mul_f32_e32 v23, 0x3f317217, v13
	v_fma_f32 v23, v13, s7, -v23
	v_fmac_f32_e32 v23, 0x3377d1cf, v13
	v_fmac_f32_e32 v23, 0x3f317217, v13
	v_cmp_lt_f32_e64 vcc, |v13|, s9
	s_nop 1
	v_cndmask_b32_e32 v13, v13, v23, vcc
	v_sub_f32_e32 v13, v13, v22
	v_cmp_lt_f16_e32 vcc, s6, v14
	s_nop 1
	v_cndmask_b32_e32 v12, v13, v12, vcc
	v_mul_f32_e32 v13, 0x4f800000, v12
	v_cmp_gt_f32_e32 vcc, s10, v12
	s_nop 1
	v_cndmask_b32_e32 v12, v12, v13, vcc
	v_sqrt_f32_e32 v13, v12
	s_nop 0
	v_add_u32_e32 v22, -1, v13
	v_fma_f32 v23, -v22, v13, v12
	v_cmp_ge_f32_e64 s[4:5], 0, v23
	v_add_u32_e32 v23, 1, v13
	s_nop 0
	v_cndmask_b32_e64 v22, v13, v22, s[4:5]
	v_fma_f32 v13, -v23, v13, v12
	v_cmp_lt_f32_e64 s[4:5], 0, v13
	s_nop 1
	v_cndmask_b32_e64 v13, v22, v23, s[4:5]
	v_mul_f32_e32 v22, 0x37800000, v13
	v_cndmask_b32_e32 v22, v13, v22, vcc
	v_mov_b32_e32 v13, 0x260
	v_cmp_class_f32_e64 s[4:5], v12, v13
	s_and_b64 vcc, exec, s[2:3]
	s_nop 0
	v_cndmask_b32_e64 v12, v22, v12, s[4:5]
	s_cbranch_vccnz .LBB219_30
; %bb.29:
	global_load_dword v22, v18, s[42:43] offset:1040
	s_waitcnt vmcnt(0)
	v_add_f32_e32 v12, v12, v22
.LBB219_30:
	v_cvt_f32_f16_sdwa v22, v14 dst_sel:DWORD dst_unused:UNUSED_PAD src0_sel:WORD_1
	v_mul_f32_e32 v23, 0x3fb8aa3b, v22
	v_exp_f32_e32 v23, v23
	s_nop 0
	v_add_f32_e32 v23, 1.0, v23
	v_cmp_gt_f32_e32 vcc, s8, v23
	s_nop 1
	v_cndmask_b32_e32 v19, 1.0, v19, vcc
	v_mul_f32_e32 v19, v23, v19
	v_log_f32_e32 v19, v19
	v_cndmask_b32_e32 v21, 0, v21, vcc
	v_mul_f32_e32 v23, 0x3f317217, v19
	v_fma_f32 v23, v19, s7, -v23
	v_fmac_f32_e32 v23, 0x3377d1cf, v19
	v_fmac_f32_e32 v23, 0x3f317217, v19
	v_cmp_lt_f32_e64 vcc, |v19|, s9
	s_nop 1
	v_cndmask_b32_e32 v19, v19, v23, vcc
	v_sub_f32_e32 v19, v19, v21
	v_cmp_gt_f16_sdwa vcc, v14, s6 src0_sel:WORD_1 src1_sel:DWORD
	s_nop 1
	v_cndmask_b32_e32 v14, v19, v22, vcc
	v_mul_f32_e32 v19, 0x4f800000, v14
	v_cmp_gt_f32_e64 s[4:5], s10, v14
	s_and_b64 vcc, exec, s[2:3]
	s_nop 0
	v_cndmask_b32_e64 v14, v14, v19, s[4:5]
	v_sqrt_f32_e32 v19, v14
	s_nop 0
	v_add_u32_e32 v21, -1, v19
	v_add_u32_e32 v22, 1, v19
	v_fma_f32 v23, -v21, v19, v14
	v_fma_f32 v24, -v22, v19, v14
	v_cmp_ge_f32_e64 s[6:7], 0, v23
	s_nop 1
	v_cndmask_b32_e64 v19, v19, v21, s[6:7]
	v_cmp_lt_f32_e64 s[6:7], 0, v24
	s_nop 1
	v_cndmask_b32_e64 v19, v19, v22, s[6:7]
	v_mul_f32_e32 v21, 0x37800000, v19
	v_cndmask_b32_e64 v19, v19, v21, s[4:5]
	v_cmp_class_f32_e64 s[4:5], v14, v13
	s_nop 1
	v_cndmask_b32_e64 v13, v19, v14, s[4:5]
	s_cbranch_vccnz .LBB219_32
; %bb.31:
	global_load_dword v14, v18, s[42:43] offset:1044
	s_waitcnt vmcnt(0)
	v_add_f32_e32 v13, v13, v14
.LBB219_32:
	v_cvt_f32_f16_e32 v14, v15
	v_mov_b32_e32 v21, 0x4f800000
	s_mov_b32 s7, 0x3f317217
	s_movk_i32 s6, 0x4d00
	v_mul_f32_e32 v19, 0x3fb8aa3b, v14
	v_exp_f32_e32 v19, v19
	s_nop 0
	v_add_f32_e32 v19, 1.0, v19
	v_cmp_gt_f32_e32 vcc, s8, v19
	s_nop 1
	v_cndmask_b32_e32 v22, 1.0, v21, vcc
	v_mul_f32_e32 v19, v19, v22
	v_log_f32_e32 v19, v19
	v_mov_b32_e32 v22, 0x41b17218
	v_cndmask_b32_e32 v23, 0, v22, vcc
	v_mul_f32_e32 v24, 0x3f317217, v19
	v_fma_f32 v24, v19, s7, -v24
	v_fmac_f32_e32 v24, 0x3377d1cf, v19
	v_fmac_f32_e32 v24, 0x3f317217, v19
	v_cmp_lt_f32_e64 vcc, |v19|, s9
	s_nop 1
	v_cndmask_b32_e32 v19, v19, v24, vcc
	v_sub_f32_e32 v19, v19, v23
	v_cmp_lt_f16_e32 vcc, s6, v15
	s_nop 1
	v_cndmask_b32_e32 v14, v19, v14, vcc
	v_mul_f32_e32 v19, 0x4f800000, v14
	v_cmp_gt_f32_e32 vcc, s10, v14
	s_nop 1
	v_cndmask_b32_e32 v14, v14, v19, vcc
	v_sqrt_f32_e32 v19, v14
	s_nop 0
	v_add_u32_e32 v23, -1, v19
	v_fma_f32 v24, -v23, v19, v14
	v_cmp_ge_f32_e64 s[4:5], 0, v24
	v_add_u32_e32 v24, 1, v19
	s_nop 0
	v_cndmask_b32_e64 v23, v19, v23, s[4:5]
	v_fma_f32 v19, -v24, v19, v14
	v_cmp_lt_f32_e64 s[4:5], 0, v19
	s_nop 1
	v_cndmask_b32_e64 v19, v23, v24, s[4:5]
	v_mul_f32_e32 v23, 0x37800000, v19
	v_cndmask_b32_e32 v23, v19, v23, vcc
	v_mov_b32_e32 v19, 0x260
	v_cmp_class_f32_e64 s[4:5], v14, v19
	s_and_b64 vcc, exec, s[2:3]
	s_nop 0
	v_cndmask_b32_e64 v14, v23, v14, s[4:5]
	s_cbranch_vccnz .LBB219_34
; %bb.33:
	global_load_dword v23, v18, s[42:43] offset:1048
	s_waitcnt vmcnt(0)
	v_add_f32_e32 v14, v14, v23
.LBB219_34:
	v_cvt_f32_f16_sdwa v23, v15 dst_sel:DWORD dst_unused:UNUSED_PAD src0_sel:WORD_1
	v_mul_f32_e32 v24, 0x3fb8aa3b, v23
	v_exp_f32_e32 v24, v24
	s_nop 0
	v_add_f32_e32 v24, 1.0, v24
	v_cmp_gt_f32_e32 vcc, s8, v24
	s_nop 1
	v_cndmask_b32_e32 v21, 1.0, v21, vcc
	v_mul_f32_e32 v21, v24, v21
	v_log_f32_e32 v21, v21
	v_cndmask_b32_e32 v22, 0, v22, vcc
	v_mul_f32_e32 v24, 0x3f317217, v21
	v_fma_f32 v24, v21, s7, -v24
	v_fmac_f32_e32 v24, 0x3377d1cf, v21
	v_fmac_f32_e32 v24, 0x3f317217, v21
	v_cmp_lt_f32_e64 vcc, |v21|, s9
	s_nop 1
	v_cndmask_b32_e32 v21, v21, v24, vcc
	v_sub_f32_e32 v21, v21, v22
	v_cmp_gt_f16_sdwa vcc, v15, s6 src0_sel:WORD_1 src1_sel:DWORD
	s_nop 1
	v_cndmask_b32_e32 v15, v21, v23, vcc
	v_mul_f32_e32 v21, 0x4f800000, v15
	v_cmp_gt_f32_e64 s[4:5], s10, v15
	s_and_b64 vcc, exec, s[2:3]
	s_nop 0
	v_cndmask_b32_e64 v15, v15, v21, s[4:5]
	v_sqrt_f32_e32 v21, v15
	s_nop 0
	v_add_u32_e32 v22, -1, v21
	v_add_u32_e32 v23, 1, v21
	v_fma_f32 v24, -v22, v21, v15
	v_fma_f32 v25, -v23, v21, v15
	v_cmp_ge_f32_e64 s[6:7], 0, v24
	s_nop 1
	v_cndmask_b32_e64 v21, v21, v22, s[6:7]
	v_cmp_lt_f32_e64 s[6:7], 0, v25
	s_nop 1
	v_cndmask_b32_e64 v21, v21, v23, s[6:7]
	v_mul_f32_e32 v22, 0x37800000, v21
	v_cndmask_b32_e64 v21, v21, v22, s[4:5]
	v_cmp_class_f32_e64 s[4:5], v15, v19
	s_nop 1
	v_cndmask_b32_e64 v15, v21, v15, s[4:5]
	s_cbranch_vccnz .LBB219_36
; %bb.35:
	global_load_dword v18, v18, s[42:43] offset:1052
	s_waitcnt vmcnt(0)
	v_add_f32_e32 v15, v15, v18
.LBB219_36:
	s_load_dwordx4 s[44:47], s[0:1], 0x30
	s_mov_b32 s58, 0
	v_cmp_eq_u32_e64 s[6:7], 0, v17
	s_waitcnt lgkmcnt(0)
	s_bitcmp1_b32 s47, 0
	s_cselect_b64 s[4:5], -1, 0
	s_cmp_gt_i32 s44, 0
	s_cselect_b64 s[54:55], -1, 0
	s_and_b64 vcc, exec, s[54:55]
	s_cbranch_vccz .LBB219_67
; %bb.37:
	v_mbcnt_lo_u32_b32 v18, -1, 0
	v_mbcnt_hi_u32_b32 v18, -1, v18
	v_and_b32_e32 v19, 0x60, v18
	v_add_u32_e32 v19, 32, v19
	v_xor_b32_e32 v21, 16, v18
	v_cmp_lt_i32_e32 vcc, v21, v19
	s_load_dwordx4 s[48:51], s[0:1], 0x20
	v_mul_lo_u32 v22, v16, s44
	v_cndmask_b32_e32 v21, v18, v21, vcc
	v_lshlrev_b32_e32 v23, 2, v21
	v_xor_b32_e32 v21, 8, v18
	v_cmp_lt_i32_e32 vcc, v21, v19
	v_mov_b32_e32 v28, 0x100
	v_mov_b32_e32 v29, 0x101
	v_cndmask_b32_e32 v21, v18, v21, vcc
	v_lshlrev_b32_e32 v24, 2, v21
	v_xor_b32_e32 v21, 4, v18
	v_cmp_lt_i32_e32 vcc, v21, v19
	v_bfrev_b32_e32 v30, 4.0
	v_bfrev_b32_e32 v31, -4.0
	v_cndmask_b32_e32 v21, v18, v21, vcc
	v_lshlrev_b32_e32 v25, 2, v21
	v_xor_b32_e32 v21, 2, v18
	v_cmp_lt_i32_e32 vcc, v21, v19
	v_mov_b32_e32 v32, 0x104
	v_mov_b32_e32 v33, 0x105
	v_cndmask_b32_e32 v21, v18, v21, vcc
	v_lshlrev_b32_e32 v26, 2, v21
	v_xor_b32_e32 v21, 1, v18
	v_cmp_lt_i32_e32 vcc, v21, v19
	v_mov_b32_e32 v34, 0x106
	v_mov_b32_e32 v35, 0x107
	v_cndmask_b32_e32 v18, v18, v21, vcc
	v_lshlrev_b32_e32 v27, 2, v18
	v_mov_b32_e32 v21, 0
	v_mov_b32_e32 v36, 0x200
	;; [unrolled: 1-line block ×4, first 2 shown]
	s_branch .LBB219_40
.LBB219_38:                             ;   in Loop: Header=BB219_40 Depth=1
	s_or_b64 exec, exec, s[56:57]
.LBB219_39:                             ;   in Loop: Header=BB219_40 Depth=1
	s_cmp_eq_u32 s44, s58
	v_add_u32_e32 v38, s33, v38
	s_cbranch_scc1 .LBB219_68
.LBB219_40:                             ; =>This Inner Loop Header: Depth=1
	v_cmp_gt_f32_e32 vcc, v1, v0
	s_nop 1
	v_cndmask_b32_e32 v19, v0, v1, vcc
	v_cndmask_b32_e64 v18, 0, 1, vcc
	v_cmp_gt_f32_e32 vcc, v2, v19
	s_nop 1
	v_cndmask_b32_e32 v19, v19, v2, vcc
	v_cndmask_b32_e64 v18, v18, 2, vcc
	;; [unrolled: 4-line block ×7, first 2 shown]
	v_cmp_gt_f32_e32 vcc, v8, v19
	s_nop 1
	v_cndmask_b32_e32 v19, v19, v8, vcc
	v_cndmask_b32_e32 v18, v18, v28, vcc
	v_cmp_gt_f32_e32 vcc, v9, v19
	s_nop 1
	v_cndmask_b32_e32 v19, v19, v9, vcc
	v_cndmask_b32_e32 v18, v18, v29, vcc
	;; [unrolled: 4-line block ×8, first 2 shown]
	ds_bpermute_b32 v19, v23, v39
	v_or_b32_e32 v18, v20, v18
	s_waitcnt lgkmcnt(0)
	ds_bpermute_b32 v40, v23, v18
	s_waitcnt lgkmcnt(0)
	v_cmp_lt_f32_e64 s[8:9], v39, v19
	v_cmp_nlt_f32_e32 vcc, v39, v19
	s_and_saveexec_b64 s[10:11], vcc
; %bb.41:                               ;   in Loop: Header=BB219_40 Depth=1
	v_cmp_eq_f32_e32 vcc, v39, v19
	v_cmp_lt_i32_e64 s[0:1], v40, v18
	s_and_b64 s[0:1], vcc, s[0:1]
	s_andn2_b64 s[8:9], s[8:9], exec
	s_and_b64 s[0:1], s[0:1], exec
	s_or_b64 s[8:9], s[8:9], s[0:1]
; %bb.42:                               ;   in Loop: Header=BB219_40 Depth=1
	s_or_b64 exec, exec, s[10:11]
	s_and_saveexec_b64 s[0:1], s[8:9]
; %bb.43:                               ;   in Loop: Header=BB219_40 Depth=1
	v_mov_b32_e32 v39, v19
	v_mov_b32_e32 v18, v40
; %bb.44:                               ;   in Loop: Header=BB219_40 Depth=1
	s_or_b64 exec, exec, s[0:1]
	ds_bpermute_b32 v19, v24, v39
	ds_bpermute_b32 v40, v24, v18
	s_waitcnt lgkmcnt(1)
	v_cmp_lt_f32_e64 s[8:9], v39, v19
	v_cmp_nlt_f32_e32 vcc, v39, v19
	s_and_saveexec_b64 s[10:11], vcc
	s_cbranch_execz .LBB219_46
; %bb.45:                               ;   in Loop: Header=BB219_40 Depth=1
	v_cmp_eq_f32_e32 vcc, v39, v19
	s_waitcnt lgkmcnt(0)
	v_cmp_lt_i32_e64 s[0:1], v40, v18
	s_and_b64 s[0:1], vcc, s[0:1]
	s_andn2_b64 s[8:9], s[8:9], exec
	s_and_b64 s[0:1], s[0:1], exec
	s_or_b64 s[8:9], s[8:9], s[0:1]
.LBB219_46:                             ;   in Loop: Header=BB219_40 Depth=1
	s_or_b64 exec, exec, s[10:11]
	s_and_saveexec_b64 s[0:1], s[8:9]
	s_cbranch_execz .LBB219_48
; %bb.47:                               ;   in Loop: Header=BB219_40 Depth=1
	v_mov_b32_e32 v39, v19
	s_waitcnt lgkmcnt(0)
	v_mov_b32_e32 v18, v40
.LBB219_48:                             ;   in Loop: Header=BB219_40 Depth=1
	s_or_b64 exec, exec, s[0:1]
	ds_bpermute_b32 v19, v25, v39
	s_waitcnt lgkmcnt(1)
	ds_bpermute_b32 v40, v25, v18
	s_waitcnt lgkmcnt(1)
	v_cmp_lt_f32_e64 s[8:9], v39, v19
	v_cmp_nlt_f32_e32 vcc, v39, v19
	s_and_saveexec_b64 s[10:11], vcc
	s_cbranch_execz .LBB219_50
; %bb.49:                               ;   in Loop: Header=BB219_40 Depth=1
	v_cmp_eq_f32_e32 vcc, v39, v19
	s_waitcnt lgkmcnt(0)
	v_cmp_lt_i32_e64 s[0:1], v40, v18
	s_and_b64 s[0:1], vcc, s[0:1]
	s_andn2_b64 s[8:9], s[8:9], exec
	s_and_b64 s[0:1], s[0:1], exec
	s_or_b64 s[8:9], s[8:9], s[0:1]
.LBB219_50:                             ;   in Loop: Header=BB219_40 Depth=1
	s_or_b64 exec, exec, s[10:11]
	s_and_saveexec_b64 s[0:1], s[8:9]
	s_cbranch_execz .LBB219_52
; %bb.51:                               ;   in Loop: Header=BB219_40 Depth=1
	v_mov_b32_e32 v39, v19
	s_waitcnt lgkmcnt(0)
	v_mov_b32_e32 v18, v40
.LBB219_52:                             ;   in Loop: Header=BB219_40 Depth=1
	s_or_b64 exec, exec, s[0:1]
	ds_bpermute_b32 v19, v26, v39
	s_waitcnt lgkmcnt(1)
	;; [unrolled: 26-line block ×3, first 2 shown]
	ds_bpermute_b32 v40, v27, v18
	s_waitcnt lgkmcnt(1)
	v_cmp_lt_f32_e64 s[8:9], v39, v19
	v_cmp_nlt_f32_e32 vcc, v39, v19
	s_and_saveexec_b64 s[10:11], vcc
	s_cbranch_execnz .LBB219_60
; %bb.57:                               ;   in Loop: Header=BB219_40 Depth=1
	s_or_b64 exec, exec, s[10:11]
	s_and_saveexec_b64 s[0:1], s[8:9]
	s_cbranch_execnz .LBB219_61
.LBB219_58:                             ;   in Loop: Header=BB219_40 Depth=1
	s_or_b64 exec, exec, s[0:1]
	s_and_saveexec_b64 s[8:9], s[6:7]
	s_cbranch_execnz .LBB219_62
.LBB219_59:                             ;   in Loop: Header=BB219_40 Depth=1
	s_or_b64 exec, exec, s[8:9]
	s_add_i32 s58, s58, 1
	s_cmp_ge_i32 s58, s44
	s_cbranch_scc1 .LBB219_39
	s_branch .LBB219_65
.LBB219_60:                             ;   in Loop: Header=BB219_40 Depth=1
	v_cmp_eq_f32_e32 vcc, v39, v19
	s_waitcnt lgkmcnt(0)
	v_cmp_lt_i32_e64 s[0:1], v40, v18
	s_and_b64 s[0:1], vcc, s[0:1]
	s_andn2_b64 s[8:9], s[8:9], exec
	s_and_b64 s[0:1], s[0:1], exec
	s_or_b64 s[8:9], s[8:9], s[0:1]
	s_or_b64 exec, exec, s[10:11]
	s_and_saveexec_b64 s[0:1], s[8:9]
	s_cbranch_execz .LBB219_58
.LBB219_61:                             ;   in Loop: Header=BB219_40 Depth=1
	s_waitcnt lgkmcnt(0)
	v_mov_b32_e32 v18, v40
	v_mov_b32_e32 v39, v19
	s_or_b64 exec, exec, s[0:1]
	s_and_saveexec_b64 s[8:9], s[6:7]
	s_cbranch_execz .LBB219_59
.LBB219_62:                             ;   in Loop: Header=BB219_40 Depth=1
	s_and_b64 vcc, exec, s[2:3]
	s_cbranch_vccnz .LBB219_64
; %bb.63:                               ;   in Loop: Header=BB219_40 Depth=1
	v_ashrrev_i32_e32 v19, 31, v18
	s_waitcnt lgkmcnt(0)
	v_lshl_add_u64 v[40:41], v[18:19], 2, s[42:43]
	global_load_dword v19, v[40:41], off
	s_waitcnt vmcnt(0)
	v_sub_f32_e32 v39, v39, v19
.LBB219_64:                             ;   in Loop: Header=BB219_40 Depth=1
	s_waitcnt lgkmcnt(0)
	v_add_u32_e32 v40, s58, v22
	v_cmp_le_i32_e32 vcc, s45, v18
	v_cmp_gt_i32_e64 s[0:1], s46, v18
	v_ashrrev_i32_e32 v41, 31, v40
	s_and_b64 s[0:1], vcc, s[0:1]
	v_lshlrev_b64 v[40:41], 2, v[40:41]
	v_lshl_add_u64 v[42:43], s[38:39], 0, v[40:41]
	v_subrev_u32_e32 v19, s45, v18
	s_and_b64 vcc, s[52:53], s[0:1]
	global_store_dword v[42:43], v39, off
	v_cndmask_b32_e32 v19, v36, v19, vcc
	v_lshl_add_u64 v[42:43], s[48:49], 0, v[40:41]
	global_store_dword v[42:43], v19, off
	v_add_f32_e32 v19, v21, v39
	v_lshl_add_u64 v[40:41], s[50:51], 0, v[40:41]
	v_cndmask_b32_e64 v21, v21, v19, s[4:5]
	global_store_dword v[40:41], v38, off
	s_or_b64 exec, exec, s[8:9]
	s_add_i32 s58, s58, 1
	s_cmp_ge_i32 s58, s44
	s_cbranch_scc1 .LBB219_39
.LBB219_65:                             ;   in Loop: Header=BB219_40 Depth=1
	v_ashrrev_i32_e32 v19, 31, v18
	v_lshrrev_b32_e32 v39, 29, v19
	s_waitcnt lgkmcnt(0)
	v_add_u32_e32 v40, v18, v39
	v_ashrrev_i32_e32 v39, 3, v40
	v_ashrrev_i32_e32 v40, 31, v40
	v_lshrrev_b32_e32 v40, 27, v40
	v_add_u32_e32 v40, v39, v40
	v_and_b32_e32 v40, 0xffffffe0, v40
	v_sub_u32_e32 v40, v39, v40
	v_cmp_eq_u32_e32 vcc, v17, v40
	s_and_saveexec_b64 s[56:57], vcc
	s_cbranch_execz .LBB219_38
; %bb.66:                               ;   in Loop: Header=BB219_40 Depth=1
	v_add_u32_sdwa v19, v18, v19 dst_sel:DWORD dst_unused:UNUSED_PAD src0_sel:DWORD src1_sel:BYTE_3
	v_lshlrev_b32_e32 v39, 3, v39
	v_sub_u32_e32 v18, v18, v39
	v_ashrrev_i32_e32 v19, 8, v19
	v_lshl_add_u32 v18, v19, 3, v18
	v_cmp_ne_u32_e32 vcc, 14, v18
	v_cmp_ne_u32_e64 s[0:1], 13, v18
	v_cmp_ne_u32_e64 s[8:9], 12, v18
	;; [unrolled: 1-line block ×15, first 2 shown]
	v_cndmask_b32_e32 v14, v37, v14, vcc
	v_cndmask_b32_e64 v13, v37, v13, s[0:1]
	v_cndmask_b32_e64 v15, v37, v15, s[36:37]
	;; [unrolled: 1-line block ×15, first 2 shown]
	s_branch .LBB219_38
.LBB219_67:
	v_mov_b32_e32 v21, 0
.LBB219_68:
	v_cmp_eq_u32_e32 vcc, 0, v17
	s_and_b64 exec, exec, vcc
	s_cbranch_execz .LBB219_81
; %bb.69:
	s_andn2_b64 vcc, exec, s[4:5]
	v_cvt_f32_f64_e32 v0, s[40:41]
	s_cbranch_vccnz .LBB219_71
; %bb.70:
	v_cmp_lt_f32_e32 vcc, 0, v21
	s_nop 1
	v_cndmask_b32_e32 v1, 1.0, v21, vcc
	v_div_scale_f32 v2, s[0:1], v1, v1, v0
	v_rcp_f32_e32 v3, v2
	s_nop 0
	v_fma_f32 v4, -v2, v3, 1.0
	v_fmac_f32_e32 v3, v4, v3
	v_div_scale_f32 v4, vcc, v0, v1, v0
	v_mul_f32_e32 v5, v4, v3
	v_fma_f32 v6, -v2, v5, v4
	v_fmac_f32_e32 v5, v6, v3
	v_fma_f32 v2, -v2, v5, v4
	v_div_fmas_f32 v2, v2, v3, v5
	v_div_fixup_f32 v0, v2, v1, v0
.LBB219_71:
	s_andn2_b64 vcc, exec, s[54:55]
	s_cbranch_vccnz .LBB219_81
; %bb.72:
	v_mul_lo_u32 v2, v16, s44
	s_cmp_gt_u32 s44, 3
	v_ashrrev_i32_e32 v3, 31, v2
	s_cbranch_scc0 .LBB219_76
; %bb.73:
	s_and_b32 s0, s44, 0x7ffffffc
	v_lshl_add_u64 v[4:5], v[2:3], 2, s[38:39]
	v_mov_b32_e32 v1, v0
	v_lshl_add_u64 v[4:5], v[4:5], 0, 8
	s_mov_b32 s1, s0
.LBB219_74:                             ; =>This Inner Loop Header: Depth=1
	global_load_dwordx4 v[6:9], v[4:5], off offset:-8
	s_add_i32 s1, s1, -4
	s_cmp_lg_u32 s1, 0
	s_waitcnt vmcnt(0)
	v_pk_mul_f32 v[6:7], v[0:1], v[6:7]
	v_pk_mul_f32 v[8:9], v[0:1], v[8:9]
	global_store_dwordx4 v[4:5], v[6:9], off offset:-8
	v_lshl_add_u64 v[4:5], v[4:5], 0, 16
	s_cbranch_scc1 .LBB219_74
; %bb.75:
	s_cmp_lg_u32 s0, s44
	s_cselect_b64 s[2:3], -1, 0
	s_branch .LBB219_78
.LBB219_76:
	s_mov_b64 s[2:3], 0
                                        ; implicit-def: $sgpr0
	s_cbranch_execz .LBB219_78
; %bb.77:
	s_mov_b64 s[2:3], -1
	s_mov_b32 s0, 0
.LBB219_78:
	s_andn2_b64 vcc, exec, s[2:3]
	s_cbranch_vccnz .LBB219_81
; %bb.79:
	s_mov_b32 s1, 0
	v_lshl_add_u64 v[2:3], v[2:3], 0, s[0:1]
	s_sub_i32 s2, s44, s0
	v_lshl_add_u64 v[2:3], v[2:3], 2, s[38:39]
.LBB219_80:                             ; =>This Inner Loop Header: Depth=1
	global_load_dword v1, v[2:3], off
	s_add_i32 s2, s2, -1
	s_cmp_lg_u32 s2, 0
	s_waitcnt vmcnt(0)
	v_mul_f32_e32 v1, v0, v1
	global_store_dword v[2:3], v1, off
	v_lshl_add_u64 v[2:3], v[2:3], 0, 4
	s_cbranch_scc1 .LBB219_80
.LBB219_81:
	s_endpgm
	.section	.rodata,"a",@progbits
	.p2align	6, 0x0
	.amdhsa_kernel _ZN4vllm3moe22topkGatingSoftplusSqrtILi16ELi512ELi4ELi16ELi32ELb0Ei6__halfEEvPKT6_PKbPfiPT5_PiiiibdPKfPKS9_SF_
		.amdhsa_group_segment_fixed_size 0
		.amdhsa_private_segment_fixed_size 0
		.amdhsa_kernarg_size 96
		.amdhsa_user_sgpr_count 2
		.amdhsa_user_sgpr_dispatch_ptr 0
		.amdhsa_user_sgpr_queue_ptr 0
		.amdhsa_user_sgpr_kernarg_segment_ptr 1
		.amdhsa_user_sgpr_dispatch_id 0
		.amdhsa_user_sgpr_kernarg_preload_length 0
		.amdhsa_user_sgpr_kernarg_preload_offset 0
		.amdhsa_user_sgpr_private_segment_size 0
		.amdhsa_uses_dynamic_stack 0
		.amdhsa_enable_private_segment 0
		.amdhsa_system_sgpr_workgroup_id_x 1
		.amdhsa_system_sgpr_workgroup_id_y 0
		.amdhsa_system_sgpr_workgroup_id_z 0
		.amdhsa_system_sgpr_workgroup_info 0
		.amdhsa_system_vgpr_workitem_id 1
		.amdhsa_next_free_vgpr 44
		.amdhsa_next_free_sgpr 59
		.amdhsa_accum_offset 44
		.amdhsa_reserve_vcc 1
		.amdhsa_float_round_mode_32 0
		.amdhsa_float_round_mode_16_64 0
		.amdhsa_float_denorm_mode_32 3
		.amdhsa_float_denorm_mode_16_64 3
		.amdhsa_dx10_clamp 1
		.amdhsa_ieee_mode 1
		.amdhsa_fp16_overflow 0
		.amdhsa_tg_split 0
		.amdhsa_exception_fp_ieee_invalid_op 0
		.amdhsa_exception_fp_denorm_src 0
		.amdhsa_exception_fp_ieee_div_zero 0
		.amdhsa_exception_fp_ieee_overflow 0
		.amdhsa_exception_fp_ieee_underflow 0
		.amdhsa_exception_fp_ieee_inexact 0
		.amdhsa_exception_int_div_zero 0
	.end_amdhsa_kernel
	.section	.text._ZN4vllm3moe22topkGatingSoftplusSqrtILi16ELi512ELi4ELi16ELi32ELb0Ei6__halfEEvPKT6_PKbPfiPT5_PiiiibdPKfPKS9_SF_,"axG",@progbits,_ZN4vllm3moe22topkGatingSoftplusSqrtILi16ELi512ELi4ELi16ELi32ELb0Ei6__halfEEvPKT6_PKbPfiPT5_PiiiibdPKfPKS9_SF_,comdat
.Lfunc_end219:
	.size	_ZN4vllm3moe22topkGatingSoftplusSqrtILi16ELi512ELi4ELi16ELi32ELb0Ei6__halfEEvPKT6_PKbPfiPT5_PiiiibdPKfPKS9_SF_, .Lfunc_end219-_ZN4vllm3moe22topkGatingSoftplusSqrtILi16ELi512ELi4ELi16ELi32ELb0Ei6__halfEEvPKT6_PKbPfiPT5_PiiiibdPKfPKS9_SF_
                                        ; -- End function
	.section	.AMDGPU.csdata,"",@progbits
; Kernel info:
; codeLenInByte = 6820
; NumSgprs: 65
; NumVgprs: 44
; NumAgprs: 0
; TotalNumVgprs: 44
; ScratchSize: 0
; MemoryBound: 0
; FloatMode: 240
; IeeeMode: 1
; LDSByteSize: 0 bytes/workgroup (compile time only)
; SGPRBlocks: 8
; VGPRBlocks: 5
; NumSGPRsForWavesPerEU: 65
; NumVGPRsForWavesPerEU: 44
; AccumOffset: 44
; Occupancy: 8
; WaveLimiterHint : 1
; COMPUTE_PGM_RSRC2:SCRATCH_EN: 0
; COMPUTE_PGM_RSRC2:USER_SGPR: 2
; COMPUTE_PGM_RSRC2:TRAP_HANDLER: 0
; COMPUTE_PGM_RSRC2:TGID_X_EN: 1
; COMPUTE_PGM_RSRC2:TGID_Y_EN: 0
; COMPUTE_PGM_RSRC2:TGID_Z_EN: 0
; COMPUTE_PGM_RSRC2:TIDIG_COMP_CNT: 1
; COMPUTE_PGM_RSRC3_GFX90A:ACCUM_OFFSET: 10
; COMPUTE_PGM_RSRC3_GFX90A:TG_SPLIT: 0
	.section	.text._ZN4vllm3moe22topkGatingSoftplusSqrtILi3ELi192ELi4ELi2ELi64ELb1Ei6__halfEEvPKT6_PKbPfiPT5_PiiiibdPKfPKS9_SF_,"axG",@progbits,_ZN4vllm3moe22topkGatingSoftplusSqrtILi3ELi192ELi4ELi2ELi64ELb1Ei6__halfEEvPKT6_PKbPfiPT5_PiiiibdPKfPKS9_SF_,comdat
	.protected	_ZN4vllm3moe22topkGatingSoftplusSqrtILi3ELi192ELi4ELi2ELi64ELb1Ei6__halfEEvPKT6_PKbPfiPT5_PiiiibdPKfPKS9_SF_ ; -- Begin function _ZN4vllm3moe22topkGatingSoftplusSqrtILi3ELi192ELi4ELi2ELi64ELb1Ei6__halfEEvPKT6_PKbPfiPT5_PiiiibdPKfPKS9_SF_
	.globl	_ZN4vllm3moe22topkGatingSoftplusSqrtILi3ELi192ELi4ELi2ELi64ELb1Ei6__halfEEvPKT6_PKbPfiPT5_PiiiibdPKfPKS9_SF_
	.p2align	8
	.type	_ZN4vllm3moe22topkGatingSoftplusSqrtILi3ELi192ELi4ELi2ELi64ELb1Ei6__halfEEvPKT6_PKbPfiPT5_PiiiibdPKfPKS9_SF_,@function
_ZN4vllm3moe22topkGatingSoftplusSqrtILi3ELi192ELi4ELi2ELi64ELb1Ei6__halfEEvPKT6_PKbPfiPT5_PiiiibdPKfPKS9_SF_: ; @_ZN4vllm3moe22topkGatingSoftplusSqrtILi3ELi192ELi4ELi2ELi64ELb1Ei6__halfEEvPKT6_PKbPfiPT5_PiiiibdPKfPKS9_SF_
; %bb.0:
	s_load_dword s3, s[0:1], 0x18
	v_and_b32_e32 v1, 0x3ff, v0
	s_lshl_b32 s2, s2, 2
	v_lshrrev_b32_e32 v2, 6, v1
	v_bfe_u32 v0, v0, 10, 10
	v_add3_u32 v2, s2, v0, v2
	s_waitcnt lgkmcnt(0)
	v_cmp_gt_i32_e32 vcc, s3, v2
	s_and_saveexec_b64 s[2:3], vcc
	s_cbranch_execz .LBB220_69
; %bb.1:
	s_load_dwordx4 s[8:11], s[0:1], 0x50
	s_load_dwordx2 s[2:3], s[0:1], 0x0
	s_load_dword s20, s[0:1], 0x30
	s_movk_i32 s4, 0xc0
	v_mul_lo_u32 v6, v2, s4
	v_ashrrev_i32_e32 v7, 31, v6
	v_and_b32_e32 v12, 63, v1
	s_waitcnt lgkmcnt(0)
	v_lshl_add_u64 v[8:9], v[6:7], 1, s[2:3]
	v_lshlrev_b32_e32 v6, 1, v12
	v_mov_b32_e32 v7, 0
	v_lshl_add_u64 v[0:1], v[8:9], 0, v[6:7]
	global_load_ushort v6, v[0:1], off
	global_load_ushort v8, v[0:1], off offset:128
	global_load_ushort v9, v[0:1], off offset:256
	v_mov_b32_e32 v4, s8
	v_mov_b32_e32 v5, s9
	v_ashrrev_i32_e32 v3, 31, v2
	v_lshl_add_u64 v[0:1], v[2:3], 2, v[4:5]
	global_load_dword v0, v[0:1], off
	s_mov_b32 s4, 0x800000
	v_mov_b32_e32 v3, 0x4f800000
	s_mov_b32 s7, 0x3f317217
	s_mov_b32 s9, 0x7f800000
	v_mov_b32_e32 v4, 0x41b17218
	s_movk_i32 s6, 0x4d00
	s_mov_b32 s12, 0xf800000
	v_mov_b32_e32 v5, 0x260
	s_cmp_gt_i32 s20, 0
	s_mov_b32 s8, 0
	v_mul_lo_u32 v2, v2, s20
	s_waitcnt vmcnt(3)
	v_cvt_f32_f16_e32 v10, v6
	s_waitcnt vmcnt(2)
	v_cvt_f32_f16_e32 v11, v8
	;; [unrolled: 2-line block ×3, first 2 shown]
	v_mul_f32_e32 v1, 0x3fb8aa3b, v10
	v_mul_f32_e32 v14, 0x3fb8aa3b, v11
	;; [unrolled: 1-line block ×3, first 2 shown]
	v_exp_f32_e32 v16, v1
	v_exp_f32_e32 v14, v14
	;; [unrolled: 1-line block ×3, first 2 shown]
	s_waitcnt vmcnt(0)
	v_mul_lo_u32 v0, v0, s20
	v_add_f32_e32 v16, 1.0, v16
	v_add_f32_e32 v14, 1.0, v14
	;; [unrolled: 1-line block ×3, first 2 shown]
	v_cmp_gt_f32_e32 vcc, s4, v16
	v_cmp_gt_f32_e64 s[2:3], s4, v14
	v_cmp_gt_f32_e64 s[4:5], s4, v15
	v_cndmask_b32_e32 v17, 1.0, v3, vcc
	v_cndmask_b32_e64 v18, 1.0, v3, s[2:3]
	v_cndmask_b32_e64 v3, 1.0, v3, s[4:5]
	v_mul_f32_e32 v16, v16, v17
	v_mul_f32_e32 v14, v14, v18
	;; [unrolled: 1-line block ×3, first 2 shown]
	v_log_f32_e32 v15, v16
	v_log_f32_e32 v14, v14
	;; [unrolled: 1-line block ×3, first 2 shown]
	v_cndmask_b32_e32 v17, 0, v4, vcc
	v_mul_f32_e32 v16, 0x3f317217, v15
	v_mul_f32_e32 v19, 0x3f317217, v14
	v_fma_f32 v16, v15, s7, -v16
	v_mul_f32_e32 v20, 0x3f317217, v3
	v_fma_f32 v19, v14, s7, -v19
	v_fmac_f32_e32 v16, 0x3377d1cf, v15
	v_fma_f32 v20, v3, s7, -v20
	v_fmac_f32_e32 v19, 0x3377d1cf, v14
	v_fmac_f32_e32 v16, 0x3f317217, v15
	v_cmp_lt_f32_e64 vcc, |v15|, s9
	v_fmac_f32_e32 v20, 0x3377d1cf, v3
	v_fmac_f32_e32 v19, 0x3f317217, v14
	v_cndmask_b32_e32 v15, v15, v16, vcc
	v_cmp_lt_f32_e64 vcc, |v14|, s9
	v_fmac_f32_e32 v20, 0x3f317217, v3
	v_cndmask_b32_e64 v18, 0, v4, s[2:3]
	v_cndmask_b32_e32 v14, v14, v19, vcc
	v_cmp_lt_f32_e64 vcc, |v3|, s9
	v_cndmask_b32_e64 v4, 0, v4, s[4:5]
	v_sub_f32_e32 v15, v15, v17
	v_cndmask_b32_e32 v3, v3, v20, vcc
	v_cmp_lt_f16_e32 vcc, s6, v6
	v_sub_f32_e32 v14, v14, v18
	v_sub_f32_e32 v3, v3, v4
	v_cndmask_b32_e32 v4, v15, v10, vcc
	v_cmp_lt_f16_e32 vcc, s6, v8
	v_mul_f32_e32 v8, 0x4f800000, v4
	v_ashrrev_i32_e32 v1, 31, v0
	v_cndmask_b32_e32 v6, v14, v11, vcc
	v_cmp_lt_f16_e32 vcc, s6, v9
	v_mul_f32_e32 v9, 0x4f800000, v6
	v_cmp_gt_f32_e64 s[2:3], s12, v6
	v_cndmask_b32_e32 v3, v3, v13, vcc
	v_cmp_gt_f32_e32 vcc, s12, v4
	v_cndmask_b32_e64 v6, v6, v9, s[2:3]
	v_sqrt_f32_e32 v9, v6
	v_cndmask_b32_e32 v4, v4, v8, vcc
	v_sqrt_f32_e32 v8, v4
	v_mul_f32_e32 v10, 0x4f800000, v3
	v_add_u32_e32 v14, -1, v9
	v_cmp_gt_f32_e64 s[4:5], s12, v3
	v_add_u32_e32 v11, -1, v8
	v_fma_f32 v17, -v11, v8, v4
	v_add_u32_e32 v13, 1, v8
	v_fma_f32 v19, -v14, v9, v6
	v_cmp_ge_f32_e64 s[6:7], 0, v17
	v_cndmask_b32_e64 v3, v3, v10, s[4:5]
	v_add_u32_e32 v15, 1, v9
	v_fma_f32 v18, -v13, v8, v4
	v_cndmask_b32_e64 v8, v8, v11, s[6:7]
	v_cmp_ge_f32_e64 s[6:7], 0, v19
	v_sqrt_f32_e32 v10, v3
	v_fma_f32 v20, -v15, v9, v6
	v_cndmask_b32_e64 v9, v9, v14, s[6:7]
	v_cmp_lt_f32_e64 s[6:7], 0, v18
	v_add_u32_e32 v16, -1, v10
	v_fma_f32 v21, -v16, v10, v3
	v_cndmask_b32_e64 v8, v8, v13, s[6:7]
	v_cmp_lt_f32_e64 s[6:7], 0, v20
	v_mul_f32_e32 v11, 0x37800000, v8
	v_cndmask_b32_e32 v8, v8, v11, vcc
	v_cndmask_b32_e64 v9, v9, v15, s[6:7]
	v_mul_f32_e32 v13, 0x37800000, v9
	v_cmp_class_f32_e32 vcc, v4, v5
	v_cndmask_b32_e64 v9, v9, v13, s[2:3]
	s_nop 0
	v_cndmask_b32_e32 v13, v8, v4, vcc
	v_cmp_class_f32_e32 vcc, v6, v5
	s_nop 1
	v_cndmask_b32_e32 v14, v9, v6, vcc
	v_add_u32_e32 v6, 1, v10
	v_cmp_ge_f32_e32 vcc, 0, v21
	v_fma_f32 v8, -v6, v10, v3
	s_nop 0
	v_cndmask_b32_e32 v4, v10, v16, vcc
	v_cmp_lt_f32_e32 vcc, 0, v8
	s_nop 1
	v_cndmask_b32_e32 v4, v4, v6, vcc
	v_mul_f32_e32 v6, 0x37800000, v4
	v_cndmask_b32_e64 v4, v4, v6, s[4:5]
	v_cmp_class_f32_e32 vcc, v3, v5
	s_cselect_b64 s[4:5], -1, 0
	s_cmp_lt_i32 s20, 1
	v_cndmask_b32_e32 v15, v4, v3, vcc
	v_lshl_add_u64 v[4:5], v[0:1], 2, s[10:11]
	s_cbranch_scc1 .LBB220_28
; %bb.2:
	s_load_dwordx2 s[6:7], s[0:1], 0x20
	s_cmp_lt_u32 s20, 4
	s_cbranch_scc1 .LBB220_21
; %bb.3:
	s_mov_b32 s13, 0
	s_and_b32 s8, s20, 0x7ffffffc
	v_ashrrev_i32_e32 v3, 31, v2
	v_mov_b32_e32 v7, 0
	s_mov_b32 s12, s13
	s_branch .LBB220_5
.LBB220_4:                              ;   in Loop: Header=BB220_5 Depth=1
	s_or_b64 exec, exec, s[14:15]
	s_add_i32 s12, s12, 4
	s_cmp_eq_u32 s12, s8
	s_cbranch_scc1 .LBB220_21
.LBB220_5:                              ; =>This Loop Header: Depth=1
                                        ;     Child Loop BB220_7 Depth 2
                                        ;     Child Loop BB220_11 Depth 2
	;; [unrolled: 1-line block ×4, first 2 shown]
	v_lshl_add_u64 v[8:9], s[12:13], 2, v[4:5]
	global_load_dword v6, v[8:9], off
	v_add_u32_e32 v10, s12, v2
	v_ashrrev_i32_e32 v11, 31, v10
	s_waitcnt lgkmcnt(0)
	v_lshl_add_u64 v[10:11], v[10:11], 2, s[6:7]
	s_mov_b64 s[14:15], 0
	v_mov_b32_e32 v16, v12
	s_mov_b64 s[16:17], 0
	s_waitcnt vmcnt(0)
	s_branch .LBB220_7
.LBB220_6:                              ;   in Loop: Header=BB220_7 Depth=2
	s_or_b64 exec, exec, s[18:19]
	s_cmp_gt_u32 s16, 1
	s_cselect_b64 s[2:3], -1, 0
	s_xor_b64 s[18:19], vcc, -1
	s_or_b64 s[2:3], s[18:19], s[2:3]
	s_add_u32 s16, s16, 1
	s_addc_u32 s17, s17, 0
	s_and_b64 s[2:3], exec, s[2:3]
	s_or_b64 s[14:15], s[2:3], s[14:15]
	v_add_u32_e32 v16, 64, v16
	s_andn2_b64 exec, exec, s[14:15]
	s_cbranch_execz .LBB220_9
.LBB220_7:                              ;   Parent Loop BB220_5 Depth=1
                                        ; =>  This Inner Loop Header: Depth=2
	v_cmp_ne_u32_e32 vcc, v6, v16
	v_cmp_eq_u32_e64 s[2:3], v6, v16
	s_and_saveexec_b64 s[18:19], s[2:3]
	s_cbranch_execz .LBB220_6
; %bb.8:                                ;   in Loop: Header=BB220_7 Depth=2
	s_cmp_eq_u32 s16, 1
	s_cselect_b64 s[2:3], -1, 0
	s_cmp_eq_u32 s16, 2
	v_cndmask_b32_e64 v17, v13, v14, s[2:3]
	s_cselect_b64 s[2:3], -1, 0
	v_cndmask_b32_e64 v17, v17, v15, s[2:3]
	v_add_f32_e32 v7, v7, v17
	global_store_dword v[10:11], v6, off
	s_branch .LBB220_6
.LBB220_9:                              ;   in Loop: Header=BB220_5 Depth=1
	s_or_b64 exec, exec, s[14:15]
	global_load_dword v6, v[8:9], off offset:4
	s_ashr_i32 s3, s12, 31
	s_mov_b32 s2, s12
	v_lshl_add_u64 v[10:11], s[2:3], 0, v[2:3]
	v_lshl_add_u64 v[10:11], v[10:11], 2, s[6:7]
	s_mov_b64 s[14:15], 0
	v_mov_b32_e32 v16, v12
	s_mov_b64 s[16:17], 0
	s_waitcnt vmcnt(0)
	s_branch .LBB220_11
.LBB220_10:                             ;   in Loop: Header=BB220_11 Depth=2
	s_or_b64 exec, exec, s[18:19]
	s_cmp_gt_u32 s16, 1
	s_cselect_b64 s[2:3], -1, 0
	s_xor_b64 s[18:19], vcc, -1
	s_or_b64 s[2:3], s[18:19], s[2:3]
	s_add_u32 s16, s16, 1
	s_addc_u32 s17, s17, 0
	s_and_b64 s[2:3], exec, s[2:3]
	s_or_b64 s[14:15], s[2:3], s[14:15]
	v_add_u32_e32 v16, 64, v16
	s_andn2_b64 exec, exec, s[14:15]
	s_cbranch_execz .LBB220_13
.LBB220_11:                             ;   Parent Loop BB220_5 Depth=1
                                        ; =>  This Inner Loop Header: Depth=2
	v_cmp_ne_u32_e32 vcc, v6, v16
	v_cmp_eq_u32_e64 s[2:3], v6, v16
	s_and_saveexec_b64 s[18:19], s[2:3]
	s_cbranch_execz .LBB220_10
; %bb.12:                               ;   in Loop: Header=BB220_11 Depth=2
	s_cmp_eq_u32 s16, 1
	s_cselect_b64 s[2:3], -1, 0
	s_cmp_eq_u32 s16, 2
	v_cndmask_b32_e64 v17, v13, v14, s[2:3]
	s_cselect_b64 s[2:3], -1, 0
	v_cndmask_b32_e64 v17, v17, v15, s[2:3]
	v_add_f32_e32 v7, v7, v17
	global_store_dword v[10:11], v6, off offset:4
	s_branch .LBB220_10
.LBB220_13:                             ;   in Loop: Header=BB220_5 Depth=1
	s_or_b64 exec, exec, s[14:15]
	global_load_dword v6, v[8:9], off offset:8
	s_mov_b64 s[14:15], 0
	v_mov_b32_e32 v16, v12
	s_mov_b64 s[16:17], 0
	s_waitcnt vmcnt(0)
	s_branch .LBB220_15
.LBB220_14:                             ;   in Loop: Header=BB220_15 Depth=2
	s_or_b64 exec, exec, s[18:19]
	s_cmp_gt_u32 s16, 1
	s_cselect_b64 s[2:3], -1, 0
	s_xor_b64 s[18:19], vcc, -1
	s_or_b64 s[2:3], s[18:19], s[2:3]
	s_add_u32 s16, s16, 1
	s_addc_u32 s17, s17, 0
	s_and_b64 s[2:3], exec, s[2:3]
	s_or_b64 s[14:15], s[2:3], s[14:15]
	v_add_u32_e32 v16, 64, v16
	s_andn2_b64 exec, exec, s[14:15]
	s_cbranch_execz .LBB220_17
.LBB220_15:                             ;   Parent Loop BB220_5 Depth=1
                                        ; =>  This Inner Loop Header: Depth=2
	v_cmp_ne_u32_e32 vcc, v6, v16
	v_cmp_eq_u32_e64 s[2:3], v6, v16
	s_and_saveexec_b64 s[18:19], s[2:3]
	s_cbranch_execz .LBB220_14
; %bb.16:                               ;   in Loop: Header=BB220_15 Depth=2
	s_cmp_eq_u32 s16, 1
	s_cselect_b64 s[2:3], -1, 0
	s_cmp_eq_u32 s16, 2
	v_cndmask_b32_e64 v17, v13, v14, s[2:3]
	s_cselect_b64 s[2:3], -1, 0
	v_cndmask_b32_e64 v17, v17, v15, s[2:3]
	v_add_f32_e32 v7, v7, v17
	global_store_dword v[10:11], v6, off offset:8
	s_branch .LBB220_14
.LBB220_17:                             ;   in Loop: Header=BB220_5 Depth=1
	s_or_b64 exec, exec, s[14:15]
	global_load_dword v6, v[8:9], off offset:12
	s_mov_b64 s[14:15], 0
	v_mov_b32_e32 v8, v12
	s_mov_b64 s[16:17], 0
	s_waitcnt vmcnt(0)
	s_branch .LBB220_19
.LBB220_18:                             ;   in Loop: Header=BB220_19 Depth=2
	s_or_b64 exec, exec, s[18:19]
	s_cmp_gt_u32 s16, 1
	s_cselect_b64 s[2:3], -1, 0
	s_xor_b64 s[18:19], vcc, -1
	s_or_b64 s[2:3], s[18:19], s[2:3]
	s_add_u32 s16, s16, 1
	s_addc_u32 s17, s17, 0
	s_and_b64 s[2:3], exec, s[2:3]
	s_or_b64 s[14:15], s[2:3], s[14:15]
	v_add_u32_e32 v8, 64, v8
	s_andn2_b64 exec, exec, s[14:15]
	s_cbranch_execz .LBB220_4
.LBB220_19:                             ;   Parent Loop BB220_5 Depth=1
                                        ; =>  This Inner Loop Header: Depth=2
	v_cmp_ne_u32_e32 vcc, v6, v8
	v_cmp_eq_u32_e64 s[2:3], v6, v8
	s_and_saveexec_b64 s[18:19], s[2:3]
	s_cbranch_execz .LBB220_18
; %bb.20:                               ;   in Loop: Header=BB220_19 Depth=2
	s_cmp_eq_u32 s16, 1
	s_cselect_b64 s[2:3], -1, 0
	s_cmp_eq_u32 s16, 2
	v_cndmask_b32_e64 v9, v13, v14, s[2:3]
	s_cselect_b64 s[2:3], -1, 0
	v_cndmask_b32_e64 v9, v9, v15, s[2:3]
	v_add_f32_e32 v7, v7, v9
	global_store_dword v[10:11], v6, off offset:12
	s_branch .LBB220_18
.LBB220_21:
	s_and_b32 s18, s20, 3
	s_cmp_eq_u32 s18, 0
	s_mov_b32 s9, 0
	s_cbranch_scc1 .LBB220_28
; %bb.22:
	s_mov_b32 s19, s9
	s_branch .LBB220_24
.LBB220_23:                             ;   in Loop: Header=BB220_24 Depth=1
	s_or_b64 exec, exec, s[12:13]
	s_add_i32 s8, s8, 1
	s_add_i32 s19, s19, 1
	s_cmp_lg_u32 s19, s18
	s_cbranch_scc0 .LBB220_28
.LBB220_24:                             ; =>This Loop Header: Depth=1
                                        ;     Child Loop BB220_26 Depth 2
	v_lshl_add_u64 v[8:9], s[8:9], 2, v[4:5]
	global_load_dword v3, v[8:9], off
	v_add_u32_e32 v8, s8, v2
	v_ashrrev_i32_e32 v9, 31, v8
	s_waitcnt lgkmcnt(0)
	v_lshl_add_u64 v[8:9], v[8:9], 2, s[6:7]
	s_mov_b64 s[12:13], 0
	v_mov_b32_e32 v6, v12
	s_mov_b64 s[14:15], 0
	s_waitcnt vmcnt(0)
	s_branch .LBB220_26
.LBB220_25:                             ;   in Loop: Header=BB220_26 Depth=2
	s_or_b64 exec, exec, s[16:17]
	s_cmp_gt_u32 s14, 1
	s_cselect_b64 s[2:3], -1, 0
	s_xor_b64 s[16:17], vcc, -1
	s_or_b64 s[2:3], s[16:17], s[2:3]
	s_add_u32 s14, s14, 1
	s_addc_u32 s15, s15, 0
	s_and_b64 s[2:3], exec, s[2:3]
	s_or_b64 s[12:13], s[2:3], s[12:13]
	v_add_u32_e32 v6, 64, v6
	s_andn2_b64 exec, exec, s[12:13]
	s_cbranch_execz .LBB220_23
.LBB220_26:                             ;   Parent Loop BB220_24 Depth=1
                                        ; =>  This Inner Loop Header: Depth=2
	v_cmp_ne_u32_e32 vcc, v3, v6
	v_cmp_eq_u32_e64 s[2:3], v3, v6
	s_and_saveexec_b64 s[16:17], s[2:3]
	s_cbranch_execz .LBB220_25
; %bb.27:                               ;   in Loop: Header=BB220_26 Depth=2
	s_cmp_eq_u32 s14, 1
	s_cselect_b64 s[2:3], -1, 0
	s_cmp_eq_u32 s14, 2
	v_cndmask_b32_e64 v10, v13, v14, s[2:3]
	s_cselect_b64 s[2:3], -1, 0
	v_cndmask_b32_e64 v10, v10, v15, s[2:3]
	v_add_f32_e32 v7, v7, v10
	global_store_dword v[8:9], v3, off
	s_branch .LBB220_25
.LBB220_28:
	s_waitcnt lgkmcnt(0)
	s_load_dword s6, s[0:1], 0x3c
	s_waitcnt lgkmcnt(0)
	s_bitcmp1_b32 s6, 0
	s_cselect_b64 s[2:3], -1, 0
	s_bitcmp0_b32 s6, 0
	s_cbranch_scc0 .LBB220_31
; %bb.29:
	s_load_dwordx2 s[6:7], s[0:1], 0x40
	s_andn2_b64 vcc, exec, s[2:3]
	s_waitcnt lgkmcnt(0)
	v_cvt_f32_f64_e32 v16, s[6:7]
	s_cbranch_vccz .LBB220_32
.LBB220_30:
	s_andn2_b64 vcc, exec, s[4:5]
	s_cbranch_vccz .LBB220_33
	s_branch .LBB220_69
.LBB220_31:
	v_mbcnt_lo_u32_b32 v3, -1, 0
	v_mbcnt_hi_u32_b32 v3, -1, v3
	v_and_b32_e32 v6, 64, v3
	v_add_u32_e32 v6, 64, v6
	v_xor_b32_e32 v8, 32, v3
	v_cmp_lt_i32_e32 vcc, v8, v6
	v_xor_b32_e32 v9, 16, v3
	s_nop 0
	v_cndmask_b32_e32 v8, v3, v8, vcc
	v_lshlrev_b32_e32 v8, 2, v8
	ds_bpermute_b32 v8, v8, v7
	v_cmp_lt_i32_e32 vcc, v9, v6
	s_waitcnt lgkmcnt(0)
	v_add_f32_e32 v7, v7, v8
	v_cndmask_b32_e32 v8, v3, v9, vcc
	v_lshlrev_b32_e32 v8, 2, v8
	ds_bpermute_b32 v8, v8, v7
	v_xor_b32_e32 v9, 8, v3
	v_cmp_lt_i32_e32 vcc, v9, v6
	s_waitcnt lgkmcnt(0)
	v_add_f32_e32 v7, v7, v8
	v_cndmask_b32_e32 v8, v3, v9, vcc
	v_lshlrev_b32_e32 v8, 2, v8
	ds_bpermute_b32 v8, v8, v7
	v_xor_b32_e32 v9, 4, v3
	;; [unrolled: 7-line block ×4, first 2 shown]
	v_cmp_lt_i32_e32 vcc, v9, v6
	s_waitcnt lgkmcnt(0)
	v_add_f32_e32 v7, v7, v8
	v_cndmask_b32_e32 v3, v3, v9, vcc
	v_lshlrev_b32_e32 v3, 2, v3
	ds_bpermute_b32 v3, v3, v7
	s_waitcnt lgkmcnt(0)
	v_add_f32_e32 v7, v7, v3
	s_load_dwordx2 s[6:7], s[0:1], 0x40
	s_andn2_b64 vcc, exec, s[2:3]
	s_waitcnt lgkmcnt(0)
	v_cvt_f32_f64_e32 v16, s[6:7]
	s_cbranch_vccnz .LBB220_30
.LBB220_32:
	v_cmp_lt_f32_e32 vcc, 0, v7
	s_nop 1
	v_cndmask_b32_e32 v3, 1.0, v7, vcc
	v_div_scale_f32 v6, s[2:3], v3, v3, v16
	v_rcp_f32_e32 v7, v6
	s_nop 0
	v_fma_f32 v8, -v6, v7, 1.0
	v_fmac_f32_e32 v7, v8, v7
	v_div_scale_f32 v8, vcc, v16, v3, v16
	v_mul_f32_e32 v9, v8, v7
	v_fma_f32 v10, -v6, v9, v8
	v_fmac_f32_e32 v9, v10, v7
	v_fma_f32 v6, -v6, v9, v8
	v_div_fmas_f32 v6, v6, v7, v9
	v_div_fixup_f32 v16, v6, v3, v16
	s_andn2_b64 vcc, exec, s[4:5]
	s_cbranch_vccnz .LBB220_69
.LBB220_33:
	s_load_dwordx2 s[0:1], s[0:1], 0x10
	v_or_b32_e32 v17, 64, v12
	v_or_b32_e32 v18, 0x80, v12
	s_cmp_lt_u32 s20, 4
	s_mov_b32 s2, 0
	s_cbranch_scc1 .LBB220_60
; %bb.34:
	v_ashrrev_i32_e32 v3, 31, v2
	s_and_b32 s2, s20, 0x7ffffffc
	s_waitcnt lgkmcnt(0)
	v_lshl_add_u64 v[6:7], v[2:3], 2, s[0:1]
	s_mov_b32 s3, 0
	s_mov_b64 s[4:5], 0
	s_branch .LBB220_36
.LBB220_35:                             ;   in Loop: Header=BB220_36 Depth=1
	s_or_b64 exec, exec, s[8:9]
	s_add_i32 s3, s3, 4
	s_add_u32 s4, s4, 16
	s_addc_u32 s5, s5, 0
	s_cmp_lg_u32 s2, s3
	s_cbranch_scc0 .LBB220_60
.LBB220_36:                             ; =>This Inner Loop Header: Depth=1
	v_lshl_add_u64 v[8:9], v[4:5], 0, s[4:5]
	global_load_dword v3, v[8:9], off
	v_mov_b64_e32 v[10:11], 0
	s_waitcnt vmcnt(0)
	v_cmp_eq_u32_e64 s[6:7], v3, v12
	v_cmp_ne_u32_e32 vcc, v3, v12
	s_and_saveexec_b64 s[8:9], vcc
	s_cbranch_execz .LBB220_40
; %bb.37:                               ;   in Loop: Header=BB220_36 Depth=1
	v_cmp_eq_u32_e64 s[12:13], v3, v17
	v_cmp_ne_u32_e32 vcc, v3, v17
	v_mov_b64_e32 v[10:11], 1
	s_and_saveexec_b64 s[14:15], vcc
	s_xor_b64 s[14:15], exec, s[14:15]
; %bb.38:                               ;   in Loop: Header=BB220_36 Depth=1
	v_cmp_eq_u32_e32 vcc, v3, v18
	s_andn2_b64 s[12:13], s[12:13], exec
	s_and_b64 s[16:17], vcc, exec
	v_mov_b64_e32 v[10:11], 2
	s_or_b64 s[12:13], s[12:13], s[16:17]
; %bb.39:                               ;   in Loop: Header=BB220_36 Depth=1
	s_or_b64 exec, exec, s[14:15]
	s_andn2_b64 s[6:7], s[6:7], exec
	s_and_b64 s[12:13], s[12:13], exec
	s_or_b64 s[6:7], s[6:7], s[12:13]
.LBB220_40:                             ;   in Loop: Header=BB220_36 Depth=1
	s_or_b64 exec, exec, s[8:9]
	s_and_saveexec_b64 s[8:9], s[6:7]
	s_cbranch_execz .LBB220_42
; %bb.41:                               ;   in Loop: Header=BB220_36 Depth=1
	v_cmp_eq_u32_e32 vcc, 1, v10
	v_add_u32_e32 v20, s3, v2
	v_ashrrev_i32_e32 v21, 31, v20
	v_cndmask_b32_e32 v3, v13, v14, vcc
	v_cmp_eq_u32_e32 vcc, 2, v10
	v_lshl_add_u64 v[10:11], v[20:21], 2, s[0:1]
	s_nop 0
	v_cndmask_b32_e32 v3, v3, v15, vcc
	v_mul_f32_e32 v3, v16, v3
	global_store_dword v[10:11], v3, off
.LBB220_42:                             ;   in Loop: Header=BB220_36 Depth=1
	s_or_b64 exec, exec, s[8:9]
	global_load_dword v3, v[8:9], off offset:4
	v_mov_b64_e32 v[10:11], 0
	s_waitcnt vmcnt(0)
	v_cmp_eq_u32_e64 s[6:7], v3, v12
	v_cmp_ne_u32_e32 vcc, v3, v12
	s_and_saveexec_b64 s[8:9], vcc
	s_cbranch_execz .LBB220_46
; %bb.43:                               ;   in Loop: Header=BB220_36 Depth=1
	v_cmp_eq_u32_e64 s[12:13], v3, v17
	v_cmp_ne_u32_e32 vcc, v3, v17
	v_mov_b64_e32 v[10:11], 1
	s_and_saveexec_b64 s[14:15], vcc
; %bb.44:                               ;   in Loop: Header=BB220_36 Depth=1
	v_cmp_eq_u32_e32 vcc, v3, v18
	s_andn2_b64 s[12:13], s[12:13], exec
	s_and_b64 s[16:17], vcc, exec
	v_mov_b64_e32 v[10:11], 2
	s_or_b64 s[12:13], s[12:13], s[16:17]
; %bb.45:                               ;   in Loop: Header=BB220_36 Depth=1
	s_or_b64 exec, exec, s[14:15]
	s_andn2_b64 s[6:7], s[6:7], exec
	s_and_b64 s[12:13], s[12:13], exec
	s_or_b64 s[6:7], s[6:7], s[12:13]
.LBB220_46:                             ;   in Loop: Header=BB220_36 Depth=1
	s_or_b64 exec, exec, s[8:9]
	s_and_saveexec_b64 s[8:9], s[6:7]
	s_cbranch_execz .LBB220_48
; %bb.47:                               ;   in Loop: Header=BB220_36 Depth=1
	v_cmp_eq_u32_e32 vcc, 1, v10
	s_nop 1
	v_cndmask_b32_e32 v3, v13, v14, vcc
	v_cmp_eq_u32_e32 vcc, 2, v10
	v_lshl_add_u64 v[10:11], v[6:7], 0, s[4:5]
	s_nop 0
	v_cndmask_b32_e32 v3, v3, v15, vcc
	v_mul_f32_e32 v3, v16, v3
	global_store_dword v[10:11], v3, off offset:4
.LBB220_48:                             ;   in Loop: Header=BB220_36 Depth=1
	s_or_b64 exec, exec, s[8:9]
	global_load_dword v3, v[8:9], off offset:8
	v_mov_b64_e32 v[10:11], 0
	s_waitcnt vmcnt(0)
	v_cmp_eq_u32_e64 s[6:7], v3, v12
	v_cmp_ne_u32_e32 vcc, v3, v12
	s_and_saveexec_b64 s[8:9], vcc
	s_cbranch_execz .LBB220_52
; %bb.49:                               ;   in Loop: Header=BB220_36 Depth=1
	v_cmp_eq_u32_e64 s[12:13], v3, v17
	v_cmp_ne_u32_e32 vcc, v3, v17
	v_mov_b64_e32 v[10:11], 1
	s_and_saveexec_b64 s[14:15], vcc
; %bb.50:                               ;   in Loop: Header=BB220_36 Depth=1
	v_cmp_eq_u32_e32 vcc, v3, v18
	s_andn2_b64 s[12:13], s[12:13], exec
	s_and_b64 s[16:17], vcc, exec
	v_mov_b64_e32 v[10:11], 2
	s_or_b64 s[12:13], s[12:13], s[16:17]
; %bb.51:                               ;   in Loop: Header=BB220_36 Depth=1
	s_or_b64 exec, exec, s[14:15]
	s_andn2_b64 s[6:7], s[6:7], exec
	s_and_b64 s[12:13], s[12:13], exec
	s_or_b64 s[6:7], s[6:7], s[12:13]
.LBB220_52:                             ;   in Loop: Header=BB220_36 Depth=1
	s_or_b64 exec, exec, s[8:9]
	s_and_saveexec_b64 s[8:9], s[6:7]
	s_cbranch_execz .LBB220_54
; %bb.53:                               ;   in Loop: Header=BB220_36 Depth=1
	v_cmp_eq_u32_e32 vcc, 1, v10
	s_nop 1
	v_cndmask_b32_e32 v3, v13, v14, vcc
	v_cmp_eq_u32_e32 vcc, 2, v10
	v_lshl_add_u64 v[10:11], v[6:7], 0, s[4:5]
	s_nop 0
	v_cndmask_b32_e32 v3, v3, v15, vcc
	v_mul_f32_e32 v3, v16, v3
	global_store_dword v[10:11], v3, off offset:8
.LBB220_54:                             ;   in Loop: Header=BB220_36 Depth=1
	s_or_b64 exec, exec, s[8:9]
	global_load_dword v3, v[8:9], off offset:12
	v_mov_b64_e32 v[8:9], 0
	s_waitcnt vmcnt(0)
	v_cmp_eq_u32_e64 s[6:7], v3, v12
	v_cmp_ne_u32_e32 vcc, v3, v12
	s_and_saveexec_b64 s[8:9], vcc
	s_cbranch_execz .LBB220_58
; %bb.55:                               ;   in Loop: Header=BB220_36 Depth=1
	v_cmp_eq_u32_e64 s[12:13], v3, v17
	v_cmp_ne_u32_e32 vcc, v3, v17
	v_mov_b64_e32 v[8:9], 1
	s_and_saveexec_b64 s[14:15], vcc
; %bb.56:                               ;   in Loop: Header=BB220_36 Depth=1
	v_cmp_eq_u32_e32 vcc, v3, v18
	s_andn2_b64 s[12:13], s[12:13], exec
	s_and_b64 s[16:17], vcc, exec
	v_mov_b64_e32 v[8:9], 2
	s_or_b64 s[12:13], s[12:13], s[16:17]
; %bb.57:                               ;   in Loop: Header=BB220_36 Depth=1
	s_or_b64 exec, exec, s[14:15]
	s_andn2_b64 s[6:7], s[6:7], exec
	s_and_b64 s[12:13], s[12:13], exec
	s_or_b64 s[6:7], s[6:7], s[12:13]
.LBB220_58:                             ;   in Loop: Header=BB220_36 Depth=1
	s_or_b64 exec, exec, s[8:9]
	s_and_saveexec_b64 s[8:9], s[6:7]
	s_cbranch_execz .LBB220_35
; %bb.59:                               ;   in Loop: Header=BB220_36 Depth=1
	v_cmp_eq_u32_e32 vcc, 1, v8
	s_nop 1
	v_cndmask_b32_e32 v3, v13, v14, vcc
	v_cmp_eq_u32_e32 vcc, 2, v8
	v_lshl_add_u64 v[8:9], v[6:7], 0, s[4:5]
	s_nop 0
	v_cndmask_b32_e32 v3, v3, v15, vcc
	v_mul_f32_e32 v3, v16, v3
	global_store_dword v[8:9], v3, off offset:12
	s_branch .LBB220_35
.LBB220_60:
	s_and_b32 s12, s20, 3
	s_cmp_eq_u32 s12, 0
	s_mov_b32 s3, 0
	s_cbranch_scc1 .LBB220_69
; %bb.61:
	v_add_u32_e32 v2, s2, v2
	s_lshl_b64 s[2:3], s[2:3], 2
	s_add_u32 s2, s10, s2
	s_addc_u32 s3, s11, s3
	v_lshl_add_u64 v[0:1], v[0:1], 2, s[2:3]
	s_branch .LBB220_63
.LBB220_62:                             ;   in Loop: Header=BB220_63 Depth=1
	s_or_b64 exec, exec, s[4:5]
	s_add_i32 s12, s12, -1
	v_add_u32_e32 v2, 1, v2
	s_cmp_lg_u32 s12, 0
	v_lshl_add_u64 v[0:1], v[0:1], 0, 4
	s_cbranch_scc0 .LBB220_69
.LBB220_63:                             ; =>This Inner Loop Header: Depth=1
	global_load_dword v3, v[0:1], off
	v_mov_b64_e32 v[4:5], 0
	s_waitcnt vmcnt(0)
	v_cmp_eq_u32_e64 s[2:3], v3, v12
	v_cmp_ne_u32_e32 vcc, v3, v12
	s_and_saveexec_b64 s[4:5], vcc
	s_cbranch_execz .LBB220_67
; %bb.64:                               ;   in Loop: Header=BB220_63 Depth=1
	v_cmp_eq_u32_e64 s[6:7], v3, v17
	v_cmp_ne_u32_e32 vcc, v3, v17
	v_mov_b64_e32 v[4:5], 1
	s_and_saveexec_b64 s[8:9], vcc
; %bb.65:                               ;   in Loop: Header=BB220_63 Depth=1
	v_cmp_eq_u32_e32 vcc, v3, v18
	s_andn2_b64 s[6:7], s[6:7], exec
	s_and_b64 s[10:11], vcc, exec
	v_mov_b64_e32 v[4:5], 2
	s_or_b64 s[6:7], s[6:7], s[10:11]
; %bb.66:                               ;   in Loop: Header=BB220_63 Depth=1
	s_or_b64 exec, exec, s[8:9]
	s_andn2_b64 s[2:3], s[2:3], exec
	s_and_b64 s[6:7], s[6:7], exec
	s_or_b64 s[2:3], s[2:3], s[6:7]
.LBB220_67:                             ;   in Loop: Header=BB220_63 Depth=1
	s_or_b64 exec, exec, s[4:5]
	s_and_saveexec_b64 s[4:5], s[2:3]
	s_cbranch_execz .LBB220_62
; %bb.68:                               ;   in Loop: Header=BB220_63 Depth=1
	v_cmp_eq_u32_e32 vcc, 1, v4
	s_nop 1
	v_cndmask_b32_e32 v3, v13, v14, vcc
	v_cmp_eq_u32_e32 vcc, 2, v4
	s_nop 1
	v_cndmask_b32_e32 v3, v3, v15, vcc
	v_mul_f32_e32 v6, v16, v3
	v_ashrrev_i32_e32 v3, 31, v2
	s_waitcnt lgkmcnt(0)
	v_lshl_add_u64 v[4:5], v[2:3], 2, s[0:1]
	global_store_dword v[4:5], v6, off
	s_branch .LBB220_62
.LBB220_69:
	s_endpgm
	.section	.rodata,"a",@progbits
	.p2align	6, 0x0
	.amdhsa_kernel _ZN4vllm3moe22topkGatingSoftplusSqrtILi3ELi192ELi4ELi2ELi64ELb1Ei6__halfEEvPKT6_PKbPfiPT5_PiiiibdPKfPKS9_SF_
		.amdhsa_group_segment_fixed_size 0
		.amdhsa_private_segment_fixed_size 0
		.amdhsa_kernarg_size 96
		.amdhsa_user_sgpr_count 2
		.amdhsa_user_sgpr_dispatch_ptr 0
		.amdhsa_user_sgpr_queue_ptr 0
		.amdhsa_user_sgpr_kernarg_segment_ptr 1
		.amdhsa_user_sgpr_dispatch_id 0
		.amdhsa_user_sgpr_kernarg_preload_length 0
		.amdhsa_user_sgpr_kernarg_preload_offset 0
		.amdhsa_user_sgpr_private_segment_size 0
		.amdhsa_uses_dynamic_stack 0
		.amdhsa_enable_private_segment 0
		.amdhsa_system_sgpr_workgroup_id_x 1
		.amdhsa_system_sgpr_workgroup_id_y 0
		.amdhsa_system_sgpr_workgroup_id_z 0
		.amdhsa_system_sgpr_workgroup_info 0
		.amdhsa_system_vgpr_workitem_id 1
		.amdhsa_next_free_vgpr 22
		.amdhsa_next_free_sgpr 21
		.amdhsa_accum_offset 24
		.amdhsa_reserve_vcc 1
		.amdhsa_float_round_mode_32 0
		.amdhsa_float_round_mode_16_64 0
		.amdhsa_float_denorm_mode_32 3
		.amdhsa_float_denorm_mode_16_64 3
		.amdhsa_dx10_clamp 1
		.amdhsa_ieee_mode 1
		.amdhsa_fp16_overflow 0
		.amdhsa_tg_split 0
		.amdhsa_exception_fp_ieee_invalid_op 0
		.amdhsa_exception_fp_denorm_src 0
		.amdhsa_exception_fp_ieee_div_zero 0
		.amdhsa_exception_fp_ieee_overflow 0
		.amdhsa_exception_fp_ieee_underflow 0
		.amdhsa_exception_fp_ieee_inexact 0
		.amdhsa_exception_int_div_zero 0
	.end_amdhsa_kernel
	.section	.text._ZN4vllm3moe22topkGatingSoftplusSqrtILi3ELi192ELi4ELi2ELi64ELb1Ei6__halfEEvPKT6_PKbPfiPT5_PiiiibdPKfPKS9_SF_,"axG",@progbits,_ZN4vllm3moe22topkGatingSoftplusSqrtILi3ELi192ELi4ELi2ELi64ELb1Ei6__halfEEvPKT6_PKbPfiPT5_PiiiibdPKfPKS9_SF_,comdat
.Lfunc_end220:
	.size	_ZN4vllm3moe22topkGatingSoftplusSqrtILi3ELi192ELi4ELi2ELi64ELb1Ei6__halfEEvPKT6_PKbPfiPT5_PiiiibdPKfPKS9_SF_, .Lfunc_end220-_ZN4vllm3moe22topkGatingSoftplusSqrtILi3ELi192ELi4ELi2ELi64ELb1Ei6__halfEEvPKT6_PKbPfiPT5_PiiiibdPKfPKS9_SF_
                                        ; -- End function
	.section	.AMDGPU.csdata,"",@progbits
; Kernel info:
; codeLenInByte = 3204
; NumSgprs: 27
; NumVgprs: 22
; NumAgprs: 0
; TotalNumVgprs: 22
; ScratchSize: 0
; MemoryBound: 0
; FloatMode: 240
; IeeeMode: 1
; LDSByteSize: 0 bytes/workgroup (compile time only)
; SGPRBlocks: 3
; VGPRBlocks: 2
; NumSGPRsForWavesPerEU: 27
; NumVGPRsForWavesPerEU: 22
; AccumOffset: 24
; Occupancy: 8
; WaveLimiterHint : 1
; COMPUTE_PGM_RSRC2:SCRATCH_EN: 0
; COMPUTE_PGM_RSRC2:USER_SGPR: 2
; COMPUTE_PGM_RSRC2:TRAP_HANDLER: 0
; COMPUTE_PGM_RSRC2:TGID_X_EN: 1
; COMPUTE_PGM_RSRC2:TGID_Y_EN: 0
; COMPUTE_PGM_RSRC2:TGID_Z_EN: 0
; COMPUTE_PGM_RSRC2:TIDIG_COMP_CNT: 1
; COMPUTE_PGM_RSRC3_GFX90A:ACCUM_OFFSET: 5
; COMPUTE_PGM_RSRC3_GFX90A:TG_SPLIT: 0
	.section	.text._ZN4vllm3moe22topkGatingSoftplusSqrtILi3ELi192ELi4ELi2ELi64ELb0Ei6__halfEEvPKT6_PKbPfiPT5_PiiiibdPKfPKS9_SF_,"axG",@progbits,_ZN4vllm3moe22topkGatingSoftplusSqrtILi3ELi192ELi4ELi2ELi64ELb0Ei6__halfEEvPKT6_PKbPfiPT5_PiiiibdPKfPKS9_SF_,comdat
	.protected	_ZN4vllm3moe22topkGatingSoftplusSqrtILi3ELi192ELi4ELi2ELi64ELb0Ei6__halfEEvPKT6_PKbPfiPT5_PiiiibdPKfPKS9_SF_ ; -- Begin function _ZN4vllm3moe22topkGatingSoftplusSqrtILi3ELi192ELi4ELi2ELi64ELb0Ei6__halfEEvPKT6_PKbPfiPT5_PiiiibdPKfPKS9_SF_
	.globl	_ZN4vllm3moe22topkGatingSoftplusSqrtILi3ELi192ELi4ELi2ELi64ELb0Ei6__halfEEvPKT6_PKbPfiPT5_PiiiibdPKfPKS9_SF_
	.p2align	8
	.type	_ZN4vllm3moe22topkGatingSoftplusSqrtILi3ELi192ELi4ELi2ELi64ELb0Ei6__halfEEvPKT6_PKbPfiPT5_PiiiibdPKfPKS9_SF_,@function
_ZN4vllm3moe22topkGatingSoftplusSqrtILi3ELi192ELi4ELi2ELi64ELb0Ei6__halfEEvPKT6_PKbPfiPT5_PiiiibdPKfPKS9_SF_: ; @_ZN4vllm3moe22topkGatingSoftplusSqrtILi3ELi192ELi4ELi2ELi64ELb0Ei6__halfEEvPKT6_PKbPfiPT5_PiiiibdPKfPKS9_SF_
; %bb.0:
	s_load_dword s30, s[0:1], 0x18
	v_and_b32_e32 v1, 0x3ff, v0
	s_lshl_b32 s2, s2, 2
	v_lshrrev_b32_e32 v2, 6, v1
	v_bfe_u32 v0, v0, 10, 10
	v_add3_u32 v4, s2, v0, v2
	s_waitcnt lgkmcnt(0)
	v_cmp_gt_i32_e32 vcc, s30, v4
	s_and_saveexec_b64 s[2:3], vcc
	s_cbranch_execz .LBB221_55
; %bb.1:
	s_load_dwordx4 s[4:7], s[0:1], 0x0
	s_load_dwordx2 s[20:21], s[0:1], 0x10
	s_waitcnt lgkmcnt(0)
	s_cmp_eq_u64 s[6:7], 0
	s_cbranch_scc1 .LBB221_3
; %bb.2:
	v_ashrrev_i32_e32 v5, 31, v4
	v_lshl_add_u64 v[2:3], s[6:7], 0, v[4:5]
	global_load_ubyte v0, v[2:3], off
	s_waitcnt vmcnt(0)
	v_and_b32_e32 v0, 1, v0
	v_cmp_eq_u32_e32 vcc, 1, v0
	s_xor_b64 s[2:3], vcc, -1
	s_orn2_b64 s[22:23], s[2:3], exec
	s_branch .LBB221_4
.LBB221_3:
	s_mov_b64 s[22:23], -1
.LBB221_4:
	s_movk_i32 s2, 0xc0
	v_mul_lo_u32 v6, v4, s2
	v_mov_b32_e32 v2, s4
	v_mov_b32_e32 v3, s5
	v_ashrrev_i32_e32 v7, 31, v6
	v_lshl_add_u64 v[2:3], v[6:7], 1, v[2:3]
	v_and_b32_e32 v6, 63, v1
	v_mov_b32_e32 v1, 0
	v_lshlrev_b32_e32 v0, 1, v6
	v_lshl_add_u64 v[8:9], v[2:3], 0, v[0:1]
	global_load_ushort v0, v[8:9], off
	global_load_ushort v1, v[8:9], off offset:128
	global_load_ushort v2, v[8:9], off offset:256
	s_mov_b32 s16, 0x800000
	v_mov_b32_e32 v7, 0x4f800000
	s_mov_b32 s7, 0x3f317217
	s_mov_b32 s14, 0x7f800000
	v_mov_b32_e32 v8, 0x41b17218
	s_movk_i32 s6, 0x4d00
	s_mov_b32 s15, 0xf800000
	s_load_dwordx4 s[8:11], s[0:1], 0x40
	s_waitcnt lgkmcnt(0)
	s_cmp_lg_u64 s[10:11], 0
	s_cselect_b64 s[12:13], -1, 0
	s_and_b64 s[2:3], exec, s[12:13]
	s_waitcnt vmcnt(2)
	v_cvt_f32_f16_e32 v9, v0
	v_mul_f32_e32 v3, 0x3fb8aa3b, v9
	v_exp_f32_e32 v3, v3
	s_nop 0
	v_add_f32_e32 v3, 1.0, v3
	v_cmp_gt_f32_e32 vcc, s16, v3
	s_nop 1
	v_cndmask_b32_e32 v5, 1.0, v7, vcc
	v_mul_f32_e32 v3, v3, v5
	v_log_f32_e32 v10, v3
	v_cndmask_b32_e32 v11, 0, v8, vcc
	v_mov_b32_e32 v5, 0x260
	v_lshlrev_b32_e32 v3, 2, v6
	v_mul_f32_e32 v12, 0x3f317217, v10
	v_fma_f32 v12, v10, s7, -v12
	v_fmac_f32_e32 v12, 0x3377d1cf, v10
	v_fmac_f32_e32 v12, 0x3f317217, v10
	v_cmp_lt_f32_e64 vcc, |v10|, s14
	s_nop 1
	v_cndmask_b32_e32 v10, v10, v12, vcc
	v_sub_f32_e32 v10, v10, v11
	v_cmp_lt_f16_e32 vcc, s6, v0
	s_nop 1
	v_cndmask_b32_e32 v0, v10, v9, vcc
	v_mul_f32_e32 v9, 0x4f800000, v0
	v_cmp_gt_f32_e32 vcc, s15, v0
	s_nop 1
	v_cndmask_b32_e32 v0, v0, v9, vcc
	v_sqrt_f32_e32 v9, v0
	s_nop 0
	v_add_u32_e32 v10, -1, v9
	v_add_u32_e32 v11, 1, v9
	v_fma_f32 v12, -v10, v9, v0
	v_fma_f32 v13, -v11, v9, v0
	v_cmp_ge_f32_e64 s[4:5], 0, v12
	s_nop 1
	v_cndmask_b32_e64 v9, v9, v10, s[4:5]
	v_cmp_lt_f32_e64 s[4:5], 0, v13
	s_nop 1
	v_cndmask_b32_e64 v9, v9, v11, s[4:5]
	v_mul_f32_e32 v10, 0x37800000, v9
	v_cndmask_b32_e32 v9, v9, v10, vcc
	v_cmp_class_f32_e32 vcc, v0, v5
	s_nop 1
	v_cndmask_b32_e32 v0, v9, v0, vcc
	s_mov_b64 vcc, s[2:3]
	s_cbranch_vccz .LBB221_6
; %bb.5:
	global_load_dword v9, v3, s[10:11]
	s_waitcnt vmcnt(0)
	v_add_f32_e32 v0, v0, v9
.LBB221_6:
	s_waitcnt vmcnt(1)
	v_cvt_f32_f16_e32 v9, v1
	v_mul_f32_e32 v10, 0x3fb8aa3b, v9
	v_exp_f32_e32 v10, v10
	s_nop 0
	v_add_f32_e32 v10, 1.0, v10
	v_cmp_gt_f32_e32 vcc, s16, v10
	s_nop 1
	v_cndmask_b32_e32 v7, 1.0, v7, vcc
	v_mul_f32_e32 v7, v10, v7
	v_log_f32_e32 v7, v7
	v_cndmask_b32_e32 v8, 0, v8, vcc
	v_mul_f32_e32 v10, 0x3f317217, v7
	v_fma_f32 v10, v7, s7, -v10
	v_fmac_f32_e32 v10, 0x3377d1cf, v7
	v_fmac_f32_e32 v10, 0x3f317217, v7
	v_cmp_lt_f32_e64 vcc, |v7|, s14
	s_nop 1
	v_cndmask_b32_e32 v7, v7, v10, vcc
	v_sub_f32_e32 v7, v7, v8
	v_cmp_lt_f16_e32 vcc, s6, v1
	v_cndmask_b32_e64 v8, 0, 1, s[12:13]
	v_cmp_ne_u32_e64 s[6:7], 1, v8
	v_cndmask_b32_e32 v1, v7, v9, vcc
	v_mul_f32_e32 v7, 0x4f800000, v1
	v_cmp_gt_f32_e64 s[2:3], s15, v1
	s_andn2_b64 vcc, exec, s[12:13]
	s_nop 0
	v_cndmask_b32_e64 v1, v1, v7, s[2:3]
	v_sqrt_f32_e32 v7, v1
	s_nop 0
	v_add_u32_e32 v8, -1, v7
	v_add_u32_e32 v9, 1, v7
	v_fma_f32 v10, -v8, v7, v1
	v_fma_f32 v11, -v9, v7, v1
	v_cmp_ge_f32_e64 s[4:5], 0, v10
	s_nop 1
	v_cndmask_b32_e64 v7, v7, v8, s[4:5]
	v_cmp_lt_f32_e64 s[4:5], 0, v11
	s_nop 1
	v_cndmask_b32_e64 v7, v7, v9, s[4:5]
	v_mul_f32_e32 v8, 0x37800000, v7
	v_cndmask_b32_e64 v7, v7, v8, s[2:3]
	v_cmp_class_f32_e64 s[2:3], v1, v5
	s_nop 1
	v_cndmask_b32_e64 v1, v7, v1, s[2:3]
	s_cbranch_vccnz .LBB221_8
; %bb.7:
	global_load_dword v5, v3, s[10:11] offset:256
	s_waitcnt vmcnt(0)
	v_add_f32_e32 v1, v1, v5
.LBB221_8:
	s_waitcnt vmcnt(0)
	v_cvt_f32_f16_e32 v5, v2
	s_mov_b32 s3, 0x800000
	v_mov_b32_e32 v8, 0x4f800000
	s_mov_b32 s4, 0x3f317217
	v_mul_f32_e32 v7, 0x3fb8aa3b, v5
	v_exp_f32_e32 v7, v7
	s_movk_i32 s2, 0x4d00
	v_add_f32_e32 v7, 1.0, v7
	v_cmp_gt_f32_e32 vcc, s3, v7
	s_mov_b32 s3, 0x7f800000
	s_nop 0
	v_cndmask_b32_e32 v8, 1.0, v8, vcc
	v_mul_f32_e32 v7, v7, v8
	v_log_f32_e32 v7, v7
	v_mov_b32_e32 v8, 0x41b17218
	v_cndmask_b32_e32 v8, 0, v8, vcc
	v_mul_f32_e32 v9, 0x3f317217, v7
	v_fma_f32 v9, v7, s4, -v9
	v_fmamk_f32 v9, v7, 0x3377d1cf, v9
	v_fmac_f32_e32 v9, 0x3f317217, v7
	v_cmp_lt_f32_e64 vcc, |v7|, s3
	s_nop 1
	v_cndmask_b32_e32 v7, v7, v9, vcc
	v_sub_f32_e32 v7, v7, v8
	v_cmp_lt_f16_e32 vcc, s2, v2
	s_mov_b32 s2, 0xf800000
	s_nop 0
	v_cndmask_b32_e32 v2, v7, v5, vcc
	v_mul_f32_e32 v5, 0x4f800000, v2
	v_cmp_gt_f32_e32 vcc, s2, v2
	s_nop 1
	v_cndmask_b32_e32 v2, v2, v5, vcc
	v_sqrt_f32_e32 v5, v2
	s_nop 0
	v_add_u32_e32 v7, -1, v5
	v_fma_f32 v8, -v7, v5, v2
	v_cmp_ge_f32_e64 s[2:3], 0, v8
	v_add_u32_e32 v8, 1, v5
	s_nop 0
	v_cndmask_b32_e64 v7, v5, v7, s[2:3]
	v_fma_f32 v5, -v8, v5, v2
	v_cmp_lt_f32_e64 s[2:3], 0, v5
	s_nop 1
	v_cndmask_b32_e64 v5, v7, v8, s[2:3]
	v_mul_f32_e32 v7, 0x37800000, v5
	v_cndmask_b32_e32 v5, v5, v7, vcc
	v_mov_b32_e32 v7, 0x260
	v_cmp_class_f32_e64 s[2:3], v2, v7
	s_and_b64 vcc, exec, s[6:7]
	s_nop 0
	v_cndmask_b32_e64 v2, v5, v2, s[2:3]
	s_cbranch_vccnz .LBB221_10
; %bb.9:
	global_load_dword v3, v3, s[10:11] offset:512
	s_waitcnt vmcnt(0)
	v_add_f32_e32 v2, v2, v3
.LBB221_10:
	s_load_dwordx4 s[12:15], s[0:1], 0x30
	v_cmp_eq_u32_e64 s[4:5], 0, v6
	s_waitcnt lgkmcnt(0)
	s_bitcmp1_b32 s15, 0
	s_cselect_b64 s[2:3], -1, 0
	s_cmp_gt_i32 s12, 0
	s_cselect_b64 s[24:25], -1, 0
	s_and_b64 vcc, exec, s[24:25]
	s_cbranch_vccz .LBB221_41
; %bb.11:
	v_mbcnt_lo_u32_b32 v3, -1, 0
	v_mbcnt_hi_u32_b32 v3, -1, v3
	v_and_b32_e32 v5, 64, v3
	v_add_u32_e32 v8, 64, v5
	v_xor_b32_e32 v9, 32, v3
	v_cmp_lt_i32_e32 vcc, v9, v8
	s_load_dwordx4 s[16:19], s[0:1], 0x20
	s_mov_b32 s15, 0
	v_cndmask_b32_e32 v9, v3, v9, vcc
	v_lshlrev_b32_e32 v11, 2, v9
	v_xor_b32_e32 v9, 16, v3
	v_cmp_lt_i32_e32 vcc, v9, v8
	v_mul_lo_u32 v5, v4, s12
	v_or_b32_e32 v7, 64, v6
	v_cndmask_b32_e32 v9, v3, v9, vcc
	v_lshlrev_b32_e32 v12, 2, v9
	v_xor_b32_e32 v9, 8, v3
	v_cmp_lt_i32_e32 vcc, v9, v8
	v_or_b32_e32 v10, 0x80, v6
	v_mov_b32_e32 v17, 0xc0
	v_cndmask_b32_e32 v9, v3, v9, vcc
	v_lshlrev_b32_e32 v13, 2, v9
	v_xor_b32_e32 v9, 4, v3
	v_cmp_lt_i32_e32 vcc, v9, v8
	v_mov_b32_e32 v18, 0xc61c4000
	v_mov_b32_e32 v19, v4
	v_cndmask_b32_e32 v9, v3, v9, vcc
	v_lshlrev_b32_e32 v14, 2, v9
	v_xor_b32_e32 v9, 2, v3
	v_cmp_lt_i32_e32 vcc, v9, v8
	s_nop 1
	v_cndmask_b32_e32 v9, v3, v9, vcc
	v_lshlrev_b32_e32 v15, 2, v9
	v_xor_b32_e32 v9, 1, v3
	v_cmp_lt_i32_e32 vcc, v9, v8
	s_nop 1
	v_cndmask_b32_e32 v3, v3, v9, vcc
	v_lshlrev_b32_e32 v16, 2, v3
	v_mov_b32_e32 v3, 0
	s_branch .LBB221_14
.LBB221_12:                             ;   in Loop: Header=BB221_14 Depth=1
	v_add_u32_e32 v22, s15, v5
	v_cmp_le_i32_e32 vcc, s13, v8
	v_cmp_gt_i32_e64 s[0:1], s14, v8
	v_ashrrev_i32_e32 v23, 31, v22
	s_and_b64 s[0:1], vcc, s[0:1]
	v_lshlrev_b64 v[22:23], 2, v[22:23]
	v_lshl_add_u64 v[24:25], s[20:21], 0, v[22:23]
	v_subrev_u32_e32 v9, s13, v8
	s_and_b64 vcc, s[22:23], s[0:1]
	global_store_dword v[24:25], v20, off
	v_cndmask_b32_e32 v9, v17, v9, vcc
	v_lshl_add_u64 v[24:25], s[16:17], 0, v[22:23]
	global_store_dword v[24:25], v9, off
	v_add_f32_e32 v9, v3, v20
	v_lshl_add_u64 v[22:23], s[18:19], 0, v[22:23]
	v_cndmask_b32_e64 v3, v3, v9, s[2:3]
	global_store_dword v[22:23], v19, off
.LBB221_13:                             ;   in Loop: Header=BB221_14 Depth=1
	s_or_b64 exec, exec, s[26:27]
	v_ashrrev_i32_e32 v9, 31, v8
	v_lshrrev_b32_e32 v9, 26, v9
	v_add_u32_e32 v9, v8, v9
	v_ashrrev_i32_e32 v20, 6, v9
	v_and_b32_e32 v9, 0xffffffc0, v9
	s_add_i32 s15, s15, 1
	v_sub_u32_e32 v8, v8, v9
	v_cmp_ne_u32_e64 s[0:1], 0, v20
	s_cmp_lt_i32 s15, s12
	v_cmp_eq_u32_e32 vcc, v6, v8
	v_cndmask_b32_e64 v8, v18, v0, s[0:1]
	v_cmp_ne_u32_e64 s[0:1], 1, v20
	s_cselect_b64 s[26:27], -1, 0
	s_and_b64 vcc, s[26:27], vcc
	v_cndmask_b32_e64 v9, v18, v1, s[0:1]
	v_cmp_ne_u32_e64 s[0:1], 2, v20
	v_cndmask_b32_e32 v1, v1, v9, vcc
	v_cndmask_b32_e32 v0, v0, v8, vcc
	v_cndmask_b32_e64 v20, v18, v2, s[0:1]
	v_cndmask_b32_e32 v2, v2, v20, vcc
	s_cmp_eq_u32 s12, s15
	v_add_u32_e32 v19, s30, v19
	s_cbranch_scc1 .LBB221_42
.LBB221_14:                             ; =>This Inner Loop Header: Depth=1
	v_cmp_gt_f32_e32 vcc, v1, v0
	s_nop 1
	v_cndmask_b32_e32 v9, v0, v1, vcc
	v_cndmask_b32_e32 v8, v6, v7, vcc
	v_cmp_gt_f32_e32 vcc, v2, v9
	s_nop 1
	v_cndmask_b32_e32 v20, v9, v2, vcc
	v_cndmask_b32_e32 v8, v8, v10, vcc
	ds_bpermute_b32 v9, v11, v20
	s_waitcnt lgkmcnt(0)
	ds_bpermute_b32 v21, v11, v8
	s_waitcnt lgkmcnt(0)
	v_cmp_lt_f32_e64 s[26:27], v20, v9
	v_cmp_nlt_f32_e32 vcc, v20, v9
	s_and_saveexec_b64 s[28:29], vcc
; %bb.15:                               ;   in Loop: Header=BB221_14 Depth=1
	v_cmp_eq_f32_e32 vcc, v20, v9
	v_cmp_lt_i32_e64 s[0:1], v21, v8
	s_and_b64 s[0:1], vcc, s[0:1]
	s_andn2_b64 s[26:27], s[26:27], exec
	s_and_b64 s[0:1], s[0:1], exec
	s_or_b64 s[26:27], s[26:27], s[0:1]
; %bb.16:                               ;   in Loop: Header=BB221_14 Depth=1
	s_or_b64 exec, exec, s[28:29]
	s_and_saveexec_b64 s[0:1], s[26:27]
; %bb.17:                               ;   in Loop: Header=BB221_14 Depth=1
	v_mov_b32_e32 v20, v9
	v_mov_b32_e32 v8, v21
; %bb.18:                               ;   in Loop: Header=BB221_14 Depth=1
	s_or_b64 exec, exec, s[0:1]
	ds_bpermute_b32 v9, v12, v20
	ds_bpermute_b32 v21, v12, v8
	s_waitcnt lgkmcnt(1)
	v_cmp_lt_f32_e64 s[26:27], v20, v9
	v_cmp_nlt_f32_e32 vcc, v20, v9
	s_and_saveexec_b64 s[28:29], vcc
	s_cbranch_execz .LBB221_20
; %bb.19:                               ;   in Loop: Header=BB221_14 Depth=1
	v_cmp_eq_f32_e32 vcc, v20, v9
	s_waitcnt lgkmcnt(0)
	v_cmp_lt_i32_e64 s[0:1], v21, v8
	s_and_b64 s[0:1], vcc, s[0:1]
	s_andn2_b64 s[26:27], s[26:27], exec
	s_and_b64 s[0:1], s[0:1], exec
	s_or_b64 s[26:27], s[26:27], s[0:1]
.LBB221_20:                             ;   in Loop: Header=BB221_14 Depth=1
	s_or_b64 exec, exec, s[28:29]
	s_and_saveexec_b64 s[0:1], s[26:27]
	s_cbranch_execz .LBB221_22
; %bb.21:                               ;   in Loop: Header=BB221_14 Depth=1
	v_mov_b32_e32 v20, v9
	s_waitcnt lgkmcnt(0)
	v_mov_b32_e32 v8, v21
.LBB221_22:                             ;   in Loop: Header=BB221_14 Depth=1
	s_or_b64 exec, exec, s[0:1]
	ds_bpermute_b32 v9, v13, v20
	s_waitcnt lgkmcnt(1)
	ds_bpermute_b32 v21, v13, v8
	s_waitcnt lgkmcnt(1)
	v_cmp_lt_f32_e64 s[26:27], v20, v9
	v_cmp_nlt_f32_e32 vcc, v20, v9
	s_and_saveexec_b64 s[28:29], vcc
	s_cbranch_execz .LBB221_24
; %bb.23:                               ;   in Loop: Header=BB221_14 Depth=1
	v_cmp_eq_f32_e32 vcc, v20, v9
	s_waitcnt lgkmcnt(0)
	v_cmp_lt_i32_e64 s[0:1], v21, v8
	s_and_b64 s[0:1], vcc, s[0:1]
	s_andn2_b64 s[26:27], s[26:27], exec
	s_and_b64 s[0:1], s[0:1], exec
	s_or_b64 s[26:27], s[26:27], s[0:1]
.LBB221_24:                             ;   in Loop: Header=BB221_14 Depth=1
	s_or_b64 exec, exec, s[28:29]
	s_and_saveexec_b64 s[0:1], s[26:27]
	s_cbranch_execz .LBB221_26
; %bb.25:                               ;   in Loop: Header=BB221_14 Depth=1
	v_mov_b32_e32 v20, v9
	s_waitcnt lgkmcnt(0)
	v_mov_b32_e32 v8, v21
.LBB221_26:                             ;   in Loop: Header=BB221_14 Depth=1
	s_or_b64 exec, exec, s[0:1]
	ds_bpermute_b32 v9, v14, v20
	s_waitcnt lgkmcnt(1)
	ds_bpermute_b32 v21, v14, v8
	s_waitcnt lgkmcnt(1)
	v_cmp_lt_f32_e64 s[26:27], v20, v9
	v_cmp_nlt_f32_e32 vcc, v20, v9
	s_and_saveexec_b64 s[28:29], vcc
	s_cbranch_execz .LBB221_28
; %bb.27:                               ;   in Loop: Header=BB221_14 Depth=1
	v_cmp_eq_f32_e32 vcc, v20, v9
	s_waitcnt lgkmcnt(0)
	v_cmp_lt_i32_e64 s[0:1], v21, v8
	s_and_b64 s[0:1], vcc, s[0:1]
	s_andn2_b64 s[26:27], s[26:27], exec
	s_and_b64 s[0:1], s[0:1], exec
	s_or_b64 s[26:27], s[26:27], s[0:1]
.LBB221_28:                             ;   in Loop: Header=BB221_14 Depth=1
	s_or_b64 exec, exec, s[28:29]
	s_and_saveexec_b64 s[0:1], s[26:27]
	s_cbranch_execz .LBB221_30
; %bb.29:                               ;   in Loop: Header=BB221_14 Depth=1
	v_mov_b32_e32 v20, v9
	s_waitcnt lgkmcnt(0)
	v_mov_b32_e32 v8, v21
.LBB221_30:                             ;   in Loop: Header=BB221_14 Depth=1
	s_or_b64 exec, exec, s[0:1]
	ds_bpermute_b32 v9, v15, v20
	s_waitcnt lgkmcnt(1)
	ds_bpermute_b32 v21, v15, v8
	s_waitcnt lgkmcnt(1)
	v_cmp_lt_f32_e64 s[26:27], v20, v9
	v_cmp_nlt_f32_e32 vcc, v20, v9
	s_and_saveexec_b64 s[28:29], vcc
	s_cbranch_execz .LBB221_32
; %bb.31:                               ;   in Loop: Header=BB221_14 Depth=1
	v_cmp_eq_f32_e32 vcc, v20, v9
	s_waitcnt lgkmcnt(0)
	v_cmp_lt_i32_e64 s[0:1], v21, v8
	s_and_b64 s[0:1], vcc, s[0:1]
	s_andn2_b64 s[26:27], s[26:27], exec
	s_and_b64 s[0:1], s[0:1], exec
	s_or_b64 s[26:27], s[26:27], s[0:1]
.LBB221_32:                             ;   in Loop: Header=BB221_14 Depth=1
	s_or_b64 exec, exec, s[28:29]
	s_and_saveexec_b64 s[0:1], s[26:27]
	s_cbranch_execz .LBB221_34
; %bb.33:                               ;   in Loop: Header=BB221_14 Depth=1
	v_mov_b32_e32 v20, v9
	s_waitcnt lgkmcnt(0)
	v_mov_b32_e32 v8, v21
.LBB221_34:                             ;   in Loop: Header=BB221_14 Depth=1
	s_or_b64 exec, exec, s[0:1]
	ds_bpermute_b32 v9, v16, v20
	s_waitcnt lgkmcnt(1)
	ds_bpermute_b32 v21, v16, v8
	s_waitcnt lgkmcnt(1)
	v_cmp_lt_f32_e64 s[26:27], v20, v9
	v_cmp_nlt_f32_e32 vcc, v20, v9
	s_and_saveexec_b64 s[28:29], vcc
	s_cbranch_execnz .LBB221_37
; %bb.35:                               ;   in Loop: Header=BB221_14 Depth=1
	s_or_b64 exec, exec, s[28:29]
	s_and_saveexec_b64 s[0:1], s[26:27]
	s_cbranch_execnz .LBB221_38
.LBB221_36:                             ;   in Loop: Header=BB221_14 Depth=1
	s_or_b64 exec, exec, s[0:1]
	s_and_saveexec_b64 s[26:27], s[4:5]
	s_cbranch_execz .LBB221_13
	s_branch .LBB221_39
.LBB221_37:                             ;   in Loop: Header=BB221_14 Depth=1
	v_cmp_eq_f32_e32 vcc, v20, v9
	s_waitcnt lgkmcnt(0)
	v_cmp_lt_i32_e64 s[0:1], v21, v8
	s_and_b64 s[0:1], vcc, s[0:1]
	s_andn2_b64 s[26:27], s[26:27], exec
	s_and_b64 s[0:1], s[0:1], exec
	s_or_b64 s[26:27], s[26:27], s[0:1]
	s_or_b64 exec, exec, s[28:29]
	s_and_saveexec_b64 s[0:1], s[26:27]
	s_cbranch_execz .LBB221_36
.LBB221_38:                             ;   in Loop: Header=BB221_14 Depth=1
	s_waitcnt lgkmcnt(0)
	v_mov_b32_e32 v8, v21
	v_mov_b32_e32 v20, v9
	s_or_b64 exec, exec, s[0:1]
	s_and_saveexec_b64 s[26:27], s[4:5]
	s_cbranch_execz .LBB221_13
.LBB221_39:                             ;   in Loop: Header=BB221_14 Depth=1
	s_and_b64 vcc, exec, s[6:7]
	s_cbranch_vccnz .LBB221_12
; %bb.40:                               ;   in Loop: Header=BB221_14 Depth=1
	v_ashrrev_i32_e32 v9, 31, v8
	v_lshl_add_u64 v[22:23], v[8:9], 2, s[10:11]
	global_load_dword v9, v[22:23], off
	s_waitcnt vmcnt(0)
	v_sub_f32_e32 v20, v20, v9
	s_branch .LBB221_12
.LBB221_41:
	v_mov_b32_e32 v3, 0
.LBB221_42:
	v_cmp_eq_u32_e32 vcc, 0, v6
	s_and_b64 exec, exec, vcc
	s_cbranch_execz .LBB221_55
; %bb.43:
	s_andn2_b64 vcc, exec, s[2:3]
	v_cvt_f32_f64_e32 v0, s[8:9]
	s_cbranch_vccnz .LBB221_45
; %bb.44:
	v_cmp_lt_f32_e32 vcc, 0, v3
	s_nop 1
	v_cndmask_b32_e32 v1, 1.0, v3, vcc
	v_div_scale_f32 v2, s[0:1], v1, v1, v0
	v_rcp_f32_e32 v3, v2
	s_nop 0
	v_fma_f32 v5, -v2, v3, 1.0
	v_fmac_f32_e32 v3, v5, v3
	v_div_scale_f32 v5, vcc, v0, v1, v0
	v_mul_f32_e32 v6, v5, v3
	v_fma_f32 v7, -v2, v6, v5
	v_fmac_f32_e32 v6, v7, v3
	v_fma_f32 v2, -v2, v6, v5
	v_div_fmas_f32 v2, v2, v3, v6
	v_div_fixup_f32 v0, v2, v1, v0
.LBB221_45:
	s_andn2_b64 vcc, exec, s[24:25]
	s_cbranch_vccnz .LBB221_55
; %bb.46:
	v_mul_lo_u32 v2, v4, s12
	s_cmp_gt_u32 s12, 3
	v_ashrrev_i32_e32 v3, 31, v2
	s_cbranch_scc0 .LBB221_50
; %bb.47:
	s_and_b32 s0, s12, 0x7ffffffc
	v_lshl_add_u64 v[4:5], v[2:3], 2, s[20:21]
	v_mov_b32_e32 v1, v0
	v_lshl_add_u64 v[4:5], v[4:5], 0, 8
	s_mov_b32 s1, s0
.LBB221_48:                             ; =>This Inner Loop Header: Depth=1
	global_load_dwordx4 v[6:9], v[4:5], off offset:-8
	s_add_i32 s1, s1, -4
	s_cmp_lg_u32 s1, 0
	s_waitcnt vmcnt(0)
	v_pk_mul_f32 v[6:7], v[0:1], v[6:7]
	v_pk_mul_f32 v[8:9], v[0:1], v[8:9]
	global_store_dwordx4 v[4:5], v[6:9], off offset:-8
	v_lshl_add_u64 v[4:5], v[4:5], 0, 16
	s_cbranch_scc1 .LBB221_48
; %bb.49:
	s_cmp_lg_u32 s0, s12
	s_cselect_b64 s[2:3], -1, 0
	s_branch .LBB221_52
.LBB221_50:
	s_mov_b64 s[2:3], 0
                                        ; implicit-def: $sgpr0
	s_cbranch_execz .LBB221_52
; %bb.51:
	s_mov_b64 s[2:3], -1
	s_mov_b32 s0, 0
.LBB221_52:
	s_andn2_b64 vcc, exec, s[2:3]
	s_cbranch_vccnz .LBB221_55
; %bb.53:
	s_mov_b32 s1, 0
	v_lshl_add_u64 v[2:3], v[2:3], 0, s[0:1]
	s_sub_i32 s2, s12, s0
	v_lshl_add_u64 v[2:3], v[2:3], 2, s[20:21]
.LBB221_54:                             ; =>This Inner Loop Header: Depth=1
	global_load_dword v1, v[2:3], off
	s_add_i32 s2, s2, -1
	s_cmp_lg_u32 s2, 0
	s_waitcnt vmcnt(0)
	v_mul_f32_e32 v1, v0, v1
	global_store_dword v[2:3], v1, off
	v_lshl_add_u64 v[2:3], v[2:3], 0, 4
	s_cbranch_scc1 .LBB221_54
.LBB221_55:
	s_endpgm
	.section	.rodata,"a",@progbits
	.p2align	6, 0x0
	.amdhsa_kernel _ZN4vllm3moe22topkGatingSoftplusSqrtILi3ELi192ELi4ELi2ELi64ELb0Ei6__halfEEvPKT6_PKbPfiPT5_PiiiibdPKfPKS9_SF_
		.amdhsa_group_segment_fixed_size 0
		.amdhsa_private_segment_fixed_size 0
		.amdhsa_kernarg_size 96
		.amdhsa_user_sgpr_count 2
		.amdhsa_user_sgpr_dispatch_ptr 0
		.amdhsa_user_sgpr_queue_ptr 0
		.amdhsa_user_sgpr_kernarg_segment_ptr 1
		.amdhsa_user_sgpr_dispatch_id 0
		.amdhsa_user_sgpr_kernarg_preload_length 0
		.amdhsa_user_sgpr_kernarg_preload_offset 0
		.amdhsa_user_sgpr_private_segment_size 0
		.amdhsa_uses_dynamic_stack 0
		.amdhsa_enable_private_segment 0
		.amdhsa_system_sgpr_workgroup_id_x 1
		.amdhsa_system_sgpr_workgroup_id_y 0
		.amdhsa_system_sgpr_workgroup_id_z 0
		.amdhsa_system_sgpr_workgroup_info 0
		.amdhsa_system_vgpr_workitem_id 1
		.amdhsa_next_free_vgpr 26
		.amdhsa_next_free_sgpr 31
		.amdhsa_accum_offset 28
		.amdhsa_reserve_vcc 1
		.amdhsa_float_round_mode_32 0
		.amdhsa_float_round_mode_16_64 0
		.amdhsa_float_denorm_mode_32 3
		.amdhsa_float_denorm_mode_16_64 3
		.amdhsa_dx10_clamp 1
		.amdhsa_ieee_mode 1
		.amdhsa_fp16_overflow 0
		.amdhsa_tg_split 0
		.amdhsa_exception_fp_ieee_invalid_op 0
		.amdhsa_exception_fp_denorm_src 0
		.amdhsa_exception_fp_ieee_div_zero 0
		.amdhsa_exception_fp_ieee_overflow 0
		.amdhsa_exception_fp_ieee_underflow 0
		.amdhsa_exception_fp_ieee_inexact 0
		.amdhsa_exception_int_div_zero 0
	.end_amdhsa_kernel
	.section	.text._ZN4vllm3moe22topkGatingSoftplusSqrtILi3ELi192ELi4ELi2ELi64ELb0Ei6__halfEEvPKT6_PKbPfiPT5_PiiiibdPKfPKS9_SF_,"axG",@progbits,_ZN4vllm3moe22topkGatingSoftplusSqrtILi3ELi192ELi4ELi2ELi64ELb0Ei6__halfEEvPKT6_PKbPfiPT5_PiiiibdPKfPKS9_SF_,comdat
.Lfunc_end221:
	.size	_ZN4vllm3moe22topkGatingSoftplusSqrtILi3ELi192ELi4ELi2ELi64ELb0Ei6__halfEEvPKT6_PKbPfiPT5_PiiiibdPKfPKS9_SF_, .Lfunc_end221-_ZN4vllm3moe22topkGatingSoftplusSqrtILi3ELi192ELi4ELi2ELi64ELb0Ei6__halfEEvPKT6_PKbPfiPT5_PiiiibdPKfPKS9_SF_
                                        ; -- End function
	.section	.AMDGPU.csdata,"",@progbits
; Kernel info:
; codeLenInByte = 2672
; NumSgprs: 37
; NumVgprs: 26
; NumAgprs: 0
; TotalNumVgprs: 26
; ScratchSize: 0
; MemoryBound: 0
; FloatMode: 240
; IeeeMode: 1
; LDSByteSize: 0 bytes/workgroup (compile time only)
; SGPRBlocks: 4
; VGPRBlocks: 3
; NumSGPRsForWavesPerEU: 37
; NumVGPRsForWavesPerEU: 26
; AccumOffset: 28
; Occupancy: 8
; WaveLimiterHint : 1
; COMPUTE_PGM_RSRC2:SCRATCH_EN: 0
; COMPUTE_PGM_RSRC2:USER_SGPR: 2
; COMPUTE_PGM_RSRC2:TRAP_HANDLER: 0
; COMPUTE_PGM_RSRC2:TGID_X_EN: 1
; COMPUTE_PGM_RSRC2:TGID_Y_EN: 0
; COMPUTE_PGM_RSRC2:TGID_Z_EN: 0
; COMPUTE_PGM_RSRC2:TIDIG_COMP_CNT: 1
; COMPUTE_PGM_RSRC3_GFX90A:ACCUM_OFFSET: 6
; COMPUTE_PGM_RSRC3_GFX90A:TG_SPLIT: 0
	.section	.text._ZN4vllm3moe22topkGatingSoftplusSqrtILi6ELi192ELi4ELi2ELi32ELb1Ei6__halfEEvPKT6_PKbPfiPT5_PiiiibdPKfPKS9_SF_,"axG",@progbits,_ZN4vllm3moe22topkGatingSoftplusSqrtILi6ELi192ELi4ELi2ELi32ELb1Ei6__halfEEvPKT6_PKbPfiPT5_PiiiibdPKfPKS9_SF_,comdat
	.protected	_ZN4vllm3moe22topkGatingSoftplusSqrtILi6ELi192ELi4ELi2ELi32ELb1Ei6__halfEEvPKT6_PKbPfiPT5_PiiiibdPKfPKS9_SF_ ; -- Begin function _ZN4vllm3moe22topkGatingSoftplusSqrtILi6ELi192ELi4ELi2ELi32ELb1Ei6__halfEEvPKT6_PKbPfiPT5_PiiiibdPKfPKS9_SF_
	.globl	_ZN4vllm3moe22topkGatingSoftplusSqrtILi6ELi192ELi4ELi2ELi32ELb1Ei6__halfEEvPKT6_PKbPfiPT5_PiiiibdPKfPKS9_SF_
	.p2align	8
	.type	_ZN4vllm3moe22topkGatingSoftplusSqrtILi6ELi192ELi4ELi2ELi32ELb1Ei6__halfEEvPKT6_PKbPfiPT5_PiiiibdPKfPKS9_SF_,@function
_ZN4vllm3moe22topkGatingSoftplusSqrtILi6ELi192ELi4ELi2ELi32ELb1Ei6__halfEEvPKT6_PKbPfiPT5_PiiiibdPKfPKS9_SF_: ; @_ZN4vllm3moe22topkGatingSoftplusSqrtILi6ELi192ELi4ELi2ELi32ELb1Ei6__halfEEvPKT6_PKbPfiPT5_PiiiibdPKfPKS9_SF_
; %bb.0:
	s_load_dword s3, s[0:1], 0x18
	v_and_b32_e32 v1, 0x3ff, v0
	s_lshl_b32 s2, s2, 2
	v_lshrrev_b32_e32 v2, 5, v1
	v_bfe_u32 v0, v0, 10, 10
	v_add3_u32 v0, s2, v0, v2
	s_waitcnt lgkmcnt(0)
	v_cmp_gt_i32_e32 vcc, s3, v0
	s_and_saveexec_b64 s[2:3], vcc
	s_cbranch_execz .LBB222_31
; %bb.1:
	s_load_dwordx4 s[8:11], s[0:1], 0x50
	s_load_dwordx2 s[2:3], s[0:1], 0x0
	s_load_dword s24, s[0:1], 0x30
	s_movk_i32 s4, 0xc0
	v_mul_lo_u32 v4, v0, s4
	v_ashrrev_i32_e32 v5, 31, v4
	v_and_b32_e32 v10, 31, v1
	s_waitcnt lgkmcnt(0)
	v_mov_b32_e32 v2, s8
	v_mov_b32_e32 v3, s9
	v_lshl_add_u64 v[6:7], v[4:5], 1, s[2:3]
	v_lshlrev_b32_e32 v4, 1, v10
	v_mov_b32_e32 v5, 0
	v_ashrrev_i32_e32 v1, 31, v0
	v_lshl_add_u64 v[6:7], v[6:7], 0, v[4:5]
	v_lshl_add_u64 v[2:3], v[0:1], 2, v[2:3]
	global_load_ushort v4, v[6:7], off
	global_load_ushort v8, v[6:7], off offset:64
	global_load_ushort v9, v[6:7], off offset:128
	;; [unrolled: 1-line block ×5, first 2 shown]
	global_load_dword v1, v[2:3], off
	s_mov_b32 s13, 0x800000
	v_mov_b32_e32 v6, 0x4f800000
	s_mov_b32 s12, 0x3f317217
	s_mov_b32 s14, 0x7f800000
	v_mov_b32_e32 v7, 0x41b17218
	s_movk_i32 s9, 0x4d00
	s_mov_b32 s15, 0xf800000
	v_mov_b32_e32 v16, 0x260
	s_cmp_gt_i32 s24, 0
	s_mov_b32 s8, 0
	v_mul_lo_u32 v0, v0, s24
	s_waitcnt vmcnt(6)
	v_cvt_f32_f16_e32 v11, v4
	s_waitcnt vmcnt(5)
	v_cvt_f32_f16_e32 v12, v8
	;; [unrolled: 2-line block ×5, first 2 shown]
	v_mul_f32_e32 v3, 0x3fb8aa3b, v12
	s_waitcnt vmcnt(0)
	v_mul_lo_u32 v2, v1, s24
	v_mul_f32_e32 v1, 0x3fb8aa3b, v11
	v_exp_f32_e32 v1, v1
	v_mul_f32_e32 v21, 0x3fb8aa3b, v17
	v_exp_f32_e32 v22, v3
	v_exp_f32_e32 v21, v21
	v_add_f32_e32 v1, 1.0, v1
	v_cmp_gt_f32_e32 vcc, s13, v1
	v_add_f32_e32 v22, 1.0, v22
	v_add_f32_e32 v21, 1.0, v21
	v_cndmask_b32_e32 v23, 1.0, v6, vcc
	v_cmp_gt_f32_e64 s[2:3], s13, v22
	v_cmp_gt_f32_e64 s[4:5], s13, v21
	v_mul_f32_e32 v1, v1, v23
	v_cndmask_b32_e64 v24, 1.0, v6, s[2:3]
	v_cndmask_b32_e64 v25, 1.0, v6, s[4:5]
	v_mul_f32_e32 v22, v22, v24
	v_log_f32_e32 v1, v1
	v_mul_f32_e32 v21, v21, v25
	v_log_f32_e32 v22, v22
	v_log_f32_e32 v21, v21
	v_mul_f32_e32 v26, 0x3f317217, v1
	v_fma_f32 v26, v1, s12, -v26
	v_mul_f32_e32 v27, 0x3f317217, v22
	v_mul_f32_e32 v28, 0x3f317217, v21
	v_fma_f32 v27, v22, s12, -v27
	v_fmac_f32_e32 v26, 0x3377d1cf, v1
	v_cndmask_b32_e32 v23, 0, v7, vcc
	v_fma_f32 v28, v21, s12, -v28
	v_fmac_f32_e32 v27, 0x3377d1cf, v22
	v_fmac_f32_e32 v26, 0x3f317217, v1
	v_cmp_lt_f32_e64 vcc, |v1|, s14
	v_fmac_f32_e32 v28, 0x3377d1cf, v21
	v_fmac_f32_e32 v27, 0x3f317217, v22
	v_cndmask_b32_e32 v1, v1, v26, vcc
	v_cmp_lt_f32_e64 vcc, |v22|, s14
	v_fmac_f32_e32 v28, 0x3f317217, v21
	v_cndmask_b32_e64 v24, 0, v7, s[2:3]
	v_cndmask_b32_e32 v22, v22, v27, vcc
	v_cmp_lt_f32_e64 vcc, |v21|, s14
	v_sub_f32_e32 v1, v1, v23
	v_cndmask_b32_e64 v25, 0, v7, s[4:5]
	v_cndmask_b32_e32 v21, v21, v28, vcc
	v_cmp_lt_f16_e32 vcc, s9, v4
	v_sub_f32_e32 v22, v22, v24
	v_sub_f32_e32 v21, v21, v25
	v_cndmask_b32_e32 v1, v1, v11, vcc
	v_cmp_lt_f16_e32 vcc, s9, v8
	v_cvt_f32_f16_e32 v20, v15
	v_ashrrev_i32_e32 v3, 31, v2
	v_cndmask_b32_e32 v4, v22, v12, vcc
	v_cmp_lt_f16_e32 vcc, s9, v9
	v_mul_f32_e32 v9, 0x4f800000, v1
	v_mul_f32_e32 v11, 0x4f800000, v4
	v_cndmask_b32_e32 v8, v21, v17, vcc
	v_cmp_gt_f32_e32 vcc, s15, v1
	v_cmp_gt_f32_e64 s[2:3], s15, v4
	v_mul_f32_e32 v12, 0x4f800000, v8
	v_cndmask_b32_e32 v1, v1, v9, vcc
	v_cndmask_b32_e64 v4, v4, v11, s[2:3]
	v_sqrt_f32_e32 v9, v1
	v_sqrt_f32_e32 v11, v4
	v_cmp_gt_f32_e64 s[4:5], s15, v8
	v_lshl_add_u64 v[2:3], v[2:3], 2, s[10:11]
	v_add_u32_e32 v21, 1, v9
	v_cndmask_b32_e64 v8, v8, v12, s[4:5]
	v_add_u32_e32 v12, -1, v9
	v_add_u32_e32 v22, -1, v11
	v_fma_f32 v24, -v12, v9, v1
	v_fma_f32 v26, -v22, v11, v4
	v_cmp_ge_f32_e64 s[6:7], 0, v24
	v_add_u32_e32 v23, 1, v11
	v_fma_f32 v25, -v21, v9, v1
	v_cndmask_b32_e64 v9, v9, v12, s[6:7]
	v_cmp_ge_f32_e64 s[6:7], 0, v26
	v_fma_f32 v27, -v23, v11, v4
	v_sqrt_f32_e32 v17, v8
	v_cndmask_b32_e64 v11, v11, v22, s[6:7]
	v_cmp_lt_f32_e64 s[6:7], 0, v25
	s_nop 1
	v_cndmask_b32_e64 v9, v9, v21, s[6:7]
	v_cmp_lt_f32_e64 s[6:7], 0, v27
	s_nop 1
	v_cndmask_b32_e64 v12, v11, v23, s[6:7]
	v_mul_f32_e32 v11, 0x37800000, v9
	v_cndmask_b32_e32 v9, v9, v11, vcc
	v_cmp_class_f32_e32 vcc, v1, v16
	v_mul_f32_e32 v21, 0x37800000, v12
	s_nop 0
	v_cndmask_b32_e32 v11, v9, v1, vcc
	v_mul_f32_e32 v9, 0x3fb8aa3b, v18
	v_exp_f32_e32 v9, v9
	v_cndmask_b32_e64 v1, v12, v21, s[2:3]
	v_cmp_class_f32_e32 vcc, v4, v16
	v_add_f32_e32 v9, 1.0, v9
	s_nop 0
	v_cndmask_b32_e32 v12, v1, v4, vcc
	v_add_u32_e32 v1, -1, v17
	v_fma_f32 v4, -v1, v17, v8
	v_cmp_ge_f32_e32 vcc, 0, v4
	v_add_u32_e32 v4, 1, v17
	s_nop 0
	v_cndmask_b32_e32 v1, v17, v1, vcc
	v_cmp_gt_f32_e32 vcc, s13, v9
	v_fma_f32 v17, -v4, v17, v8
	v_cmp_lt_f32_e64 s[2:3], 0, v17
	v_cndmask_b32_e32 v21, 1.0, v6, vcc
	v_mul_f32_e32 v9, v9, v21
	v_log_f32_e32 v9, v9
	v_cndmask_b32_e64 v1, v1, v4, s[2:3]
	v_mul_f32_e32 v4, 0x37800000, v1
	v_cndmask_b32_e64 v1, v1, v4, s[4:5]
	v_mul_f32_e32 v17, 0x3f317217, v9
	v_fma_f32 v17, v9, s12, -v17
	v_fmac_f32_e32 v17, 0x3377d1cf, v9
	v_fmac_f32_e32 v17, 0x3f317217, v9
	v_cmp_lt_f32_e64 s[2:3], |v9|, s14
	s_nop 1
	v_cndmask_b32_e64 v9, v9, v17, s[2:3]
	v_cndmask_b32_e32 v17, 0, v7, vcc
	v_sub_f32_e32 v9, v9, v17
	v_cmp_lt_f16_e32 vcc, s9, v13
	v_cmp_class_f32_e64 s[2:3], v8, v16
	s_nop 0
	v_cndmask_b32_e32 v9, v9, v18, vcc
	v_mul_f32_e32 v13, 0x4f800000, v9
	v_cmp_gt_f32_e32 vcc, s15, v9
	s_nop 1
	v_cndmask_b32_e32 v9, v9, v13, vcc
	v_sqrt_f32_e32 v17, v9
	v_cndmask_b32_e64 v13, v1, v8, s[2:3]
	v_mul_f32_e32 v8, 0x3fb8aa3b, v19
	v_exp_f32_e32 v8, v8
	v_add_u32_e32 v1, -1, v17
	v_fma_f32 v4, -v1, v17, v9
	v_cmp_ge_f32_e64 s[2:3], 0, v4
	v_add_f32_e32 v8, 1.0, v8
	v_add_u32_e32 v4, 1, v17
	v_cndmask_b32_e64 v1, v17, v1, s[2:3]
	v_cmp_gt_f32_e64 s[2:3], s13, v8
	v_fma_f32 v17, -v4, v17, v9
	v_cmp_lt_f32_e64 s[4:5], 0, v17
	v_cndmask_b32_e64 v18, 1.0, v6, s[2:3]
	v_mul_f32_e32 v8, v8, v18
	v_log_f32_e32 v8, v8
	v_cndmask_b32_e64 v1, v1, v4, s[4:5]
	v_mul_f32_e32 v4, 0x37800000, v1
	v_cndmask_b32_e32 v1, v1, v4, vcc
	v_mul_f32_e32 v17, 0x3f317217, v8
	v_fma_f32 v17, v8, s12, -v17
	v_fmac_f32_e32 v17, 0x3377d1cf, v8
	v_fmac_f32_e32 v17, 0x3f317217, v8
	v_cmp_lt_f32_e64 s[4:5], |v8|, s14
	v_cmp_class_f32_e32 vcc, v9, v16
	s_nop 0
	v_cndmask_b32_e64 v8, v8, v17, s[4:5]
	v_cndmask_b32_e64 v17, 0, v7, s[2:3]
	v_sub_f32_e32 v8, v8, v17
	v_cmp_lt_f16_e64 s[2:3], s9, v14
	s_nop 1
	v_cndmask_b32_e64 v8, v8, v19, s[2:3]
	v_mul_f32_e32 v14, 0x4f800000, v8
	v_cmp_gt_f32_e64 s[2:3], s15, v8
	s_nop 1
	v_cndmask_b32_e64 v8, v8, v14, s[2:3]
	v_sqrt_f32_e32 v17, v8
	v_cndmask_b32_e32 v14, v1, v9, vcc
	v_mul_f32_e32 v9, 0x3fb8aa3b, v20
	v_exp_f32_e32 v9, v9
	v_add_u32_e32 v1, -1, v17
	v_fma_f32 v4, -v1, v17, v8
	v_cmp_ge_f32_e32 vcc, 0, v4
	v_add_f32_e32 v9, 1.0, v9
	v_add_u32_e32 v4, 1, v17
	v_cndmask_b32_e32 v1, v17, v1, vcc
	v_cmp_gt_f32_e32 vcc, s13, v9
	v_fma_f32 v17, -v4, v17, v8
	v_cmp_lt_f32_e64 s[4:5], 0, v17
	v_cndmask_b32_e32 v6, 1.0, v6, vcc
	v_mul_f32_e32 v6, v9, v6
	v_log_f32_e32 v6, v6
	v_cndmask_b32_e64 v1, v1, v4, s[4:5]
	v_cndmask_b32_e32 v7, 0, v7, vcc
	v_cmp_lt_f16_e32 vcc, s9, v15
	v_mul_f32_e32 v9, 0x3f317217, v6
	v_fma_f32 v9, v6, s12, -v9
	v_fmac_f32_e32 v9, 0x3377d1cf, v6
	v_fmac_f32_e32 v9, 0x3f317217, v6
	v_cmp_lt_f32_e64 s[4:5], |v6|, s14
	v_mul_f32_e32 v4, 0x37800000, v1
	v_cndmask_b32_e64 v1, v1, v4, s[2:3]
	v_cndmask_b32_e64 v6, v6, v9, s[4:5]
	v_sub_f32_e32 v6, v6, v7
	v_cndmask_b32_e32 v6, v6, v20, vcc
	v_mul_f32_e32 v7, 0x4f800000, v6
	v_cmp_gt_f32_e32 vcc, s15, v6
	v_cmp_class_f32_e64 s[2:3], v8, v16
	s_cselect_b64 s[4:5], -1, 0
	v_cndmask_b32_e32 v6, v6, v7, vcc
	v_sqrt_f32_e32 v7, v6
	v_cndmask_b32_e64 v15, v1, v8, s[2:3]
	s_cmp_lt_i32 s24, 1
	v_add_u32_e32 v1, -1, v7
	v_fma_f32 v4, -v1, v7, v6
	v_cmp_ge_f32_e64 s[2:3], 0, v4
	v_add_u32_e32 v4, 1, v7
	s_nop 0
	v_cndmask_b32_e64 v1, v7, v1, s[2:3]
	v_fma_f32 v7, -v4, v7, v6
	v_cmp_lt_f32_e64 s[2:3], 0, v7
	s_nop 1
	v_cndmask_b32_e64 v1, v1, v4, s[2:3]
	v_mul_f32_e32 v4, 0x37800000, v1
	v_cndmask_b32_e32 v1, v1, v4, vcc
	v_cmp_class_f32_e32 vcc, v6, v16
	s_nop 1
	v_cndmask_b32_e32 v16, v1, v6, vcc
	s_cbranch_scc1 .LBB222_28
; %bb.2:
	s_load_dwordx2 s[6:7], s[0:1], 0x20
	s_cmp_lt_u32 s24, 4
	s_cbranch_scc1 .LBB222_21
; %bb.3:
	s_mov_b32 s11, 0
	s_and_b32 s8, s24, 0x7ffffffc
	v_ashrrev_i32_e32 v1, 31, v0
	v_mov_b32_e32 v5, 0
	s_mov_b32 s10, s11
	s_branch .LBB222_5
.LBB222_4:                              ;   in Loop: Header=BB222_5 Depth=1
	s_or_b64 exec, exec, s[12:13]
	s_add_i32 s10, s10, 4
	s_cmp_eq_u32 s10, s8
	s_cbranch_scc1 .LBB222_21
.LBB222_5:                              ; =>This Loop Header: Depth=1
                                        ;     Child Loop BB222_7 Depth 2
                                        ;     Child Loop BB222_11 Depth 2
	;; [unrolled: 1-line block ×4, first 2 shown]
	v_lshl_add_u64 v[6:7], s[10:11], 2, v[2:3]
	global_load_dword v4, v[6:7], off
	v_add_u32_e32 v8, s10, v0
	v_ashrrev_i32_e32 v9, 31, v8
	s_waitcnt lgkmcnt(0)
	v_lshl_add_u64 v[8:9], v[8:9], 2, s[6:7]
	s_mov_b64 s[12:13], 0
	v_mov_b32_e32 v17, v10
	s_mov_b64 s[14:15], 0
	s_waitcnt vmcnt(0)
	s_branch .LBB222_7
.LBB222_6:                              ;   in Loop: Header=BB222_7 Depth=2
	s_or_b64 exec, exec, s[16:17]
	s_cmp_gt_u32 s14, 4
	s_cselect_b64 s[2:3], -1, 0
	s_xor_b64 s[16:17], vcc, -1
	s_or_b64 s[2:3], s[16:17], s[2:3]
	s_add_u32 s14, s14, 1
	s_addc_u32 s15, s15, 0
	s_and_b64 s[2:3], exec, s[2:3]
	s_or_b64 s[12:13], s[2:3], s[12:13]
	v_add_u32_e32 v17, 32, v17
	s_andn2_b64 exec, exec, s[12:13]
	s_cbranch_execz .LBB222_9
.LBB222_7:                              ;   Parent Loop BB222_5 Depth=1
                                        ; =>  This Inner Loop Header: Depth=2
	v_cmp_ne_u32_e32 vcc, v4, v17
	v_cmp_eq_u32_e64 s[2:3], v4, v17
	s_and_saveexec_b64 s[16:17], s[2:3]
	s_cbranch_execz .LBB222_6
; %bb.8:                                ;   in Loop: Header=BB222_7 Depth=2
	s_cmp_eq_u32 s14, 1
	s_cselect_b64 s[2:3], -1, 0
	s_cmp_eq_u32 s14, 2
	v_cndmask_b32_e64 v18, v11, v12, s[2:3]
	s_cselect_b64 s[2:3], -1, 0
	s_cmp_eq_u32 s14, 3
	v_cndmask_b32_e64 v18, v18, v13, s[2:3]
	;; [unrolled: 3-line block ×4, first 2 shown]
	s_cselect_b64 s[2:3], -1, 0
	v_cndmask_b32_e64 v18, v18, v16, s[2:3]
	v_add_f32_e32 v5, v5, v18
	global_store_dword v[8:9], v4, off
	s_branch .LBB222_6
.LBB222_9:                              ;   in Loop: Header=BB222_5 Depth=1
	s_or_b64 exec, exec, s[12:13]
	global_load_dword v4, v[6:7], off offset:4
	s_ashr_i32 s3, s10, 31
	s_mov_b32 s2, s10
	v_lshl_add_u64 v[8:9], s[2:3], 0, v[0:1]
	v_lshl_add_u64 v[8:9], v[8:9], 2, s[6:7]
	s_mov_b64 s[12:13], 0
	v_mov_b32_e32 v17, v10
	s_mov_b64 s[14:15], 0
	s_waitcnt vmcnt(0)
	s_branch .LBB222_11
.LBB222_10:                             ;   in Loop: Header=BB222_11 Depth=2
	s_or_b64 exec, exec, s[16:17]
	s_cmp_gt_u32 s14, 4
	s_cselect_b64 s[2:3], -1, 0
	s_xor_b64 s[16:17], vcc, -1
	s_or_b64 s[2:3], s[16:17], s[2:3]
	s_add_u32 s14, s14, 1
	s_addc_u32 s15, s15, 0
	s_and_b64 s[2:3], exec, s[2:3]
	s_or_b64 s[12:13], s[2:3], s[12:13]
	v_add_u32_e32 v17, 32, v17
	s_andn2_b64 exec, exec, s[12:13]
	s_cbranch_execz .LBB222_13
.LBB222_11:                             ;   Parent Loop BB222_5 Depth=1
                                        ; =>  This Inner Loop Header: Depth=2
	v_cmp_ne_u32_e32 vcc, v4, v17
	v_cmp_eq_u32_e64 s[2:3], v4, v17
	s_and_saveexec_b64 s[16:17], s[2:3]
	s_cbranch_execz .LBB222_10
; %bb.12:                               ;   in Loop: Header=BB222_11 Depth=2
	s_cmp_eq_u32 s14, 1
	s_cselect_b64 s[2:3], -1, 0
	s_cmp_eq_u32 s14, 2
	v_cndmask_b32_e64 v18, v11, v12, s[2:3]
	s_cselect_b64 s[2:3], -1, 0
	s_cmp_eq_u32 s14, 3
	v_cndmask_b32_e64 v18, v18, v13, s[2:3]
	;; [unrolled: 3-line block ×4, first 2 shown]
	s_cselect_b64 s[2:3], -1, 0
	v_cndmask_b32_e64 v18, v18, v16, s[2:3]
	v_add_f32_e32 v5, v5, v18
	global_store_dword v[8:9], v4, off offset:4
	s_branch .LBB222_10
.LBB222_13:                             ;   in Loop: Header=BB222_5 Depth=1
	s_or_b64 exec, exec, s[12:13]
	global_load_dword v4, v[6:7], off offset:8
	s_mov_b64 s[12:13], 0
	v_mov_b32_e32 v17, v10
	s_mov_b64 s[14:15], 0
	s_waitcnt vmcnt(0)
	s_branch .LBB222_15
.LBB222_14:                             ;   in Loop: Header=BB222_15 Depth=2
	s_or_b64 exec, exec, s[16:17]
	s_cmp_gt_u32 s14, 4
	s_cselect_b64 s[2:3], -1, 0
	s_xor_b64 s[16:17], vcc, -1
	s_or_b64 s[2:3], s[16:17], s[2:3]
	s_add_u32 s14, s14, 1
	s_addc_u32 s15, s15, 0
	s_and_b64 s[2:3], exec, s[2:3]
	s_or_b64 s[12:13], s[2:3], s[12:13]
	v_add_u32_e32 v17, 32, v17
	s_andn2_b64 exec, exec, s[12:13]
	s_cbranch_execz .LBB222_17
.LBB222_15:                             ;   Parent Loop BB222_5 Depth=1
                                        ; =>  This Inner Loop Header: Depth=2
	v_cmp_ne_u32_e32 vcc, v4, v17
	v_cmp_eq_u32_e64 s[2:3], v4, v17
	s_and_saveexec_b64 s[16:17], s[2:3]
	s_cbranch_execz .LBB222_14
; %bb.16:                               ;   in Loop: Header=BB222_15 Depth=2
	s_cmp_eq_u32 s14, 1
	s_cselect_b64 s[2:3], -1, 0
	s_cmp_eq_u32 s14, 2
	v_cndmask_b32_e64 v18, v11, v12, s[2:3]
	s_cselect_b64 s[2:3], -1, 0
	s_cmp_eq_u32 s14, 3
	v_cndmask_b32_e64 v18, v18, v13, s[2:3]
	;; [unrolled: 3-line block ×4, first 2 shown]
	s_cselect_b64 s[2:3], -1, 0
	v_cndmask_b32_e64 v18, v18, v16, s[2:3]
	v_add_f32_e32 v5, v5, v18
	global_store_dword v[8:9], v4, off offset:8
	s_branch .LBB222_14
.LBB222_17:                             ;   in Loop: Header=BB222_5 Depth=1
	s_or_b64 exec, exec, s[12:13]
	global_load_dword v4, v[6:7], off offset:12
	s_mov_b64 s[12:13], 0
	v_mov_b32_e32 v6, v10
	s_mov_b64 s[14:15], 0
	s_waitcnt vmcnt(0)
	s_branch .LBB222_19
.LBB222_18:                             ;   in Loop: Header=BB222_19 Depth=2
	s_or_b64 exec, exec, s[16:17]
	s_cmp_gt_u32 s14, 4
	s_cselect_b64 s[2:3], -1, 0
	s_xor_b64 s[16:17], vcc, -1
	s_or_b64 s[2:3], s[16:17], s[2:3]
	s_add_u32 s14, s14, 1
	s_addc_u32 s15, s15, 0
	s_and_b64 s[2:3], exec, s[2:3]
	s_or_b64 s[12:13], s[2:3], s[12:13]
	v_add_u32_e32 v6, 32, v6
	s_andn2_b64 exec, exec, s[12:13]
	s_cbranch_execz .LBB222_4
.LBB222_19:                             ;   Parent Loop BB222_5 Depth=1
                                        ; =>  This Inner Loop Header: Depth=2
	v_cmp_ne_u32_e32 vcc, v4, v6
	v_cmp_eq_u32_e64 s[2:3], v4, v6
	s_and_saveexec_b64 s[16:17], s[2:3]
	s_cbranch_execz .LBB222_18
; %bb.20:                               ;   in Loop: Header=BB222_19 Depth=2
	s_cmp_eq_u32 s14, 1
	s_cselect_b64 s[2:3], -1, 0
	s_cmp_eq_u32 s14, 2
	v_cndmask_b32_e64 v7, v11, v12, s[2:3]
	s_cselect_b64 s[2:3], -1, 0
	s_cmp_eq_u32 s14, 3
	v_cndmask_b32_e64 v7, v7, v13, s[2:3]
	;; [unrolled: 3-line block ×4, first 2 shown]
	s_cselect_b64 s[2:3], -1, 0
	v_cndmask_b32_e64 v7, v7, v16, s[2:3]
	v_add_f32_e32 v5, v5, v7
	global_store_dword v[8:9], v4, off offset:12
	s_branch .LBB222_18
.LBB222_21:
	s_and_b32 s16, s24, 3
	s_cmp_eq_u32 s16, 0
	s_mov_b32 s9, 0
	s_cbranch_scc1 .LBB222_28
; %bb.22:
	s_mov_b32 s17, s9
	s_branch .LBB222_24
.LBB222_23:                             ;   in Loop: Header=BB222_24 Depth=1
	s_or_b64 exec, exec, s[10:11]
	s_add_i32 s8, s8, 1
	s_add_i32 s17, s17, 1
	s_cmp_lg_u32 s17, s16
	s_cbranch_scc0 .LBB222_28
.LBB222_24:                             ; =>This Loop Header: Depth=1
                                        ;     Child Loop BB222_26 Depth 2
	v_lshl_add_u64 v[6:7], s[8:9], 2, v[2:3]
	global_load_dword v1, v[6:7], off
	v_add_u32_e32 v6, s8, v0
	v_ashrrev_i32_e32 v7, 31, v6
	s_waitcnt lgkmcnt(0)
	v_lshl_add_u64 v[6:7], v[6:7], 2, s[6:7]
	s_mov_b64 s[10:11], 0
	v_mov_b32_e32 v4, v10
	s_mov_b64 s[12:13], 0
	s_waitcnt vmcnt(0)
	s_branch .LBB222_26
.LBB222_25:                             ;   in Loop: Header=BB222_26 Depth=2
	s_or_b64 exec, exec, s[14:15]
	s_cmp_gt_u32 s12, 4
	s_cselect_b64 s[2:3], -1, 0
	s_xor_b64 s[14:15], vcc, -1
	s_or_b64 s[2:3], s[14:15], s[2:3]
	s_add_u32 s12, s12, 1
	s_addc_u32 s13, s13, 0
	s_and_b64 s[2:3], exec, s[2:3]
	s_or_b64 s[10:11], s[2:3], s[10:11]
	v_add_u32_e32 v4, 32, v4
	s_andn2_b64 exec, exec, s[10:11]
	s_cbranch_execz .LBB222_23
.LBB222_26:                             ;   Parent Loop BB222_24 Depth=1
                                        ; =>  This Inner Loop Header: Depth=2
	v_cmp_ne_u32_e32 vcc, v1, v4
	v_cmp_eq_u32_e64 s[2:3], v1, v4
	s_and_saveexec_b64 s[14:15], s[2:3]
	s_cbranch_execz .LBB222_25
; %bb.27:                               ;   in Loop: Header=BB222_26 Depth=2
	s_cmp_eq_u32 s12, 1
	s_cselect_b64 s[2:3], -1, 0
	s_cmp_eq_u32 s12, 2
	v_cndmask_b32_e64 v8, v11, v12, s[2:3]
	s_cselect_b64 s[2:3], -1, 0
	s_cmp_eq_u32 s12, 3
	v_cndmask_b32_e64 v8, v8, v13, s[2:3]
	;; [unrolled: 3-line block ×4, first 2 shown]
	s_cselect_b64 s[2:3], -1, 0
	v_cndmask_b32_e64 v8, v8, v16, s[2:3]
	v_add_f32_e32 v5, v5, v8
	global_store_dword v[6:7], v1, off
	s_branch .LBB222_25
.LBB222_28:
	s_waitcnt lgkmcnt(0)
	s_load_dword s6, s[0:1], 0x3c
	s_waitcnt lgkmcnt(0)
	s_bitcmp1_b32 s6, 0
	s_cselect_b64 s[2:3], -1, 0
	s_bitcmp0_b32 s6, 0
	s_cbranch_scc0 .LBB222_32
; %bb.29:
	s_load_dwordx2 s[6:7], s[0:1], 0x40
	s_andn2_b64 vcc, exec, s[2:3]
	s_waitcnt lgkmcnt(0)
	v_cvt_f32_f64_e32 v17, s[6:7]
	s_cbranch_vccz .LBB222_33
.LBB222_30:
	s_andn2_b64 vcc, exec, s[4:5]
	s_cbranch_vccz .LBB222_34
.LBB222_31:
	s_endpgm
.LBB222_32:
	v_mbcnt_lo_u32_b32 v1, -1, 0
	v_mbcnt_hi_u32_b32 v1, -1, v1
	v_and_b32_e32 v4, 0x60, v1
	v_add_u32_e32 v4, 32, v4
	v_xor_b32_e32 v6, 16, v1
	v_cmp_lt_i32_e32 vcc, v6, v4
	v_xor_b32_e32 v7, 8, v1
	s_nop 0
	v_cndmask_b32_e32 v6, v1, v6, vcc
	v_lshlrev_b32_e32 v6, 2, v6
	ds_bpermute_b32 v6, v6, v5
	v_cmp_lt_i32_e32 vcc, v7, v4
	s_waitcnt lgkmcnt(0)
	v_add_f32_e32 v5, v5, v6
	v_cndmask_b32_e32 v6, v1, v7, vcc
	v_lshlrev_b32_e32 v6, 2, v6
	ds_bpermute_b32 v6, v6, v5
	v_xor_b32_e32 v7, 4, v1
	v_cmp_lt_i32_e32 vcc, v7, v4
	s_waitcnt lgkmcnt(0)
	v_add_f32_e32 v5, v5, v6
	v_cndmask_b32_e32 v6, v1, v7, vcc
	v_lshlrev_b32_e32 v6, 2, v6
	ds_bpermute_b32 v6, v6, v5
	v_xor_b32_e32 v7, 2, v1
	;; [unrolled: 7-line block ×3, first 2 shown]
	v_cmp_lt_i32_e32 vcc, v7, v4
	s_waitcnt lgkmcnt(0)
	v_add_f32_e32 v5, v5, v6
	v_cndmask_b32_e32 v1, v1, v7, vcc
	v_lshlrev_b32_e32 v1, 2, v1
	ds_bpermute_b32 v1, v1, v5
	s_waitcnt lgkmcnt(0)
	v_add_f32_e32 v5, v5, v1
	s_load_dwordx2 s[6:7], s[0:1], 0x40
	s_andn2_b64 vcc, exec, s[2:3]
	s_waitcnt lgkmcnt(0)
	v_cvt_f32_f64_e32 v17, s[6:7]
	s_cbranch_vccnz .LBB222_30
.LBB222_33:
	v_cmp_lt_f32_e32 vcc, 0, v5
	s_nop 1
	v_cndmask_b32_e32 v1, 1.0, v5, vcc
	v_div_scale_f32 v4, s[2:3], v1, v1, v17
	v_rcp_f32_e32 v5, v4
	s_nop 0
	v_fma_f32 v6, -v4, v5, 1.0
	v_fmac_f32_e32 v5, v6, v5
	v_div_scale_f32 v6, vcc, v17, v1, v17
	v_mul_f32_e32 v7, v6, v5
	v_fma_f32 v8, -v4, v7, v6
	v_fmac_f32_e32 v7, v8, v5
	v_fma_f32 v4, -v4, v7, v6
	v_div_fmas_f32 v4, v4, v5, v7
	v_div_fixup_f32 v17, v4, v1, v17
	s_andn2_b64 vcc, exec, s[4:5]
	s_cbranch_vccnz .LBB222_31
.LBB222_34:
	s_load_dwordx2 s[8:9], s[0:1], 0x10
	v_or_b32_e32 v22, 32, v10
	v_or_b32_e32 v21, 64, v10
	;; [unrolled: 1-line block ×5, first 2 shown]
	s_cmp_eq_u32 s24, 1
	s_mov_b32 s10, 0
	s_cbranch_scc1 .LBB222_61
; %bb.35:
	v_ashrrev_i32_e32 v1, 31, v0
	s_waitcnt lgkmcnt(0)
	v_lshl_add_u64 v[4:5], v[0:1], 2, s[8:9]
	s_and_b32 s10, s24, 0x7ffffffe
	v_lshl_add_u64 v[4:5], v[4:5], 0, 4
	v_lshl_add_u64 v[6:7], v[2:3], 0, 4
	s_mov_b32 s11, 0
	s_branch .LBB222_37
.LBB222_36:                             ;   in Loop: Header=BB222_37 Depth=1
	s_or_b64 exec, exec, s[0:1]
	s_add_i32 s11, s11, 2
	v_lshl_add_u64 v[4:5], v[4:5], 0, 8
	s_cmp_lg_u32 s10, s11
	v_lshl_add_u64 v[6:7], v[6:7], 0, 8
	s_cbranch_scc0 .LBB222_61
.LBB222_37:                             ; =>This Inner Loop Header: Depth=1
	global_load_dword v1, v[6:7], off offset:-4
	v_mov_b64_e32 v[8:9], 0
	s_waitcnt vmcnt(0)
	v_cmp_eq_u32_e32 vcc, v1, v10
	v_cmp_ne_u32_e64 s[0:1], v1, v10
	s_and_saveexec_b64 s[12:13], s[0:1]
	s_cbranch_execz .LBB222_47
; %bb.38:                               ;   in Loop: Header=BB222_37 Depth=1
	v_cmp_eq_u32_e64 s[0:1], v1, v22
	v_cmp_ne_u32_e64 s[2:3], v1, v22
	v_mov_b64_e32 v[8:9], 1
	s_and_saveexec_b64 s[14:15], s[2:3]
	s_cbranch_execz .LBB222_46
; %bb.39:                               ;   in Loop: Header=BB222_37 Depth=1
	v_cmp_eq_u32_e64 s[2:3], v1, v21
	v_cmp_ne_u32_e64 s[4:5], v1, v21
	v_mov_b64_e32 v[8:9], 2
	;; [unrolled: 6-line block ×4, first 2 shown]
	s_and_saveexec_b64 s[22:23], s[6:7]
	s_xor_b64 s[22:23], exec, s[22:23]
; %bb.42:                               ;   in Loop: Header=BB222_37 Depth=1
	v_cmp_eq_u32_e64 s[6:7], v1, v18
	s_andn2_b64 s[20:21], s[20:21], exec
	s_and_b64 s[6:7], s[6:7], exec
	v_mov_b64_e32 v[8:9], 5
	s_or_b64 s[20:21], s[20:21], s[6:7]
; %bb.43:                               ;   in Loop: Header=BB222_37 Depth=1
	s_or_b64 exec, exec, s[22:23]
	s_andn2_b64 s[4:5], s[4:5], exec
	s_and_b64 s[6:7], s[20:21], exec
	s_or_b64 s[4:5], s[4:5], s[6:7]
.LBB222_44:                             ;   in Loop: Header=BB222_37 Depth=1
	s_or_b64 exec, exec, s[18:19]
	s_andn2_b64 s[2:3], s[2:3], exec
	s_and_b64 s[4:5], s[4:5], exec
	s_or_b64 s[2:3], s[2:3], s[4:5]
.LBB222_45:                             ;   in Loop: Header=BB222_37 Depth=1
	s_or_b64 exec, exec, s[16:17]
	s_andn2_b64 s[0:1], s[0:1], exec
	s_and_b64 s[2:3], s[2:3], exec
	s_or_b64 s[0:1], s[0:1], s[2:3]
.LBB222_46:                             ;   in Loop: Header=BB222_37 Depth=1
	s_or_b64 exec, exec, s[14:15]
	s_andn2_b64 s[2:3], vcc, exec
	s_and_b64 s[0:1], s[0:1], exec
	s_or_b64 vcc, s[2:3], s[0:1]
.LBB222_47:                             ;   in Loop: Header=BB222_37 Depth=1
	s_or_b64 exec, exec, s[12:13]
	s_and_saveexec_b64 s[0:1], vcc
	s_cbranch_execz .LBB222_49
; %bb.48:                               ;   in Loop: Header=BB222_37 Depth=1
	v_cmp_eq_u32_e32 vcc, 1, v8
	v_add_u32_e32 v24, s11, v0
	v_ashrrev_i32_e32 v25, 31, v24
	v_cndmask_b32_e32 v1, v11, v12, vcc
	v_cmp_eq_u32_e32 vcc, 2, v8
	s_nop 1
	v_cndmask_b32_e32 v1, v1, v13, vcc
	v_cmp_eq_u32_e32 vcc, 3, v8
	s_nop 1
	;; [unrolled: 3-line block ×3, first 2 shown]
	v_cndmask_b32_e32 v1, v1, v15, vcc
	v_cmp_eq_u32_e32 vcc, 5, v8
	v_lshl_add_u64 v[8:9], v[24:25], 2, s[8:9]
	s_nop 0
	v_cndmask_b32_e32 v1, v1, v16, vcc
	v_mul_f32_e32 v1, v17, v1
	global_store_dword v[8:9], v1, off
.LBB222_49:                             ;   in Loop: Header=BB222_37 Depth=1
	s_or_b64 exec, exec, s[0:1]
	global_load_dword v1, v[6:7], off
	v_mov_b64_e32 v[8:9], 0
	s_waitcnt vmcnt(0)
	v_cmp_eq_u32_e64 s[4:5], v1, v10
	v_cmp_ne_u32_e32 vcc, v1, v10
	s_and_saveexec_b64 s[6:7], vcc
	s_cbranch_execz .LBB222_59
; %bb.50:                               ;   in Loop: Header=BB222_37 Depth=1
	v_cmp_eq_u32_e32 vcc, v1, v22
	v_cmp_ne_u32_e64 s[0:1], v1, v22
	v_mov_b64_e32 v[8:9], 1
	s_and_saveexec_b64 s[12:13], s[0:1]
	s_cbranch_execz .LBB222_58
; %bb.51:                               ;   in Loop: Header=BB222_37 Depth=1
	v_cmp_eq_u32_e64 s[0:1], v1, v21
	v_cmp_ne_u32_e64 s[2:3], v1, v21
	v_mov_b64_e32 v[8:9], 2
	s_and_saveexec_b64 s[14:15], s[2:3]
	s_cbranch_execz .LBB222_57
; %bb.52:                               ;   in Loop: Header=BB222_37 Depth=1
	v_cmp_eq_u32_e64 s[16:17], v1, v20
	;; [unrolled: 6-line block ×3, first 2 shown]
	v_cmp_ne_u32_e64 s[2:3], v1, v19
	v_mov_b64_e32 v[8:9], 4
	s_and_saveexec_b64 s[22:23], s[2:3]
; %bb.54:                               ;   in Loop: Header=BB222_37 Depth=1
	v_cmp_eq_u32_e64 s[2:3], v1, v18
	s_andn2_b64 s[20:21], s[20:21], exec
	s_and_b64 s[2:3], s[2:3], exec
	v_mov_b64_e32 v[8:9], 5
	s_or_b64 s[20:21], s[20:21], s[2:3]
; %bb.55:                               ;   in Loop: Header=BB222_37 Depth=1
	s_or_b64 exec, exec, s[22:23]
	s_andn2_b64 s[2:3], s[16:17], exec
	s_and_b64 s[16:17], s[20:21], exec
	s_or_b64 s[16:17], s[2:3], s[16:17]
.LBB222_56:                             ;   in Loop: Header=BB222_37 Depth=1
	s_or_b64 exec, exec, s[18:19]
	s_andn2_b64 s[0:1], s[0:1], exec
	s_and_b64 s[2:3], s[16:17], exec
	s_or_b64 s[0:1], s[0:1], s[2:3]
.LBB222_57:                             ;   in Loop: Header=BB222_37 Depth=1
	s_or_b64 exec, exec, s[14:15]
	s_andn2_b64 s[2:3], vcc, exec
	s_and_b64 s[0:1], s[0:1], exec
	s_or_b64 vcc, s[2:3], s[0:1]
.LBB222_58:                             ;   in Loop: Header=BB222_37 Depth=1
	s_or_b64 exec, exec, s[12:13]
	s_andn2_b64 s[0:1], s[4:5], exec
	s_and_b64 s[2:3], vcc, exec
	s_or_b64 s[4:5], s[0:1], s[2:3]
.LBB222_59:                             ;   in Loop: Header=BB222_37 Depth=1
	s_or_b64 exec, exec, s[6:7]
	s_and_saveexec_b64 s[0:1], s[4:5]
	s_cbranch_execz .LBB222_36
; %bb.60:                               ;   in Loop: Header=BB222_37 Depth=1
	v_cmp_eq_u32_e32 vcc, 1, v8
	s_nop 1
	v_cndmask_b32_e32 v1, v11, v12, vcc
	v_cmp_eq_u32_e32 vcc, 2, v8
	s_nop 1
	v_cndmask_b32_e32 v1, v1, v13, vcc
	;; [unrolled: 3-line block ×5, first 2 shown]
	v_mul_f32_e32 v1, v17, v1
	global_store_dword v[4:5], v1, off
	s_branch .LBB222_36
.LBB222_61:
	s_bitcmp0_b32 s24, 0
	s_mov_b32 s11, 0
	s_cbranch_scc1 .LBB222_31
; %bb.62:
	v_lshl_add_u64 v[2:3], s[10:11], 2, v[2:3]
	global_load_dword v1, v[2:3], off
	v_mov_b64_e32 v[2:3], 0
	s_waitcnt vmcnt(0)
	v_cmp_eq_u32_e64 s[4:5], v1, v10
	v_cmp_ne_u32_e32 vcc, v1, v10
	s_and_saveexec_b64 s[6:7], vcc
	s_cbranch_execz .LBB222_72
; %bb.63:
	v_cmp_eq_u32_e32 vcc, v1, v22
	v_cmp_ne_u32_e64 s[0:1], v1, v22
	v_mov_b64_e32 v[2:3], 1
	s_and_saveexec_b64 s[12:13], s[0:1]
	s_cbranch_execz .LBB222_71
; %bb.64:
	v_cmp_eq_u32_e64 s[0:1], v1, v21
	v_cmp_ne_u32_e64 s[2:3], v1, v21
	v_mov_b64_e32 v[2:3], 2
	s_and_saveexec_b64 s[14:15], s[2:3]
	s_cbranch_execz .LBB222_70
; %bb.65:
	v_cmp_eq_u32_e64 s[16:17], v1, v20
	;; [unrolled: 6-line block ×3, first 2 shown]
	v_cmp_ne_u32_e64 s[2:3], v1, v19
	v_mov_b64_e32 v[2:3], 4
	s_and_saveexec_b64 s[22:23], s[2:3]
; %bb.67:
	v_cmp_eq_u32_e64 s[2:3], v1, v18
	s_andn2_b64 s[20:21], s[20:21], exec
	s_and_b64 s[2:3], s[2:3], exec
	v_mov_b64_e32 v[2:3], 5
	s_or_b64 s[20:21], s[20:21], s[2:3]
; %bb.68:
	s_or_b64 exec, exec, s[22:23]
	s_andn2_b64 s[2:3], s[16:17], exec
	s_and_b64 s[16:17], s[20:21], exec
	s_or_b64 s[16:17], s[2:3], s[16:17]
.LBB222_69:
	s_or_b64 exec, exec, s[18:19]
	s_andn2_b64 s[0:1], s[0:1], exec
	s_and_b64 s[2:3], s[16:17], exec
	s_or_b64 s[0:1], s[0:1], s[2:3]
.LBB222_70:
	s_or_b64 exec, exec, s[14:15]
	s_andn2_b64 s[2:3], vcc, exec
	s_and_b64 s[0:1], s[0:1], exec
	s_or_b64 vcc, s[2:3], s[0:1]
.LBB222_71:
	s_or_b64 exec, exec, s[12:13]
	s_andn2_b64 s[0:1], s[4:5], exec
	s_and_b64 s[2:3], vcc, exec
	s_or_b64 s[4:5], s[0:1], s[2:3]
.LBB222_72:
	s_or_b64 exec, exec, s[6:7]
	s_and_b64 exec, exec, s[4:5]
	s_cbranch_execz .LBB222_31
; %bb.73:
	v_cmp_eq_u32_e32 vcc, 1, v2
	v_add_u32_e32 v0, s10, v0
	s_nop 0
	v_cndmask_b32_e32 v1, v11, v12, vcc
	v_cmp_eq_u32_e32 vcc, 2, v2
	s_nop 1
	v_cndmask_b32_e32 v1, v1, v13, vcc
	v_cmp_eq_u32_e32 vcc, 3, v2
	;; [unrolled: 3-line block ×4, first 2 shown]
	s_nop 1
	v_cndmask_b32_e32 v1, v1, v16, vcc
	v_mul_f32_e32 v2, v17, v1
	v_ashrrev_i32_e32 v1, 31, v0
	s_waitcnt lgkmcnt(0)
	v_lshl_add_u64 v[0:1], v[0:1], 2, s[8:9]
	global_store_dword v[0:1], v2, off
	s_endpgm
	.section	.rodata,"a",@progbits
	.p2align	6, 0x0
	.amdhsa_kernel _ZN4vllm3moe22topkGatingSoftplusSqrtILi6ELi192ELi4ELi2ELi32ELb1Ei6__halfEEvPKT6_PKbPfiPT5_PiiiibdPKfPKS9_SF_
		.amdhsa_group_segment_fixed_size 0
		.amdhsa_private_segment_fixed_size 0
		.amdhsa_kernarg_size 96
		.amdhsa_user_sgpr_count 2
		.amdhsa_user_sgpr_dispatch_ptr 0
		.amdhsa_user_sgpr_queue_ptr 0
		.amdhsa_user_sgpr_kernarg_segment_ptr 1
		.amdhsa_user_sgpr_dispatch_id 0
		.amdhsa_user_sgpr_kernarg_preload_length 0
		.amdhsa_user_sgpr_kernarg_preload_offset 0
		.amdhsa_user_sgpr_private_segment_size 0
		.amdhsa_uses_dynamic_stack 0
		.amdhsa_enable_private_segment 0
		.amdhsa_system_sgpr_workgroup_id_x 1
		.amdhsa_system_sgpr_workgroup_id_y 0
		.amdhsa_system_sgpr_workgroup_id_z 0
		.amdhsa_system_sgpr_workgroup_info 0
		.amdhsa_system_vgpr_workitem_id 1
		.amdhsa_next_free_vgpr 29
		.amdhsa_next_free_sgpr 25
		.amdhsa_accum_offset 32
		.amdhsa_reserve_vcc 1
		.amdhsa_float_round_mode_32 0
		.amdhsa_float_round_mode_16_64 0
		.amdhsa_float_denorm_mode_32 3
		.amdhsa_float_denorm_mode_16_64 3
		.amdhsa_dx10_clamp 1
		.amdhsa_ieee_mode 1
		.amdhsa_fp16_overflow 0
		.amdhsa_tg_split 0
		.amdhsa_exception_fp_ieee_invalid_op 0
		.amdhsa_exception_fp_denorm_src 0
		.amdhsa_exception_fp_ieee_div_zero 0
		.amdhsa_exception_fp_ieee_overflow 0
		.amdhsa_exception_fp_ieee_underflow 0
		.amdhsa_exception_fp_ieee_inexact 0
		.amdhsa_exception_int_div_zero 0
	.end_amdhsa_kernel
	.section	.text._ZN4vllm3moe22topkGatingSoftplusSqrtILi6ELi192ELi4ELi2ELi32ELb1Ei6__halfEEvPKT6_PKbPfiPT5_PiiiibdPKfPKS9_SF_,"axG",@progbits,_ZN4vllm3moe22topkGatingSoftplusSqrtILi6ELi192ELi4ELi2ELi32ELb1Ei6__halfEEvPKT6_PKbPfiPT5_PiiiibdPKfPKS9_SF_,comdat
.Lfunc_end222:
	.size	_ZN4vllm3moe22topkGatingSoftplusSqrtILi6ELi192ELi4ELi2ELi32ELb1Ei6__halfEEvPKT6_PKbPfiPT5_PiiiibdPKfPKS9_SF_, .Lfunc_end222-_ZN4vllm3moe22topkGatingSoftplusSqrtILi6ELi192ELi4ELi2ELi32ELb1Ei6__halfEEvPKT6_PKbPfiPT5_PiiiibdPKfPKS9_SF_
                                        ; -- End function
	.section	.AMDGPU.csdata,"",@progbits
; Kernel info:
; codeLenInByte = 4312
; NumSgprs: 31
; NumVgprs: 29
; NumAgprs: 0
; TotalNumVgprs: 29
; ScratchSize: 0
; MemoryBound: 0
; FloatMode: 240
; IeeeMode: 1
; LDSByteSize: 0 bytes/workgroup (compile time only)
; SGPRBlocks: 3
; VGPRBlocks: 3
; NumSGPRsForWavesPerEU: 31
; NumVGPRsForWavesPerEU: 29
; AccumOffset: 32
; Occupancy: 8
; WaveLimiterHint : 1
; COMPUTE_PGM_RSRC2:SCRATCH_EN: 0
; COMPUTE_PGM_RSRC2:USER_SGPR: 2
; COMPUTE_PGM_RSRC2:TRAP_HANDLER: 0
; COMPUTE_PGM_RSRC2:TGID_X_EN: 1
; COMPUTE_PGM_RSRC2:TGID_Y_EN: 0
; COMPUTE_PGM_RSRC2:TGID_Z_EN: 0
; COMPUTE_PGM_RSRC2:TIDIG_COMP_CNT: 1
; COMPUTE_PGM_RSRC3_GFX90A:ACCUM_OFFSET: 7
; COMPUTE_PGM_RSRC3_GFX90A:TG_SPLIT: 0
	.section	.text._ZN4vllm3moe22topkGatingSoftplusSqrtILi6ELi192ELi4ELi2ELi32ELb0Ei6__halfEEvPKT6_PKbPfiPT5_PiiiibdPKfPKS9_SF_,"axG",@progbits,_ZN4vllm3moe22topkGatingSoftplusSqrtILi6ELi192ELi4ELi2ELi32ELb0Ei6__halfEEvPKT6_PKbPfiPT5_PiiiibdPKfPKS9_SF_,comdat
	.protected	_ZN4vllm3moe22topkGatingSoftplusSqrtILi6ELi192ELi4ELi2ELi32ELb0Ei6__halfEEvPKT6_PKbPfiPT5_PiiiibdPKfPKS9_SF_ ; -- Begin function _ZN4vllm3moe22topkGatingSoftplusSqrtILi6ELi192ELi4ELi2ELi32ELb0Ei6__halfEEvPKT6_PKbPfiPT5_PiiiibdPKfPKS9_SF_
	.globl	_ZN4vllm3moe22topkGatingSoftplusSqrtILi6ELi192ELi4ELi2ELi32ELb0Ei6__halfEEvPKT6_PKbPfiPT5_PiiiibdPKfPKS9_SF_
	.p2align	8
	.type	_ZN4vllm3moe22topkGatingSoftplusSqrtILi6ELi192ELi4ELi2ELi32ELb0Ei6__halfEEvPKT6_PKbPfiPT5_PiiiibdPKfPKS9_SF_,@function
_ZN4vllm3moe22topkGatingSoftplusSqrtILi6ELi192ELi4ELi2ELi32ELb0Ei6__halfEEvPKT6_PKbPfiPT5_PiiiibdPKfPKS9_SF_: ; @_ZN4vllm3moe22topkGatingSoftplusSqrtILi6ELi192ELi4ELi2ELi32ELb0Ei6__halfEEvPKT6_PKbPfiPT5_PiiiibdPKfPKS9_SF_
; %bb.0:
	s_load_dword s30, s[0:1], 0x18
	v_and_b32_e32 v1, 0x3ff, v0
	s_lshl_b32 s2, s2, 2
	v_lshrrev_b32_e32 v2, 5, v1
	v_bfe_u32 v0, v0, 10, 10
	v_add3_u32 v6, s2, v0, v2
	s_waitcnt lgkmcnt(0)
	v_cmp_gt_i32_e32 vcc, s30, v6
	s_and_saveexec_b64 s[2:3], vcc
	s_cbranch_execz .LBB223_57
; %bb.1:
	s_load_dwordx4 s[4:7], s[0:1], 0x0
	s_load_dwordx2 s[20:21], s[0:1], 0x10
	s_waitcnt lgkmcnt(0)
	s_cmp_eq_u64 s[6:7], 0
	s_cbranch_scc1 .LBB223_3
; %bb.2:
	v_ashrrev_i32_e32 v7, 31, v6
	v_lshl_add_u64 v[2:3], s[6:7], 0, v[6:7]
	global_load_ubyte v0, v[2:3], off
	s_waitcnt vmcnt(0)
	v_and_b32_e32 v0, 1, v0
	v_cmp_eq_u32_e32 vcc, 1, v0
	s_xor_b64 s[2:3], vcc, -1
	s_orn2_b64 s[22:23], s[2:3], exec
	s_branch .LBB223_4
.LBB223_3:
	s_mov_b64 s[22:23], -1
.LBB223_4:
	s_movk_i32 s2, 0xc0
	v_mul_lo_u32 v4, v6, s2
	v_mov_b32_e32 v2, s4
	v_mov_b32_e32 v3, s5
	v_ashrrev_i32_e32 v5, 31, v4
	v_and_b32_e32 v8, 31, v1
	v_lshl_add_u64 v[2:3], v[4:5], 1, v[2:3]
	v_mov_b32_e32 v1, 0
	v_lshlrev_b32_e32 v0, 1, v8
	v_lshl_add_u64 v[10:11], v[2:3], 0, v[0:1]
	global_load_ushort v0, v[10:11], off
	global_load_ushort v1, v[10:11], off offset:64
	global_load_ushort v2, v[10:11], off offset:128
	;; [unrolled: 1-line block ×5, first 2 shown]
	s_mov_b32 s16, 0x800000
	v_mov_b32_e32 v10, 0x4f800000
	s_mov_b32 s13, 0x3f317217
	s_mov_b32 s14, 0x7f800000
	v_mov_b32_e32 v11, 0x41b17218
	s_movk_i32 s12, 0x4d00
	s_mov_b32 s15, 0xf800000
	s_load_dwordx4 s[8:11], s[0:1], 0x40
	s_waitcnt lgkmcnt(0)
	s_cmp_lg_u64 s[10:11], 0
	s_cselect_b64 s[6:7], -1, 0
	s_and_b64 s[2:3], exec, s[6:7]
	s_waitcnt vmcnt(5)
	v_cvt_f32_f16_e32 v12, v0
	v_mul_f32_e32 v7, 0x3fb8aa3b, v12
	v_exp_f32_e32 v7, v7
	s_nop 0
	v_add_f32_e32 v7, 1.0, v7
	v_cmp_gt_f32_e32 vcc, s16, v7
	s_nop 1
	v_cndmask_b32_e32 v9, 1.0, v10, vcc
	v_mul_f32_e32 v7, v7, v9
	v_log_f32_e32 v13, v7
	v_cndmask_b32_e32 v14, 0, v11, vcc
	v_mov_b32_e32 v9, 0x260
	v_lshlrev_b32_e32 v7, 2, v8
	v_mul_f32_e32 v15, 0x3f317217, v13
	v_fma_f32 v15, v13, s13, -v15
	v_fmac_f32_e32 v15, 0x3377d1cf, v13
	v_fmac_f32_e32 v15, 0x3f317217, v13
	v_cmp_lt_f32_e64 vcc, |v13|, s14
	s_nop 1
	v_cndmask_b32_e32 v13, v13, v15, vcc
	v_sub_f32_e32 v13, v13, v14
	v_cmp_lt_f16_e32 vcc, s12, v0
	s_nop 1
	v_cndmask_b32_e32 v0, v13, v12, vcc
	v_mul_f32_e32 v12, 0x4f800000, v0
	v_cmp_gt_f32_e32 vcc, s15, v0
	s_nop 1
	v_cndmask_b32_e32 v0, v0, v12, vcc
	v_sqrt_f32_e32 v12, v0
	s_nop 0
	v_add_u32_e32 v13, -1, v12
	v_add_u32_e32 v14, 1, v12
	v_fma_f32 v15, -v13, v12, v0
	v_fma_f32 v16, -v14, v12, v0
	v_cmp_ge_f32_e64 s[4:5], 0, v15
	s_nop 1
	v_cndmask_b32_e64 v12, v12, v13, s[4:5]
	v_cmp_lt_f32_e64 s[4:5], 0, v16
	s_nop 1
	v_cndmask_b32_e64 v12, v12, v14, s[4:5]
	v_mul_f32_e32 v13, 0x37800000, v12
	v_cndmask_b32_e32 v12, v12, v13, vcc
	v_cmp_class_f32_e32 vcc, v0, v9
	s_nop 1
	v_cndmask_b32_e32 v0, v12, v0, vcc
	s_mov_b64 vcc, s[2:3]
	s_cbranch_vccz .LBB223_6
; %bb.5:
	global_load_dword v12, v7, s[10:11]
	s_waitcnt vmcnt(0)
	v_add_f32_e32 v0, v0, v12
.LBB223_6:
	s_waitcnt vmcnt(4)
	v_cvt_f32_f16_e32 v12, v1
	v_mul_f32_e32 v13, 0x3fb8aa3b, v12
	v_exp_f32_e32 v13, v13
	s_nop 0
	v_add_f32_e32 v13, 1.0, v13
	v_cmp_gt_f32_e32 vcc, s16, v13
	s_nop 1
	v_cndmask_b32_e32 v10, 1.0, v10, vcc
	v_mul_f32_e32 v10, v13, v10
	v_log_f32_e32 v10, v10
	v_cndmask_b32_e32 v11, 0, v11, vcc
	v_mul_f32_e32 v13, 0x3f317217, v10
	v_fma_f32 v13, v10, s13, -v13
	v_fmac_f32_e32 v13, 0x3377d1cf, v10
	v_fmac_f32_e32 v13, 0x3f317217, v10
	v_cmp_lt_f32_e64 vcc, |v10|, s14
	s_nop 1
	v_cndmask_b32_e32 v10, v10, v13, vcc
	v_sub_f32_e32 v10, v10, v11
	v_cmp_lt_f16_e32 vcc, s12, v1
	v_cndmask_b32_e64 v11, 0, 1, s[6:7]
	v_cmp_ne_u32_e64 s[2:3], 1, v11
	v_cndmask_b32_e32 v1, v10, v12, vcc
	v_mul_f32_e32 v10, 0x4f800000, v1
	v_cmp_gt_f32_e64 s[4:5], s15, v1
	s_andn2_b64 vcc, exec, s[6:7]
	s_nop 0
	v_cndmask_b32_e64 v1, v1, v10, s[4:5]
	v_sqrt_f32_e32 v10, v1
	s_nop 0
	v_add_u32_e32 v11, -1, v10
	v_add_u32_e32 v12, 1, v10
	v_fma_f32 v13, -v11, v10, v1
	v_fma_f32 v14, -v12, v10, v1
	v_cmp_ge_f32_e64 s[6:7], 0, v13
	s_nop 1
	v_cndmask_b32_e64 v10, v10, v11, s[6:7]
	v_cmp_lt_f32_e64 s[6:7], 0, v14
	s_nop 1
	v_cndmask_b32_e64 v10, v10, v12, s[6:7]
	v_mul_f32_e32 v11, 0x37800000, v10
	v_cndmask_b32_e64 v10, v10, v11, s[4:5]
	v_cmp_class_f32_e64 s[4:5], v1, v9
	s_nop 1
	v_cndmask_b32_e64 v1, v10, v1, s[4:5]
	s_cbranch_vccnz .LBB223_8
; %bb.7:
	global_load_dword v9, v7, s[10:11] offset:128
	s_waitcnt vmcnt(0)
	v_add_f32_e32 v1, v1, v9
.LBB223_8:
	s_waitcnt vmcnt(3)
	v_cvt_f32_f16_e32 v9, v2
	s_mov_b32 s12, 0x800000
	s_mov_b32 s7, 0x3f317217
	;; [unrolled: 1-line block ×3, first 2 shown]
	v_mul_f32_e32 v10, 0x3fb8aa3b, v9
	v_exp_f32_e32 v11, v10
	v_mov_b32_e32 v10, 0x4f800000
	s_movk_i32 s6, 0x4d00
	s_mov_b32 s14, 0xf800000
	v_add_f32_e32 v11, 1.0, v11
	v_cmp_gt_f32_e32 vcc, s12, v11
	s_nop 1
	v_cndmask_b32_e32 v12, 1.0, v10, vcc
	v_mul_f32_e32 v11, v11, v12
	v_log_f32_e32 v12, v11
	v_mov_b32_e32 v11, 0x41b17218
	v_cndmask_b32_e32 v13, 0, v11, vcc
	v_mul_f32_e32 v14, 0x3f317217, v12
	v_fma_f32 v14, v12, s7, -v14
	v_fmac_f32_e32 v14, 0x3377d1cf, v12
	v_fmac_f32_e32 v14, 0x3f317217, v12
	v_cmp_lt_f32_e64 vcc, |v12|, s13
	s_nop 1
	v_cndmask_b32_e32 v12, v12, v14, vcc
	v_sub_f32_e32 v12, v12, v13
	v_cmp_lt_f16_e32 vcc, s6, v2
	s_nop 1
	v_cndmask_b32_e32 v2, v12, v9, vcc
	v_mul_f32_e32 v9, 0x4f800000, v2
	v_cmp_gt_f32_e32 vcc, s14, v2
	s_nop 1
	v_cndmask_b32_e32 v2, v2, v9, vcc
	v_sqrt_f32_e32 v9, v2
	s_nop 0
	v_add_u32_e32 v12, -1, v9
	v_fma_f32 v13, -v12, v9, v2
	v_cmp_ge_f32_e64 s[4:5], 0, v13
	v_add_u32_e32 v13, 1, v9
	s_nop 0
	v_cndmask_b32_e64 v12, v9, v12, s[4:5]
	v_fma_f32 v9, -v13, v9, v2
	v_cmp_lt_f32_e64 s[4:5], 0, v9
	s_nop 1
	v_cndmask_b32_e64 v9, v12, v13, s[4:5]
	v_mul_f32_e32 v12, 0x37800000, v9
	v_cndmask_b32_e32 v12, v9, v12, vcc
	v_mov_b32_e32 v9, 0x260
	v_cmp_class_f32_e64 s[4:5], v2, v9
	s_and_b64 vcc, exec, s[2:3]
	s_nop 0
	v_cndmask_b32_e64 v2, v12, v2, s[4:5]
	s_cbranch_vccnz .LBB223_10
; %bb.9:
	global_load_dword v12, v7, s[10:11] offset:256
	s_waitcnt vmcnt(0)
	v_add_f32_e32 v2, v2, v12
.LBB223_10:
	s_waitcnt vmcnt(2)
	v_cvt_f32_f16_e32 v12, v3
	v_mul_f32_e32 v13, 0x3fb8aa3b, v12
	v_exp_f32_e32 v13, v13
	s_nop 0
	v_add_f32_e32 v13, 1.0, v13
	v_cmp_gt_f32_e32 vcc, s12, v13
	s_nop 1
	v_cndmask_b32_e32 v10, 1.0, v10, vcc
	v_mul_f32_e32 v10, v13, v10
	v_log_f32_e32 v10, v10
	v_cndmask_b32_e32 v11, 0, v11, vcc
	v_mul_f32_e32 v13, 0x3f317217, v10
	v_fma_f32 v13, v10, s7, -v13
	v_fmac_f32_e32 v13, 0x3377d1cf, v10
	v_fmac_f32_e32 v13, 0x3f317217, v10
	v_cmp_lt_f32_e64 vcc, |v10|, s13
	s_nop 1
	v_cndmask_b32_e32 v10, v10, v13, vcc
	v_sub_f32_e32 v10, v10, v11
	v_cmp_lt_f16_e32 vcc, s6, v3
	s_nop 1
	v_cndmask_b32_e32 v3, v10, v12, vcc
	v_mul_f32_e32 v10, 0x4f800000, v3
	v_cmp_gt_f32_e64 s[4:5], s14, v3
	s_and_b64 vcc, exec, s[2:3]
	s_nop 0
	v_cndmask_b32_e64 v3, v3, v10, s[4:5]
	v_sqrt_f32_e32 v10, v3
	s_nop 0
	v_add_u32_e32 v11, -1, v10
	v_add_u32_e32 v12, 1, v10
	v_fma_f32 v13, -v11, v10, v3
	v_fma_f32 v14, -v12, v10, v3
	v_cmp_ge_f32_e64 s[6:7], 0, v13
	s_nop 1
	v_cndmask_b32_e64 v10, v10, v11, s[6:7]
	v_cmp_lt_f32_e64 s[6:7], 0, v14
	s_nop 1
	v_cndmask_b32_e64 v10, v10, v12, s[6:7]
	v_mul_f32_e32 v11, 0x37800000, v10
	v_cndmask_b32_e64 v10, v10, v11, s[4:5]
	v_cmp_class_f32_e64 s[4:5], v3, v9
	s_nop 1
	v_cndmask_b32_e64 v3, v10, v3, s[4:5]
	s_cbranch_vccnz .LBB223_12
; %bb.11:
	global_load_dword v9, v7, s[10:11] offset:384
	s_waitcnt vmcnt(0)
	v_add_f32_e32 v3, v3, v9
.LBB223_12:
	s_waitcnt vmcnt(1)
	v_cvt_f32_f16_e32 v9, v4
	s_mov_b32 s7, 0x3f317217
	s_movk_i32 s6, 0x4d00
	v_mul_f32_e32 v10, 0x3fb8aa3b, v9
	v_exp_f32_e32 v11, v10
	v_mov_b32_e32 v10, 0x4f800000
	v_add_f32_e32 v11, 1.0, v11
	v_cmp_gt_f32_e32 vcc, s12, v11
	s_nop 1
	v_cndmask_b32_e32 v12, 1.0, v10, vcc
	v_mul_f32_e32 v11, v11, v12
	v_log_f32_e32 v12, v11
	v_mov_b32_e32 v11, 0x41b17218
	v_cndmask_b32_e32 v13, 0, v11, vcc
	v_mul_f32_e32 v14, 0x3f317217, v12
	v_fma_f32 v14, v12, s7, -v14
	v_fmac_f32_e32 v14, 0x3377d1cf, v12
	v_fmac_f32_e32 v14, 0x3f317217, v12
	v_cmp_lt_f32_e64 vcc, |v12|, s13
	s_nop 1
	v_cndmask_b32_e32 v12, v12, v14, vcc
	v_sub_f32_e32 v12, v12, v13
	v_cmp_lt_f16_e32 vcc, s6, v4
	s_nop 1
	v_cndmask_b32_e32 v4, v12, v9, vcc
	v_mul_f32_e32 v9, 0x4f800000, v4
	v_cmp_gt_f32_e32 vcc, s14, v4
	s_nop 1
	v_cndmask_b32_e32 v4, v4, v9, vcc
	v_sqrt_f32_e32 v9, v4
	s_nop 0
	v_add_u32_e32 v12, -1, v9
	v_fma_f32 v13, -v12, v9, v4
	v_cmp_ge_f32_e64 s[4:5], 0, v13
	v_add_u32_e32 v13, 1, v9
	s_nop 0
	v_cndmask_b32_e64 v12, v9, v12, s[4:5]
	v_fma_f32 v9, -v13, v9, v4
	v_cmp_lt_f32_e64 s[4:5], 0, v9
	s_nop 1
	v_cndmask_b32_e64 v9, v12, v13, s[4:5]
	v_mul_f32_e32 v12, 0x37800000, v9
	v_cndmask_b32_e32 v12, v9, v12, vcc
	v_mov_b32_e32 v9, 0x260
	v_cmp_class_f32_e64 s[4:5], v4, v9
	s_and_b64 vcc, exec, s[2:3]
	s_nop 0
	v_cndmask_b32_e64 v4, v12, v4, s[4:5]
	s_cbranch_vccnz .LBB223_14
; %bb.13:
	global_load_dword v12, v7, s[10:11] offset:512
	s_waitcnt vmcnt(0)
	v_add_f32_e32 v4, v4, v12
.LBB223_14:
	s_waitcnt vmcnt(0)
	v_cvt_f32_f16_e32 v12, v5
	v_mul_f32_e32 v13, 0x3fb8aa3b, v12
	v_exp_f32_e32 v13, v13
	s_nop 0
	v_add_f32_e32 v13, 1.0, v13
	v_cmp_gt_f32_e32 vcc, s12, v13
	s_nop 1
	v_cndmask_b32_e32 v10, 1.0, v10, vcc
	v_mul_f32_e32 v10, v13, v10
	v_log_f32_e32 v10, v10
	v_cndmask_b32_e32 v11, 0, v11, vcc
	v_mul_f32_e32 v13, 0x3f317217, v10
	v_fma_f32 v13, v10, s7, -v13
	v_fmac_f32_e32 v13, 0x3377d1cf, v10
	v_fmac_f32_e32 v13, 0x3f317217, v10
	v_cmp_lt_f32_e64 vcc, |v10|, s13
	s_nop 1
	v_cndmask_b32_e32 v10, v10, v13, vcc
	v_sub_f32_e32 v10, v10, v11
	v_cmp_lt_f16_e32 vcc, s6, v5
	s_nop 1
	v_cndmask_b32_e32 v5, v10, v12, vcc
	v_mul_f32_e32 v10, 0x4f800000, v5
	v_cmp_gt_f32_e64 s[4:5], s14, v5
	s_and_b64 vcc, exec, s[2:3]
	s_nop 0
	v_cndmask_b32_e64 v5, v5, v10, s[4:5]
	v_sqrt_f32_e32 v10, v5
	s_nop 0
	v_add_u32_e32 v11, -1, v10
	v_add_u32_e32 v12, 1, v10
	v_fma_f32 v13, -v11, v10, v5
	v_fma_f32 v14, -v12, v10, v5
	v_cmp_ge_f32_e64 s[6:7], 0, v13
	s_nop 1
	v_cndmask_b32_e64 v10, v10, v11, s[6:7]
	v_cmp_lt_f32_e64 s[6:7], 0, v14
	s_nop 1
	v_cndmask_b32_e64 v10, v10, v12, s[6:7]
	v_mul_f32_e32 v11, 0x37800000, v10
	v_cndmask_b32_e64 v10, v10, v11, s[4:5]
	v_cmp_class_f32_e64 s[4:5], v5, v9
	s_nop 1
	v_cndmask_b32_e64 v5, v10, v5, s[4:5]
	s_cbranch_vccnz .LBB223_16
; %bb.15:
	global_load_dword v7, v7, s[10:11] offset:640
	s_waitcnt vmcnt(0)
	v_add_f32_e32 v5, v5, v7
.LBB223_16:
	s_load_dwordx4 s[12:15], s[0:1], 0x30
	s_mov_b32 s31, 0
	v_cmp_eq_u32_e64 s[6:7], 0, v8
	s_waitcnt lgkmcnt(0)
	s_bitcmp1_b32 s15, 0
	s_cselect_b64 s[4:5], -1, 0
	s_cmp_gt_i32 s12, 0
	s_cselect_b64 s[24:25], -1, 0
	s_and_b64 vcc, exec, s[24:25]
	s_cbranch_vccz .LBB223_43
; %bb.17:
	v_mbcnt_lo_u32_b32 v7, -1, 0
	v_mbcnt_hi_u32_b32 v7, -1, v7
	v_and_b32_e32 v9, 0x60, v7
	v_add_u32_e32 v10, 32, v9
	v_xor_b32_e32 v11, 16, v7
	v_cmp_lt_i32_e32 vcc, v11, v10
	s_load_dwordx4 s[16:19], s[0:1], 0x20
	v_mul_lo_u32 v9, v6, s12
	v_cndmask_b32_e32 v11, v7, v11, vcc
	v_lshlrev_b32_e32 v17, 2, v11
	v_xor_b32_e32 v11, 8, v7
	v_cmp_lt_i32_e32 vcc, v11, v10
	v_or_b32_e32 v12, 32, v8
	v_or_b32_e32 v13, 64, v8
	v_cndmask_b32_e32 v11, v7, v11, vcc
	v_lshlrev_b32_e32 v18, 2, v11
	v_xor_b32_e32 v11, 4, v7
	v_cmp_lt_i32_e32 vcc, v11, v10
	v_or_b32_e32 v14, 0x60, v8
	v_or_b32_e32 v15, 0x80, v8
	v_cndmask_b32_e32 v11, v7, v11, vcc
	v_lshlrev_b32_e32 v19, 2, v11
	v_xor_b32_e32 v11, 2, v7
	v_cmp_lt_i32_e32 vcc, v11, v10
	v_or_b32_e32 v16, 0xa0, v8
	v_mov_b32_e32 v22, 0xc0
	v_cndmask_b32_e32 v11, v7, v11, vcc
	v_lshlrev_b32_e32 v20, 2, v11
	v_xor_b32_e32 v11, 1, v7
	v_cmp_lt_i32_e32 vcc, v11, v10
	v_mov_b32_e32 v23, 0xc61c4000
	v_mov_b32_e32 v24, v6
	v_cndmask_b32_e32 v7, v7, v11, vcc
	v_lshlrev_b32_e32 v21, 2, v7
	v_mov_b32_e32 v7, 0
	s_branch .LBB223_20
.LBB223_18:                             ;   in Loop: Header=BB223_20 Depth=1
	s_waitcnt lgkmcnt(0)
	v_add_u32_e32 v26, s31, v9
	v_cmp_le_i32_e32 vcc, s13, v10
	v_cmp_gt_i32_e64 s[0:1], s14, v10
	v_ashrrev_i32_e32 v27, 31, v26
	s_and_b64 s[0:1], vcc, s[0:1]
	v_lshlrev_b64 v[26:27], 2, v[26:27]
	v_lshl_add_u64 v[28:29], s[20:21], 0, v[26:27]
	v_subrev_u32_e32 v11, s13, v10
	s_and_b64 vcc, s[22:23], s[0:1]
	global_store_dword v[28:29], v25, off
	v_cndmask_b32_e32 v11, v22, v11, vcc
	v_lshl_add_u64 v[28:29], s[16:17], 0, v[26:27]
	global_store_dword v[28:29], v11, off
	v_add_f32_e32 v11, v7, v25
	v_lshl_add_u64 v[26:27], s[18:19], 0, v[26:27]
	v_cndmask_b32_e64 v7, v7, v11, s[4:5]
	global_store_dword v[26:27], v24, off
.LBB223_19:                             ;   in Loop: Header=BB223_20 Depth=1
	s_or_b64 exec, exec, s[26:27]
	v_ashrrev_i32_e32 v11, 31, v10
	v_lshrrev_b32_e32 v11, 27, v11
	v_add_u32_e32 v11, v10, v11
	v_ashrrev_i32_e32 v25, 5, v11
	v_and_b32_e32 v11, 0xffffffe0, v11
	v_sub_u32_e32 v10, v10, v11
	v_cmp_ne_u32_e64 s[0:1], 0, v25
	v_cmp_eq_u32_e32 vcc, v8, v10
	s_add_i32 s31, s31, 1
	v_cndmask_b32_e64 v10, v23, v0, s[0:1]
	v_cmp_ne_u32_e64 s[0:1], 1, v25
	s_cmp_lt_i32 s31, s12
	s_cselect_b64 s[26:27], -1, 0
	v_cndmask_b32_e64 v11, v23, v1, s[0:1]
	v_cmp_ne_u32_e64 s[0:1], 2, v25
	s_and_b64 vcc, s[26:27], vcc
	v_cndmask_b32_e32 v1, v1, v11, vcc
	s_waitcnt lgkmcnt(0)
	v_cndmask_b32_e64 v26, v23, v2, s[0:1]
	v_cmp_ne_u32_e64 s[0:1], 3, v25
	v_cndmask_b32_e32 v2, v2, v26, vcc
	v_cndmask_b32_e32 v0, v0, v10, vcc
	v_cndmask_b32_e64 v27, v23, v3, s[0:1]
	v_cmp_ne_u32_e64 s[0:1], 4, v25
	v_cndmask_b32_e32 v3, v3, v27, vcc
	s_cmp_eq_u32 s12, s31
	v_cndmask_b32_e64 v28, v23, v4, s[0:1]
	v_cmp_ne_u32_e64 s[0:1], 5, v25
	v_cndmask_b32_e32 v4, v4, v28, vcc
	v_add_u32_e32 v24, s30, v24
	v_cndmask_b32_e64 v25, v23, v5, s[0:1]
	v_cndmask_b32_e32 v5, v5, v25, vcc
	s_cbranch_scc1 .LBB223_44
.LBB223_20:                             ; =>This Inner Loop Header: Depth=1
	v_cmp_gt_f32_e32 vcc, v1, v0
	s_nop 1
	v_cndmask_b32_e32 v11, v0, v1, vcc
	v_cndmask_b32_e32 v10, v8, v12, vcc
	v_cmp_gt_f32_e32 vcc, v2, v11
	s_nop 1
	v_cndmask_b32_e32 v11, v11, v2, vcc
	v_cndmask_b32_e32 v10, v10, v13, vcc
	;; [unrolled: 4-line block ×5, first 2 shown]
	ds_bpermute_b32 v11, v17, v25
	ds_bpermute_b32 v26, v17, v10
	s_waitcnt lgkmcnt(0)
	v_cmp_lt_f32_e64 s[26:27], v25, v11
	v_cmp_nlt_f32_e32 vcc, v25, v11
	s_and_saveexec_b64 s[28:29], vcc
; %bb.21:                               ;   in Loop: Header=BB223_20 Depth=1
	v_cmp_eq_f32_e32 vcc, v25, v11
	v_cmp_lt_i32_e64 s[0:1], v26, v10
	s_and_b64 s[0:1], vcc, s[0:1]
	s_andn2_b64 s[26:27], s[26:27], exec
	s_and_b64 s[0:1], s[0:1], exec
	s_or_b64 s[26:27], s[26:27], s[0:1]
; %bb.22:                               ;   in Loop: Header=BB223_20 Depth=1
	s_or_b64 exec, exec, s[28:29]
	s_and_saveexec_b64 s[0:1], s[26:27]
; %bb.23:                               ;   in Loop: Header=BB223_20 Depth=1
	v_mov_b32_e32 v25, v11
	v_mov_b32_e32 v10, v26
; %bb.24:                               ;   in Loop: Header=BB223_20 Depth=1
	s_or_b64 exec, exec, s[0:1]
	ds_bpermute_b32 v11, v18, v25
	ds_bpermute_b32 v26, v18, v10
	s_waitcnt lgkmcnt(1)
	v_cmp_lt_f32_e64 s[26:27], v25, v11
	v_cmp_nlt_f32_e32 vcc, v25, v11
	s_and_saveexec_b64 s[28:29], vcc
	s_cbranch_execz .LBB223_26
; %bb.25:                               ;   in Loop: Header=BB223_20 Depth=1
	v_cmp_eq_f32_e32 vcc, v25, v11
	s_waitcnt lgkmcnt(0)
	v_cmp_lt_i32_e64 s[0:1], v26, v10
	s_and_b64 s[0:1], vcc, s[0:1]
	s_andn2_b64 s[26:27], s[26:27], exec
	s_and_b64 s[0:1], s[0:1], exec
	s_or_b64 s[26:27], s[26:27], s[0:1]
.LBB223_26:                             ;   in Loop: Header=BB223_20 Depth=1
	s_or_b64 exec, exec, s[28:29]
	s_and_saveexec_b64 s[0:1], s[26:27]
	s_cbranch_execz .LBB223_28
; %bb.27:                               ;   in Loop: Header=BB223_20 Depth=1
	v_mov_b32_e32 v25, v11
	s_waitcnt lgkmcnt(0)
	v_mov_b32_e32 v10, v26
.LBB223_28:                             ;   in Loop: Header=BB223_20 Depth=1
	s_or_b64 exec, exec, s[0:1]
	ds_bpermute_b32 v11, v19, v25
	s_waitcnt lgkmcnt(1)
	ds_bpermute_b32 v26, v19, v10
	s_waitcnt lgkmcnt(1)
	v_cmp_lt_f32_e64 s[26:27], v25, v11
	v_cmp_nlt_f32_e32 vcc, v25, v11
	s_and_saveexec_b64 s[28:29], vcc
	s_cbranch_execz .LBB223_30
; %bb.29:                               ;   in Loop: Header=BB223_20 Depth=1
	v_cmp_eq_f32_e32 vcc, v25, v11
	s_waitcnt lgkmcnt(0)
	v_cmp_lt_i32_e64 s[0:1], v26, v10
	s_and_b64 s[0:1], vcc, s[0:1]
	s_andn2_b64 s[26:27], s[26:27], exec
	s_and_b64 s[0:1], s[0:1], exec
	s_or_b64 s[26:27], s[26:27], s[0:1]
.LBB223_30:                             ;   in Loop: Header=BB223_20 Depth=1
	s_or_b64 exec, exec, s[28:29]
	s_and_saveexec_b64 s[0:1], s[26:27]
	s_cbranch_execz .LBB223_32
; %bb.31:                               ;   in Loop: Header=BB223_20 Depth=1
	v_mov_b32_e32 v25, v11
	s_waitcnt lgkmcnt(0)
	v_mov_b32_e32 v10, v26
.LBB223_32:                             ;   in Loop: Header=BB223_20 Depth=1
	s_or_b64 exec, exec, s[0:1]
	ds_bpermute_b32 v11, v20, v25
	s_waitcnt lgkmcnt(1)
	;; [unrolled: 26-line block ×3, first 2 shown]
	ds_bpermute_b32 v26, v21, v10
	s_waitcnt lgkmcnt(1)
	v_cmp_lt_f32_e64 s[26:27], v25, v11
	v_cmp_nlt_f32_e32 vcc, v25, v11
	s_and_saveexec_b64 s[28:29], vcc
	s_cbranch_execnz .LBB223_39
; %bb.37:                               ;   in Loop: Header=BB223_20 Depth=1
	s_or_b64 exec, exec, s[28:29]
	s_and_saveexec_b64 s[0:1], s[26:27]
	s_cbranch_execnz .LBB223_40
.LBB223_38:                             ;   in Loop: Header=BB223_20 Depth=1
	s_or_b64 exec, exec, s[0:1]
	s_and_saveexec_b64 s[26:27], s[6:7]
	s_cbranch_execz .LBB223_19
	s_branch .LBB223_41
.LBB223_39:                             ;   in Loop: Header=BB223_20 Depth=1
	v_cmp_eq_f32_e32 vcc, v25, v11
	s_waitcnt lgkmcnt(0)
	v_cmp_lt_i32_e64 s[0:1], v26, v10
	s_and_b64 s[0:1], vcc, s[0:1]
	s_andn2_b64 s[26:27], s[26:27], exec
	s_and_b64 s[0:1], s[0:1], exec
	s_or_b64 s[26:27], s[26:27], s[0:1]
	s_or_b64 exec, exec, s[28:29]
	s_and_saveexec_b64 s[0:1], s[26:27]
	s_cbranch_execz .LBB223_38
.LBB223_40:                             ;   in Loop: Header=BB223_20 Depth=1
	s_waitcnt lgkmcnt(0)
	v_mov_b32_e32 v10, v26
	v_mov_b32_e32 v25, v11
	s_or_b64 exec, exec, s[0:1]
	s_and_saveexec_b64 s[26:27], s[6:7]
	s_cbranch_execz .LBB223_19
.LBB223_41:                             ;   in Loop: Header=BB223_20 Depth=1
	s_and_b64 vcc, exec, s[2:3]
	s_cbranch_vccnz .LBB223_18
; %bb.42:                               ;   in Loop: Header=BB223_20 Depth=1
	v_ashrrev_i32_e32 v11, 31, v10
	s_waitcnt lgkmcnt(0)
	v_lshl_add_u64 v[26:27], v[10:11], 2, s[10:11]
	global_load_dword v11, v[26:27], off
	s_waitcnt vmcnt(0)
	v_sub_f32_e32 v25, v25, v11
	s_branch .LBB223_18
.LBB223_43:
	v_mov_b32_e32 v7, 0
.LBB223_44:
	v_cmp_eq_u32_e32 vcc, 0, v8
	s_and_b64 exec, exec, vcc
	s_cbranch_execz .LBB223_57
; %bb.45:
	s_andn2_b64 vcc, exec, s[4:5]
	v_cvt_f32_f64_e32 v0, s[8:9]
	s_cbranch_vccnz .LBB223_47
; %bb.46:
	v_cmp_lt_f32_e32 vcc, 0, v7
	s_nop 1
	v_cndmask_b32_e32 v1, 1.0, v7, vcc
	v_div_scale_f32 v2, s[0:1], v1, v1, v0
	v_rcp_f32_e32 v3, v2
	s_nop 0
	v_fma_f32 v4, -v2, v3, 1.0
	v_fmac_f32_e32 v3, v4, v3
	v_div_scale_f32 v4, vcc, v0, v1, v0
	v_mul_f32_e32 v5, v4, v3
	v_fma_f32 v7, -v2, v5, v4
	v_fmac_f32_e32 v5, v7, v3
	v_fma_f32 v2, -v2, v5, v4
	v_div_fmas_f32 v2, v2, v3, v5
	v_div_fixup_f32 v0, v2, v1, v0
.LBB223_47:
	s_andn2_b64 vcc, exec, s[24:25]
	s_cbranch_vccnz .LBB223_57
; %bb.48:
	v_mul_lo_u32 v2, v6, s12
	s_cmp_gt_u32 s12, 3
	v_ashrrev_i32_e32 v3, 31, v2
	s_cbranch_scc0 .LBB223_52
; %bb.49:
	s_and_b32 s0, s12, 0x7ffffffc
	v_lshl_add_u64 v[4:5], v[2:3], 2, s[20:21]
	v_mov_b32_e32 v1, v0
	v_lshl_add_u64 v[4:5], v[4:5], 0, 8
	s_mov_b32 s1, s0
.LBB223_50:                             ; =>This Inner Loop Header: Depth=1
	global_load_dwordx4 v[6:9], v[4:5], off offset:-8
	s_add_i32 s1, s1, -4
	s_cmp_lg_u32 s1, 0
	s_waitcnt vmcnt(0)
	v_pk_mul_f32 v[6:7], v[0:1], v[6:7]
	v_pk_mul_f32 v[8:9], v[0:1], v[8:9]
	global_store_dwordx4 v[4:5], v[6:9], off offset:-8
	v_lshl_add_u64 v[4:5], v[4:5], 0, 16
	s_cbranch_scc1 .LBB223_50
; %bb.51:
	s_cmp_lg_u32 s0, s12
	s_cselect_b64 s[2:3], -1, 0
	s_branch .LBB223_54
.LBB223_52:
	s_mov_b64 s[2:3], 0
                                        ; implicit-def: $sgpr0
	s_cbranch_execz .LBB223_54
; %bb.53:
	s_mov_b64 s[2:3], -1
	s_mov_b32 s0, 0
.LBB223_54:
	s_andn2_b64 vcc, exec, s[2:3]
	s_cbranch_vccnz .LBB223_57
; %bb.55:
	s_mov_b32 s1, 0
	v_lshl_add_u64 v[2:3], v[2:3], 0, s[0:1]
	s_sub_i32 s2, s12, s0
	v_lshl_add_u64 v[2:3], v[2:3], 2, s[20:21]
.LBB223_56:                             ; =>This Inner Loop Header: Depth=1
	global_load_dword v1, v[2:3], off
	s_add_i32 s2, s2, -1
	s_cmp_lg_u32 s2, 0
	s_waitcnt vmcnt(0)
	v_mul_f32_e32 v1, v0, v1
	global_store_dword v[2:3], v1, off
	v_lshl_add_u64 v[2:3], v[2:3], 0, 4
	s_cbranch_scc1 .LBB223_56
.LBB223_57:
	s_endpgm
	.section	.rodata,"a",@progbits
	.p2align	6, 0x0
	.amdhsa_kernel _ZN4vllm3moe22topkGatingSoftplusSqrtILi6ELi192ELi4ELi2ELi32ELb0Ei6__halfEEvPKT6_PKbPfiPT5_PiiiibdPKfPKS9_SF_
		.amdhsa_group_segment_fixed_size 0
		.amdhsa_private_segment_fixed_size 0
		.amdhsa_kernarg_size 96
		.amdhsa_user_sgpr_count 2
		.amdhsa_user_sgpr_dispatch_ptr 0
		.amdhsa_user_sgpr_queue_ptr 0
		.amdhsa_user_sgpr_kernarg_segment_ptr 1
		.amdhsa_user_sgpr_dispatch_id 0
		.amdhsa_user_sgpr_kernarg_preload_length 0
		.amdhsa_user_sgpr_kernarg_preload_offset 0
		.amdhsa_user_sgpr_private_segment_size 0
		.amdhsa_uses_dynamic_stack 0
		.amdhsa_enable_private_segment 0
		.amdhsa_system_sgpr_workgroup_id_x 1
		.amdhsa_system_sgpr_workgroup_id_y 0
		.amdhsa_system_sgpr_workgroup_id_z 0
		.amdhsa_system_sgpr_workgroup_info 0
		.amdhsa_system_vgpr_workitem_id 1
		.amdhsa_next_free_vgpr 30
		.amdhsa_next_free_sgpr 32
		.amdhsa_accum_offset 32
		.amdhsa_reserve_vcc 1
		.amdhsa_float_round_mode_32 0
		.amdhsa_float_round_mode_16_64 0
		.amdhsa_float_denorm_mode_32 3
		.amdhsa_float_denorm_mode_16_64 3
		.amdhsa_dx10_clamp 1
		.amdhsa_ieee_mode 1
		.amdhsa_fp16_overflow 0
		.amdhsa_tg_split 0
		.amdhsa_exception_fp_ieee_invalid_op 0
		.amdhsa_exception_fp_denorm_src 0
		.amdhsa_exception_fp_ieee_div_zero 0
		.amdhsa_exception_fp_ieee_overflow 0
		.amdhsa_exception_fp_ieee_underflow 0
		.amdhsa_exception_fp_ieee_inexact 0
		.amdhsa_exception_int_div_zero 0
	.end_amdhsa_kernel
	.section	.text._ZN4vllm3moe22topkGatingSoftplusSqrtILi6ELi192ELi4ELi2ELi32ELb0Ei6__halfEEvPKT6_PKbPfiPT5_PiiiibdPKfPKS9_SF_,"axG",@progbits,_ZN4vllm3moe22topkGatingSoftplusSqrtILi6ELi192ELi4ELi2ELi32ELb0Ei6__halfEEvPKT6_PKbPfiPT5_PiiiibdPKfPKS9_SF_,comdat
.Lfunc_end223:
	.size	_ZN4vllm3moe22topkGatingSoftplusSqrtILi6ELi192ELi4ELi2ELi32ELb0Ei6__halfEEvPKT6_PKbPfiPT5_PiiiibdPKfPKS9_SF_, .Lfunc_end223-_ZN4vllm3moe22topkGatingSoftplusSqrtILi6ELi192ELi4ELi2ELi32ELb0Ei6__halfEEvPKT6_PKbPfiPT5_PiiiibdPKfPKS9_SF_
                                        ; -- End function
	.section	.AMDGPU.csdata,"",@progbits
; Kernel info:
; codeLenInByte = 3556
; NumSgprs: 38
; NumVgprs: 30
; NumAgprs: 0
; TotalNumVgprs: 30
; ScratchSize: 0
; MemoryBound: 0
; FloatMode: 240
; IeeeMode: 1
; LDSByteSize: 0 bytes/workgroup (compile time only)
; SGPRBlocks: 4
; VGPRBlocks: 3
; NumSGPRsForWavesPerEU: 38
; NumVGPRsForWavesPerEU: 30
; AccumOffset: 32
; Occupancy: 8
; WaveLimiterHint : 0
; COMPUTE_PGM_RSRC2:SCRATCH_EN: 0
; COMPUTE_PGM_RSRC2:USER_SGPR: 2
; COMPUTE_PGM_RSRC2:TRAP_HANDLER: 0
; COMPUTE_PGM_RSRC2:TGID_X_EN: 1
; COMPUTE_PGM_RSRC2:TGID_Y_EN: 0
; COMPUTE_PGM_RSRC2:TGID_Z_EN: 0
; COMPUTE_PGM_RSRC2:TIDIG_COMP_CNT: 1
; COMPUTE_PGM_RSRC3_GFX90A:ACCUM_OFFSET: 7
; COMPUTE_PGM_RSRC3_GFX90A:TG_SPLIT: 0
	.section	.text._ZN4vllm3moe22topkGatingSoftplusSqrtILi5ELi320ELi4ELi2ELi64ELb1Ei6__halfEEvPKT6_PKbPfiPT5_PiiiibdPKfPKS9_SF_,"axG",@progbits,_ZN4vllm3moe22topkGatingSoftplusSqrtILi5ELi320ELi4ELi2ELi64ELb1Ei6__halfEEvPKT6_PKbPfiPT5_PiiiibdPKfPKS9_SF_,comdat
	.protected	_ZN4vllm3moe22topkGatingSoftplusSqrtILi5ELi320ELi4ELi2ELi64ELb1Ei6__halfEEvPKT6_PKbPfiPT5_PiiiibdPKfPKS9_SF_ ; -- Begin function _ZN4vllm3moe22topkGatingSoftplusSqrtILi5ELi320ELi4ELi2ELi64ELb1Ei6__halfEEvPKT6_PKbPfiPT5_PiiiibdPKfPKS9_SF_
	.globl	_ZN4vllm3moe22topkGatingSoftplusSqrtILi5ELi320ELi4ELi2ELi64ELb1Ei6__halfEEvPKT6_PKbPfiPT5_PiiiibdPKfPKS9_SF_
	.p2align	8
	.type	_ZN4vllm3moe22topkGatingSoftplusSqrtILi5ELi320ELi4ELi2ELi64ELb1Ei6__halfEEvPKT6_PKbPfiPT5_PiiiibdPKfPKS9_SF_,@function
_ZN4vllm3moe22topkGatingSoftplusSqrtILi5ELi320ELi4ELi2ELi64ELb1Ei6__halfEEvPKT6_PKbPfiPT5_PiiiibdPKfPKS9_SF_: ; @_ZN4vllm3moe22topkGatingSoftplusSqrtILi5ELi320ELi4ELi2ELi64ELb1Ei6__halfEEvPKT6_PKbPfiPT5_PiiiibdPKfPKS9_SF_
; %bb.0:
	s_load_dword s3, s[0:1], 0x18
	v_and_b32_e32 v1, 0x3ff, v0
	s_lshl_b32 s2, s2, 2
	v_lshrrev_b32_e32 v2, 6, v1
	v_bfe_u32 v0, v0, 10, 10
	v_add3_u32 v0, s2, v0, v2
	s_waitcnt lgkmcnt(0)
	v_cmp_gt_i32_e32 vcc, s3, v0
	s_and_saveexec_b64 s[2:3], vcc
	s_cbranch_execz .LBB224_31
; %bb.1:
	s_load_dwordx4 s[8:11], s[0:1], 0x50
	s_load_dwordx2 s[2:3], s[0:1], 0x0
	s_load_dword s20, s[0:1], 0x30
	s_movk_i32 s4, 0x140
	v_mul_lo_u32 v4, v0, s4
	v_ashrrev_i32_e32 v5, 31, v4
	v_and_b32_e32 v10, 63, v1
	s_waitcnt lgkmcnt(0)
	v_mov_b32_e32 v2, s8
	v_mov_b32_e32 v3, s9
	v_lshl_add_u64 v[6:7], v[4:5], 1, s[2:3]
	v_lshlrev_b32_e32 v4, 1, v10
	v_mov_b32_e32 v5, 0
	v_ashrrev_i32_e32 v1, 31, v0
	v_lshl_add_u64 v[6:7], v[6:7], 0, v[4:5]
	v_lshl_add_u64 v[2:3], v[0:1], 2, v[2:3]
	global_load_ushort v4, v[6:7], off
	global_load_ushort v8, v[6:7], off offset:128
	global_load_ushort v9, v[6:7], off offset:256
	global_load_ushort v13, v[6:7], off offset:384
	global_load_ushort v14, v[6:7], off offset:512
	global_load_dword v1, v[2:3], off
	s_mov_b32 s13, 0x800000
	v_mov_b32_e32 v6, 0x4f800000
	s_mov_b32 s12, 0x3f317217
	s_mov_b32 s14, 0x7f800000
	v_mov_b32_e32 v7, 0x41b17218
	s_movk_i32 s9, 0x4d00
	s_mov_b32 s15, 0xf800000
	v_mov_b32_e32 v15, 0x260
	s_cmp_gt_i32 s20, 0
	s_mov_b32 s8, 0
	v_mul_lo_u32 v0, v0, s20
	s_waitcnt vmcnt(5)
	v_cvt_f32_f16_e32 v11, v4
	s_waitcnt vmcnt(4)
	v_cvt_f32_f16_e32 v12, v8
	;; [unrolled: 2-line block ×5, first 2 shown]
	s_waitcnt vmcnt(0)
	v_mul_lo_u32 v2, v1, s20
	v_mul_f32_e32 v1, 0x3fb8aa3b, v11
	v_mul_f32_e32 v3, 0x3fb8aa3b, v12
	v_exp_f32_e32 v1, v1
	v_mul_f32_e32 v19, 0x3fb8aa3b, v16
	v_exp_f32_e32 v20, v3
	v_exp_f32_e32 v19, v19
	v_add_f32_e32 v1, 1.0, v1
	v_cmp_gt_f32_e32 vcc, s13, v1
	v_add_f32_e32 v20, 1.0, v20
	v_add_f32_e32 v19, 1.0, v19
	v_cndmask_b32_e32 v21, 1.0, v6, vcc
	v_cmp_gt_f32_e64 s[2:3], s13, v20
	v_cmp_gt_f32_e64 s[4:5], s13, v19
	v_mul_f32_e32 v1, v1, v21
	v_cndmask_b32_e64 v22, 1.0, v6, s[2:3]
	v_cndmask_b32_e64 v23, 1.0, v6, s[4:5]
	v_mul_f32_e32 v20, v20, v22
	v_log_f32_e32 v1, v1
	v_mul_f32_e32 v19, v19, v23
	v_log_f32_e32 v20, v20
	v_log_f32_e32 v19, v19
	v_mul_f32_e32 v24, 0x3f317217, v1
	v_fma_f32 v24, v1, s12, -v24
	v_mul_f32_e32 v25, 0x3f317217, v20
	v_mul_f32_e32 v26, 0x3f317217, v19
	v_fma_f32 v25, v20, s12, -v25
	v_fmac_f32_e32 v24, 0x3377d1cf, v1
	v_cndmask_b32_e32 v21, 0, v7, vcc
	v_fma_f32 v26, v19, s12, -v26
	v_fmac_f32_e32 v25, 0x3377d1cf, v20
	v_fmac_f32_e32 v24, 0x3f317217, v1
	v_cmp_lt_f32_e64 vcc, |v1|, s14
	v_fmac_f32_e32 v26, 0x3377d1cf, v19
	v_fmac_f32_e32 v25, 0x3f317217, v20
	v_cndmask_b32_e32 v1, v1, v24, vcc
	v_cmp_lt_f32_e64 vcc, |v20|, s14
	v_fmac_f32_e32 v26, 0x3f317217, v19
	v_cndmask_b32_e64 v22, 0, v7, s[2:3]
	v_cndmask_b32_e32 v20, v20, v25, vcc
	v_cmp_lt_f32_e64 vcc, |v19|, s14
	v_sub_f32_e32 v1, v1, v21
	v_cndmask_b32_e64 v23, 0, v7, s[4:5]
	v_cndmask_b32_e32 v19, v19, v26, vcc
	v_cmp_lt_f16_e32 vcc, s9, v4
	v_sub_f32_e32 v20, v20, v22
	v_sub_f32_e32 v19, v19, v23
	v_cndmask_b32_e32 v1, v1, v11, vcc
	v_cmp_lt_f16_e32 vcc, s9, v8
	v_ashrrev_i32_e32 v3, 31, v2
	v_lshl_add_u64 v[2:3], v[2:3], 2, s[10:11]
	v_cndmask_b32_e32 v4, v20, v12, vcc
	v_cmp_lt_f16_e32 vcc, s9, v9
	v_mul_f32_e32 v9, 0x4f800000, v1
	v_mul_f32_e32 v11, 0x4f800000, v4
	v_cndmask_b32_e32 v8, v19, v16, vcc
	v_cmp_gt_f32_e32 vcc, s15, v1
	v_cmp_gt_f32_e64 s[2:3], s15, v4
	v_mul_f32_e32 v12, 0x4f800000, v8
	v_cndmask_b32_e32 v1, v1, v9, vcc
	v_cndmask_b32_e64 v4, v4, v11, s[2:3]
	v_sqrt_f32_e32 v9, v1
	v_sqrt_f32_e32 v11, v4
	v_cmp_gt_f32_e64 s[4:5], s15, v8
	v_add_u32_e32 v19, 1, v9
	s_nop 0
	v_cndmask_b32_e64 v8, v8, v12, s[4:5]
	v_add_u32_e32 v12, -1, v9
	v_add_u32_e32 v20, -1, v11
	v_fma_f32 v22, -v12, v9, v1
	v_fma_f32 v24, -v20, v11, v4
	v_cmp_ge_f32_e64 s[6:7], 0, v22
	v_add_u32_e32 v21, 1, v11
	v_fma_f32 v23, -v19, v9, v1
	v_cndmask_b32_e64 v9, v9, v12, s[6:7]
	v_cmp_ge_f32_e64 s[6:7], 0, v24
	v_fma_f32 v25, -v21, v11, v4
	v_sqrt_f32_e32 v16, v8
	v_cndmask_b32_e64 v11, v11, v20, s[6:7]
	v_cmp_lt_f32_e64 s[6:7], 0, v23
	s_nop 1
	v_cndmask_b32_e64 v9, v9, v19, s[6:7]
	v_cmp_lt_f32_e64 s[6:7], 0, v25
	v_mul_f32_e32 v12, 0x37800000, v9
	v_cndmask_b32_e32 v9, v9, v12, vcc
	v_cndmask_b32_e64 v11, v11, v21, s[6:7]
	v_mul_f32_e32 v19, 0x37800000, v11
	v_cmp_class_f32_e32 vcc, v1, v15
	v_cndmask_b32_e64 v12, v11, v19, s[2:3]
	s_nop 0
	v_cndmask_b32_e32 v11, v9, v1, vcc
	v_mul_f32_e32 v9, 0x3fb8aa3b, v17
	v_exp_f32_e32 v9, v9
	v_cmp_class_f32_e32 vcc, v4, v15
	v_add_u32_e32 v1, -1, v16
	v_add_f32_e32 v9, 1.0, v9
	v_cndmask_b32_e32 v12, v12, v4, vcc
	v_fma_f32 v4, -v1, v16, v8
	v_cmp_ge_f32_e32 vcc, 0, v4
	v_add_u32_e32 v4, 1, v16
	s_nop 0
	v_cndmask_b32_e32 v1, v16, v1, vcc
	v_cmp_gt_f32_e32 vcc, s13, v9
	v_fma_f32 v16, -v4, v16, v8
	v_cmp_lt_f32_e64 s[2:3], 0, v16
	v_cndmask_b32_e32 v19, 1.0, v6, vcc
	v_mul_f32_e32 v9, v9, v19
	v_log_f32_e32 v9, v9
	v_cndmask_b32_e64 v1, v1, v4, s[2:3]
	v_mul_f32_e32 v4, 0x37800000, v1
	v_cndmask_b32_e64 v1, v1, v4, s[4:5]
	v_mul_f32_e32 v16, 0x3f317217, v9
	v_fma_f32 v16, v9, s12, -v16
	v_fmac_f32_e32 v16, 0x3377d1cf, v9
	v_fmac_f32_e32 v16, 0x3f317217, v9
	v_cmp_lt_f32_e64 s[2:3], |v9|, s14
	s_nop 1
	v_cndmask_b32_e64 v9, v9, v16, s[2:3]
	v_cndmask_b32_e32 v16, 0, v7, vcc
	v_sub_f32_e32 v9, v9, v16
	v_cmp_lt_f16_e32 vcc, s9, v13
	v_cmp_class_f32_e64 s[2:3], v8, v15
	s_nop 0
	v_cndmask_b32_e32 v9, v9, v17, vcc
	v_mul_f32_e32 v13, 0x4f800000, v9
	v_cmp_gt_f32_e32 vcc, s15, v9
	s_nop 1
	v_cndmask_b32_e32 v9, v9, v13, vcc
	v_sqrt_f32_e32 v16, v9
	v_cndmask_b32_e64 v13, v1, v8, s[2:3]
	v_mul_f32_e32 v8, 0x3fb8aa3b, v18
	v_exp_f32_e32 v8, v8
	v_add_u32_e32 v1, -1, v16
	v_fma_f32 v4, -v1, v16, v9
	v_cmp_ge_f32_e64 s[2:3], 0, v4
	v_add_f32_e32 v8, 1.0, v8
	v_add_u32_e32 v4, 1, v16
	v_cndmask_b32_e64 v1, v16, v1, s[2:3]
	v_cmp_gt_f32_e64 s[2:3], s13, v8
	v_fma_f32 v16, -v4, v16, v9
	v_cmp_lt_f32_e64 s[4:5], 0, v16
	v_cndmask_b32_e64 v6, 1.0, v6, s[2:3]
	v_mul_f32_e32 v6, v8, v6
	v_log_f32_e32 v6, v6
	v_cndmask_b32_e64 v1, v1, v4, s[4:5]
	v_cndmask_b32_e64 v7, 0, v7, s[2:3]
	v_cmp_lt_f16_e64 s[2:3], s9, v14
	v_mul_f32_e32 v8, 0x3f317217, v6
	v_fma_f32 v8, v6, s12, -v8
	v_fmac_f32_e32 v8, 0x3377d1cf, v6
	v_fmac_f32_e32 v8, 0x3f317217, v6
	v_cmp_lt_f32_e64 s[4:5], |v6|, s14
	v_mul_f32_e32 v4, 0x37800000, v1
	v_cndmask_b32_e32 v1, v1, v4, vcc
	v_cndmask_b32_e64 v6, v6, v8, s[4:5]
	v_sub_f32_e32 v6, v6, v7
	v_cndmask_b32_e64 v6, v6, v18, s[2:3]
	v_mul_f32_e32 v7, 0x4f800000, v6
	v_cmp_gt_f32_e64 s[2:3], s15, v6
	v_cmp_class_f32_e32 vcc, v9, v15
	s_cselect_b64 s[4:5], -1, 0
	v_cndmask_b32_e64 v6, v6, v7, s[2:3]
	v_sqrt_f32_e32 v7, v6
	v_cndmask_b32_e32 v14, v1, v9, vcc
	s_cmp_lt_i32 s20, 1
	v_add_u32_e32 v1, -1, v7
	v_fma_f32 v4, -v1, v7, v6
	v_cmp_ge_f32_e32 vcc, 0, v4
	v_add_u32_e32 v4, 1, v7
	s_nop 0
	v_cndmask_b32_e32 v1, v7, v1, vcc
	v_fma_f32 v7, -v4, v7, v6
	v_cmp_lt_f32_e32 vcc, 0, v7
	s_nop 1
	v_cndmask_b32_e32 v1, v1, v4, vcc
	v_mul_f32_e32 v4, 0x37800000, v1
	v_cndmask_b32_e64 v1, v1, v4, s[2:3]
	v_cmp_class_f32_e32 vcc, v6, v15
	s_nop 1
	v_cndmask_b32_e32 v15, v1, v6, vcc
	s_cbranch_scc1 .LBB224_28
; %bb.2:
	s_load_dwordx2 s[6:7], s[0:1], 0x20
	s_cmp_lt_u32 s20, 4
	s_cbranch_scc1 .LBB224_21
; %bb.3:
	s_mov_b32 s11, 0
	s_and_b32 s8, s20, 0x7ffffffc
	v_ashrrev_i32_e32 v1, 31, v0
	v_mov_b32_e32 v5, 0
	s_mov_b32 s10, s11
	s_branch .LBB224_5
.LBB224_4:                              ;   in Loop: Header=BB224_5 Depth=1
	s_or_b64 exec, exec, s[12:13]
	s_add_i32 s10, s10, 4
	s_cmp_eq_u32 s10, s8
	s_cbranch_scc1 .LBB224_21
.LBB224_5:                              ; =>This Loop Header: Depth=1
                                        ;     Child Loop BB224_7 Depth 2
                                        ;     Child Loop BB224_11 Depth 2
	;; [unrolled: 1-line block ×4, first 2 shown]
	v_lshl_add_u64 v[6:7], s[10:11], 2, v[2:3]
	global_load_dword v4, v[6:7], off
	v_add_u32_e32 v8, s10, v0
	v_ashrrev_i32_e32 v9, 31, v8
	s_waitcnt lgkmcnt(0)
	v_lshl_add_u64 v[8:9], v[8:9], 2, s[6:7]
	s_mov_b64 s[12:13], 0
	v_mov_b32_e32 v16, v10
	s_mov_b64 s[14:15], 0
	s_waitcnt vmcnt(0)
	s_branch .LBB224_7
.LBB224_6:                              ;   in Loop: Header=BB224_7 Depth=2
	s_or_b64 exec, exec, s[16:17]
	s_cmp_gt_u32 s14, 3
	s_cselect_b64 s[2:3], -1, 0
	s_xor_b64 s[16:17], vcc, -1
	s_or_b64 s[2:3], s[16:17], s[2:3]
	s_add_u32 s14, s14, 1
	s_addc_u32 s15, s15, 0
	s_and_b64 s[2:3], exec, s[2:3]
	s_or_b64 s[12:13], s[2:3], s[12:13]
	v_add_u32_e32 v16, 64, v16
	s_andn2_b64 exec, exec, s[12:13]
	s_cbranch_execz .LBB224_9
.LBB224_7:                              ;   Parent Loop BB224_5 Depth=1
                                        ; =>  This Inner Loop Header: Depth=2
	v_cmp_ne_u32_e32 vcc, v4, v16
	v_cmp_eq_u32_e64 s[2:3], v4, v16
	s_and_saveexec_b64 s[16:17], s[2:3]
	s_cbranch_execz .LBB224_6
; %bb.8:                                ;   in Loop: Header=BB224_7 Depth=2
	s_cmp_eq_u32 s14, 1
	s_cselect_b64 s[2:3], -1, 0
	s_cmp_eq_u32 s14, 2
	v_cndmask_b32_e64 v17, v11, v12, s[2:3]
	s_cselect_b64 s[2:3], -1, 0
	s_cmp_eq_u32 s14, 3
	v_cndmask_b32_e64 v17, v17, v13, s[2:3]
	;; [unrolled: 3-line block ×3, first 2 shown]
	s_cselect_b64 s[2:3], -1, 0
	v_cndmask_b32_e64 v17, v17, v15, s[2:3]
	v_add_f32_e32 v5, v5, v17
	global_store_dword v[8:9], v4, off
	s_branch .LBB224_6
.LBB224_9:                              ;   in Loop: Header=BB224_5 Depth=1
	s_or_b64 exec, exec, s[12:13]
	global_load_dword v4, v[6:7], off offset:4
	s_ashr_i32 s3, s10, 31
	s_mov_b32 s2, s10
	v_lshl_add_u64 v[8:9], s[2:3], 0, v[0:1]
	v_lshl_add_u64 v[8:9], v[8:9], 2, s[6:7]
	s_mov_b64 s[12:13], 0
	v_mov_b32_e32 v16, v10
	s_mov_b64 s[14:15], 0
	s_waitcnt vmcnt(0)
	s_branch .LBB224_11
.LBB224_10:                             ;   in Loop: Header=BB224_11 Depth=2
	s_or_b64 exec, exec, s[16:17]
	s_cmp_gt_u32 s14, 3
	s_cselect_b64 s[2:3], -1, 0
	s_xor_b64 s[16:17], vcc, -1
	s_or_b64 s[2:3], s[16:17], s[2:3]
	s_add_u32 s14, s14, 1
	s_addc_u32 s15, s15, 0
	s_and_b64 s[2:3], exec, s[2:3]
	s_or_b64 s[12:13], s[2:3], s[12:13]
	v_add_u32_e32 v16, 64, v16
	s_andn2_b64 exec, exec, s[12:13]
	s_cbranch_execz .LBB224_13
.LBB224_11:                             ;   Parent Loop BB224_5 Depth=1
                                        ; =>  This Inner Loop Header: Depth=2
	v_cmp_ne_u32_e32 vcc, v4, v16
	v_cmp_eq_u32_e64 s[2:3], v4, v16
	s_and_saveexec_b64 s[16:17], s[2:3]
	s_cbranch_execz .LBB224_10
; %bb.12:                               ;   in Loop: Header=BB224_11 Depth=2
	s_cmp_eq_u32 s14, 1
	s_cselect_b64 s[2:3], -1, 0
	s_cmp_eq_u32 s14, 2
	v_cndmask_b32_e64 v17, v11, v12, s[2:3]
	s_cselect_b64 s[2:3], -1, 0
	s_cmp_eq_u32 s14, 3
	v_cndmask_b32_e64 v17, v17, v13, s[2:3]
	;; [unrolled: 3-line block ×3, first 2 shown]
	s_cselect_b64 s[2:3], -1, 0
	v_cndmask_b32_e64 v17, v17, v15, s[2:3]
	v_add_f32_e32 v5, v5, v17
	global_store_dword v[8:9], v4, off offset:4
	s_branch .LBB224_10
.LBB224_13:                             ;   in Loop: Header=BB224_5 Depth=1
	s_or_b64 exec, exec, s[12:13]
	global_load_dword v4, v[6:7], off offset:8
	s_mov_b64 s[12:13], 0
	v_mov_b32_e32 v16, v10
	s_mov_b64 s[14:15], 0
	s_waitcnt vmcnt(0)
	s_branch .LBB224_15
.LBB224_14:                             ;   in Loop: Header=BB224_15 Depth=2
	s_or_b64 exec, exec, s[16:17]
	s_cmp_gt_u32 s14, 3
	s_cselect_b64 s[2:3], -1, 0
	s_xor_b64 s[16:17], vcc, -1
	s_or_b64 s[2:3], s[16:17], s[2:3]
	s_add_u32 s14, s14, 1
	s_addc_u32 s15, s15, 0
	s_and_b64 s[2:3], exec, s[2:3]
	s_or_b64 s[12:13], s[2:3], s[12:13]
	v_add_u32_e32 v16, 64, v16
	s_andn2_b64 exec, exec, s[12:13]
	s_cbranch_execz .LBB224_17
.LBB224_15:                             ;   Parent Loop BB224_5 Depth=1
                                        ; =>  This Inner Loop Header: Depth=2
	v_cmp_ne_u32_e32 vcc, v4, v16
	v_cmp_eq_u32_e64 s[2:3], v4, v16
	s_and_saveexec_b64 s[16:17], s[2:3]
	s_cbranch_execz .LBB224_14
; %bb.16:                               ;   in Loop: Header=BB224_15 Depth=2
	s_cmp_eq_u32 s14, 1
	s_cselect_b64 s[2:3], -1, 0
	s_cmp_eq_u32 s14, 2
	v_cndmask_b32_e64 v17, v11, v12, s[2:3]
	s_cselect_b64 s[2:3], -1, 0
	s_cmp_eq_u32 s14, 3
	v_cndmask_b32_e64 v17, v17, v13, s[2:3]
	;; [unrolled: 3-line block ×3, first 2 shown]
	s_cselect_b64 s[2:3], -1, 0
	v_cndmask_b32_e64 v17, v17, v15, s[2:3]
	v_add_f32_e32 v5, v5, v17
	global_store_dword v[8:9], v4, off offset:8
	s_branch .LBB224_14
.LBB224_17:                             ;   in Loop: Header=BB224_5 Depth=1
	s_or_b64 exec, exec, s[12:13]
	global_load_dword v4, v[6:7], off offset:12
	s_mov_b64 s[12:13], 0
	v_mov_b32_e32 v6, v10
	s_mov_b64 s[14:15], 0
	s_waitcnt vmcnt(0)
	s_branch .LBB224_19
.LBB224_18:                             ;   in Loop: Header=BB224_19 Depth=2
	s_or_b64 exec, exec, s[16:17]
	s_cmp_gt_u32 s14, 3
	s_cselect_b64 s[2:3], -1, 0
	s_xor_b64 s[16:17], vcc, -1
	s_or_b64 s[2:3], s[16:17], s[2:3]
	s_add_u32 s14, s14, 1
	s_addc_u32 s15, s15, 0
	s_and_b64 s[2:3], exec, s[2:3]
	s_or_b64 s[12:13], s[2:3], s[12:13]
	v_add_u32_e32 v6, 64, v6
	s_andn2_b64 exec, exec, s[12:13]
	s_cbranch_execz .LBB224_4
.LBB224_19:                             ;   Parent Loop BB224_5 Depth=1
                                        ; =>  This Inner Loop Header: Depth=2
	v_cmp_ne_u32_e32 vcc, v4, v6
	v_cmp_eq_u32_e64 s[2:3], v4, v6
	s_and_saveexec_b64 s[16:17], s[2:3]
	s_cbranch_execz .LBB224_18
; %bb.20:                               ;   in Loop: Header=BB224_19 Depth=2
	s_cmp_eq_u32 s14, 1
	s_cselect_b64 s[2:3], -1, 0
	s_cmp_eq_u32 s14, 2
	v_cndmask_b32_e64 v7, v11, v12, s[2:3]
	s_cselect_b64 s[2:3], -1, 0
	s_cmp_eq_u32 s14, 3
	v_cndmask_b32_e64 v7, v7, v13, s[2:3]
	;; [unrolled: 3-line block ×3, first 2 shown]
	s_cselect_b64 s[2:3], -1, 0
	v_cndmask_b32_e64 v7, v7, v15, s[2:3]
	v_add_f32_e32 v5, v5, v7
	global_store_dword v[8:9], v4, off offset:12
	s_branch .LBB224_18
.LBB224_21:
	s_and_b32 s16, s20, 3
	s_cmp_eq_u32 s16, 0
	s_mov_b32 s9, 0
	s_cbranch_scc1 .LBB224_28
; %bb.22:
	s_mov_b32 s17, s9
	s_branch .LBB224_24
.LBB224_23:                             ;   in Loop: Header=BB224_24 Depth=1
	s_or_b64 exec, exec, s[10:11]
	s_add_i32 s8, s8, 1
	s_add_i32 s17, s17, 1
	s_cmp_lg_u32 s17, s16
	s_cbranch_scc0 .LBB224_28
.LBB224_24:                             ; =>This Loop Header: Depth=1
                                        ;     Child Loop BB224_26 Depth 2
	v_lshl_add_u64 v[6:7], s[8:9], 2, v[2:3]
	global_load_dword v1, v[6:7], off
	v_add_u32_e32 v6, s8, v0
	v_ashrrev_i32_e32 v7, 31, v6
	s_waitcnt lgkmcnt(0)
	v_lshl_add_u64 v[6:7], v[6:7], 2, s[6:7]
	s_mov_b64 s[10:11], 0
	v_mov_b32_e32 v4, v10
	s_mov_b64 s[12:13], 0
	s_waitcnt vmcnt(0)
	s_branch .LBB224_26
.LBB224_25:                             ;   in Loop: Header=BB224_26 Depth=2
	s_or_b64 exec, exec, s[14:15]
	s_cmp_gt_u32 s12, 3
	s_cselect_b64 s[2:3], -1, 0
	s_xor_b64 s[14:15], vcc, -1
	s_or_b64 s[2:3], s[14:15], s[2:3]
	s_add_u32 s12, s12, 1
	s_addc_u32 s13, s13, 0
	s_and_b64 s[2:3], exec, s[2:3]
	s_or_b64 s[10:11], s[2:3], s[10:11]
	v_add_u32_e32 v4, 64, v4
	s_andn2_b64 exec, exec, s[10:11]
	s_cbranch_execz .LBB224_23
.LBB224_26:                             ;   Parent Loop BB224_24 Depth=1
                                        ; =>  This Inner Loop Header: Depth=2
	v_cmp_ne_u32_e32 vcc, v1, v4
	v_cmp_eq_u32_e64 s[2:3], v1, v4
	s_and_saveexec_b64 s[14:15], s[2:3]
	s_cbranch_execz .LBB224_25
; %bb.27:                               ;   in Loop: Header=BB224_26 Depth=2
	s_cmp_eq_u32 s12, 1
	s_cselect_b64 s[2:3], -1, 0
	s_cmp_eq_u32 s12, 2
	v_cndmask_b32_e64 v8, v11, v12, s[2:3]
	s_cselect_b64 s[2:3], -1, 0
	s_cmp_eq_u32 s12, 3
	v_cndmask_b32_e64 v8, v8, v13, s[2:3]
	;; [unrolled: 3-line block ×3, first 2 shown]
	s_cselect_b64 s[2:3], -1, 0
	v_cndmask_b32_e64 v8, v8, v15, s[2:3]
	v_add_f32_e32 v5, v5, v8
	global_store_dword v[6:7], v1, off
	s_branch .LBB224_25
.LBB224_28:
	s_waitcnt lgkmcnt(0)
	s_load_dword s6, s[0:1], 0x3c
	s_waitcnt lgkmcnt(0)
	s_bitcmp1_b32 s6, 0
	s_cselect_b64 s[2:3], -1, 0
	s_bitcmp0_b32 s6, 0
	s_cbranch_scc0 .LBB224_32
; %bb.29:
	s_load_dwordx2 s[6:7], s[0:1], 0x40
	s_andn2_b64 vcc, exec, s[2:3]
	s_waitcnt lgkmcnt(0)
	v_cvt_f32_f64_e32 v16, s[6:7]
	s_cbranch_vccz .LBB224_33
.LBB224_30:
	s_andn2_b64 vcc, exec, s[4:5]
	s_cbranch_vccz .LBB224_34
.LBB224_31:
	s_endpgm
.LBB224_32:
	v_mbcnt_lo_u32_b32 v1, -1, 0
	v_mbcnt_hi_u32_b32 v1, -1, v1
	v_and_b32_e32 v4, 64, v1
	v_add_u32_e32 v4, 64, v4
	v_xor_b32_e32 v6, 32, v1
	v_cmp_lt_i32_e32 vcc, v6, v4
	v_xor_b32_e32 v7, 16, v1
	s_nop 0
	v_cndmask_b32_e32 v6, v1, v6, vcc
	v_lshlrev_b32_e32 v6, 2, v6
	ds_bpermute_b32 v6, v6, v5
	v_cmp_lt_i32_e32 vcc, v7, v4
	s_waitcnt lgkmcnt(0)
	v_add_f32_e32 v5, v5, v6
	v_cndmask_b32_e32 v6, v1, v7, vcc
	v_lshlrev_b32_e32 v6, 2, v6
	ds_bpermute_b32 v6, v6, v5
	v_xor_b32_e32 v7, 8, v1
	v_cmp_lt_i32_e32 vcc, v7, v4
	s_waitcnt lgkmcnt(0)
	v_add_f32_e32 v5, v5, v6
	v_cndmask_b32_e32 v6, v1, v7, vcc
	v_lshlrev_b32_e32 v6, 2, v6
	ds_bpermute_b32 v6, v6, v5
	v_xor_b32_e32 v7, 4, v1
	;; [unrolled: 7-line block ×4, first 2 shown]
	v_cmp_lt_i32_e32 vcc, v7, v4
	s_waitcnt lgkmcnt(0)
	v_add_f32_e32 v5, v5, v6
	v_cndmask_b32_e32 v1, v1, v7, vcc
	v_lshlrev_b32_e32 v1, 2, v1
	ds_bpermute_b32 v1, v1, v5
	s_waitcnt lgkmcnt(0)
	v_add_f32_e32 v5, v5, v1
	s_load_dwordx2 s[6:7], s[0:1], 0x40
	s_andn2_b64 vcc, exec, s[2:3]
	s_waitcnt lgkmcnt(0)
	v_cvt_f32_f64_e32 v16, s[6:7]
	s_cbranch_vccnz .LBB224_30
.LBB224_33:
	v_cmp_lt_f32_e32 vcc, 0, v5
	s_nop 1
	v_cndmask_b32_e32 v1, 1.0, v5, vcc
	v_div_scale_f32 v4, s[2:3], v1, v1, v16
	v_rcp_f32_e32 v5, v4
	s_nop 0
	v_fma_f32 v6, -v4, v5, 1.0
	v_fmac_f32_e32 v5, v6, v5
	v_div_scale_f32 v6, vcc, v16, v1, v16
	v_mul_f32_e32 v7, v6, v5
	v_fma_f32 v8, -v4, v7, v6
	v_fmac_f32_e32 v7, v8, v5
	v_fma_f32 v4, -v4, v7, v6
	v_div_fmas_f32 v4, v4, v5, v7
	v_div_fixup_f32 v16, v4, v1, v16
	s_andn2_b64 vcc, exec, s[4:5]
	s_cbranch_vccnz .LBB224_31
.LBB224_34:
	s_load_dwordx2 s[6:7], s[0:1], 0x10
	v_or_b32_e32 v20, 64, v10
	v_or_b32_e32 v19, 0x80, v10
	;; [unrolled: 1-line block ×4, first 2 shown]
	s_cmp_eq_u32 s20, 1
	s_mov_b32 s8, 0
	s_cbranch_scc1 .LBB224_57
; %bb.35:
	v_ashrrev_i32_e32 v1, 31, v0
	s_waitcnt lgkmcnt(0)
	v_lshl_add_u64 v[4:5], v[0:1], 2, s[6:7]
	s_and_b32 s8, s20, 0x7ffffffe
	v_lshl_add_u64 v[4:5], v[4:5], 0, 4
	v_lshl_add_u64 v[6:7], v[2:3], 0, 4
	s_mov_b32 s9, 0
	s_branch .LBB224_37
.LBB224_36:                             ;   in Loop: Header=BB224_37 Depth=1
	s_or_b64 exec, exec, s[0:1]
	s_add_i32 s9, s9, 2
	v_lshl_add_u64 v[4:5], v[4:5], 0, 8
	s_cmp_lg_u32 s8, s9
	v_lshl_add_u64 v[6:7], v[6:7], 0, 8
	s_cbranch_scc0 .LBB224_57
.LBB224_37:                             ; =>This Inner Loop Header: Depth=1
	global_load_dword v1, v[6:7], off offset:-4
	v_mov_b64_e32 v[8:9], 0
	s_waitcnt vmcnt(0)
	v_cmp_eq_u32_e32 vcc, v1, v10
	v_cmp_ne_u32_e64 s[0:1], v1, v10
	s_and_saveexec_b64 s[10:11], s[0:1]
	s_cbranch_execz .LBB224_45
; %bb.38:                               ;   in Loop: Header=BB224_37 Depth=1
	v_cmp_eq_u32_e64 s[0:1], v1, v20
	v_cmp_ne_u32_e64 s[2:3], v1, v20
	v_mov_b64_e32 v[8:9], 1
	s_and_saveexec_b64 s[12:13], s[2:3]
	s_cbranch_execz .LBB224_44
; %bb.39:                               ;   in Loop: Header=BB224_37 Depth=1
	v_cmp_eq_u32_e64 s[2:3], v1, v19
	v_cmp_ne_u32_e64 s[4:5], v1, v19
	v_mov_b64_e32 v[8:9], 2
	s_and_saveexec_b64 s[14:15], s[4:5]
	s_cbranch_execz .LBB224_43
; %bb.40:                               ;   in Loop: Header=BB224_37 Depth=1
	v_cmp_eq_u32_e64 s[16:17], v1, v18
	v_cmp_ne_u32_e64 s[4:5], v1, v18
	v_mov_b64_e32 v[8:9], 3
	s_and_saveexec_b64 s[18:19], s[4:5]
	s_xor_b64 s[18:19], exec, s[18:19]
; %bb.41:                               ;   in Loop: Header=BB224_37 Depth=1
	v_cmp_eq_u32_e64 s[4:5], v1, v17
	s_andn2_b64 s[16:17], s[16:17], exec
	s_and_b64 s[4:5], s[4:5], exec
	v_mov_b64_e32 v[8:9], 4
	s_or_b64 s[16:17], s[16:17], s[4:5]
; %bb.42:                               ;   in Loop: Header=BB224_37 Depth=1
	s_or_b64 exec, exec, s[18:19]
	s_andn2_b64 s[2:3], s[2:3], exec
	s_and_b64 s[4:5], s[16:17], exec
	s_or_b64 s[2:3], s[2:3], s[4:5]
.LBB224_43:                             ;   in Loop: Header=BB224_37 Depth=1
	s_or_b64 exec, exec, s[14:15]
	s_andn2_b64 s[0:1], s[0:1], exec
	s_and_b64 s[2:3], s[2:3], exec
	s_or_b64 s[0:1], s[0:1], s[2:3]
.LBB224_44:                             ;   in Loop: Header=BB224_37 Depth=1
	s_or_b64 exec, exec, s[12:13]
	s_andn2_b64 s[2:3], vcc, exec
	s_and_b64 s[0:1], s[0:1], exec
	s_or_b64 vcc, s[2:3], s[0:1]
.LBB224_45:                             ;   in Loop: Header=BB224_37 Depth=1
	s_or_b64 exec, exec, s[10:11]
	s_and_saveexec_b64 s[0:1], vcc
	s_cbranch_execz .LBB224_47
; %bb.46:                               ;   in Loop: Header=BB224_37 Depth=1
	v_cmp_eq_u32_e32 vcc, 1, v8
	v_add_u32_e32 v22, s9, v0
	v_ashrrev_i32_e32 v23, 31, v22
	v_cndmask_b32_e32 v1, v11, v12, vcc
	v_cmp_eq_u32_e32 vcc, 2, v8
	s_nop 1
	v_cndmask_b32_e32 v1, v1, v13, vcc
	v_cmp_eq_u32_e32 vcc, 3, v8
	s_nop 1
	v_cndmask_b32_e32 v1, v1, v14, vcc
	v_cmp_eq_u32_e32 vcc, 4, v8
	v_lshl_add_u64 v[8:9], v[22:23], 2, s[6:7]
	s_nop 0
	v_cndmask_b32_e32 v1, v1, v15, vcc
	v_mul_f32_e32 v1, v16, v1
	global_store_dword v[8:9], v1, off
.LBB224_47:                             ;   in Loop: Header=BB224_37 Depth=1
	s_or_b64 exec, exec, s[0:1]
	global_load_dword v1, v[6:7], off
	v_mov_b64_e32 v[8:9], 0
	s_waitcnt vmcnt(0)
	v_cmp_eq_u32_e64 s[2:3], v1, v10
	v_cmp_ne_u32_e32 vcc, v1, v10
	s_and_saveexec_b64 s[4:5], vcc
	s_cbranch_execz .LBB224_55
; %bb.48:                               ;   in Loop: Header=BB224_37 Depth=1
	v_cmp_eq_u32_e32 vcc, v1, v20
	v_cmp_ne_u32_e64 s[0:1], v1, v20
	v_mov_b64_e32 v[8:9], 1
	s_and_saveexec_b64 s[10:11], s[0:1]
	s_cbranch_execz .LBB224_54
; %bb.49:                               ;   in Loop: Header=BB224_37 Depth=1
	v_cmp_eq_u32_e64 s[12:13], v1, v19
	v_cmp_ne_u32_e64 s[0:1], v1, v19
	v_mov_b64_e32 v[8:9], 2
	s_and_saveexec_b64 s[14:15], s[0:1]
	s_cbranch_execz .LBB224_53
; %bb.50:                               ;   in Loop: Header=BB224_37 Depth=1
	v_cmp_eq_u32_e64 s[16:17], v1, v18
	v_cmp_ne_u32_e64 s[0:1], v1, v18
	v_mov_b64_e32 v[8:9], 3
	s_and_saveexec_b64 s[18:19], s[0:1]
; %bb.51:                               ;   in Loop: Header=BB224_37 Depth=1
	v_cmp_eq_u32_e64 s[0:1], v1, v17
	s_andn2_b64 s[16:17], s[16:17], exec
	s_and_b64 s[0:1], s[0:1], exec
	v_mov_b64_e32 v[8:9], 4
	s_or_b64 s[16:17], s[16:17], s[0:1]
; %bb.52:                               ;   in Loop: Header=BB224_37 Depth=1
	s_or_b64 exec, exec, s[18:19]
	s_andn2_b64 s[0:1], s[12:13], exec
	s_and_b64 s[12:13], s[16:17], exec
	s_or_b64 s[12:13], s[0:1], s[12:13]
.LBB224_53:                             ;   in Loop: Header=BB224_37 Depth=1
	s_or_b64 exec, exec, s[14:15]
	s_andn2_b64 s[0:1], vcc, exec
	s_and_b64 s[12:13], s[12:13], exec
	s_or_b64 vcc, s[0:1], s[12:13]
.LBB224_54:                             ;   in Loop: Header=BB224_37 Depth=1
	s_or_b64 exec, exec, s[10:11]
	s_andn2_b64 s[0:1], s[2:3], exec
	s_and_b64 s[2:3], vcc, exec
	s_or_b64 s[2:3], s[0:1], s[2:3]
.LBB224_55:                             ;   in Loop: Header=BB224_37 Depth=1
	s_or_b64 exec, exec, s[4:5]
	s_and_saveexec_b64 s[0:1], s[2:3]
	s_cbranch_execz .LBB224_36
; %bb.56:                               ;   in Loop: Header=BB224_37 Depth=1
	v_cmp_eq_u32_e32 vcc, 1, v8
	s_nop 1
	v_cndmask_b32_e32 v1, v11, v12, vcc
	v_cmp_eq_u32_e32 vcc, 2, v8
	s_nop 1
	v_cndmask_b32_e32 v1, v1, v13, vcc
	;; [unrolled: 3-line block ×4, first 2 shown]
	v_mul_f32_e32 v1, v16, v1
	global_store_dword v[4:5], v1, off
	s_branch .LBB224_36
.LBB224_57:
	s_bitcmp0_b32 s20, 0
	s_mov_b32 s9, 0
	s_cbranch_scc1 .LBB224_31
; %bb.58:
	v_lshl_add_u64 v[2:3], s[8:9], 2, v[2:3]
	global_load_dword v1, v[2:3], off
	v_mov_b64_e32 v[2:3], 0
	s_waitcnt vmcnt(0)
	v_cmp_eq_u32_e64 s[2:3], v1, v10
	v_cmp_ne_u32_e32 vcc, v1, v10
	s_and_saveexec_b64 s[4:5], vcc
	s_cbranch_execz .LBB224_66
; %bb.59:
	v_cmp_eq_u32_e32 vcc, v1, v20
	v_cmp_ne_u32_e64 s[0:1], v1, v20
	v_mov_b64_e32 v[2:3], 1
	s_and_saveexec_b64 s[10:11], s[0:1]
	s_cbranch_execz .LBB224_65
; %bb.60:
	v_cmp_eq_u32_e64 s[12:13], v1, v19
	v_cmp_ne_u32_e64 s[0:1], v1, v19
	v_mov_b64_e32 v[2:3], 2
	s_and_saveexec_b64 s[14:15], s[0:1]
	s_cbranch_execz .LBB224_64
; %bb.61:
	v_cmp_eq_u32_e64 s[16:17], v1, v18
	v_cmp_ne_u32_e64 s[0:1], v1, v18
	v_mov_b64_e32 v[2:3], 3
	s_and_saveexec_b64 s[18:19], s[0:1]
; %bb.62:
	v_cmp_eq_u32_e64 s[0:1], v1, v17
	s_andn2_b64 s[16:17], s[16:17], exec
	s_and_b64 s[0:1], s[0:1], exec
	v_mov_b64_e32 v[2:3], 4
	s_or_b64 s[16:17], s[16:17], s[0:1]
; %bb.63:
	s_or_b64 exec, exec, s[18:19]
	s_andn2_b64 s[0:1], s[12:13], exec
	s_and_b64 s[12:13], s[16:17], exec
	s_or_b64 s[12:13], s[0:1], s[12:13]
.LBB224_64:
	s_or_b64 exec, exec, s[14:15]
	s_andn2_b64 s[0:1], vcc, exec
	s_and_b64 s[12:13], s[12:13], exec
	s_or_b64 vcc, s[0:1], s[12:13]
.LBB224_65:
	s_or_b64 exec, exec, s[10:11]
	s_andn2_b64 s[0:1], s[2:3], exec
	s_and_b64 s[2:3], vcc, exec
	s_or_b64 s[2:3], s[0:1], s[2:3]
.LBB224_66:
	s_or_b64 exec, exec, s[4:5]
	s_and_b64 exec, exec, s[2:3]
	s_cbranch_execz .LBB224_31
; %bb.67:
	v_cmp_eq_u32_e32 vcc, 1, v2
	v_add_u32_e32 v0, s8, v0
	s_nop 0
	v_cndmask_b32_e32 v1, v11, v12, vcc
	v_cmp_eq_u32_e32 vcc, 2, v2
	s_nop 1
	v_cndmask_b32_e32 v1, v1, v13, vcc
	v_cmp_eq_u32_e32 vcc, 3, v2
	;; [unrolled: 3-line block ×3, first 2 shown]
	s_nop 1
	v_cndmask_b32_e32 v1, v1, v15, vcc
	v_mul_f32_e32 v2, v16, v1
	v_ashrrev_i32_e32 v1, 31, v0
	s_waitcnt lgkmcnt(0)
	v_lshl_add_u64 v[0:1], v[0:1], 2, s[6:7]
	global_store_dword v[0:1], v2, off
	s_endpgm
	.section	.rodata,"a",@progbits
	.p2align	6, 0x0
	.amdhsa_kernel _ZN4vllm3moe22topkGatingSoftplusSqrtILi5ELi320ELi4ELi2ELi64ELb1Ei6__halfEEvPKT6_PKbPfiPT5_PiiiibdPKfPKS9_SF_
		.amdhsa_group_segment_fixed_size 0
		.amdhsa_private_segment_fixed_size 0
		.amdhsa_kernarg_size 96
		.amdhsa_user_sgpr_count 2
		.amdhsa_user_sgpr_dispatch_ptr 0
		.amdhsa_user_sgpr_queue_ptr 0
		.amdhsa_user_sgpr_kernarg_segment_ptr 1
		.amdhsa_user_sgpr_dispatch_id 0
		.amdhsa_user_sgpr_kernarg_preload_length 0
		.amdhsa_user_sgpr_kernarg_preload_offset 0
		.amdhsa_user_sgpr_private_segment_size 0
		.amdhsa_uses_dynamic_stack 0
		.amdhsa_enable_private_segment 0
		.amdhsa_system_sgpr_workgroup_id_x 1
		.amdhsa_system_sgpr_workgroup_id_y 0
		.amdhsa_system_sgpr_workgroup_id_z 0
		.amdhsa_system_sgpr_workgroup_info 0
		.amdhsa_system_vgpr_workitem_id 1
		.amdhsa_next_free_vgpr 27
		.amdhsa_next_free_sgpr 21
		.amdhsa_accum_offset 28
		.amdhsa_reserve_vcc 1
		.amdhsa_float_round_mode_32 0
		.amdhsa_float_round_mode_16_64 0
		.amdhsa_float_denorm_mode_32 3
		.amdhsa_float_denorm_mode_16_64 3
		.amdhsa_dx10_clamp 1
		.amdhsa_ieee_mode 1
		.amdhsa_fp16_overflow 0
		.amdhsa_tg_split 0
		.amdhsa_exception_fp_ieee_invalid_op 0
		.amdhsa_exception_fp_denorm_src 0
		.amdhsa_exception_fp_ieee_div_zero 0
		.amdhsa_exception_fp_ieee_overflow 0
		.amdhsa_exception_fp_ieee_underflow 0
		.amdhsa_exception_fp_ieee_inexact 0
		.amdhsa_exception_int_div_zero 0
	.end_amdhsa_kernel
	.section	.text._ZN4vllm3moe22topkGatingSoftplusSqrtILi5ELi320ELi4ELi2ELi64ELb1Ei6__halfEEvPKT6_PKbPfiPT5_PiiiibdPKfPKS9_SF_,"axG",@progbits,_ZN4vllm3moe22topkGatingSoftplusSqrtILi5ELi320ELi4ELi2ELi64ELb1Ei6__halfEEvPKT6_PKbPfiPT5_PiiiibdPKfPKS9_SF_,comdat
.Lfunc_end224:
	.size	_ZN4vllm3moe22topkGatingSoftplusSqrtILi5ELi320ELi4ELi2ELi64ELb1Ei6__halfEEvPKT6_PKbPfiPT5_PiiiibdPKfPKS9_SF_, .Lfunc_end224-_ZN4vllm3moe22topkGatingSoftplusSqrtILi5ELi320ELi4ELi2ELi64ELb1Ei6__halfEEvPKT6_PKbPfiPT5_PiiiibdPKfPKS9_SF_
                                        ; -- End function
	.section	.AMDGPU.csdata,"",@progbits
; Kernel info:
; codeLenInByte = 3852
; NumSgprs: 27
; NumVgprs: 27
; NumAgprs: 0
; TotalNumVgprs: 27
; ScratchSize: 0
; MemoryBound: 0
; FloatMode: 240
; IeeeMode: 1
; LDSByteSize: 0 bytes/workgroup (compile time only)
; SGPRBlocks: 3
; VGPRBlocks: 3
; NumSGPRsForWavesPerEU: 27
; NumVGPRsForWavesPerEU: 27
; AccumOffset: 28
; Occupancy: 8
; WaveLimiterHint : 1
; COMPUTE_PGM_RSRC2:SCRATCH_EN: 0
; COMPUTE_PGM_RSRC2:USER_SGPR: 2
; COMPUTE_PGM_RSRC2:TRAP_HANDLER: 0
; COMPUTE_PGM_RSRC2:TGID_X_EN: 1
; COMPUTE_PGM_RSRC2:TGID_Y_EN: 0
; COMPUTE_PGM_RSRC2:TGID_Z_EN: 0
; COMPUTE_PGM_RSRC2:TIDIG_COMP_CNT: 1
; COMPUTE_PGM_RSRC3_GFX90A:ACCUM_OFFSET: 6
; COMPUTE_PGM_RSRC3_GFX90A:TG_SPLIT: 0
	.section	.text._ZN4vllm3moe22topkGatingSoftplusSqrtILi5ELi320ELi4ELi2ELi64ELb0Ei6__halfEEvPKT6_PKbPfiPT5_PiiiibdPKfPKS9_SF_,"axG",@progbits,_ZN4vllm3moe22topkGatingSoftplusSqrtILi5ELi320ELi4ELi2ELi64ELb0Ei6__halfEEvPKT6_PKbPfiPT5_PiiiibdPKfPKS9_SF_,comdat
	.protected	_ZN4vllm3moe22topkGatingSoftplusSqrtILi5ELi320ELi4ELi2ELi64ELb0Ei6__halfEEvPKT6_PKbPfiPT5_PiiiibdPKfPKS9_SF_ ; -- Begin function _ZN4vllm3moe22topkGatingSoftplusSqrtILi5ELi320ELi4ELi2ELi64ELb0Ei6__halfEEvPKT6_PKbPfiPT5_PiiiibdPKfPKS9_SF_
	.globl	_ZN4vllm3moe22topkGatingSoftplusSqrtILi5ELi320ELi4ELi2ELi64ELb0Ei6__halfEEvPKT6_PKbPfiPT5_PiiiibdPKfPKS9_SF_
	.p2align	8
	.type	_ZN4vllm3moe22topkGatingSoftplusSqrtILi5ELi320ELi4ELi2ELi64ELb0Ei6__halfEEvPKT6_PKbPfiPT5_PiiiibdPKfPKS9_SF_,@function
_ZN4vllm3moe22topkGatingSoftplusSqrtILi5ELi320ELi4ELi2ELi64ELb0Ei6__halfEEvPKT6_PKbPfiPT5_PiiiibdPKfPKS9_SF_: ; @_ZN4vllm3moe22topkGatingSoftplusSqrtILi5ELi320ELi4ELi2ELi64ELb0Ei6__halfEEvPKT6_PKbPfiPT5_PiiiibdPKfPKS9_SF_
; %bb.0:
	s_load_dword s30, s[0:1], 0x18
	v_and_b32_e32 v1, 0x3ff, v0
	s_lshl_b32 s2, s2, 2
	v_lshrrev_b32_e32 v2, 6, v1
	v_bfe_u32 v0, v0, 10, 10
	v_add3_u32 v6, s2, v0, v2
	s_waitcnt lgkmcnt(0)
	v_cmp_gt_i32_e32 vcc, s30, v6
	s_and_saveexec_b64 s[2:3], vcc
	s_cbranch_execz .LBB225_59
; %bb.1:
	s_load_dwordx4 s[4:7], s[0:1], 0x0
	s_load_dwordx2 s[20:21], s[0:1], 0x10
	s_waitcnt lgkmcnt(0)
	s_cmp_eq_u64 s[6:7], 0
	s_cbranch_scc1 .LBB225_3
; %bb.2:
	v_ashrrev_i32_e32 v7, 31, v6
	v_lshl_add_u64 v[2:3], s[6:7], 0, v[6:7]
	global_load_ubyte v0, v[2:3], off
	s_waitcnt vmcnt(0)
	v_and_b32_e32 v0, 1, v0
	v_cmp_eq_u32_e32 vcc, 1, v0
	s_xor_b64 s[2:3], vcc, -1
	s_orn2_b64 s[22:23], s[2:3], exec
	s_branch .LBB225_4
.LBB225_3:
	s_mov_b64 s[22:23], -1
.LBB225_4:
	s_movk_i32 s2, 0x140
	v_mul_lo_u32 v4, v6, s2
	v_mov_b32_e32 v2, s4
	v_mov_b32_e32 v3, s5
	v_ashrrev_i32_e32 v5, 31, v4
	v_and_b32_e32 v8, 63, v1
	v_lshl_add_u64 v[2:3], v[4:5], 1, v[2:3]
	v_mov_b32_e32 v1, 0
	v_lshlrev_b32_e32 v0, 1, v8
	v_lshl_add_u64 v[10:11], v[2:3], 0, v[0:1]
	global_load_ushort v0, v[10:11], off
	global_load_ushort v1, v[10:11], off offset:128
	global_load_ushort v2, v[10:11], off offset:256
	;; [unrolled: 1-line block ×4, first 2 shown]
	s_mov_b32 s16, 0x800000
	v_mov_b32_e32 v9, 0x4f800000
	s_mov_b32 s13, 0x3f317217
	s_mov_b32 s14, 0x7f800000
	v_mov_b32_e32 v10, 0x41b17218
	s_movk_i32 s12, 0x4d00
	s_mov_b32 s15, 0xf800000
	s_load_dwordx4 s[8:11], s[0:1], 0x40
	s_waitcnt lgkmcnt(0)
	s_cmp_lg_u64 s[10:11], 0
	s_cselect_b64 s[6:7], -1, 0
	s_and_b64 s[2:3], exec, s[6:7]
	s_waitcnt vmcnt(4)
	v_cvt_f32_f16_e32 v11, v0
	v_mul_f32_e32 v5, 0x3fb8aa3b, v11
	v_exp_f32_e32 v5, v5
	s_nop 0
	v_add_f32_e32 v5, 1.0, v5
	v_cmp_gt_f32_e32 vcc, s16, v5
	s_nop 1
	v_cndmask_b32_e32 v7, 1.0, v9, vcc
	v_mul_f32_e32 v5, v5, v7
	v_log_f32_e32 v12, v5
	v_cndmask_b32_e32 v13, 0, v10, vcc
	v_mov_b32_e32 v7, 0x260
	v_lshlrev_b32_e32 v5, 2, v8
	v_mul_f32_e32 v14, 0x3f317217, v12
	v_fma_f32 v14, v12, s13, -v14
	v_fmac_f32_e32 v14, 0x3377d1cf, v12
	v_fmac_f32_e32 v14, 0x3f317217, v12
	v_cmp_lt_f32_e64 vcc, |v12|, s14
	s_nop 1
	v_cndmask_b32_e32 v12, v12, v14, vcc
	v_sub_f32_e32 v12, v12, v13
	v_cmp_lt_f16_e32 vcc, s12, v0
	s_nop 1
	v_cndmask_b32_e32 v0, v12, v11, vcc
	v_mul_f32_e32 v11, 0x4f800000, v0
	v_cmp_gt_f32_e32 vcc, s15, v0
	s_nop 1
	v_cndmask_b32_e32 v0, v0, v11, vcc
	v_sqrt_f32_e32 v11, v0
	s_nop 0
	v_add_u32_e32 v12, -1, v11
	v_add_u32_e32 v13, 1, v11
	v_fma_f32 v14, -v12, v11, v0
	v_fma_f32 v15, -v13, v11, v0
	v_cmp_ge_f32_e64 s[4:5], 0, v14
	s_nop 1
	v_cndmask_b32_e64 v11, v11, v12, s[4:5]
	v_cmp_lt_f32_e64 s[4:5], 0, v15
	s_nop 1
	v_cndmask_b32_e64 v11, v11, v13, s[4:5]
	v_mul_f32_e32 v12, 0x37800000, v11
	v_cndmask_b32_e32 v11, v11, v12, vcc
	v_cmp_class_f32_e32 vcc, v0, v7
	s_nop 1
	v_cndmask_b32_e32 v0, v11, v0, vcc
	s_mov_b64 vcc, s[2:3]
	s_cbranch_vccz .LBB225_6
; %bb.5:
	global_load_dword v11, v5, s[10:11]
	s_waitcnt vmcnt(0)
	v_add_f32_e32 v0, v0, v11
.LBB225_6:
	s_waitcnt vmcnt(3)
	v_cvt_f32_f16_e32 v11, v1
	v_mul_f32_e32 v12, 0x3fb8aa3b, v11
	v_exp_f32_e32 v12, v12
	s_nop 0
	v_add_f32_e32 v12, 1.0, v12
	v_cmp_gt_f32_e32 vcc, s16, v12
	s_nop 1
	v_cndmask_b32_e32 v9, 1.0, v9, vcc
	v_mul_f32_e32 v9, v12, v9
	v_log_f32_e32 v9, v9
	v_cndmask_b32_e32 v10, 0, v10, vcc
	v_mul_f32_e32 v12, 0x3f317217, v9
	v_fma_f32 v12, v9, s13, -v12
	v_fmac_f32_e32 v12, 0x3377d1cf, v9
	v_fmac_f32_e32 v12, 0x3f317217, v9
	v_cmp_lt_f32_e64 vcc, |v9|, s14
	s_nop 1
	v_cndmask_b32_e32 v9, v9, v12, vcc
	v_sub_f32_e32 v9, v9, v10
	v_cmp_lt_f16_e32 vcc, s12, v1
	v_cndmask_b32_e64 v10, 0, 1, s[6:7]
	v_cmp_ne_u32_e64 s[4:5], 1, v10
	v_cndmask_b32_e32 v1, v9, v11, vcc
	v_mul_f32_e32 v9, 0x4f800000, v1
	v_cmp_gt_f32_e64 s[2:3], s15, v1
	s_andn2_b64 vcc, exec, s[6:7]
	s_nop 0
	v_cndmask_b32_e64 v1, v1, v9, s[2:3]
	v_sqrt_f32_e32 v9, v1
	s_nop 0
	v_add_u32_e32 v10, -1, v9
	v_add_u32_e32 v11, 1, v9
	v_fma_f32 v12, -v10, v9, v1
	v_fma_f32 v13, -v11, v9, v1
	v_cmp_ge_f32_e64 s[6:7], 0, v12
	s_nop 1
	v_cndmask_b32_e64 v9, v9, v10, s[6:7]
	v_cmp_lt_f32_e64 s[6:7], 0, v13
	s_nop 1
	v_cndmask_b32_e64 v9, v9, v11, s[6:7]
	v_mul_f32_e32 v10, 0x37800000, v9
	v_cndmask_b32_e64 v9, v9, v10, s[2:3]
	v_cmp_class_f32_e64 s[2:3], v1, v7
	s_nop 1
	v_cndmask_b32_e64 v1, v9, v1, s[2:3]
	s_cbranch_vccnz .LBB225_8
; %bb.7:
	global_load_dword v7, v5, s[10:11] offset:256
	s_waitcnt vmcnt(0)
	v_add_f32_e32 v1, v1, v7
.LBB225_8:
	s_waitcnt vmcnt(2)
	v_cvt_f32_f16_e32 v7, v2
	s_mov_b32 s12, 0x800000
	s_mov_b32 s7, 0x3f317217
	;; [unrolled: 1-line block ×3, first 2 shown]
	v_mul_f32_e32 v9, 0x3fb8aa3b, v7
	v_exp_f32_e32 v10, v9
	v_mov_b32_e32 v9, 0x4f800000
	s_movk_i32 s6, 0x4d00
	s_mov_b32 s14, 0xf800000
	v_add_f32_e32 v10, 1.0, v10
	v_cmp_gt_f32_e32 vcc, s12, v10
	s_nop 1
	v_cndmask_b32_e32 v11, 1.0, v9, vcc
	v_mul_f32_e32 v10, v10, v11
	v_log_f32_e32 v11, v10
	v_mov_b32_e32 v10, 0x41b17218
	v_cndmask_b32_e32 v12, 0, v10, vcc
	v_mul_f32_e32 v13, 0x3f317217, v11
	v_fma_f32 v13, v11, s7, -v13
	v_fmac_f32_e32 v13, 0x3377d1cf, v11
	v_fmac_f32_e32 v13, 0x3f317217, v11
	v_cmp_lt_f32_e64 vcc, |v11|, s13
	s_nop 1
	v_cndmask_b32_e32 v11, v11, v13, vcc
	v_sub_f32_e32 v11, v11, v12
	v_cmp_lt_f16_e32 vcc, s6, v2
	s_nop 1
	v_cndmask_b32_e32 v2, v11, v7, vcc
	v_mul_f32_e32 v7, 0x4f800000, v2
	v_cmp_gt_f32_e32 vcc, s14, v2
	s_nop 1
	v_cndmask_b32_e32 v2, v2, v7, vcc
	v_sqrt_f32_e32 v7, v2
	s_nop 0
	v_add_u32_e32 v11, -1, v7
	v_fma_f32 v12, -v11, v7, v2
	v_cmp_ge_f32_e64 s[2:3], 0, v12
	v_add_u32_e32 v12, 1, v7
	s_nop 0
	v_cndmask_b32_e64 v11, v7, v11, s[2:3]
	v_fma_f32 v7, -v12, v7, v2
	v_cmp_lt_f32_e64 s[2:3], 0, v7
	s_nop 1
	v_cndmask_b32_e64 v7, v11, v12, s[2:3]
	v_mul_f32_e32 v11, 0x37800000, v7
	v_cndmask_b32_e32 v11, v7, v11, vcc
	v_mov_b32_e32 v7, 0x260
	v_cmp_class_f32_e64 s[2:3], v2, v7
	s_and_b64 vcc, exec, s[4:5]
	s_nop 0
	v_cndmask_b32_e64 v2, v11, v2, s[2:3]
	s_cbranch_vccnz .LBB225_10
; %bb.9:
	global_load_dword v11, v5, s[10:11] offset:512
	s_waitcnt vmcnt(0)
	v_add_f32_e32 v2, v2, v11
.LBB225_10:
	s_waitcnt vmcnt(1)
	v_cvt_f32_f16_e32 v11, v3
	v_mul_f32_e32 v12, 0x3fb8aa3b, v11
	v_exp_f32_e32 v12, v12
	s_nop 0
	v_add_f32_e32 v12, 1.0, v12
	v_cmp_gt_f32_e32 vcc, s12, v12
	s_nop 1
	v_cndmask_b32_e32 v9, 1.0, v9, vcc
	v_mul_f32_e32 v9, v12, v9
	v_log_f32_e32 v9, v9
	v_cndmask_b32_e32 v10, 0, v10, vcc
	v_mul_f32_e32 v12, 0x3f317217, v9
	v_fma_f32 v12, v9, s7, -v12
	v_fmac_f32_e32 v12, 0x3377d1cf, v9
	v_fmac_f32_e32 v12, 0x3f317217, v9
	v_cmp_lt_f32_e64 vcc, |v9|, s13
	s_nop 1
	v_cndmask_b32_e32 v9, v9, v12, vcc
	v_sub_f32_e32 v9, v9, v10
	v_cmp_lt_f16_e32 vcc, s6, v3
	s_nop 1
	v_cndmask_b32_e32 v3, v9, v11, vcc
	v_mul_f32_e32 v9, 0x4f800000, v3
	v_cmp_gt_f32_e64 s[2:3], s14, v3
	s_and_b64 vcc, exec, s[4:5]
	s_nop 0
	v_cndmask_b32_e64 v3, v3, v9, s[2:3]
	v_sqrt_f32_e32 v9, v3
	s_nop 0
	v_add_u32_e32 v10, -1, v9
	v_add_u32_e32 v11, 1, v9
	v_fma_f32 v12, -v10, v9, v3
	v_fma_f32 v13, -v11, v9, v3
	v_cmp_ge_f32_e64 s[6:7], 0, v12
	s_nop 1
	v_cndmask_b32_e64 v9, v9, v10, s[6:7]
	v_cmp_lt_f32_e64 s[6:7], 0, v13
	s_nop 1
	v_cndmask_b32_e64 v9, v9, v11, s[6:7]
	v_mul_f32_e32 v10, 0x37800000, v9
	v_cndmask_b32_e64 v9, v9, v10, s[2:3]
	v_cmp_class_f32_e64 s[2:3], v3, v7
	s_nop 1
	v_cndmask_b32_e64 v3, v9, v3, s[2:3]
	s_cbranch_vccnz .LBB225_12
; %bb.11:
	global_load_dword v7, v5, s[10:11] offset:768
	s_waitcnt vmcnt(0)
	v_add_f32_e32 v3, v3, v7
.LBB225_12:
	s_waitcnt vmcnt(0)
	v_cvt_f32_f16_e32 v7, v4
	s_mov_b32 s3, 0x800000
	v_mov_b32_e32 v10, 0x4f800000
	s_mov_b32 s6, 0x3f317217
	v_mul_f32_e32 v9, 0x3fb8aa3b, v7
	v_exp_f32_e32 v9, v9
	s_movk_i32 s2, 0x4d00
	v_add_f32_e32 v9, 1.0, v9
	v_cmp_gt_f32_e32 vcc, s3, v9
	s_mov_b32 s3, 0x7f800000
	s_nop 0
	v_cndmask_b32_e32 v10, 1.0, v10, vcc
	v_mul_f32_e32 v9, v9, v10
	v_log_f32_e32 v9, v9
	v_mov_b32_e32 v10, 0x41b17218
	v_cndmask_b32_e32 v10, 0, v10, vcc
	v_mul_f32_e32 v11, 0x3f317217, v9
	v_fma_f32 v11, v9, s6, -v11
	v_fmamk_f32 v11, v9, 0x3377d1cf, v11
	v_fmac_f32_e32 v11, 0x3f317217, v9
	v_cmp_lt_f32_e64 vcc, |v9|, s3
	s_nop 1
	v_cndmask_b32_e32 v9, v9, v11, vcc
	v_sub_f32_e32 v9, v9, v10
	v_cmp_lt_f16_e32 vcc, s2, v4
	s_mov_b32 s2, 0xf800000
	s_nop 0
	v_cndmask_b32_e32 v4, v9, v7, vcc
	v_mul_f32_e32 v7, 0x4f800000, v4
	v_cmp_gt_f32_e32 vcc, s2, v4
	s_nop 1
	v_cndmask_b32_e32 v4, v4, v7, vcc
	v_sqrt_f32_e32 v7, v4
	s_nop 0
	v_add_u32_e32 v9, -1, v7
	v_fma_f32 v10, -v9, v7, v4
	v_cmp_ge_f32_e64 s[2:3], 0, v10
	v_add_u32_e32 v10, 1, v7
	s_nop 0
	v_cndmask_b32_e64 v9, v7, v9, s[2:3]
	v_fma_f32 v7, -v10, v7, v4
	v_cmp_lt_f32_e64 s[2:3], 0, v7
	s_nop 1
	v_cndmask_b32_e64 v7, v9, v10, s[2:3]
	v_mul_f32_e32 v9, 0x37800000, v7
	v_cndmask_b32_e32 v7, v7, v9, vcc
	v_mov_b32_e32 v9, 0x260
	v_cmp_class_f32_e64 s[2:3], v4, v9
	s_and_b64 vcc, exec, s[4:5]
	s_nop 0
	v_cndmask_b32_e64 v4, v7, v4, s[2:3]
	s_cbranch_vccnz .LBB225_14
; %bb.13:
	global_load_dword v5, v5, s[10:11] offset:1024
	s_waitcnt vmcnt(0)
	v_add_f32_e32 v4, v4, v5
.LBB225_14:
	s_load_dwordx4 s[12:15], s[0:1], 0x30
	v_cmp_eq_u32_e64 s[6:7], 0, v8
	s_waitcnt lgkmcnt(0)
	s_bitcmp1_b32 s15, 0
	s_cselect_b64 s[2:3], -1, 0
	s_cmp_gt_i32 s12, 0
	s_cselect_b64 s[24:25], -1, 0
	s_and_b64 vcc, exec, s[24:25]
	s_cbranch_vccz .LBB225_45
; %bb.15:
	v_mbcnt_lo_u32_b32 v5, -1, 0
	v_mbcnt_hi_u32_b32 v7, -1, v5
	v_and_b32_e32 v5, 64, v7
	v_add_u32_e32 v10, 64, v5
	v_xor_b32_e32 v11, 32, v7
	v_cmp_lt_i32_e32 vcc, v11, v10
	s_load_dwordx4 s[16:19], s[0:1], 0x20
	s_mov_b32 s15, 0
	v_cndmask_b32_e32 v11, v7, v11, vcc
	v_lshlrev_b32_e32 v15, 2, v11
	v_xor_b32_e32 v11, 16, v7
	v_cmp_lt_i32_e32 vcc, v11, v10
	v_mul_lo_u32 v5, v6, s12
	v_or_b32_e32 v9, 64, v8
	v_cndmask_b32_e32 v11, v7, v11, vcc
	v_lshlrev_b32_e32 v16, 2, v11
	v_xor_b32_e32 v11, 8, v7
	v_cmp_lt_i32_e32 vcc, v11, v10
	v_or_b32_e32 v12, 0x80, v8
	v_or_b32_e32 v13, 0xc0, v8
	v_cndmask_b32_e32 v11, v7, v11, vcc
	v_lshlrev_b32_e32 v17, 2, v11
	v_xor_b32_e32 v11, 4, v7
	v_cmp_lt_i32_e32 vcc, v11, v10
	v_or_b32_e32 v14, 0x100, v8
	v_mov_b32_e32 v21, 0x140
	v_cndmask_b32_e32 v11, v7, v11, vcc
	v_lshlrev_b32_e32 v18, 2, v11
	v_xor_b32_e32 v11, 2, v7
	v_cmp_lt_i32_e32 vcc, v11, v10
	v_mov_b32_e32 v22, 0xc61c4000
	v_mov_b32_e32 v23, v6
	v_cndmask_b32_e32 v11, v7, v11, vcc
	v_lshlrev_b32_e32 v19, 2, v11
	v_xor_b32_e32 v11, 1, v7
	v_cmp_lt_i32_e32 vcc, v11, v10
	s_nop 1
	v_cndmask_b32_e32 v7, v7, v11, vcc
	v_lshlrev_b32_e32 v20, 2, v7
	v_mov_b32_e32 v7, 0
	s_branch .LBB225_18
.LBB225_16:                             ;   in Loop: Header=BB225_18 Depth=1
	v_add_u32_e32 v26, s15, v5
	v_cmp_le_i32_e32 vcc, s13, v10
	v_cmp_gt_i32_e64 s[0:1], s14, v10
	v_ashrrev_i32_e32 v27, 31, v26
	s_and_b64 s[0:1], vcc, s[0:1]
	v_lshlrev_b64 v[26:27], 2, v[26:27]
	v_lshl_add_u64 v[28:29], s[20:21], 0, v[26:27]
	v_subrev_u32_e32 v11, s13, v10
	s_and_b64 vcc, s[22:23], s[0:1]
	global_store_dword v[28:29], v24, off
	v_cndmask_b32_e32 v11, v21, v11, vcc
	v_lshl_add_u64 v[28:29], s[16:17], 0, v[26:27]
	global_store_dword v[28:29], v11, off
	v_add_f32_e32 v11, v7, v24
	v_lshl_add_u64 v[26:27], s[18:19], 0, v[26:27]
	v_cndmask_b32_e64 v7, v7, v11, s[2:3]
	global_store_dword v[26:27], v23, off
.LBB225_17:                             ;   in Loop: Header=BB225_18 Depth=1
	s_or_b64 exec, exec, s[26:27]
	v_ashrrev_i32_e32 v11, 31, v10
	v_lshrrev_b32_e32 v11, 26, v11
	v_add_u32_e32 v11, v10, v11
	v_ashrrev_i32_e32 v24, 6, v11
	v_and_b32_e32 v11, 0xffffffc0, v11
	v_sub_u32_e32 v10, v10, v11
	v_cmp_ne_u32_e64 s[0:1], 0, v24
	v_cmp_eq_u32_e32 vcc, v8, v10
	s_add_i32 s15, s15, 1
	v_cndmask_b32_e64 v10, v22, v0, s[0:1]
	v_cmp_ne_u32_e64 s[0:1], 1, v24
	s_cmp_lt_i32 s15, s12
	s_cselect_b64 s[26:27], -1, 0
	v_cndmask_b32_e64 v11, v22, v1, s[0:1]
	v_cmp_ne_u32_e64 s[0:1], 2, v24
	s_and_b64 vcc, s[26:27], vcc
	v_cndmask_b32_e32 v1, v1, v11, vcc
	s_waitcnt lgkmcnt(0)
	v_cndmask_b32_e64 v25, v22, v2, s[0:1]
	v_cmp_ne_u32_e64 s[0:1], 3, v24
	v_cndmask_b32_e32 v2, v2, v25, vcc
	v_cndmask_b32_e32 v0, v0, v10, vcc
	v_cndmask_b32_e64 v26, v22, v3, s[0:1]
	v_cmp_ne_u32_e64 s[0:1], 4, v24
	v_cndmask_b32_e32 v3, v3, v26, vcc
	s_cmp_eq_u32 s12, s15
	v_cndmask_b32_e64 v24, v22, v4, s[0:1]
	v_cndmask_b32_e32 v4, v4, v24, vcc
	v_add_u32_e32 v23, s30, v23
	s_cbranch_scc1 .LBB225_46
.LBB225_18:                             ; =>This Inner Loop Header: Depth=1
	v_cmp_gt_f32_e32 vcc, v1, v0
	s_nop 1
	v_cndmask_b32_e32 v11, v0, v1, vcc
	v_cndmask_b32_e32 v10, v8, v9, vcc
	v_cmp_gt_f32_e32 vcc, v2, v11
	s_nop 1
	v_cndmask_b32_e32 v11, v11, v2, vcc
	v_cndmask_b32_e32 v10, v10, v12, vcc
	;; [unrolled: 4-line block ×4, first 2 shown]
	ds_bpermute_b32 v11, v15, v24
	ds_bpermute_b32 v25, v15, v10
	s_waitcnt lgkmcnt(0)
	v_cmp_lt_f32_e64 s[26:27], v24, v11
	v_cmp_nlt_f32_e32 vcc, v24, v11
	s_and_saveexec_b64 s[28:29], vcc
; %bb.19:                               ;   in Loop: Header=BB225_18 Depth=1
	v_cmp_eq_f32_e32 vcc, v24, v11
	v_cmp_lt_i32_e64 s[0:1], v25, v10
	s_and_b64 s[0:1], vcc, s[0:1]
	s_andn2_b64 s[26:27], s[26:27], exec
	s_and_b64 s[0:1], s[0:1], exec
	s_or_b64 s[26:27], s[26:27], s[0:1]
; %bb.20:                               ;   in Loop: Header=BB225_18 Depth=1
	s_or_b64 exec, exec, s[28:29]
	s_and_saveexec_b64 s[0:1], s[26:27]
; %bb.21:                               ;   in Loop: Header=BB225_18 Depth=1
	v_mov_b32_e32 v24, v11
	v_mov_b32_e32 v10, v25
; %bb.22:                               ;   in Loop: Header=BB225_18 Depth=1
	s_or_b64 exec, exec, s[0:1]
	ds_bpermute_b32 v11, v16, v24
	ds_bpermute_b32 v25, v16, v10
	s_waitcnt lgkmcnt(1)
	v_cmp_lt_f32_e64 s[26:27], v24, v11
	v_cmp_nlt_f32_e32 vcc, v24, v11
	s_and_saveexec_b64 s[28:29], vcc
	s_cbranch_execz .LBB225_24
; %bb.23:                               ;   in Loop: Header=BB225_18 Depth=1
	v_cmp_eq_f32_e32 vcc, v24, v11
	s_waitcnt lgkmcnt(0)
	v_cmp_lt_i32_e64 s[0:1], v25, v10
	s_and_b64 s[0:1], vcc, s[0:1]
	s_andn2_b64 s[26:27], s[26:27], exec
	s_and_b64 s[0:1], s[0:1], exec
	s_or_b64 s[26:27], s[26:27], s[0:1]
.LBB225_24:                             ;   in Loop: Header=BB225_18 Depth=1
	s_or_b64 exec, exec, s[28:29]
	s_and_saveexec_b64 s[0:1], s[26:27]
	s_cbranch_execz .LBB225_26
; %bb.25:                               ;   in Loop: Header=BB225_18 Depth=1
	v_mov_b32_e32 v24, v11
	s_waitcnt lgkmcnt(0)
	v_mov_b32_e32 v10, v25
.LBB225_26:                             ;   in Loop: Header=BB225_18 Depth=1
	s_or_b64 exec, exec, s[0:1]
	ds_bpermute_b32 v11, v17, v24
	s_waitcnt lgkmcnt(1)
	ds_bpermute_b32 v25, v17, v10
	s_waitcnt lgkmcnt(1)
	v_cmp_lt_f32_e64 s[26:27], v24, v11
	v_cmp_nlt_f32_e32 vcc, v24, v11
	s_and_saveexec_b64 s[28:29], vcc
	s_cbranch_execz .LBB225_28
; %bb.27:                               ;   in Loop: Header=BB225_18 Depth=1
	v_cmp_eq_f32_e32 vcc, v24, v11
	s_waitcnt lgkmcnt(0)
	v_cmp_lt_i32_e64 s[0:1], v25, v10
	s_and_b64 s[0:1], vcc, s[0:1]
	s_andn2_b64 s[26:27], s[26:27], exec
	s_and_b64 s[0:1], s[0:1], exec
	s_or_b64 s[26:27], s[26:27], s[0:1]
.LBB225_28:                             ;   in Loop: Header=BB225_18 Depth=1
	s_or_b64 exec, exec, s[28:29]
	s_and_saveexec_b64 s[0:1], s[26:27]
	s_cbranch_execz .LBB225_30
; %bb.29:                               ;   in Loop: Header=BB225_18 Depth=1
	v_mov_b32_e32 v24, v11
	s_waitcnt lgkmcnt(0)
	v_mov_b32_e32 v10, v25
.LBB225_30:                             ;   in Loop: Header=BB225_18 Depth=1
	s_or_b64 exec, exec, s[0:1]
	ds_bpermute_b32 v11, v18, v24
	s_waitcnt lgkmcnt(1)
	;; [unrolled: 26-line block ×4, first 2 shown]
	ds_bpermute_b32 v25, v20, v10
	s_waitcnt lgkmcnt(1)
	v_cmp_lt_f32_e64 s[26:27], v24, v11
	v_cmp_nlt_f32_e32 vcc, v24, v11
	s_and_saveexec_b64 s[28:29], vcc
	s_cbranch_execnz .LBB225_41
; %bb.39:                               ;   in Loop: Header=BB225_18 Depth=1
	s_or_b64 exec, exec, s[28:29]
	s_and_saveexec_b64 s[0:1], s[26:27]
	s_cbranch_execnz .LBB225_42
.LBB225_40:                             ;   in Loop: Header=BB225_18 Depth=1
	s_or_b64 exec, exec, s[0:1]
	s_and_saveexec_b64 s[26:27], s[6:7]
	s_cbranch_execz .LBB225_17
	s_branch .LBB225_43
.LBB225_41:                             ;   in Loop: Header=BB225_18 Depth=1
	v_cmp_eq_f32_e32 vcc, v24, v11
	s_waitcnt lgkmcnt(0)
	v_cmp_lt_i32_e64 s[0:1], v25, v10
	s_and_b64 s[0:1], vcc, s[0:1]
	s_andn2_b64 s[26:27], s[26:27], exec
	s_and_b64 s[0:1], s[0:1], exec
	s_or_b64 s[26:27], s[26:27], s[0:1]
	s_or_b64 exec, exec, s[28:29]
	s_and_saveexec_b64 s[0:1], s[26:27]
	s_cbranch_execz .LBB225_40
.LBB225_42:                             ;   in Loop: Header=BB225_18 Depth=1
	s_waitcnt lgkmcnt(0)
	v_mov_b32_e32 v10, v25
	v_mov_b32_e32 v24, v11
	s_or_b64 exec, exec, s[0:1]
	s_and_saveexec_b64 s[26:27], s[6:7]
	s_cbranch_execz .LBB225_17
.LBB225_43:                             ;   in Loop: Header=BB225_18 Depth=1
	s_and_b64 vcc, exec, s[4:5]
	s_cbranch_vccnz .LBB225_16
; %bb.44:                               ;   in Loop: Header=BB225_18 Depth=1
	v_ashrrev_i32_e32 v11, 31, v10
	v_lshl_add_u64 v[26:27], v[10:11], 2, s[10:11]
	global_load_dword v11, v[26:27], off
	s_waitcnt vmcnt(0)
	v_sub_f32_e32 v24, v24, v11
	s_branch .LBB225_16
.LBB225_45:
	v_mov_b32_e32 v7, 0
.LBB225_46:
	v_cmp_eq_u32_e32 vcc, 0, v8
	s_and_b64 exec, exec, vcc
	s_cbranch_execz .LBB225_59
; %bb.47:
	s_andn2_b64 vcc, exec, s[2:3]
	v_cvt_f32_f64_e32 v0, s[8:9]
	s_cbranch_vccnz .LBB225_49
; %bb.48:
	v_cmp_lt_f32_e32 vcc, 0, v7
	s_nop 1
	v_cndmask_b32_e32 v1, 1.0, v7, vcc
	v_div_scale_f32 v2, s[0:1], v1, v1, v0
	v_rcp_f32_e32 v3, v2
	s_nop 0
	v_fma_f32 v4, -v2, v3, 1.0
	v_fmac_f32_e32 v3, v4, v3
	v_div_scale_f32 v4, vcc, v0, v1, v0
	v_mul_f32_e32 v5, v4, v3
	v_fma_f32 v7, -v2, v5, v4
	v_fmac_f32_e32 v5, v7, v3
	v_fma_f32 v2, -v2, v5, v4
	v_div_fmas_f32 v2, v2, v3, v5
	v_div_fixup_f32 v0, v2, v1, v0
.LBB225_49:
	s_andn2_b64 vcc, exec, s[24:25]
	s_cbranch_vccnz .LBB225_59
; %bb.50:
	v_mul_lo_u32 v2, v6, s12
	s_cmp_gt_u32 s12, 3
	v_ashrrev_i32_e32 v3, 31, v2
	s_cbranch_scc0 .LBB225_54
; %bb.51:
	s_and_b32 s0, s12, 0x7ffffffc
	v_lshl_add_u64 v[4:5], v[2:3], 2, s[20:21]
	v_mov_b32_e32 v1, v0
	v_lshl_add_u64 v[4:5], v[4:5], 0, 8
	s_mov_b32 s1, s0
.LBB225_52:                             ; =>This Inner Loop Header: Depth=1
	global_load_dwordx4 v[6:9], v[4:5], off offset:-8
	s_add_i32 s1, s1, -4
	s_cmp_lg_u32 s1, 0
	s_waitcnt vmcnt(0)
	v_pk_mul_f32 v[6:7], v[0:1], v[6:7]
	v_pk_mul_f32 v[8:9], v[0:1], v[8:9]
	global_store_dwordx4 v[4:5], v[6:9], off offset:-8
	v_lshl_add_u64 v[4:5], v[4:5], 0, 16
	s_cbranch_scc1 .LBB225_52
; %bb.53:
	s_cmp_lg_u32 s0, s12
	s_cselect_b64 s[2:3], -1, 0
	s_branch .LBB225_56
.LBB225_54:
	s_mov_b64 s[2:3], 0
                                        ; implicit-def: $sgpr0
	s_cbranch_execz .LBB225_56
; %bb.55:
	s_mov_b64 s[2:3], -1
	s_mov_b32 s0, 0
.LBB225_56:
	s_andn2_b64 vcc, exec, s[2:3]
	s_cbranch_vccnz .LBB225_59
; %bb.57:
	s_mov_b32 s1, 0
	v_lshl_add_u64 v[2:3], v[2:3], 0, s[0:1]
	s_sub_i32 s2, s12, s0
	v_lshl_add_u64 v[2:3], v[2:3], 2, s[20:21]
.LBB225_58:                             ; =>This Inner Loop Header: Depth=1
	global_load_dword v1, v[2:3], off
	s_add_i32 s2, s2, -1
	s_cmp_lg_u32 s2, 0
	s_waitcnt vmcnt(0)
	v_mul_f32_e32 v1, v0, v1
	global_store_dword v[2:3], v1, off
	v_lshl_add_u64 v[2:3], v[2:3], 0, 4
	s_cbranch_scc1 .LBB225_58
.LBB225_59:
	s_endpgm
	.section	.rodata,"a",@progbits
	.p2align	6, 0x0
	.amdhsa_kernel _ZN4vllm3moe22topkGatingSoftplusSqrtILi5ELi320ELi4ELi2ELi64ELb0Ei6__halfEEvPKT6_PKbPfiPT5_PiiiibdPKfPKS9_SF_
		.amdhsa_group_segment_fixed_size 0
		.amdhsa_private_segment_fixed_size 0
		.amdhsa_kernarg_size 96
		.amdhsa_user_sgpr_count 2
		.amdhsa_user_sgpr_dispatch_ptr 0
		.amdhsa_user_sgpr_queue_ptr 0
		.amdhsa_user_sgpr_kernarg_segment_ptr 1
		.amdhsa_user_sgpr_dispatch_id 0
		.amdhsa_user_sgpr_kernarg_preload_length 0
		.amdhsa_user_sgpr_kernarg_preload_offset 0
		.amdhsa_user_sgpr_private_segment_size 0
		.amdhsa_uses_dynamic_stack 0
		.amdhsa_enable_private_segment 0
		.amdhsa_system_sgpr_workgroup_id_x 1
		.amdhsa_system_sgpr_workgroup_id_y 0
		.amdhsa_system_sgpr_workgroup_id_z 0
		.amdhsa_system_sgpr_workgroup_info 0
		.amdhsa_system_vgpr_workitem_id 1
		.amdhsa_next_free_vgpr 30
		.amdhsa_next_free_sgpr 31
		.amdhsa_accum_offset 32
		.amdhsa_reserve_vcc 1
		.amdhsa_float_round_mode_32 0
		.amdhsa_float_round_mode_16_64 0
		.amdhsa_float_denorm_mode_32 3
		.amdhsa_float_denorm_mode_16_64 3
		.amdhsa_dx10_clamp 1
		.amdhsa_ieee_mode 1
		.amdhsa_fp16_overflow 0
		.amdhsa_tg_split 0
		.amdhsa_exception_fp_ieee_invalid_op 0
		.amdhsa_exception_fp_denorm_src 0
		.amdhsa_exception_fp_ieee_div_zero 0
		.amdhsa_exception_fp_ieee_overflow 0
		.amdhsa_exception_fp_ieee_underflow 0
		.amdhsa_exception_fp_ieee_inexact 0
		.amdhsa_exception_int_div_zero 0
	.end_amdhsa_kernel
	.section	.text._ZN4vllm3moe22topkGatingSoftplusSqrtILi5ELi320ELi4ELi2ELi64ELb0Ei6__halfEEvPKT6_PKbPfiPT5_PiiiibdPKfPKS9_SF_,"axG",@progbits,_ZN4vllm3moe22topkGatingSoftplusSqrtILi5ELi320ELi4ELi2ELi64ELb0Ei6__halfEEvPKT6_PKbPfiPT5_PiiiibdPKfPKS9_SF_,comdat
.Lfunc_end225:
	.size	_ZN4vllm3moe22topkGatingSoftplusSqrtILi5ELi320ELi4ELi2ELi64ELb0Ei6__halfEEvPKT6_PKbPfiPT5_PiiiibdPKfPKS9_SF_, .Lfunc_end225-_ZN4vllm3moe22topkGatingSoftplusSqrtILi5ELi320ELi4ELi2ELi64ELb0Ei6__halfEEvPKT6_PKbPfiPT5_PiiiibdPKfPKS9_SF_
                                        ; -- End function
	.section	.AMDGPU.csdata,"",@progbits
; Kernel info:
; codeLenInByte = 3368
; NumSgprs: 37
; NumVgprs: 30
; NumAgprs: 0
; TotalNumVgprs: 30
; ScratchSize: 0
; MemoryBound: 0
; FloatMode: 240
; IeeeMode: 1
; LDSByteSize: 0 bytes/workgroup (compile time only)
; SGPRBlocks: 4
; VGPRBlocks: 3
; NumSGPRsForWavesPerEU: 37
; NumVGPRsForWavesPerEU: 30
; AccumOffset: 32
; Occupancy: 8
; WaveLimiterHint : 1
; COMPUTE_PGM_RSRC2:SCRATCH_EN: 0
; COMPUTE_PGM_RSRC2:USER_SGPR: 2
; COMPUTE_PGM_RSRC2:TRAP_HANDLER: 0
; COMPUTE_PGM_RSRC2:TGID_X_EN: 1
; COMPUTE_PGM_RSRC2:TGID_Y_EN: 0
; COMPUTE_PGM_RSRC2:TGID_Z_EN: 0
; COMPUTE_PGM_RSRC2:TIDIG_COMP_CNT: 1
; COMPUTE_PGM_RSRC3_GFX90A:ACCUM_OFFSET: 7
; COMPUTE_PGM_RSRC3_GFX90A:TG_SPLIT: 0
	.section	.text._ZN4vllm3moe22topkGatingSoftplusSqrtILi10ELi320ELi4ELi2ELi32ELb1Ei6__halfEEvPKT6_PKbPfiPT5_PiiiibdPKfPKS9_SF_,"axG",@progbits,_ZN4vllm3moe22topkGatingSoftplusSqrtILi10ELi320ELi4ELi2ELi32ELb1Ei6__halfEEvPKT6_PKbPfiPT5_PiiiibdPKfPKS9_SF_,comdat
	.protected	_ZN4vllm3moe22topkGatingSoftplusSqrtILi10ELi320ELi4ELi2ELi32ELb1Ei6__halfEEvPKT6_PKbPfiPT5_PiiiibdPKfPKS9_SF_ ; -- Begin function _ZN4vllm3moe22topkGatingSoftplusSqrtILi10ELi320ELi4ELi2ELi32ELb1Ei6__halfEEvPKT6_PKbPfiPT5_PiiiibdPKfPKS9_SF_
	.globl	_ZN4vllm3moe22topkGatingSoftplusSqrtILi10ELi320ELi4ELi2ELi32ELb1Ei6__halfEEvPKT6_PKbPfiPT5_PiiiibdPKfPKS9_SF_
	.p2align	8
	.type	_ZN4vllm3moe22topkGatingSoftplusSqrtILi10ELi320ELi4ELi2ELi32ELb1Ei6__halfEEvPKT6_PKbPfiPT5_PiiiibdPKfPKS9_SF_,@function
_ZN4vllm3moe22topkGatingSoftplusSqrtILi10ELi320ELi4ELi2ELi32ELb1Ei6__halfEEvPKT6_PKbPfiPT5_PiiiibdPKfPKS9_SF_: ; @_ZN4vllm3moe22topkGatingSoftplusSqrtILi10ELi320ELi4ELi2ELi32ELb1Ei6__halfEEvPKT6_PKbPfiPT5_PiiiibdPKfPKS9_SF_
; %bb.0:
	s_load_dword s3, s[0:1], 0x18
	v_and_b32_e32 v1, 0x3ff, v0
	s_lshl_b32 s2, s2, 2
	v_lshrrev_b32_e32 v2, 5, v1
	v_bfe_u32 v0, v0, 10, 10
	v_add3_u32 v10, s2, v0, v2
	s_waitcnt lgkmcnt(0)
	v_cmp_gt_i32_e32 vcc, s3, v10
	s_and_saveexec_b64 s[2:3], vcc
	s_cbranch_execz .LBB226_31
; %bb.1:
	s_load_dwordx4 s[8:11], s[0:1], 0x50
	s_load_dwordx2 s[2:3], s[0:1], 0x0
	s_load_dword s19, s[0:1], 0x30
	s_movk_i32 s4, 0x140
	v_mul_lo_u32 v4, v10, s4
	v_ashrrev_i32_e32 v5, 31, v4
	v_and_b32_e32 v20, 31, v1
	s_waitcnt lgkmcnt(0)
	v_lshl_add_u64 v[4:5], v[4:5], 1, s[2:3]
	v_lshlrev_b32_e32 v12, 1, v20
	v_mov_b32_e32 v13, 0
	v_mov_b32_e32 v2, s8
	;; [unrolled: 1-line block ×3, first 2 shown]
	v_lshl_add_u64 v[0:1], v[4:5], 0, v[12:13]
	v_ashrrev_i32_e32 v11, 31, v10
	global_load_ushort v4, v[0:1], off
	global_load_ushort v5, v[0:1], off offset:64
	global_load_ushort v6, v[0:1], off offset:128
	global_load_ushort v7, v[0:1], off offset:192
	global_load_ushort v8, v[0:1], off offset:256
	global_load_ushort v9, v[0:1], off offset:320
	global_load_ushort v12, v[0:1], off offset:384
	global_load_ushort v16, v[0:1], off offset:448
	global_load_ushort v17, v[0:1], off offset:512
	global_load_ushort v18, v[0:1], off offset:576
	v_lshl_add_u64 v[0:1], v[10:11], 2, v[2:3]
	global_load_dword v0, v[0:1], off
	s_mov_b32 s13, 0x800000
	v_mov_b32_e32 v11, 0x4f800000
	s_mov_b32 s12, 0x3f317217
	s_mov_b32 s14, 0x7f800000
	v_mov_b32_e32 v19, 0x41b17218
	s_movk_i32 s9, 0x4d00
	s_mov_b32 s15, 0xf800000
	v_mov_b32_e32 v21, 0x260
	s_cmp_gt_i32 s19, 0
	s_mov_b32 s8, 0
	v_mul_lo_u32 v10, v10, s19
	s_waitcnt vmcnt(10)
	v_cvt_f32_f16_e32 v1, v4
	s_waitcnt vmcnt(9)
	v_cvt_f32_f16_e32 v2, v5
	;; [unrolled: 2-line block ×5, first 2 shown]
	v_mul_f32_e32 v15, 0x3fb8aa3b, v2
	v_exp_f32_e32 v30, v15
	v_mul_f32_e32 v29, 0x3fb8aa3b, v3
	v_exp_f32_e32 v29, v29
	s_waitcnt vmcnt(5)
	v_cvt_f32_f16_e32 v24, v9
	v_add_f32_e32 v30, 1.0, v30
	s_waitcnt vmcnt(0)
	v_mul_lo_u32 v14, v0, s19
	v_mul_f32_e32 v0, 0x3fb8aa3b, v1
	v_exp_f32_e32 v0, v0
	v_cmp_gt_f32_e64 s[2:3], s13, v30
	v_add_f32_e32 v29, 1.0, v29
	v_cmp_gt_f32_e64 s[4:5], s13, v29
	v_add_f32_e32 v0, 1.0, v0
	v_cmp_gt_f32_e32 vcc, s13, v0
	v_cndmask_b32_e64 v32, 1.0, v11, s[2:3]
	v_mul_f32_e32 v30, v30, v32
	v_cndmask_b32_e32 v31, 1.0, v11, vcc
	v_mul_f32_e32 v0, v0, v31
	v_log_f32_e32 v0, v0
	v_log_f32_e32 v30, v30
	v_cndmask_b32_e64 v33, 1.0, v11, s[4:5]
	v_mul_f32_e32 v29, v29, v33
	v_mul_f32_e32 v33, 0x3f317217, v0
	;; [unrolled: 1-line block ×3, first 2 shown]
	v_fma_f32 v33, v0, s12, -v33
	v_fma_f32 v34, v30, s12, -v34
	v_fmac_f32_e32 v33, 0x3377d1cf, v0
	v_cndmask_b32_e32 v31, 0, v19, vcc
	v_fmac_f32_e32 v34, 0x3377d1cf, v30
	v_fmac_f32_e32 v33, 0x3f317217, v0
	v_cmp_lt_f32_e64 vcc, |v0|, s14
	v_fmac_f32_e32 v34, 0x3f317217, v30
	v_log_f32_e32 v29, v29
	v_cndmask_b32_e32 v0, v0, v33, vcc
	v_cmp_lt_f32_e64 vcc, |v30|, s14
	v_cndmask_b32_e64 v32, 0, v19, s[2:3]
	v_sub_f32_e32 v0, v0, v31
	v_cndmask_b32_e32 v30, v30, v34, vcc
	v_cmp_lt_f16_e32 vcc, s9, v4
	v_sub_f32_e32 v30, v30, v32
	v_mul_f32_e32 v35, 0x3f317217, v29
	v_cndmask_b32_e32 v0, v0, v1, vcc
	v_cmp_lt_f16_e32 vcc, s9, v5
	v_fma_f32 v35, v29, s12, -v35
	v_fmac_f32_e32 v35, 0x3377d1cf, v29
	v_cndmask_b32_e32 v1, v30, v2, vcc
	v_mul_f32_e32 v2, 0x4f800000, v0
	v_cmp_gt_f32_e32 vcc, s15, v0
	v_mul_f32_e32 v4, 0x4f800000, v1
	v_cmp_gt_f32_e64 s[2:3], s15, v1
	v_cndmask_b32_e32 v0, v0, v2, vcc
	v_sqrt_f32_e32 v2, v0
	v_cndmask_b32_e64 v1, v1, v4, s[2:3]
	v_sqrt_f32_e32 v4, v1
	v_fmac_f32_e32 v35, 0x3f317217, v29
	v_cmp_lt_f32_e64 s[6:7], |v29|, s14
	v_add_u32_e32 v30, 1, v2
	v_add_u32_e32 v31, -1, v4
	v_cndmask_b32_e64 v5, v29, v35, s[6:7]
	v_add_u32_e32 v29, -1, v2
	v_fma_f32 v33, -v29, v2, v0
	v_fma_f32 v35, -v31, v4, v1
	v_cmp_ge_f32_e64 s[6:7], 0, v33
	v_add_u32_e32 v32, 1, v4
	v_fma_f32 v34, -v30, v2, v0
	v_cndmask_b32_e64 v2, v2, v29, s[6:7]
	v_cmp_ge_f32_e64 s[6:7], 0, v35
	v_fma_f32 v36, -v32, v4, v1
	v_cvt_f32_f16_e32 v25, v12
	v_cndmask_b32_e64 v4, v4, v31, s[6:7]
	v_cmp_lt_f32_e64 s[6:7], 0, v34
	v_cvt_f32_f16_e32 v26, v16
	v_cvt_f32_f16_e32 v27, v17
	v_cndmask_b32_e64 v2, v2, v30, s[6:7]
	v_mul_f32_e32 v29, 0x37800000, v2
	v_cndmask_b32_e32 v2, v2, v29, vcc
	v_cmp_class_f32_e32 vcc, v0, v21
	v_cmp_lt_f32_e64 s[6:7], 0, v36
	v_cvt_f32_f16_e32 v28, v18
	v_cndmask_b32_e32 v0, v2, v0, vcc
	v_cndmask_b32_e64 v2, 0, v19, s[4:5]
	v_sub_f32_e32 v2, v5, v2
	v_cmp_lt_f16_e32 vcc, s9, v6
	v_cndmask_b32_e64 v4, v4, v32, s[6:7]
	v_mul_f32_e32 v6, 0x3fb8aa3b, v22
	v_cndmask_b32_e32 v2, v2, v3, vcc
	v_mul_f32_e32 v3, 0x4f800000, v2
	v_cmp_gt_f32_e32 vcc, s15, v2
	v_mul_f32_e32 v30, 0x37800000, v4
	v_exp_f32_e32 v6, v6
	v_cndmask_b32_e32 v2, v2, v3, vcc
	v_sqrt_f32_e32 v3, v2
	v_cndmask_b32_e64 v4, v4, v30, s[2:3]
	v_cmp_class_f32_e64 s[2:3], v1, v21
	v_add_f32_e32 v6, 1.0, v6
	v_ashrrev_i32_e32 v15, 31, v14
	v_cndmask_b32_e64 v1, v4, v1, s[2:3]
	v_add_u32_e32 v4, -1, v3
	v_fma_f32 v5, -v4, v3, v2
	v_cmp_ge_f32_e64 s[2:3], 0, v5
	v_add_u32_e32 v5, 1, v3
	v_lshl_add_u64 v[14:15], v[14:15], 2, s[10:11]
	v_cndmask_b32_e64 v4, v3, v4, s[2:3]
	v_cmp_gt_f32_e64 s[2:3], s13, v6
	v_fma_f32 v3, -v5, v3, v2
	v_cmp_lt_f32_e64 s[4:5], 0, v3
	v_cndmask_b32_e64 v29, 1.0, v11, s[2:3]
	v_mul_f32_e32 v6, v6, v29
	v_log_f32_e32 v6, v6
	v_cndmask_b32_e64 v3, v4, v5, s[4:5]
	v_mul_f32_e32 v4, 0x37800000, v3
	v_cndmask_b32_e32 v3, v3, v4, vcc
	v_mul_f32_e32 v5, 0x3f317217, v6
	v_fma_f32 v5, v6, s12, -v5
	v_fmac_f32_e32 v5, 0x3377d1cf, v6
	v_fmac_f32_e32 v5, 0x3f317217, v6
	v_cmp_lt_f32_e64 s[4:5], |v6|, s14
	v_cmp_class_f32_e32 vcc, v2, v21
	s_nop 0
	v_cndmask_b32_e64 v5, v6, v5, s[4:5]
	v_cndmask_b32_e64 v6, 0, v19, s[2:3]
	v_sub_f32_e32 v5, v5, v6
	v_cmp_lt_f16_e64 s[2:3], s9, v7
	v_mul_f32_e32 v7, 0x3fb8aa3b, v23
	v_exp_f32_e32 v7, v7
	v_cndmask_b32_e64 v5, v5, v22, s[2:3]
	v_mul_f32_e32 v6, 0x4f800000, v5
	v_cmp_gt_f32_e64 s[2:3], s15, v5
	v_cndmask_b32_e32 v2, v3, v2, vcc
	v_add_f32_e32 v7, 1.0, v7
	v_cndmask_b32_e64 v5, v5, v6, s[2:3]
	v_sqrt_f32_e32 v6, v5
	s_nop 0
	v_add_u32_e32 v3, -1, v6
	v_fma_f32 v4, -v3, v6, v5
	v_cmp_ge_f32_e32 vcc, 0, v4
	v_add_u32_e32 v4, 1, v6
	s_nop 0
	v_cndmask_b32_e32 v3, v6, v3, vcc
	v_cmp_gt_f32_e32 vcc, s13, v7
	v_fma_f32 v6, -v4, v6, v5
	v_cmp_lt_f32_e64 s[4:5], 0, v6
	v_cndmask_b32_e32 v22, 1.0, v11, vcc
	v_mul_f32_e32 v7, v7, v22
	v_log_f32_e32 v7, v7
	v_cndmask_b32_e64 v3, v3, v4, s[4:5]
	v_mul_f32_e32 v4, 0x37800000, v3
	v_cndmask_b32_e64 v3, v3, v4, s[2:3]
	v_mul_f32_e32 v6, 0x3f317217, v7
	v_fma_f32 v6, v7, s12, -v6
	v_fmac_f32_e32 v6, 0x3377d1cf, v7
	v_fmac_f32_e32 v6, 0x3f317217, v7
	v_cmp_lt_f32_e64 s[4:5], |v7|, s14
	v_cmp_class_f32_e64 s[2:3], v5, v21
	s_nop 0
	v_cndmask_b32_e64 v6, v7, v6, s[4:5]
	v_cndmask_b32_e32 v7, 0, v19, vcc
	v_sub_f32_e32 v6, v6, v7
	v_cmp_lt_f16_e32 vcc, s9, v8
	v_mul_f32_e32 v8, 0x3fb8aa3b, v24
	v_exp_f32_e32 v8, v8
	v_cndmask_b32_e32 v6, v6, v23, vcc
	v_mul_f32_e32 v7, 0x4f800000, v6
	v_cmp_gt_f32_e32 vcc, s15, v6
	v_cndmask_b32_e64 v3, v3, v5, s[2:3]
	v_add_f32_e32 v8, 1.0, v8
	v_cndmask_b32_e32 v6, v6, v7, vcc
	v_sqrt_f32_e32 v7, v6
	s_nop 0
	v_add_u32_e32 v4, -1, v7
	v_fma_f32 v5, -v4, v7, v6
	v_cmp_ge_f32_e64 s[2:3], 0, v5
	v_add_u32_e32 v5, 1, v7
	s_nop 0
	v_cndmask_b32_e64 v4, v7, v4, s[2:3]
	v_cmp_gt_f32_e64 s[2:3], s13, v8
	v_fma_f32 v7, -v5, v7, v6
	v_cmp_lt_f32_e64 s[4:5], 0, v7
	v_cndmask_b32_e64 v22, 1.0, v11, s[2:3]
	v_mul_f32_e32 v8, v8, v22
	v_log_f32_e32 v8, v8
	v_cndmask_b32_e64 v4, v4, v5, s[4:5]
	v_mul_f32_e32 v5, 0x37800000, v4
	v_cndmask_b32_e32 v4, v4, v5, vcc
	v_mul_f32_e32 v7, 0x3f317217, v8
	v_fma_f32 v7, v8, s12, -v7
	v_fmac_f32_e32 v7, 0x3377d1cf, v8
	v_fmac_f32_e32 v7, 0x3f317217, v8
	v_cmp_lt_f32_e64 s[4:5], |v8|, s14
	v_cmp_class_f32_e32 vcc, v6, v21
	s_nop 0
	v_cndmask_b32_e64 v7, v8, v7, s[4:5]
	v_cndmask_b32_e64 v8, 0, v19, s[2:3]
	v_sub_f32_e32 v7, v7, v8
	v_cmp_lt_f16_e64 s[2:3], s9, v9
	v_mul_f32_e32 v9, 0x3fb8aa3b, v25
	v_exp_f32_e32 v9, v9
	v_cndmask_b32_e64 v7, v7, v24, s[2:3]
	v_mul_f32_e32 v8, 0x4f800000, v7
	v_cmp_gt_f32_e64 s[2:3], s15, v7
	v_cndmask_b32_e32 v4, v4, v6, vcc
	v_add_f32_e32 v9, 1.0, v9
	v_cndmask_b32_e64 v7, v7, v8, s[2:3]
	v_sqrt_f32_e32 v8, v7
	s_nop 0
	v_add_u32_e32 v5, -1, v8
	v_fma_f32 v6, -v5, v8, v7
	v_cmp_ge_f32_e32 vcc, 0, v6
	v_add_u32_e32 v6, 1, v8
	s_nop 0
	v_cndmask_b32_e32 v5, v8, v5, vcc
	v_cmp_gt_f32_e32 vcc, s13, v9
	v_fma_f32 v8, -v6, v8, v7
	v_cmp_lt_f32_e64 s[4:5], 0, v8
	v_cndmask_b32_e32 v22, 1.0, v11, vcc
	v_mul_f32_e32 v9, v9, v22
	v_log_f32_e32 v9, v9
	v_cndmask_b32_e64 v5, v5, v6, s[4:5]
	v_mul_f32_e32 v6, 0x37800000, v5
	v_cndmask_b32_e64 v5, v5, v6, s[2:3]
	v_mul_f32_e32 v8, 0x3f317217, v9
	v_fma_f32 v8, v9, s12, -v8
	v_fmac_f32_e32 v8, 0x3377d1cf, v9
	v_fmac_f32_e32 v8, 0x3f317217, v9
	v_cmp_lt_f32_e64 s[4:5], |v9|, s14
	v_cmp_class_f32_e64 s[2:3], v7, v21
	s_nop 0
	v_cndmask_b32_e64 v8, v9, v8, s[4:5]
	v_cndmask_b32_e32 v9, 0, v19, vcc
	v_sub_f32_e32 v8, v8, v9
	v_cmp_lt_f16_e32 vcc, s9, v12
	v_mul_f32_e32 v12, 0x3fb8aa3b, v26
	v_exp_f32_e32 v12, v12
	v_cndmask_b32_e32 v8, v8, v25, vcc
	v_mul_f32_e32 v9, 0x4f800000, v8
	v_cmp_gt_f32_e32 vcc, s15, v8
	v_cndmask_b32_e64 v5, v5, v7, s[2:3]
	v_add_f32_e32 v12, 1.0, v12
	v_cndmask_b32_e32 v8, v8, v9, vcc
	v_sqrt_f32_e32 v9, v8
	s_nop 0
	v_add_u32_e32 v6, -1, v9
	v_fma_f32 v7, -v6, v9, v8
	v_cmp_ge_f32_e64 s[2:3], 0, v7
	v_add_u32_e32 v7, 1, v9
	s_nop 0
	v_cndmask_b32_e64 v6, v9, v6, s[2:3]
	v_cmp_gt_f32_e64 s[2:3], s13, v12
	v_fma_f32 v9, -v7, v9, v8
	v_cmp_lt_f32_e64 s[4:5], 0, v9
	v_cndmask_b32_e64 v22, 1.0, v11, s[2:3]
	v_mul_f32_e32 v12, v12, v22
	v_log_f32_e32 v12, v12
	v_cndmask_b32_e64 v6, v6, v7, s[4:5]
	v_mul_f32_e32 v7, 0x37800000, v6
	v_cndmask_b32_e32 v6, v6, v7, vcc
	v_mul_f32_e32 v9, 0x3f317217, v12
	v_fma_f32 v9, v12, s12, -v9
	v_fmac_f32_e32 v9, 0x3377d1cf, v12
	v_fmac_f32_e32 v9, 0x3f317217, v12
	v_cmp_lt_f32_e64 s[4:5], |v12|, s14
	v_cmp_class_f32_e32 vcc, v8, v21
	s_nop 0
	v_cndmask_b32_e64 v9, v12, v9, s[4:5]
	v_cndmask_b32_e64 v12, 0, v19, s[2:3]
	v_sub_f32_e32 v9, v9, v12
	v_cmp_lt_f16_e64 s[2:3], s9, v16
	v_mul_f32_e32 v16, 0x3fb8aa3b, v27
	v_exp_f32_e32 v16, v16
	v_cndmask_b32_e64 v9, v9, v26, s[2:3]
	v_mul_f32_e32 v12, 0x4f800000, v9
	v_cmp_gt_f32_e64 s[2:3], s15, v9
	v_cndmask_b32_e32 v6, v6, v8, vcc
	v_add_f32_e32 v16, 1.0, v16
	v_cndmask_b32_e64 v9, v9, v12, s[2:3]
	v_sqrt_f32_e32 v12, v9
	s_nop 0
	v_add_u32_e32 v7, -1, v12
	v_fma_f32 v8, -v7, v12, v9
	v_cmp_ge_f32_e32 vcc, 0, v8
	v_add_u32_e32 v8, 1, v12
	s_nop 0
	v_cndmask_b32_e32 v7, v12, v7, vcc
	v_cmp_gt_f32_e32 vcc, s13, v16
	v_fma_f32 v12, -v8, v12, v9
	v_cmp_lt_f32_e64 s[4:5], 0, v12
	v_cndmask_b32_e32 v22, 1.0, v11, vcc
	v_mul_f32_e32 v16, v16, v22
	v_log_f32_e32 v16, v16
	v_cndmask_b32_e64 v7, v7, v8, s[4:5]
	v_mul_f32_e32 v8, 0x37800000, v7
	v_cndmask_b32_e64 v7, v7, v8, s[2:3]
	v_mul_f32_e32 v12, 0x3f317217, v16
	v_fma_f32 v12, v16, s12, -v12
	v_fmac_f32_e32 v12, 0x3377d1cf, v16
	v_fmac_f32_e32 v12, 0x3f317217, v16
	v_cmp_lt_f32_e64 s[4:5], |v16|, s14
	v_cmp_class_f32_e64 s[2:3], v9, v21
	s_nop 0
	v_cndmask_b32_e64 v12, v16, v12, s[4:5]
	v_cndmask_b32_e32 v16, 0, v19, vcc
	v_sub_f32_e32 v12, v12, v16
	v_cmp_lt_f16_e32 vcc, s9, v17
	v_mul_f32_e32 v17, 0x3fb8aa3b, v28
	v_exp_f32_e32 v17, v17
	v_cndmask_b32_e32 v12, v12, v27, vcc
	v_mul_f32_e32 v16, 0x4f800000, v12
	v_cmp_gt_f32_e32 vcc, s15, v12
	v_cndmask_b32_e64 v7, v7, v9, s[2:3]
	v_add_f32_e32 v17, 1.0, v17
	v_cndmask_b32_e32 v12, v12, v16, vcc
	v_sqrt_f32_e32 v16, v12
	s_nop 0
	v_add_u32_e32 v8, -1, v16
	v_fma_f32 v9, -v8, v16, v12
	v_cmp_ge_f32_e64 s[2:3], 0, v9
	v_add_u32_e32 v9, 1, v16
	s_nop 0
	v_cndmask_b32_e64 v8, v16, v8, s[2:3]
	v_cmp_gt_f32_e64 s[2:3], s13, v17
	v_fma_f32 v16, -v9, v16, v12
	v_cmp_lt_f32_e64 s[4:5], 0, v16
	v_cndmask_b32_e64 v11, 1.0, v11, s[2:3]
	v_mul_f32_e32 v11, v17, v11
	v_log_f32_e32 v11, v11
	v_cndmask_b32_e64 v8, v8, v9, s[4:5]
	v_mul_f32_e32 v9, 0x37800000, v8
	v_cndmask_b32_e32 v8, v8, v9, vcc
	v_mul_f32_e32 v16, 0x3f317217, v11
	v_fma_f32 v16, v11, s12, -v16
	v_fmac_f32_e32 v16, 0x3377d1cf, v11
	v_fmac_f32_e32 v16, 0x3f317217, v11
	v_cmp_lt_f32_e64 s[4:5], |v11|, s14
	v_cmp_class_f32_e32 vcc, v12, v21
	s_nop 0
	v_cndmask_b32_e64 v11, v11, v16, s[4:5]
	v_cndmask_b32_e64 v16, 0, v19, s[2:3]
	v_sub_f32_e32 v11, v11, v16
	v_cmp_lt_f16_e64 s[2:3], s9, v18
	v_cndmask_b32_e32 v8, v8, v12, vcc
	s_cselect_b64 s[4:5], -1, 0
	v_cndmask_b32_e64 v11, v11, v28, s[2:3]
	v_mul_f32_e32 v16, 0x4f800000, v11
	v_cmp_gt_f32_e64 s[2:3], s15, v11
	s_cmp_lt_i32 s19, 1
	s_nop 0
	v_cndmask_b32_e64 v11, v11, v16, s[2:3]
	v_sqrt_f32_e32 v16, v11
	s_nop 0
	v_add_u32_e32 v9, -1, v16
	v_fma_f32 v12, -v9, v16, v11
	v_cmp_ge_f32_e32 vcc, 0, v12
	v_add_u32_e32 v12, 1, v16
	s_nop 0
	v_cndmask_b32_e32 v9, v16, v9, vcc
	v_fma_f32 v16, -v12, v16, v11
	v_cmp_lt_f32_e32 vcc, 0, v16
	s_nop 1
	v_cndmask_b32_e32 v9, v9, v12, vcc
	v_mul_f32_e32 v12, 0x37800000, v9
	v_cndmask_b32_e64 v9, v9, v12, s[2:3]
	v_cmp_class_f32_e32 vcc, v11, v21
	s_nop 1
	v_cndmask_b32_e32 v9, v9, v11, vcc
	s_cbranch_scc1 .LBB226_28
; %bb.2:
	s_load_dwordx2 s[6:7], s[0:1], 0x20
	s_cmp_lt_u32 s19, 4
	s_cbranch_scc1 .LBB226_21
; %bb.3:
	s_mov_b32 s11, 0
	s_and_b32 s8, s19, 0x7ffffffc
	v_ashrrev_i32_e32 v11, 31, v10
	v_mov_b32_e32 v13, 0
	s_mov_b32 s10, s11
	s_branch .LBB226_5
.LBB226_4:                              ;   in Loop: Header=BB226_5 Depth=1
	s_or_b64 exec, exec, s[12:13]
	s_add_i32 s10, s10, 4
	s_cmp_eq_u32 s10, s8
	s_cbranch_scc1 .LBB226_21
.LBB226_5:                              ; =>This Loop Header: Depth=1
                                        ;     Child Loop BB226_7 Depth 2
                                        ;     Child Loop BB226_11 Depth 2
                                        ;     Child Loop BB226_15 Depth 2
                                        ;     Child Loop BB226_19 Depth 2
	v_lshl_add_u64 v[16:17], s[10:11], 2, v[14:15]
	global_load_dword v12, v[16:17], off
	v_add_u32_e32 v18, s10, v10
	v_ashrrev_i32_e32 v19, 31, v18
	s_waitcnt lgkmcnt(0)
	v_lshl_add_u64 v[18:19], v[18:19], 2, s[6:7]
	s_mov_b64 s[12:13], 0
	v_mov_b32_e32 v21, v20
	s_mov_b64 s[14:15], 0
	s_waitcnt vmcnt(0)
	s_branch .LBB226_7
.LBB226_6:                              ;   in Loop: Header=BB226_7 Depth=2
	s_or_b64 exec, exec, s[16:17]
	s_cmp_gt_u32 s14, 8
	s_cselect_b64 s[2:3], -1, 0
	s_xor_b64 s[16:17], vcc, -1
	s_or_b64 s[2:3], s[16:17], s[2:3]
	s_add_u32 s14, s14, 1
	s_addc_u32 s15, s15, 0
	s_and_b64 s[2:3], exec, s[2:3]
	s_or_b64 s[12:13], s[2:3], s[12:13]
	v_add_u32_e32 v21, 32, v21
	s_andn2_b64 exec, exec, s[12:13]
	s_cbranch_execz .LBB226_9
.LBB226_7:                              ;   Parent Loop BB226_5 Depth=1
                                        ; =>  This Inner Loop Header: Depth=2
	v_cmp_ne_u32_e32 vcc, v12, v21
	v_cmp_eq_u32_e64 s[2:3], v12, v21
	s_and_saveexec_b64 s[16:17], s[2:3]
	s_cbranch_execz .LBB226_6
; %bb.8:                                ;   in Loop: Header=BB226_7 Depth=2
	s_set_gpr_idx_on s14, gpr_idx(SRC0)
	v_mov_b32_e32 v22, v0
	s_set_gpr_idx_off
	v_add_f32_e32 v13, v13, v22
	global_store_dword v[18:19], v12, off
	s_branch .LBB226_6
.LBB226_9:                              ;   in Loop: Header=BB226_5 Depth=1
	s_or_b64 exec, exec, s[12:13]
	global_load_dword v12, v[16:17], off offset:4
	s_ashr_i32 s3, s10, 31
	s_mov_b32 s2, s10
	v_lshl_add_u64 v[18:19], s[2:3], 0, v[10:11]
	v_lshl_add_u64 v[18:19], v[18:19], 2, s[6:7]
	s_mov_b64 s[12:13], 0
	v_mov_b32_e32 v21, v20
	s_mov_b64 s[14:15], 0
	s_waitcnt vmcnt(0)
	s_branch .LBB226_11
.LBB226_10:                             ;   in Loop: Header=BB226_11 Depth=2
	s_or_b64 exec, exec, s[16:17]
	s_cmp_gt_u32 s14, 8
	s_cselect_b64 s[2:3], -1, 0
	s_xor_b64 s[16:17], vcc, -1
	s_or_b64 s[2:3], s[16:17], s[2:3]
	s_add_u32 s14, s14, 1
	s_addc_u32 s15, s15, 0
	s_and_b64 s[2:3], exec, s[2:3]
	s_or_b64 s[12:13], s[2:3], s[12:13]
	v_add_u32_e32 v21, 32, v21
	s_andn2_b64 exec, exec, s[12:13]
	s_cbranch_execz .LBB226_13
.LBB226_11:                             ;   Parent Loop BB226_5 Depth=1
                                        ; =>  This Inner Loop Header: Depth=2
	v_cmp_ne_u32_e32 vcc, v12, v21
	v_cmp_eq_u32_e64 s[2:3], v12, v21
	s_and_saveexec_b64 s[16:17], s[2:3]
	s_cbranch_execz .LBB226_10
; %bb.12:                               ;   in Loop: Header=BB226_11 Depth=2
	s_set_gpr_idx_on s14, gpr_idx(SRC0)
	v_mov_b32_e32 v22, v0
	s_set_gpr_idx_off
	v_add_f32_e32 v13, v13, v22
	global_store_dword v[18:19], v12, off offset:4
	s_branch .LBB226_10
.LBB226_13:                             ;   in Loop: Header=BB226_5 Depth=1
	s_or_b64 exec, exec, s[12:13]
	global_load_dword v12, v[16:17], off offset:8
	s_mov_b64 s[12:13], 0
	v_mov_b32_e32 v21, v20
	s_mov_b64 s[14:15], 0
	s_waitcnt vmcnt(0)
	s_branch .LBB226_15
.LBB226_14:                             ;   in Loop: Header=BB226_15 Depth=2
	s_or_b64 exec, exec, s[16:17]
	s_cmp_gt_u32 s14, 8
	s_cselect_b64 s[2:3], -1, 0
	s_xor_b64 s[16:17], vcc, -1
	s_or_b64 s[2:3], s[16:17], s[2:3]
	s_add_u32 s14, s14, 1
	s_addc_u32 s15, s15, 0
	s_and_b64 s[2:3], exec, s[2:3]
	s_or_b64 s[12:13], s[2:3], s[12:13]
	v_add_u32_e32 v21, 32, v21
	s_andn2_b64 exec, exec, s[12:13]
	s_cbranch_execz .LBB226_17
.LBB226_15:                             ;   Parent Loop BB226_5 Depth=1
                                        ; =>  This Inner Loop Header: Depth=2
	v_cmp_ne_u32_e32 vcc, v12, v21
	v_cmp_eq_u32_e64 s[2:3], v12, v21
	s_and_saveexec_b64 s[16:17], s[2:3]
	s_cbranch_execz .LBB226_14
; %bb.16:                               ;   in Loop: Header=BB226_15 Depth=2
	s_set_gpr_idx_on s14, gpr_idx(SRC0)
	v_mov_b32_e32 v22, v0
	s_set_gpr_idx_off
	v_add_f32_e32 v13, v13, v22
	global_store_dword v[18:19], v12, off offset:8
	s_branch .LBB226_14
.LBB226_17:                             ;   in Loop: Header=BB226_5 Depth=1
	s_or_b64 exec, exec, s[12:13]
	global_load_dword v12, v[16:17], off offset:12
	s_mov_b64 s[12:13], 0
	v_mov_b32_e32 v16, v20
	s_mov_b64 s[14:15], 0
	s_waitcnt vmcnt(0)
	s_branch .LBB226_19
.LBB226_18:                             ;   in Loop: Header=BB226_19 Depth=2
	s_or_b64 exec, exec, s[16:17]
	s_cmp_gt_u32 s14, 8
	s_cselect_b64 s[2:3], -1, 0
	s_xor_b64 s[16:17], vcc, -1
	s_or_b64 s[2:3], s[16:17], s[2:3]
	s_add_u32 s14, s14, 1
	s_addc_u32 s15, s15, 0
	s_and_b64 s[2:3], exec, s[2:3]
	s_or_b64 s[12:13], s[2:3], s[12:13]
	v_add_u32_e32 v16, 32, v16
	s_andn2_b64 exec, exec, s[12:13]
	s_cbranch_execz .LBB226_4
.LBB226_19:                             ;   Parent Loop BB226_5 Depth=1
                                        ; =>  This Inner Loop Header: Depth=2
	v_cmp_ne_u32_e32 vcc, v12, v16
	v_cmp_eq_u32_e64 s[2:3], v12, v16
	s_and_saveexec_b64 s[16:17], s[2:3]
	s_cbranch_execz .LBB226_18
; %bb.20:                               ;   in Loop: Header=BB226_19 Depth=2
	s_set_gpr_idx_on s14, gpr_idx(SRC0)
	v_mov_b32_e32 v17, v0
	s_set_gpr_idx_off
	v_add_f32_e32 v13, v13, v17
	global_store_dword v[18:19], v12, off offset:12
	s_branch .LBB226_18
.LBB226_21:
	s_and_b32 s16, s19, 3
	s_cmp_eq_u32 s16, 0
	s_mov_b32 s9, 0
	s_cbranch_scc1 .LBB226_28
; %bb.22:
	s_mov_b32 s17, s9
	s_branch .LBB226_24
.LBB226_23:                             ;   in Loop: Header=BB226_24 Depth=1
	s_or_b64 exec, exec, s[10:11]
	s_add_i32 s8, s8, 1
	s_add_i32 s17, s17, 1
	s_cmp_lg_u32 s17, s16
	s_cbranch_scc0 .LBB226_28
.LBB226_24:                             ; =>This Loop Header: Depth=1
                                        ;     Child Loop BB226_26 Depth 2
	v_lshl_add_u64 v[16:17], s[8:9], 2, v[14:15]
	global_load_dword v11, v[16:17], off
	v_add_u32_e32 v16, s8, v10
	v_ashrrev_i32_e32 v17, 31, v16
	s_waitcnt lgkmcnt(0)
	v_lshl_add_u64 v[16:17], v[16:17], 2, s[6:7]
	s_mov_b64 s[10:11], 0
	v_mov_b32_e32 v12, v20
	s_mov_b64 s[12:13], 0
	s_waitcnt vmcnt(0)
	s_branch .LBB226_26
.LBB226_25:                             ;   in Loop: Header=BB226_26 Depth=2
	s_or_b64 exec, exec, s[14:15]
	s_cmp_gt_u32 s12, 8
	s_cselect_b64 s[2:3], -1, 0
	s_xor_b64 s[14:15], vcc, -1
	s_or_b64 s[2:3], s[14:15], s[2:3]
	s_add_u32 s12, s12, 1
	s_addc_u32 s13, s13, 0
	s_and_b64 s[2:3], exec, s[2:3]
	s_or_b64 s[10:11], s[2:3], s[10:11]
	v_add_u32_e32 v12, 32, v12
	s_andn2_b64 exec, exec, s[10:11]
	s_cbranch_execz .LBB226_23
.LBB226_26:                             ;   Parent Loop BB226_24 Depth=1
                                        ; =>  This Inner Loop Header: Depth=2
	v_cmp_ne_u32_e32 vcc, v11, v12
	v_cmp_eq_u32_e64 s[2:3], v11, v12
	s_and_saveexec_b64 s[14:15], s[2:3]
	s_cbranch_execz .LBB226_25
; %bb.27:                               ;   in Loop: Header=BB226_26 Depth=2
	s_set_gpr_idx_on s12, gpr_idx(SRC0)
	v_mov_b32_e32 v18, v0
	s_set_gpr_idx_off
	v_add_f32_e32 v13, v13, v18
	global_store_dword v[16:17], v11, off
	s_branch .LBB226_25
.LBB226_28:
	s_waitcnt lgkmcnt(0)
	s_load_dword s6, s[0:1], 0x3c
	s_waitcnt lgkmcnt(0)
	s_bitcmp1_b32 s6, 0
	s_cselect_b64 s[2:3], -1, 0
	s_bitcmp0_b32 s6, 0
	s_cbranch_scc0 .LBB226_32
; %bb.29:
	s_load_dwordx2 s[6:7], s[0:1], 0x40
	s_andn2_b64 vcc, exec, s[2:3]
	s_waitcnt lgkmcnt(0)
	v_cvt_f32_f64_e32 v21, s[6:7]
	s_cbranch_vccz .LBB226_33
.LBB226_30:
	s_andn2_b64 vcc, exec, s[4:5]
	s_cbranch_vccz .LBB226_34
.LBB226_31:
	s_endpgm
.LBB226_32:
	v_mbcnt_lo_u32_b32 v11, -1, 0
	v_mbcnt_hi_u32_b32 v11, -1, v11
	v_and_b32_e32 v12, 0x60, v11
	v_add_u32_e32 v12, 32, v12
	v_xor_b32_e32 v16, 16, v11
	v_cmp_lt_i32_e32 vcc, v16, v12
	v_xor_b32_e32 v17, 8, v11
	s_nop 0
	v_cndmask_b32_e32 v16, v11, v16, vcc
	v_lshlrev_b32_e32 v16, 2, v16
	ds_bpermute_b32 v16, v16, v13
	v_cmp_lt_i32_e32 vcc, v17, v12
	s_waitcnt lgkmcnt(0)
	v_add_f32_e32 v13, v13, v16
	v_cndmask_b32_e32 v16, v11, v17, vcc
	v_lshlrev_b32_e32 v16, 2, v16
	ds_bpermute_b32 v16, v16, v13
	v_xor_b32_e32 v17, 4, v11
	v_cmp_lt_i32_e32 vcc, v17, v12
	s_waitcnt lgkmcnt(0)
	v_add_f32_e32 v13, v13, v16
	v_cndmask_b32_e32 v16, v11, v17, vcc
	v_lshlrev_b32_e32 v16, 2, v16
	ds_bpermute_b32 v16, v16, v13
	v_xor_b32_e32 v17, 2, v11
	;; [unrolled: 7-line block ×3, first 2 shown]
	v_cmp_lt_i32_e32 vcc, v17, v12
	s_waitcnt lgkmcnt(0)
	v_add_f32_e32 v13, v13, v16
	v_cndmask_b32_e32 v11, v11, v17, vcc
	v_lshlrev_b32_e32 v11, 2, v11
	ds_bpermute_b32 v11, v11, v13
	s_waitcnt lgkmcnt(0)
	v_add_f32_e32 v13, v13, v11
	s_load_dwordx2 s[6:7], s[0:1], 0x40
	s_andn2_b64 vcc, exec, s[2:3]
	s_waitcnt lgkmcnt(0)
	v_cvt_f32_f64_e32 v21, s[6:7]
	s_cbranch_vccnz .LBB226_30
.LBB226_33:
	v_cmp_lt_f32_e32 vcc, 0, v13
	s_nop 1
	v_cndmask_b32_e32 v11, 1.0, v13, vcc
	v_div_scale_f32 v12, s[2:3], v11, v11, v21
	v_rcp_f32_e32 v13, v12
	s_nop 0
	v_fma_f32 v16, -v12, v13, 1.0
	v_fmac_f32_e32 v13, v16, v13
	v_div_scale_f32 v16, vcc, v21, v11, v21
	v_mul_f32_e32 v17, v16, v13
	v_fma_f32 v18, -v12, v17, v16
	v_fmac_f32_e32 v17, v18, v13
	v_fma_f32 v12, -v12, v17, v16
	v_div_fmas_f32 v12, v12, v13, v17
	v_div_fixup_f32 v21, v12, v11, v21
	s_andn2_b64 vcc, exec, s[4:5]
	s_cbranch_vccnz .LBB226_31
.LBB226_34:
	s_load_dwordx2 s[16:17], s[0:1], 0x10
	v_or_b32_e32 v30, 32, v20
	v_or_b32_e32 v29, 64, v20
	;; [unrolled: 1-line block ×9, first 2 shown]
	s_cmp_eq_u32 s19, 1
	s_mov_b32 s18, 0
	s_cbranch_scc1 .LBB226_77
; %bb.35:
	v_ashrrev_i32_e32 v11, 31, v10
	s_waitcnt lgkmcnt(0)
	v_lshl_add_u64 v[12:13], v[10:11], 2, s[16:17]
	s_and_b32 s18, s19, 0x7ffffffe
	v_lshl_add_u64 v[12:13], v[12:13], 0, 4
	v_lshl_add_u64 v[16:17], v[14:15], 0, 4
	s_mov_b32 s33, 0
	s_branch .LBB226_37
.LBB226_36:                             ;   in Loop: Header=BB226_37 Depth=1
	s_or_b64 exec, exec, s[0:1]
	s_add_i32 s33, s33, 2
	v_lshl_add_u64 v[12:13], v[12:13], 0, 8
	s_cmp_lg_u32 s18, s33
	v_lshl_add_u64 v[16:17], v[16:17], 0, 8
	s_cbranch_scc0 .LBB226_77
.LBB226_37:                             ; =>This Inner Loop Header: Depth=1
	global_load_dword v11, v[16:17], off offset:-4
	v_mov_b64_e32 v[18:19], 0
	s_waitcnt vmcnt(0)
	v_cmp_eq_u32_e32 vcc, v11, v20
	v_cmp_ne_u32_e64 s[0:1], v11, v20
	s_and_saveexec_b64 s[20:21], s[0:1]
	s_cbranch_execz .LBB226_55
; %bb.38:                               ;   in Loop: Header=BB226_37 Depth=1
	v_cmp_eq_u32_e64 s[0:1], v11, v30
	v_cmp_ne_u32_e64 s[2:3], v11, v30
	v_mov_b64_e32 v[18:19], 1
	s_and_saveexec_b64 s[22:23], s[2:3]
	s_cbranch_execz .LBB226_54
; %bb.39:                               ;   in Loop: Header=BB226_37 Depth=1
	v_cmp_eq_u32_e64 s[2:3], v11, v29
	v_cmp_ne_u32_e64 s[4:5], v11, v29
	v_mov_b64_e32 v[18:19], 2
	;; [unrolled: 6-line block ×8, first 2 shown]
	s_and_saveexec_b64 s[40:41], s[14:15]
	s_xor_b64 s[40:41], exec, s[40:41]
; %bb.46:                               ;   in Loop: Header=BB226_37 Depth=1
	v_cmp_eq_u32_e64 s[14:15], v11, v22
	s_andn2_b64 s[38:39], s[38:39], exec
	s_and_b64 s[14:15], s[14:15], exec
	v_mov_b64_e32 v[18:19], 9
	s_or_b64 s[38:39], s[38:39], s[14:15]
; %bb.47:                               ;   in Loop: Header=BB226_37 Depth=1
	s_or_b64 exec, exec, s[40:41]
	s_andn2_b64 s[12:13], s[12:13], exec
	s_and_b64 s[14:15], s[38:39], exec
	s_or_b64 s[12:13], s[12:13], s[14:15]
.LBB226_48:                             ;   in Loop: Header=BB226_37 Depth=1
	s_or_b64 exec, exec, s[36:37]
	s_andn2_b64 s[10:11], s[10:11], exec
	s_and_b64 s[12:13], s[12:13], exec
	s_or_b64 s[10:11], s[10:11], s[12:13]
.LBB226_49:                             ;   in Loop: Header=BB226_37 Depth=1
	s_or_b64 exec, exec, s[34:35]
	s_andn2_b64 s[8:9], s[8:9], exec
	s_and_b64 s[10:11], s[10:11], exec
	s_or_b64 s[8:9], s[8:9], s[10:11]
.LBB226_50:                             ;   in Loop: Header=BB226_37 Depth=1
	s_or_b64 exec, exec, s[30:31]
	s_andn2_b64 s[6:7], s[6:7], exec
	s_and_b64 s[8:9], s[8:9], exec
	s_or_b64 s[6:7], s[6:7], s[8:9]
.LBB226_51:                             ;   in Loop: Header=BB226_37 Depth=1
	s_or_b64 exec, exec, s[28:29]
	s_andn2_b64 s[4:5], s[4:5], exec
	s_and_b64 s[6:7], s[6:7], exec
	s_or_b64 s[4:5], s[4:5], s[6:7]
.LBB226_52:                             ;   in Loop: Header=BB226_37 Depth=1
	s_or_b64 exec, exec, s[26:27]
	s_andn2_b64 s[2:3], s[2:3], exec
	s_and_b64 s[4:5], s[4:5], exec
	s_or_b64 s[2:3], s[2:3], s[4:5]
.LBB226_53:                             ;   in Loop: Header=BB226_37 Depth=1
	s_or_b64 exec, exec, s[24:25]
	s_andn2_b64 s[0:1], s[0:1], exec
	s_and_b64 s[2:3], s[2:3], exec
	s_or_b64 s[0:1], s[0:1], s[2:3]
.LBB226_54:                             ;   in Loop: Header=BB226_37 Depth=1
	s_or_b64 exec, exec, s[22:23]
	s_andn2_b64 s[2:3], vcc, exec
	s_and_b64 s[0:1], s[0:1], exec
	s_or_b64 vcc, s[2:3], s[0:1]
.LBB226_55:                             ;   in Loop: Header=BB226_37 Depth=1
	s_or_b64 exec, exec, s[20:21]
	s_and_saveexec_b64 s[0:1], vcc
	s_cbranch_execz .LBB226_57
; %bb.56:                               ;   in Loop: Header=BB226_37 Depth=1
	v_cmp_eq_u32_e32 vcc, 1, v18
	v_add_u32_e32 v32, s33, v10
	v_ashrrev_i32_e32 v33, 31, v32
	v_cndmask_b32_e32 v11, v0, v1, vcc
	v_cmp_eq_u32_e32 vcc, 2, v18
	s_nop 1
	v_cndmask_b32_e32 v11, v11, v2, vcc
	v_cmp_eq_u32_e32 vcc, 3, v18
	s_nop 1
	;; [unrolled: 3-line block ×7, first 2 shown]
	v_cndmask_b32_e32 v11, v11, v8, vcc
	v_cmp_eq_u32_e32 vcc, 9, v18
	v_lshl_add_u64 v[18:19], v[32:33], 2, s[16:17]
	s_nop 0
	v_cndmask_b32_e32 v11, v11, v9, vcc
	v_mul_f32_e32 v11, v21, v11
	global_store_dword v[18:19], v11, off
.LBB226_57:                             ;   in Loop: Header=BB226_37 Depth=1
	s_or_b64 exec, exec, s[0:1]
	global_load_dword v11, v[16:17], off
	v_mov_b64_e32 v[18:19], 0
	s_waitcnt vmcnt(0)
	v_cmp_eq_u32_e64 s[12:13], v11, v20
	v_cmp_ne_u32_e32 vcc, v11, v20
	s_and_saveexec_b64 s[14:15], vcc
	s_cbranch_execz .LBB226_75
; %bb.58:                               ;   in Loop: Header=BB226_37 Depth=1
	v_cmp_eq_u32_e32 vcc, v11, v30
	v_cmp_ne_u32_e64 s[0:1], v11, v30
	v_mov_b64_e32 v[18:19], 1
	s_and_saveexec_b64 s[20:21], s[0:1]
	s_cbranch_execz .LBB226_74
; %bb.59:                               ;   in Loop: Header=BB226_37 Depth=1
	v_cmp_eq_u32_e64 s[0:1], v11, v29
	v_cmp_ne_u32_e64 s[2:3], v11, v29
	v_mov_b64_e32 v[18:19], 2
	s_and_saveexec_b64 s[22:23], s[2:3]
	s_cbranch_execz .LBB226_73
; %bb.60:                               ;   in Loop: Header=BB226_37 Depth=1
	v_cmp_eq_u32_e64 s[2:3], v11, v28
	;; [unrolled: 6-line block ×7, first 2 shown]
	v_cmp_ne_u32_e64 s[10:11], v11, v23
	v_mov_b64_e32 v[18:19], 8
	s_and_saveexec_b64 s[40:41], s[10:11]
; %bb.66:                               ;   in Loop: Header=BB226_37 Depth=1
	v_cmp_eq_u32_e64 s[10:11], v11, v22
	s_andn2_b64 s[38:39], s[38:39], exec
	s_and_b64 s[10:11], s[10:11], exec
	v_mov_b64_e32 v[18:19], 9
	s_or_b64 s[38:39], s[38:39], s[10:11]
; %bb.67:                               ;   in Loop: Header=BB226_37 Depth=1
	s_or_b64 exec, exec, s[40:41]
	s_andn2_b64 s[10:11], s[34:35], exec
	s_and_b64 s[34:35], s[38:39], exec
	s_or_b64 s[34:35], s[10:11], s[34:35]
.LBB226_68:                             ;   in Loop: Header=BB226_37 Depth=1
	s_or_b64 exec, exec, s[36:37]
	s_andn2_b64 s[8:9], s[8:9], exec
	s_and_b64 s[10:11], s[34:35], exec
	s_or_b64 s[8:9], s[8:9], s[10:11]
.LBB226_69:                             ;   in Loop: Header=BB226_37 Depth=1
	s_or_b64 exec, exec, s[30:31]
	s_andn2_b64 s[6:7], s[6:7], exec
	s_and_b64 s[8:9], s[8:9], exec
	s_or_b64 s[6:7], s[6:7], s[8:9]
.LBB226_70:                             ;   in Loop: Header=BB226_37 Depth=1
	s_or_b64 exec, exec, s[28:29]
	s_andn2_b64 s[4:5], s[4:5], exec
	s_and_b64 s[6:7], s[6:7], exec
	s_or_b64 s[4:5], s[4:5], s[6:7]
.LBB226_71:                             ;   in Loop: Header=BB226_37 Depth=1
	s_or_b64 exec, exec, s[26:27]
	s_andn2_b64 s[2:3], s[2:3], exec
	s_and_b64 s[4:5], s[4:5], exec
	s_or_b64 s[2:3], s[2:3], s[4:5]
.LBB226_72:                             ;   in Loop: Header=BB226_37 Depth=1
	s_or_b64 exec, exec, s[24:25]
	s_andn2_b64 s[0:1], s[0:1], exec
	s_and_b64 s[2:3], s[2:3], exec
	s_or_b64 s[0:1], s[0:1], s[2:3]
.LBB226_73:                             ;   in Loop: Header=BB226_37 Depth=1
	s_or_b64 exec, exec, s[22:23]
	s_andn2_b64 s[2:3], vcc, exec
	s_and_b64 s[0:1], s[0:1], exec
	s_or_b64 vcc, s[2:3], s[0:1]
.LBB226_74:                             ;   in Loop: Header=BB226_37 Depth=1
	s_or_b64 exec, exec, s[20:21]
	s_andn2_b64 s[0:1], s[12:13], exec
	s_and_b64 s[2:3], vcc, exec
	s_or_b64 s[12:13], s[0:1], s[2:3]
.LBB226_75:                             ;   in Loop: Header=BB226_37 Depth=1
	s_or_b64 exec, exec, s[14:15]
	s_and_saveexec_b64 s[0:1], s[12:13]
	s_cbranch_execz .LBB226_36
; %bb.76:                               ;   in Loop: Header=BB226_37 Depth=1
	v_cmp_eq_u32_e32 vcc, 1, v18
	s_nop 1
	v_cndmask_b32_e32 v11, v0, v1, vcc
	v_cmp_eq_u32_e32 vcc, 2, v18
	s_nop 1
	v_cndmask_b32_e32 v11, v11, v2, vcc
	;; [unrolled: 3-line block ×9, first 2 shown]
	v_mul_f32_e32 v11, v21, v11
	global_store_dword v[12:13], v11, off
	s_branch .LBB226_36
.LBB226_77:
	s_bitcmp0_b32 s19, 0
	s_mov_b32 s19, 0
	s_cbranch_scc1 .LBB226_31
; %bb.78:
	v_lshl_add_u64 v[12:13], s[18:19], 2, v[14:15]
	global_load_dword v11, v[12:13], off
	v_mov_b64_e32 v[12:13], 0
	s_waitcnt vmcnt(0)
	v_cmp_eq_u32_e64 s[12:13], v11, v20
	v_cmp_ne_u32_e32 vcc, v11, v20
	s_and_saveexec_b64 s[14:15], vcc
	s_cbranch_execz .LBB226_96
; %bb.79:
	v_cmp_eq_u32_e32 vcc, v11, v30
	v_cmp_ne_u32_e64 s[0:1], v11, v30
	v_mov_b64_e32 v[12:13], 1
	s_and_saveexec_b64 s[20:21], s[0:1]
	s_cbranch_execz .LBB226_95
; %bb.80:
	v_cmp_eq_u32_e64 s[0:1], v11, v29
	v_cmp_ne_u32_e64 s[2:3], v11, v29
	v_mov_b64_e32 v[12:13], 2
	s_and_saveexec_b64 s[22:23], s[2:3]
	s_cbranch_execz .LBB226_94
; %bb.81:
	v_cmp_eq_u32_e64 s[2:3], v11, v28
	v_cmp_ne_u32_e64 s[4:5], v11, v28
	v_mov_b64_e32 v[12:13], 3
	s_and_saveexec_b64 s[24:25], s[4:5]
	s_cbranch_execz .LBB226_93
; %bb.82:
	v_cmp_eq_u32_e64 s[4:5], v11, v27
	v_cmp_ne_u32_e64 s[6:7], v11, v27
	v_mov_b64_e32 v[12:13], 4
	s_and_saveexec_b64 s[26:27], s[6:7]
	s_cbranch_execz .LBB226_92
; %bb.83:
	v_cmp_eq_u32_e64 s[6:7], v11, v26
	v_cmp_ne_u32_e64 s[8:9], v11, v26
	v_mov_b64_e32 v[12:13], 5
	s_and_saveexec_b64 s[28:29], s[8:9]
	s_cbranch_execz .LBB226_91
; %bb.84:
	v_cmp_eq_u32_e64 s[8:9], v11, v25
	v_cmp_ne_u32_e64 s[10:11], v11, v25
	v_mov_b64_e32 v[12:13], 6
	s_and_saveexec_b64 s[30:31], s[10:11]
	s_cbranch_execz .LBB226_90
; %bb.85:
	v_cmp_eq_u32_e64 s[34:35], v11, v24
	v_cmp_ne_u32_e64 s[10:11], v11, v24
	v_mov_b64_e32 v[12:13], 7
	s_and_saveexec_b64 s[36:37], s[10:11]
	s_cbranch_execz .LBB226_89
; %bb.86:
	v_cmp_eq_u32_e64 s[38:39], v11, v23
	v_cmp_ne_u32_e64 s[10:11], v11, v23
	v_mov_b64_e32 v[12:13], 8
	s_and_saveexec_b64 s[40:41], s[10:11]
; %bb.87:
	v_cmp_eq_u32_e64 s[10:11], v11, v22
	s_andn2_b64 s[38:39], s[38:39], exec
	s_and_b64 s[10:11], s[10:11], exec
	v_mov_b64_e32 v[12:13], 9
	s_or_b64 s[38:39], s[38:39], s[10:11]
; %bb.88:
	s_or_b64 exec, exec, s[40:41]
	s_andn2_b64 s[10:11], s[34:35], exec
	s_and_b64 s[34:35], s[38:39], exec
	s_or_b64 s[34:35], s[10:11], s[34:35]
.LBB226_89:
	s_or_b64 exec, exec, s[36:37]
	s_andn2_b64 s[8:9], s[8:9], exec
	s_and_b64 s[10:11], s[34:35], exec
	s_or_b64 s[8:9], s[8:9], s[10:11]
.LBB226_90:
	s_or_b64 exec, exec, s[30:31]
	s_andn2_b64 s[6:7], s[6:7], exec
	s_and_b64 s[8:9], s[8:9], exec
	s_or_b64 s[6:7], s[6:7], s[8:9]
.LBB226_91:
	s_or_b64 exec, exec, s[28:29]
	s_andn2_b64 s[4:5], s[4:5], exec
	s_and_b64 s[6:7], s[6:7], exec
	s_or_b64 s[4:5], s[4:5], s[6:7]
.LBB226_92:
	s_or_b64 exec, exec, s[26:27]
	s_andn2_b64 s[2:3], s[2:3], exec
	s_and_b64 s[4:5], s[4:5], exec
	s_or_b64 s[2:3], s[2:3], s[4:5]
.LBB226_93:
	s_or_b64 exec, exec, s[24:25]
	s_andn2_b64 s[0:1], s[0:1], exec
	s_and_b64 s[2:3], s[2:3], exec
	s_or_b64 s[0:1], s[0:1], s[2:3]
.LBB226_94:
	s_or_b64 exec, exec, s[22:23]
	s_andn2_b64 s[2:3], vcc, exec
	s_and_b64 s[0:1], s[0:1], exec
	s_or_b64 vcc, s[2:3], s[0:1]
.LBB226_95:
	s_or_b64 exec, exec, s[20:21]
	s_andn2_b64 s[0:1], s[12:13], exec
	s_and_b64 s[2:3], vcc, exec
	s_or_b64 s[12:13], s[0:1], s[2:3]
.LBB226_96:
	s_or_b64 exec, exec, s[14:15]
	s_and_b64 exec, exec, s[12:13]
	s_cbranch_execz .LBB226_31
; %bb.97:
	v_cmp_eq_u32_e32 vcc, 1, v12
	v_add_u32_e32 v10, s18, v10
	v_ashrrev_i32_e32 v11, 31, v10
	v_cndmask_b32_e32 v0, v0, v1, vcc
	v_cmp_eq_u32_e32 vcc, 2, v12
	s_nop 1
	v_cndmask_b32_e32 v0, v0, v2, vcc
	v_cmp_eq_u32_e32 vcc, 3, v12
	s_nop 1
	v_cndmask_b32_e32 v0, v0, v3, vcc
	v_cmp_eq_u32_e32 vcc, 4, v12
	s_nop 1
	v_cndmask_b32_e32 v0, v0, v4, vcc
	v_cmp_eq_u32_e32 vcc, 5, v12
	s_nop 1
	v_cndmask_b32_e32 v0, v0, v5, vcc
	v_cmp_eq_u32_e32 vcc, 6, v12
	s_nop 1
	v_cndmask_b32_e32 v0, v0, v6, vcc
	v_cmp_eq_u32_e32 vcc, 7, v12
	s_nop 1
	v_cndmask_b32_e32 v0, v0, v7, vcc
	v_cmp_eq_u32_e32 vcc, 8, v12
	s_nop 1
	v_cndmask_b32_e32 v0, v0, v8, vcc
	v_cmp_eq_u32_e32 vcc, 9, v12
	s_nop 1
	v_cndmask_b32_e32 v0, v0, v9, vcc
	v_mul_f32_e32 v2, v21, v0
	s_waitcnt lgkmcnt(0)
	v_lshl_add_u64 v[0:1], v[10:11], 2, s[16:17]
	global_store_dword v[0:1], v2, off
	s_endpgm
	.section	.rodata,"a",@progbits
	.p2align	6, 0x0
	.amdhsa_kernel _ZN4vllm3moe22topkGatingSoftplusSqrtILi10ELi320ELi4ELi2ELi32ELb1Ei6__halfEEvPKT6_PKbPfiPT5_PiiiibdPKfPKS9_SF_
		.amdhsa_group_segment_fixed_size 0
		.amdhsa_private_segment_fixed_size 0
		.amdhsa_kernarg_size 96
		.amdhsa_user_sgpr_count 2
		.amdhsa_user_sgpr_dispatch_ptr 0
		.amdhsa_user_sgpr_queue_ptr 0
		.amdhsa_user_sgpr_kernarg_segment_ptr 1
		.amdhsa_user_sgpr_dispatch_id 0
		.amdhsa_user_sgpr_kernarg_preload_length 0
		.amdhsa_user_sgpr_kernarg_preload_offset 0
		.amdhsa_user_sgpr_private_segment_size 0
		.amdhsa_uses_dynamic_stack 0
		.amdhsa_enable_private_segment 0
		.amdhsa_system_sgpr_workgroup_id_x 1
		.amdhsa_system_sgpr_workgroup_id_y 0
		.amdhsa_system_sgpr_workgroup_id_z 0
		.amdhsa_system_sgpr_workgroup_info 0
		.amdhsa_system_vgpr_workitem_id 1
		.amdhsa_next_free_vgpr 37
		.amdhsa_next_free_sgpr 42
		.amdhsa_accum_offset 40
		.amdhsa_reserve_vcc 1
		.amdhsa_float_round_mode_32 0
		.amdhsa_float_round_mode_16_64 0
		.amdhsa_float_denorm_mode_32 3
		.amdhsa_float_denorm_mode_16_64 3
		.amdhsa_dx10_clamp 1
		.amdhsa_ieee_mode 1
		.amdhsa_fp16_overflow 0
		.amdhsa_tg_split 0
		.amdhsa_exception_fp_ieee_invalid_op 0
		.amdhsa_exception_fp_denorm_src 0
		.amdhsa_exception_fp_ieee_div_zero 0
		.amdhsa_exception_fp_ieee_overflow 0
		.amdhsa_exception_fp_ieee_underflow 0
		.amdhsa_exception_fp_ieee_inexact 0
		.amdhsa_exception_int_div_zero 0
	.end_amdhsa_kernel
	.section	.text._ZN4vllm3moe22topkGatingSoftplusSqrtILi10ELi320ELi4ELi2ELi32ELb1Ei6__halfEEvPKT6_PKbPfiPT5_PiiiibdPKfPKS9_SF_,"axG",@progbits,_ZN4vllm3moe22topkGatingSoftplusSqrtILi10ELi320ELi4ELi2ELi32ELb1Ei6__halfEEvPKT6_PKbPfiPT5_PiiiibdPKfPKS9_SF_,comdat
.Lfunc_end226:
	.size	_ZN4vllm3moe22topkGatingSoftplusSqrtILi10ELi320ELi4ELi2ELi32ELb1Ei6__halfEEvPKT6_PKbPfiPT5_PiiiibdPKfPKS9_SF_, .Lfunc_end226-_ZN4vllm3moe22topkGatingSoftplusSqrtILi10ELi320ELi4ELi2ELi32ELb1Ei6__halfEEvPKT6_PKbPfiPT5_PiiiibdPKfPKS9_SF_
                                        ; -- End function
	.section	.AMDGPU.csdata,"",@progbits
; Kernel info:
; codeLenInByte = 5612
; NumSgprs: 48
; NumVgprs: 37
; NumAgprs: 0
; TotalNumVgprs: 37
; ScratchSize: 0
; MemoryBound: 0
; FloatMode: 240
; IeeeMode: 1
; LDSByteSize: 0 bytes/workgroup (compile time only)
; SGPRBlocks: 5
; VGPRBlocks: 4
; NumSGPRsForWavesPerEU: 48
; NumVGPRsForWavesPerEU: 37
; AccumOffset: 40
; Occupancy: 8
; WaveLimiterHint : 1
; COMPUTE_PGM_RSRC2:SCRATCH_EN: 0
; COMPUTE_PGM_RSRC2:USER_SGPR: 2
; COMPUTE_PGM_RSRC2:TRAP_HANDLER: 0
; COMPUTE_PGM_RSRC2:TGID_X_EN: 1
; COMPUTE_PGM_RSRC2:TGID_Y_EN: 0
; COMPUTE_PGM_RSRC2:TGID_Z_EN: 0
; COMPUTE_PGM_RSRC2:TIDIG_COMP_CNT: 1
; COMPUTE_PGM_RSRC3_GFX90A:ACCUM_OFFSET: 9
; COMPUTE_PGM_RSRC3_GFX90A:TG_SPLIT: 0
	.section	.text._ZN4vllm3moe22topkGatingSoftplusSqrtILi10ELi320ELi4ELi2ELi32ELb0Ei6__halfEEvPKT6_PKbPfiPT5_PiiiibdPKfPKS9_SF_,"axG",@progbits,_ZN4vllm3moe22topkGatingSoftplusSqrtILi10ELi320ELi4ELi2ELi32ELb0Ei6__halfEEvPKT6_PKbPfiPT5_PiiiibdPKfPKS9_SF_,comdat
	.protected	_ZN4vllm3moe22topkGatingSoftplusSqrtILi10ELi320ELi4ELi2ELi32ELb0Ei6__halfEEvPKT6_PKbPfiPT5_PiiiibdPKfPKS9_SF_ ; -- Begin function _ZN4vllm3moe22topkGatingSoftplusSqrtILi10ELi320ELi4ELi2ELi32ELb0Ei6__halfEEvPKT6_PKbPfiPT5_PiiiibdPKfPKS9_SF_
	.globl	_ZN4vllm3moe22topkGatingSoftplusSqrtILi10ELi320ELi4ELi2ELi32ELb0Ei6__halfEEvPKT6_PKbPfiPT5_PiiiibdPKfPKS9_SF_
	.p2align	8
	.type	_ZN4vllm3moe22topkGatingSoftplusSqrtILi10ELi320ELi4ELi2ELi32ELb0Ei6__halfEEvPKT6_PKbPfiPT5_PiiiibdPKfPKS9_SF_,@function
_ZN4vllm3moe22topkGatingSoftplusSqrtILi10ELi320ELi4ELi2ELi32ELb0Ei6__halfEEvPKT6_PKbPfiPT5_PiiiibdPKfPKS9_SF_: ; @_ZN4vllm3moe22topkGatingSoftplusSqrtILi10ELi320ELi4ELi2ELi32ELb0Ei6__halfEEvPKT6_PKbPfiPT5_PiiiibdPKfPKS9_SF_
; %bb.0:
	s_load_dword s30, s[0:1], 0x18
	v_and_b32_e32 v1, 0x3ff, v0
	s_lshl_b32 s2, s2, 2
	v_lshrrev_b32_e32 v2, 5, v1
	v_bfe_u32 v0, v0, 10, 10
	v_add3_u32 v10, s2, v0, v2
	s_waitcnt lgkmcnt(0)
	v_cmp_gt_i32_e32 vcc, s30, v10
	s_and_saveexec_b64 s[2:3], vcc
	s_cbranch_execz .LBB227_65
; %bb.1:
	s_load_dwordx4 s[4:7], s[0:1], 0x0
	s_load_dwordx2 s[20:21], s[0:1], 0x10
	s_waitcnt lgkmcnt(0)
	s_cmp_eq_u64 s[6:7], 0
	s_cbranch_scc1 .LBB227_3
; %bb.2:
	v_ashrrev_i32_e32 v11, 31, v10
	v_lshl_add_u64 v[2:3], s[6:7], 0, v[10:11]
	global_load_ubyte v0, v[2:3], off
	s_waitcnt vmcnt(0)
	v_and_b32_e32 v0, 1, v0
	v_cmp_eq_u32_e32 vcc, 1, v0
	s_xor_b64 s[2:3], vcc, -1
	s_orn2_b64 s[22:23], s[2:3], exec
	s_branch .LBB227_4
.LBB227_3:
	s_mov_b64 s[22:23], -1
.LBB227_4:
	s_movk_i32 s2, 0x140
	v_mul_lo_u32 v4, v10, s2
	v_mov_b32_e32 v2, s4
	v_mov_b32_e32 v3, s5
	v_ashrrev_i32_e32 v5, 31, v4
	v_and_b32_e32 v12, 31, v1
	v_lshl_add_u64 v[2:3], v[4:5], 1, v[2:3]
	v_mov_b32_e32 v1, 0
	v_lshlrev_b32_e32 v0, 1, v12
	v_lshl_add_u64 v[14:15], v[2:3], 0, v[0:1]
	global_load_ushort v0, v[14:15], off
	global_load_ushort v1, v[14:15], off offset:64
	global_load_ushort v2, v[14:15], off offset:128
	;; [unrolled: 1-line block ×9, first 2 shown]
	s_mov_b32 s16, 0x800000
	v_mov_b32_e32 v14, 0x4f800000
	s_mov_b32 s13, 0x3f317217
	s_mov_b32 s14, 0x7f800000
	v_mov_b32_e32 v15, 0x41b17218
	s_movk_i32 s12, 0x4d00
	s_mov_b32 s15, 0xf800000
	s_load_dwordx4 s[8:11], s[0:1], 0x40
	s_waitcnt lgkmcnt(0)
	s_cmp_lg_u64 s[10:11], 0
	s_cselect_b64 s[6:7], -1, 0
	s_and_b64 s[2:3], exec, s[6:7]
	s_waitcnt vmcnt(9)
	v_cvt_f32_f16_e32 v16, v0
	v_mul_f32_e32 v11, 0x3fb8aa3b, v16
	v_exp_f32_e32 v11, v11
	s_nop 0
	v_add_f32_e32 v11, 1.0, v11
	v_cmp_gt_f32_e32 vcc, s16, v11
	s_nop 1
	v_cndmask_b32_e32 v13, 1.0, v14, vcc
	v_mul_f32_e32 v11, v11, v13
	v_log_f32_e32 v17, v11
	v_cndmask_b32_e32 v18, 0, v15, vcc
	v_mov_b32_e32 v13, 0x260
	v_lshlrev_b32_e32 v11, 2, v12
	v_mul_f32_e32 v19, 0x3f317217, v17
	v_fma_f32 v19, v17, s13, -v19
	v_fmac_f32_e32 v19, 0x3377d1cf, v17
	v_fmac_f32_e32 v19, 0x3f317217, v17
	v_cmp_lt_f32_e64 vcc, |v17|, s14
	s_nop 1
	v_cndmask_b32_e32 v17, v17, v19, vcc
	v_sub_f32_e32 v17, v17, v18
	v_cmp_lt_f16_e32 vcc, s12, v0
	s_nop 1
	v_cndmask_b32_e32 v0, v17, v16, vcc
	v_mul_f32_e32 v16, 0x4f800000, v0
	v_cmp_gt_f32_e32 vcc, s15, v0
	s_nop 1
	v_cndmask_b32_e32 v0, v0, v16, vcc
	v_sqrt_f32_e32 v16, v0
	s_nop 0
	v_add_u32_e32 v17, -1, v16
	v_add_u32_e32 v18, 1, v16
	v_fma_f32 v19, -v17, v16, v0
	v_fma_f32 v20, -v18, v16, v0
	v_cmp_ge_f32_e64 s[4:5], 0, v19
	s_nop 1
	v_cndmask_b32_e64 v16, v16, v17, s[4:5]
	v_cmp_lt_f32_e64 s[4:5], 0, v20
	s_nop 1
	v_cndmask_b32_e64 v16, v16, v18, s[4:5]
	v_mul_f32_e32 v17, 0x37800000, v16
	v_cndmask_b32_e32 v16, v16, v17, vcc
	v_cmp_class_f32_e32 vcc, v0, v13
	s_nop 1
	v_cndmask_b32_e32 v0, v16, v0, vcc
	s_mov_b64 vcc, s[2:3]
	s_cbranch_vccz .LBB227_6
; %bb.5:
	global_load_dword v16, v11, s[10:11]
	s_waitcnt vmcnt(0)
	v_add_f32_e32 v0, v0, v16
.LBB227_6:
	s_waitcnt vmcnt(8)
	v_cvt_f32_f16_e32 v16, v1
	v_mul_f32_e32 v17, 0x3fb8aa3b, v16
	v_exp_f32_e32 v17, v17
	s_nop 0
	v_add_f32_e32 v17, 1.0, v17
	v_cmp_gt_f32_e32 vcc, s16, v17
	s_nop 1
	v_cndmask_b32_e32 v14, 1.0, v14, vcc
	v_mul_f32_e32 v14, v17, v14
	v_log_f32_e32 v14, v14
	v_cndmask_b32_e32 v15, 0, v15, vcc
	v_mul_f32_e32 v17, 0x3f317217, v14
	v_fma_f32 v17, v14, s13, -v17
	v_fmac_f32_e32 v17, 0x3377d1cf, v14
	v_fmac_f32_e32 v17, 0x3f317217, v14
	v_cmp_lt_f32_e64 vcc, |v14|, s14
	s_nop 1
	v_cndmask_b32_e32 v14, v14, v17, vcc
	v_sub_f32_e32 v14, v14, v15
	v_cmp_lt_f16_e32 vcc, s12, v1
	v_cndmask_b32_e64 v15, 0, 1, s[6:7]
	v_cmp_ne_u32_e64 s[2:3], 1, v15
	v_cndmask_b32_e32 v1, v14, v16, vcc
	v_mul_f32_e32 v14, 0x4f800000, v1
	v_cmp_gt_f32_e64 s[4:5], s15, v1
	s_andn2_b64 vcc, exec, s[6:7]
	s_nop 0
	v_cndmask_b32_e64 v1, v1, v14, s[4:5]
	v_sqrt_f32_e32 v14, v1
	s_nop 0
	v_add_u32_e32 v15, -1, v14
	v_add_u32_e32 v16, 1, v14
	v_fma_f32 v17, -v15, v14, v1
	v_fma_f32 v18, -v16, v14, v1
	v_cmp_ge_f32_e64 s[6:7], 0, v17
	s_nop 1
	v_cndmask_b32_e64 v14, v14, v15, s[6:7]
	v_cmp_lt_f32_e64 s[6:7], 0, v18
	s_nop 1
	v_cndmask_b32_e64 v14, v14, v16, s[6:7]
	v_mul_f32_e32 v15, 0x37800000, v14
	v_cndmask_b32_e64 v14, v14, v15, s[4:5]
	v_cmp_class_f32_e64 s[4:5], v1, v13
	s_nop 1
	v_cndmask_b32_e64 v1, v14, v1, s[4:5]
	s_cbranch_vccnz .LBB227_8
; %bb.7:
	global_load_dword v13, v11, s[10:11] offset:128
	s_waitcnt vmcnt(0)
	v_add_f32_e32 v1, v1, v13
.LBB227_8:
	s_waitcnt vmcnt(7)
	v_cvt_f32_f16_e32 v13, v2
	s_mov_b32 s12, 0x800000
	s_mov_b32 s7, 0x3f317217
	;; [unrolled: 1-line block ×3, first 2 shown]
	v_mul_f32_e32 v14, 0x3fb8aa3b, v13
	v_exp_f32_e32 v15, v14
	v_mov_b32_e32 v14, 0x4f800000
	s_movk_i32 s6, 0x4d00
	s_mov_b32 s14, 0xf800000
	v_add_f32_e32 v15, 1.0, v15
	v_cmp_gt_f32_e32 vcc, s12, v15
	s_nop 1
	v_cndmask_b32_e32 v16, 1.0, v14, vcc
	v_mul_f32_e32 v15, v15, v16
	v_log_f32_e32 v16, v15
	v_mov_b32_e32 v15, 0x41b17218
	v_cndmask_b32_e32 v17, 0, v15, vcc
	v_mul_f32_e32 v18, 0x3f317217, v16
	v_fma_f32 v18, v16, s7, -v18
	v_fmac_f32_e32 v18, 0x3377d1cf, v16
	v_fmac_f32_e32 v18, 0x3f317217, v16
	v_cmp_lt_f32_e64 vcc, |v16|, s13
	s_nop 1
	v_cndmask_b32_e32 v16, v16, v18, vcc
	v_sub_f32_e32 v16, v16, v17
	v_cmp_lt_f16_e32 vcc, s6, v2
	s_nop 1
	v_cndmask_b32_e32 v2, v16, v13, vcc
	v_mul_f32_e32 v13, 0x4f800000, v2
	v_cmp_gt_f32_e32 vcc, s14, v2
	s_nop 1
	v_cndmask_b32_e32 v2, v2, v13, vcc
	v_sqrt_f32_e32 v13, v2
	s_nop 0
	v_add_u32_e32 v16, -1, v13
	v_fma_f32 v17, -v16, v13, v2
	v_cmp_ge_f32_e64 s[4:5], 0, v17
	v_add_u32_e32 v17, 1, v13
	s_nop 0
	v_cndmask_b32_e64 v16, v13, v16, s[4:5]
	v_fma_f32 v13, -v17, v13, v2
	v_cmp_lt_f32_e64 s[4:5], 0, v13
	s_nop 1
	v_cndmask_b32_e64 v13, v16, v17, s[4:5]
	v_mul_f32_e32 v16, 0x37800000, v13
	v_cndmask_b32_e32 v16, v13, v16, vcc
	v_mov_b32_e32 v13, 0x260
	v_cmp_class_f32_e64 s[4:5], v2, v13
	s_and_b64 vcc, exec, s[2:3]
	s_nop 0
	v_cndmask_b32_e64 v2, v16, v2, s[4:5]
	s_cbranch_vccnz .LBB227_10
; %bb.9:
	global_load_dword v16, v11, s[10:11] offset:256
	s_waitcnt vmcnt(0)
	v_add_f32_e32 v2, v2, v16
.LBB227_10:
	s_waitcnt vmcnt(6)
	v_cvt_f32_f16_e32 v16, v3
	v_mul_f32_e32 v17, 0x3fb8aa3b, v16
	v_exp_f32_e32 v17, v17
	s_nop 0
	v_add_f32_e32 v17, 1.0, v17
	v_cmp_gt_f32_e32 vcc, s12, v17
	s_nop 1
	v_cndmask_b32_e32 v14, 1.0, v14, vcc
	v_mul_f32_e32 v14, v17, v14
	v_log_f32_e32 v14, v14
	v_cndmask_b32_e32 v15, 0, v15, vcc
	v_mul_f32_e32 v17, 0x3f317217, v14
	v_fma_f32 v17, v14, s7, -v17
	v_fmac_f32_e32 v17, 0x3377d1cf, v14
	v_fmac_f32_e32 v17, 0x3f317217, v14
	v_cmp_lt_f32_e64 vcc, |v14|, s13
	s_nop 1
	v_cndmask_b32_e32 v14, v14, v17, vcc
	v_sub_f32_e32 v14, v14, v15
	v_cmp_lt_f16_e32 vcc, s6, v3
	s_nop 1
	v_cndmask_b32_e32 v3, v14, v16, vcc
	v_mul_f32_e32 v14, 0x4f800000, v3
	v_cmp_gt_f32_e64 s[4:5], s14, v3
	s_and_b64 vcc, exec, s[2:3]
	s_nop 0
	v_cndmask_b32_e64 v3, v3, v14, s[4:5]
	v_sqrt_f32_e32 v14, v3
	s_nop 0
	v_add_u32_e32 v15, -1, v14
	v_add_u32_e32 v16, 1, v14
	v_fma_f32 v17, -v15, v14, v3
	v_fma_f32 v18, -v16, v14, v3
	v_cmp_ge_f32_e64 s[6:7], 0, v17
	s_nop 1
	v_cndmask_b32_e64 v14, v14, v15, s[6:7]
	v_cmp_lt_f32_e64 s[6:7], 0, v18
	s_nop 1
	v_cndmask_b32_e64 v14, v14, v16, s[6:7]
	v_mul_f32_e32 v15, 0x37800000, v14
	v_cndmask_b32_e64 v14, v14, v15, s[4:5]
	v_cmp_class_f32_e64 s[4:5], v3, v13
	s_nop 1
	v_cndmask_b32_e64 v3, v14, v3, s[4:5]
	s_cbranch_vccnz .LBB227_12
; %bb.11:
	global_load_dword v13, v11, s[10:11] offset:384
	s_waitcnt vmcnt(0)
	v_add_f32_e32 v3, v3, v13
.LBB227_12:
	s_waitcnt vmcnt(5)
	v_cvt_f32_f16_e32 v13, v4
	s_mov_b32 s7, 0x3f317217
	s_movk_i32 s6, 0x4d00
	v_mul_f32_e32 v14, 0x3fb8aa3b, v13
	v_exp_f32_e32 v15, v14
	v_mov_b32_e32 v14, 0x4f800000
	v_add_f32_e32 v15, 1.0, v15
	v_cmp_gt_f32_e32 vcc, s12, v15
	s_nop 1
	v_cndmask_b32_e32 v16, 1.0, v14, vcc
	v_mul_f32_e32 v15, v15, v16
	v_log_f32_e32 v16, v15
	v_mov_b32_e32 v15, 0x41b17218
	v_cndmask_b32_e32 v17, 0, v15, vcc
	v_mul_f32_e32 v18, 0x3f317217, v16
	v_fma_f32 v18, v16, s7, -v18
	v_fmac_f32_e32 v18, 0x3377d1cf, v16
	v_fmac_f32_e32 v18, 0x3f317217, v16
	v_cmp_lt_f32_e64 vcc, |v16|, s13
	s_nop 1
	v_cndmask_b32_e32 v16, v16, v18, vcc
	v_sub_f32_e32 v16, v16, v17
	v_cmp_lt_f16_e32 vcc, s6, v4
	s_nop 1
	v_cndmask_b32_e32 v4, v16, v13, vcc
	v_mul_f32_e32 v13, 0x4f800000, v4
	v_cmp_gt_f32_e32 vcc, s14, v4
	s_nop 1
	v_cndmask_b32_e32 v4, v4, v13, vcc
	v_sqrt_f32_e32 v13, v4
	s_nop 0
	v_add_u32_e32 v16, -1, v13
	v_fma_f32 v17, -v16, v13, v4
	v_cmp_ge_f32_e64 s[4:5], 0, v17
	v_add_u32_e32 v17, 1, v13
	s_nop 0
	v_cndmask_b32_e64 v16, v13, v16, s[4:5]
	v_fma_f32 v13, -v17, v13, v4
	v_cmp_lt_f32_e64 s[4:5], 0, v13
	s_nop 1
	v_cndmask_b32_e64 v13, v16, v17, s[4:5]
	v_mul_f32_e32 v16, 0x37800000, v13
	v_cndmask_b32_e32 v16, v13, v16, vcc
	v_mov_b32_e32 v13, 0x260
	v_cmp_class_f32_e64 s[4:5], v4, v13
	s_and_b64 vcc, exec, s[2:3]
	s_nop 0
	v_cndmask_b32_e64 v4, v16, v4, s[4:5]
	s_cbranch_vccnz .LBB227_14
; %bb.13:
	global_load_dword v16, v11, s[10:11] offset:512
	s_waitcnt vmcnt(0)
	v_add_f32_e32 v4, v4, v16
.LBB227_14:
	s_waitcnt vmcnt(4)
	v_cvt_f32_f16_e32 v16, v5
	v_mul_f32_e32 v17, 0x3fb8aa3b, v16
	v_exp_f32_e32 v17, v17
	s_nop 0
	v_add_f32_e32 v17, 1.0, v17
	v_cmp_gt_f32_e32 vcc, s12, v17
	s_nop 1
	v_cndmask_b32_e32 v14, 1.0, v14, vcc
	v_mul_f32_e32 v14, v17, v14
	v_log_f32_e32 v14, v14
	v_cndmask_b32_e32 v15, 0, v15, vcc
	v_mul_f32_e32 v17, 0x3f317217, v14
	v_fma_f32 v17, v14, s7, -v17
	v_fmac_f32_e32 v17, 0x3377d1cf, v14
	v_fmac_f32_e32 v17, 0x3f317217, v14
	v_cmp_lt_f32_e64 vcc, |v14|, s13
	s_nop 1
	v_cndmask_b32_e32 v14, v14, v17, vcc
	v_sub_f32_e32 v14, v14, v15
	v_cmp_lt_f16_e32 vcc, s6, v5
	s_nop 1
	v_cndmask_b32_e32 v5, v14, v16, vcc
	v_mul_f32_e32 v14, 0x4f800000, v5
	v_cmp_gt_f32_e64 s[4:5], s14, v5
	s_and_b64 vcc, exec, s[2:3]
	s_nop 0
	v_cndmask_b32_e64 v5, v5, v14, s[4:5]
	v_sqrt_f32_e32 v14, v5
	s_nop 0
	v_add_u32_e32 v15, -1, v14
	v_add_u32_e32 v16, 1, v14
	v_fma_f32 v17, -v15, v14, v5
	v_fma_f32 v18, -v16, v14, v5
	v_cmp_ge_f32_e64 s[6:7], 0, v17
	s_nop 1
	v_cndmask_b32_e64 v14, v14, v15, s[6:7]
	v_cmp_lt_f32_e64 s[6:7], 0, v18
	s_nop 1
	v_cndmask_b32_e64 v14, v14, v16, s[6:7]
	v_mul_f32_e32 v15, 0x37800000, v14
	v_cndmask_b32_e64 v14, v14, v15, s[4:5]
	v_cmp_class_f32_e64 s[4:5], v5, v13
	s_nop 1
	v_cndmask_b32_e64 v5, v14, v5, s[4:5]
	s_cbranch_vccnz .LBB227_16
; %bb.15:
	global_load_dword v13, v11, s[10:11] offset:640
	s_waitcnt vmcnt(0)
	v_add_f32_e32 v5, v5, v13
.LBB227_16:
	s_waitcnt vmcnt(3)
	v_cvt_f32_f16_e32 v13, v6
	s_mov_b32 s7, 0x3f317217
	s_movk_i32 s6, 0x4d00
	v_mul_f32_e32 v14, 0x3fb8aa3b, v13
	v_exp_f32_e32 v15, v14
	v_mov_b32_e32 v14, 0x4f800000
	v_add_f32_e32 v15, 1.0, v15
	v_cmp_gt_f32_e32 vcc, s12, v15
	s_nop 1
	v_cndmask_b32_e32 v16, 1.0, v14, vcc
	v_mul_f32_e32 v15, v15, v16
	v_log_f32_e32 v16, v15
	v_mov_b32_e32 v15, 0x41b17218
	v_cndmask_b32_e32 v17, 0, v15, vcc
	v_mul_f32_e32 v18, 0x3f317217, v16
	v_fma_f32 v18, v16, s7, -v18
	v_fmac_f32_e32 v18, 0x3377d1cf, v16
	v_fmac_f32_e32 v18, 0x3f317217, v16
	v_cmp_lt_f32_e64 vcc, |v16|, s13
	s_nop 1
	v_cndmask_b32_e32 v16, v16, v18, vcc
	v_sub_f32_e32 v16, v16, v17
	v_cmp_lt_f16_e32 vcc, s6, v6
	s_nop 1
	v_cndmask_b32_e32 v6, v16, v13, vcc
	v_mul_f32_e32 v13, 0x4f800000, v6
	v_cmp_gt_f32_e32 vcc, s14, v6
	s_nop 1
	v_cndmask_b32_e32 v6, v6, v13, vcc
	v_sqrt_f32_e32 v13, v6
	s_nop 0
	v_add_u32_e32 v16, -1, v13
	v_fma_f32 v17, -v16, v13, v6
	v_cmp_ge_f32_e64 s[4:5], 0, v17
	v_add_u32_e32 v17, 1, v13
	s_nop 0
	v_cndmask_b32_e64 v16, v13, v16, s[4:5]
	v_fma_f32 v13, -v17, v13, v6
	v_cmp_lt_f32_e64 s[4:5], 0, v13
	s_nop 1
	v_cndmask_b32_e64 v13, v16, v17, s[4:5]
	v_mul_f32_e32 v16, 0x37800000, v13
	v_cndmask_b32_e32 v16, v13, v16, vcc
	v_mov_b32_e32 v13, 0x260
	v_cmp_class_f32_e64 s[4:5], v6, v13
	s_and_b64 vcc, exec, s[2:3]
	s_nop 0
	v_cndmask_b32_e64 v6, v16, v6, s[4:5]
	s_cbranch_vccnz .LBB227_18
; %bb.17:
	global_load_dword v16, v11, s[10:11] offset:768
	s_waitcnt vmcnt(0)
	v_add_f32_e32 v6, v6, v16
.LBB227_18:
	s_waitcnt vmcnt(2)
	v_cvt_f32_f16_e32 v16, v7
	v_mul_f32_e32 v17, 0x3fb8aa3b, v16
	v_exp_f32_e32 v17, v17
	s_nop 0
	v_add_f32_e32 v17, 1.0, v17
	v_cmp_gt_f32_e32 vcc, s12, v17
	s_nop 1
	v_cndmask_b32_e32 v14, 1.0, v14, vcc
	v_mul_f32_e32 v14, v17, v14
	v_log_f32_e32 v14, v14
	v_cndmask_b32_e32 v15, 0, v15, vcc
	v_mul_f32_e32 v17, 0x3f317217, v14
	v_fma_f32 v17, v14, s7, -v17
	v_fmac_f32_e32 v17, 0x3377d1cf, v14
	v_fmac_f32_e32 v17, 0x3f317217, v14
	v_cmp_lt_f32_e64 vcc, |v14|, s13
	s_nop 1
	v_cndmask_b32_e32 v14, v14, v17, vcc
	v_sub_f32_e32 v14, v14, v15
	v_cmp_lt_f16_e32 vcc, s6, v7
	s_nop 1
	v_cndmask_b32_e32 v7, v14, v16, vcc
	v_mul_f32_e32 v14, 0x4f800000, v7
	v_cmp_gt_f32_e64 s[4:5], s14, v7
	s_and_b64 vcc, exec, s[2:3]
	s_nop 0
	v_cndmask_b32_e64 v7, v7, v14, s[4:5]
	v_sqrt_f32_e32 v14, v7
	s_nop 0
	v_add_u32_e32 v15, -1, v14
	v_add_u32_e32 v16, 1, v14
	v_fma_f32 v17, -v15, v14, v7
	v_fma_f32 v18, -v16, v14, v7
	v_cmp_ge_f32_e64 s[6:7], 0, v17
	s_nop 1
	v_cndmask_b32_e64 v14, v14, v15, s[6:7]
	v_cmp_lt_f32_e64 s[6:7], 0, v18
	s_nop 1
	v_cndmask_b32_e64 v14, v14, v16, s[6:7]
	v_mul_f32_e32 v15, 0x37800000, v14
	v_cndmask_b32_e64 v14, v14, v15, s[4:5]
	v_cmp_class_f32_e64 s[4:5], v7, v13
	s_nop 1
	v_cndmask_b32_e64 v7, v14, v7, s[4:5]
	s_cbranch_vccnz .LBB227_20
; %bb.19:
	global_load_dword v13, v11, s[10:11] offset:896
	s_waitcnt vmcnt(0)
	v_add_f32_e32 v7, v7, v13
.LBB227_20:
	s_waitcnt vmcnt(1)
	v_cvt_f32_f16_e32 v13, v8
	s_mov_b32 s7, 0x3f317217
	s_movk_i32 s6, 0x4d00
	v_mul_f32_e32 v14, 0x3fb8aa3b, v13
	v_exp_f32_e32 v15, v14
	v_mov_b32_e32 v14, 0x4f800000
	v_add_f32_e32 v15, 1.0, v15
	v_cmp_gt_f32_e32 vcc, s12, v15
	s_nop 1
	v_cndmask_b32_e32 v16, 1.0, v14, vcc
	v_mul_f32_e32 v15, v15, v16
	v_log_f32_e32 v16, v15
	v_mov_b32_e32 v15, 0x41b17218
	v_cndmask_b32_e32 v17, 0, v15, vcc
	v_mul_f32_e32 v18, 0x3f317217, v16
	v_fma_f32 v18, v16, s7, -v18
	v_fmac_f32_e32 v18, 0x3377d1cf, v16
	v_fmac_f32_e32 v18, 0x3f317217, v16
	v_cmp_lt_f32_e64 vcc, |v16|, s13
	s_nop 1
	v_cndmask_b32_e32 v16, v16, v18, vcc
	v_sub_f32_e32 v16, v16, v17
	v_cmp_lt_f16_e32 vcc, s6, v8
	s_nop 1
	v_cndmask_b32_e32 v8, v16, v13, vcc
	v_mul_f32_e32 v13, 0x4f800000, v8
	v_cmp_gt_f32_e32 vcc, s14, v8
	s_nop 1
	v_cndmask_b32_e32 v8, v8, v13, vcc
	v_sqrt_f32_e32 v13, v8
	s_nop 0
	v_add_u32_e32 v16, -1, v13
	v_fma_f32 v17, -v16, v13, v8
	v_cmp_ge_f32_e64 s[4:5], 0, v17
	v_add_u32_e32 v17, 1, v13
	s_nop 0
	v_cndmask_b32_e64 v16, v13, v16, s[4:5]
	v_fma_f32 v13, -v17, v13, v8
	v_cmp_lt_f32_e64 s[4:5], 0, v13
	s_nop 1
	v_cndmask_b32_e64 v13, v16, v17, s[4:5]
	v_mul_f32_e32 v16, 0x37800000, v13
	v_cndmask_b32_e32 v16, v13, v16, vcc
	v_mov_b32_e32 v13, 0x260
	v_cmp_class_f32_e64 s[4:5], v8, v13
	s_and_b64 vcc, exec, s[2:3]
	s_nop 0
	v_cndmask_b32_e64 v8, v16, v8, s[4:5]
	s_cbranch_vccnz .LBB227_22
; %bb.21:
	global_load_dword v16, v11, s[10:11] offset:1024
	s_waitcnt vmcnt(0)
	v_add_f32_e32 v8, v8, v16
.LBB227_22:
	s_waitcnt vmcnt(0)
	v_cvt_f32_f16_e32 v16, v9
	v_mul_f32_e32 v17, 0x3fb8aa3b, v16
	v_exp_f32_e32 v17, v17
	s_nop 0
	v_add_f32_e32 v17, 1.0, v17
	v_cmp_gt_f32_e32 vcc, s12, v17
	s_nop 1
	v_cndmask_b32_e32 v14, 1.0, v14, vcc
	v_mul_f32_e32 v14, v17, v14
	v_log_f32_e32 v14, v14
	v_cndmask_b32_e32 v15, 0, v15, vcc
	v_mul_f32_e32 v17, 0x3f317217, v14
	v_fma_f32 v17, v14, s7, -v17
	v_fmac_f32_e32 v17, 0x3377d1cf, v14
	v_fmac_f32_e32 v17, 0x3f317217, v14
	v_cmp_lt_f32_e64 vcc, |v14|, s13
	s_nop 1
	v_cndmask_b32_e32 v14, v14, v17, vcc
	v_sub_f32_e32 v14, v14, v15
	v_cmp_lt_f16_e32 vcc, s6, v9
	s_nop 1
	v_cndmask_b32_e32 v9, v14, v16, vcc
	v_mul_f32_e32 v14, 0x4f800000, v9
	v_cmp_gt_f32_e64 s[4:5], s14, v9
	s_and_b64 vcc, exec, s[2:3]
	s_nop 0
	v_cndmask_b32_e64 v9, v9, v14, s[4:5]
	v_sqrt_f32_e32 v14, v9
	s_nop 0
	v_add_u32_e32 v15, -1, v14
	v_add_u32_e32 v16, 1, v14
	v_fma_f32 v17, -v15, v14, v9
	v_fma_f32 v18, -v16, v14, v9
	v_cmp_ge_f32_e64 s[6:7], 0, v17
	s_nop 1
	v_cndmask_b32_e64 v14, v14, v15, s[6:7]
	v_cmp_lt_f32_e64 s[6:7], 0, v18
	s_nop 1
	v_cndmask_b32_e64 v14, v14, v16, s[6:7]
	v_mul_f32_e32 v15, 0x37800000, v14
	v_cndmask_b32_e64 v14, v14, v15, s[4:5]
	v_cmp_class_f32_e64 s[4:5], v9, v13
	s_nop 1
	v_cndmask_b32_e64 v9, v14, v9, s[4:5]
	s_cbranch_vccnz .LBB227_24
; %bb.23:
	global_load_dword v11, v11, s[10:11] offset:1152
	s_waitcnt vmcnt(0)
	v_add_f32_e32 v9, v9, v11
.LBB227_24:
	s_load_dwordx4 s[12:15], s[0:1], 0x30
	s_mov_b32 s31, 0
	v_cmp_eq_u32_e64 s[6:7], 0, v12
	s_waitcnt lgkmcnt(0)
	s_bitcmp1_b32 s15, 0
	s_cselect_b64 s[4:5], -1, 0
	s_cmp_gt_i32 s12, 0
	s_cselect_b64 s[24:25], -1, 0
	s_and_b64 vcc, exec, s[24:25]
	s_cbranch_vccz .LBB227_51
; %bb.25:
	v_mbcnt_lo_u32_b32 v11, -1, 0
	v_mbcnt_hi_u32_b32 v14, -1, v11
	v_and_b32_e32 v11, 0x60, v14
	v_add_u32_e32 v15, 32, v11
	v_xor_b32_e32 v16, 16, v14
	v_cmp_lt_i32_e32 vcc, v16, v15
	s_load_dwordx4 s[16:19], s[0:1], 0x20
	v_mul_lo_u32 v11, v10, s12
	v_cndmask_b32_e32 v16, v14, v16, vcc
	v_lshlrev_b32_e32 v25, 2, v16
	v_xor_b32_e32 v16, 8, v14
	v_cmp_lt_i32_e32 vcc, v16, v15
	v_or_b32_e32 v13, 32, v12
	v_or_b32_e32 v17, 64, v12
	v_cndmask_b32_e32 v16, v14, v16, vcc
	v_lshlrev_b32_e32 v26, 2, v16
	v_xor_b32_e32 v16, 4, v14
	v_cmp_lt_i32_e32 vcc, v16, v15
	v_or_b32_e32 v18, 0x60, v12
	v_or_b32_e32 v19, 0x80, v12
	;; [unrolled: 6-line block ×4, first 2 shown]
	v_cndmask_b32_e32 v14, v14, v16, vcc
	v_or_b32_e32 v24, 0x120, v12
	v_lshlrev_b32_e32 v29, 2, v14
	v_mov_b32_e32 v16, 0
	v_mov_b32_e32 v30, 0x140
	;; [unrolled: 1-line block ×4, first 2 shown]
	s_branch .LBB227_28
.LBB227_26:                             ;   in Loop: Header=BB227_28 Depth=1
	s_waitcnt lgkmcnt(0)
	v_add_u32_e32 v34, s31, v11
	v_cmp_le_i32_e32 vcc, s13, v14
	v_cmp_gt_i32_e64 s[0:1], s14, v14
	v_ashrrev_i32_e32 v35, 31, v34
	s_and_b64 s[0:1], vcc, s[0:1]
	v_lshlrev_b64 v[34:35], 2, v[34:35]
	v_lshl_add_u64 v[36:37], s[20:21], 0, v[34:35]
	v_subrev_u32_e32 v15, s13, v14
	s_and_b64 vcc, s[22:23], s[0:1]
	global_store_dword v[36:37], v33, off
	v_cndmask_b32_e32 v15, v30, v15, vcc
	v_lshl_add_u64 v[36:37], s[16:17], 0, v[34:35]
	global_store_dword v[36:37], v15, off
	v_add_f32_e32 v15, v16, v33
	v_lshl_add_u64 v[34:35], s[18:19], 0, v[34:35]
	v_cndmask_b32_e64 v16, v16, v15, s[4:5]
	global_store_dword v[34:35], v32, off
.LBB227_27:                             ;   in Loop: Header=BB227_28 Depth=1
	s_or_b64 exec, exec, s[26:27]
	v_ashrrev_i32_e32 v15, 31, v14
	v_lshrrev_b32_e32 v15, 27, v15
	v_add_u32_e32 v15, v14, v15
	v_and_b32_e32 v33, 0xffffffe0, v15
	v_sub_u32_e32 v14, v14, v33
	s_add_i32 s31, s31, 1
	v_cmp_eq_u32_e32 vcc, v12, v14
	s_cmp_lt_i32 s31, s12
	v_ashrrev_i32_e32 v14, 5, v15
	s_cselect_b64 s[26:27], -1, 0
	v_cmp_ne_u32_e64 s[0:1], 9, v14
	s_and_b64 vcc, s[26:27], vcc
	s_cmp_eq_u32 s12, s31
	v_cndmask_b32_e64 v15, v31, v9, s[0:1]
	v_cmp_ne_u32_e64 s[0:1], 8, v14
	v_cndmask_b32_e32 v9, v9, v15, vcc
	v_add_u32_e32 v32, s30, v32
	v_cndmask_b32_e64 v15, v31, v8, s[0:1]
	v_cmp_ne_u32_e64 s[0:1], 7, v14
	v_cndmask_b32_e32 v8, v8, v15, vcc
	s_nop 0
	v_cndmask_b32_e64 v15, v31, v7, s[0:1]
	v_cmp_ne_u32_e64 s[0:1], 6, v14
	v_cndmask_b32_e32 v7, v7, v15, vcc
	s_nop 0
	;; [unrolled: 4-line block ×8, first 2 shown]
	v_cndmask_b32_e64 v14, v31, v0, s[0:1]
	v_cndmask_b32_e32 v0, v0, v14, vcc
	s_cbranch_scc1 .LBB227_52
.LBB227_28:                             ; =>This Inner Loop Header: Depth=1
	v_cmp_gt_f32_e32 vcc, v1, v0
	s_nop 1
	v_cndmask_b32_e32 v15, v0, v1, vcc
	v_cndmask_b32_e32 v14, v12, v13, vcc
	v_cmp_gt_f32_e32 vcc, v2, v15
	s_nop 1
	v_cndmask_b32_e32 v15, v15, v2, vcc
	v_cndmask_b32_e32 v14, v14, v17, vcc
	v_cmp_gt_f32_e32 vcc, v3, v15
	s_nop 1
	v_cndmask_b32_e32 v15, v15, v3, vcc
	v_cndmask_b32_e32 v14, v14, v18, vcc
	v_cmp_gt_f32_e32 vcc, v4, v15
	s_nop 1
	v_cndmask_b32_e32 v15, v15, v4, vcc
	v_cndmask_b32_e32 v14, v14, v19, vcc
	v_cmp_gt_f32_e32 vcc, v5, v15
	s_nop 1
	v_cndmask_b32_e32 v15, v15, v5, vcc
	v_cndmask_b32_e32 v14, v14, v20, vcc
	v_cmp_gt_f32_e32 vcc, v6, v15
	s_nop 1
	v_cndmask_b32_e32 v15, v15, v6, vcc
	v_cndmask_b32_e32 v14, v14, v21, vcc
	v_cmp_gt_f32_e32 vcc, v7, v15
	s_nop 1
	v_cndmask_b32_e32 v15, v15, v7, vcc
	v_cndmask_b32_e32 v14, v14, v22, vcc
	v_cmp_gt_f32_e32 vcc, v8, v15
	s_nop 1
	v_cndmask_b32_e32 v15, v15, v8, vcc
	v_cndmask_b32_e32 v14, v14, v23, vcc
	v_cmp_gt_f32_e32 vcc, v9, v15
	s_nop 1
	v_cndmask_b32_e32 v33, v15, v9, vcc
	v_cndmask_b32_e32 v14, v14, v24, vcc
	ds_bpermute_b32 v15, v25, v33
	s_waitcnt lgkmcnt(0)
	ds_bpermute_b32 v34, v25, v14
	s_waitcnt lgkmcnt(0)
	v_cmp_lt_f32_e64 s[26:27], v33, v15
	v_cmp_nlt_f32_e32 vcc, v33, v15
	s_and_saveexec_b64 s[28:29], vcc
; %bb.29:                               ;   in Loop: Header=BB227_28 Depth=1
	v_cmp_eq_f32_e32 vcc, v33, v15
	v_cmp_lt_i32_e64 s[0:1], v34, v14
	s_and_b64 s[0:1], vcc, s[0:1]
	s_andn2_b64 s[26:27], s[26:27], exec
	s_and_b64 s[0:1], s[0:1], exec
	s_or_b64 s[26:27], s[26:27], s[0:1]
; %bb.30:                               ;   in Loop: Header=BB227_28 Depth=1
	s_or_b64 exec, exec, s[28:29]
	s_and_saveexec_b64 s[0:1], s[26:27]
; %bb.31:                               ;   in Loop: Header=BB227_28 Depth=1
	v_mov_b32_e32 v33, v15
	v_mov_b32_e32 v14, v34
; %bb.32:                               ;   in Loop: Header=BB227_28 Depth=1
	s_or_b64 exec, exec, s[0:1]
	ds_bpermute_b32 v15, v26, v33
	ds_bpermute_b32 v34, v26, v14
	s_waitcnt lgkmcnt(1)
	v_cmp_lt_f32_e64 s[26:27], v33, v15
	v_cmp_nlt_f32_e32 vcc, v33, v15
	s_and_saveexec_b64 s[28:29], vcc
	s_cbranch_execz .LBB227_34
; %bb.33:                               ;   in Loop: Header=BB227_28 Depth=1
	v_cmp_eq_f32_e32 vcc, v33, v15
	s_waitcnt lgkmcnt(0)
	v_cmp_lt_i32_e64 s[0:1], v34, v14
	s_and_b64 s[0:1], vcc, s[0:1]
	s_andn2_b64 s[26:27], s[26:27], exec
	s_and_b64 s[0:1], s[0:1], exec
	s_or_b64 s[26:27], s[26:27], s[0:1]
.LBB227_34:                             ;   in Loop: Header=BB227_28 Depth=1
	s_or_b64 exec, exec, s[28:29]
	s_and_saveexec_b64 s[0:1], s[26:27]
	s_cbranch_execz .LBB227_36
; %bb.35:                               ;   in Loop: Header=BB227_28 Depth=1
	v_mov_b32_e32 v33, v15
	s_waitcnt lgkmcnt(0)
	v_mov_b32_e32 v14, v34
.LBB227_36:                             ;   in Loop: Header=BB227_28 Depth=1
	s_or_b64 exec, exec, s[0:1]
	ds_bpermute_b32 v15, v27, v33
	s_waitcnt lgkmcnt(1)
	ds_bpermute_b32 v34, v27, v14
	s_waitcnt lgkmcnt(1)
	v_cmp_lt_f32_e64 s[26:27], v33, v15
	v_cmp_nlt_f32_e32 vcc, v33, v15
	s_and_saveexec_b64 s[28:29], vcc
	s_cbranch_execz .LBB227_38
; %bb.37:                               ;   in Loop: Header=BB227_28 Depth=1
	v_cmp_eq_f32_e32 vcc, v33, v15
	s_waitcnt lgkmcnt(0)
	v_cmp_lt_i32_e64 s[0:1], v34, v14
	s_and_b64 s[0:1], vcc, s[0:1]
	s_andn2_b64 s[26:27], s[26:27], exec
	s_and_b64 s[0:1], s[0:1], exec
	s_or_b64 s[26:27], s[26:27], s[0:1]
.LBB227_38:                             ;   in Loop: Header=BB227_28 Depth=1
	s_or_b64 exec, exec, s[28:29]
	s_and_saveexec_b64 s[0:1], s[26:27]
	s_cbranch_execz .LBB227_40
; %bb.39:                               ;   in Loop: Header=BB227_28 Depth=1
	v_mov_b32_e32 v33, v15
	s_waitcnt lgkmcnt(0)
	v_mov_b32_e32 v14, v34
.LBB227_40:                             ;   in Loop: Header=BB227_28 Depth=1
	s_or_b64 exec, exec, s[0:1]
	ds_bpermute_b32 v15, v28, v33
	s_waitcnt lgkmcnt(1)
	;; [unrolled: 26-line block ×3, first 2 shown]
	ds_bpermute_b32 v34, v29, v14
	s_waitcnt lgkmcnt(1)
	v_cmp_lt_f32_e64 s[26:27], v33, v15
	v_cmp_nlt_f32_e32 vcc, v33, v15
	s_and_saveexec_b64 s[28:29], vcc
	s_cbranch_execnz .LBB227_47
; %bb.45:                               ;   in Loop: Header=BB227_28 Depth=1
	s_or_b64 exec, exec, s[28:29]
	s_and_saveexec_b64 s[0:1], s[26:27]
	s_cbranch_execnz .LBB227_48
.LBB227_46:                             ;   in Loop: Header=BB227_28 Depth=1
	s_or_b64 exec, exec, s[0:1]
	s_and_saveexec_b64 s[26:27], s[6:7]
	s_cbranch_execz .LBB227_27
	s_branch .LBB227_49
.LBB227_47:                             ;   in Loop: Header=BB227_28 Depth=1
	v_cmp_eq_f32_e32 vcc, v33, v15
	s_waitcnt lgkmcnt(0)
	v_cmp_lt_i32_e64 s[0:1], v34, v14
	s_and_b64 s[0:1], vcc, s[0:1]
	s_andn2_b64 s[26:27], s[26:27], exec
	s_and_b64 s[0:1], s[0:1], exec
	s_or_b64 s[26:27], s[26:27], s[0:1]
	s_or_b64 exec, exec, s[28:29]
	s_and_saveexec_b64 s[0:1], s[26:27]
	s_cbranch_execz .LBB227_46
.LBB227_48:                             ;   in Loop: Header=BB227_28 Depth=1
	s_waitcnt lgkmcnt(0)
	v_mov_b32_e32 v14, v34
	v_mov_b32_e32 v33, v15
	s_or_b64 exec, exec, s[0:1]
	s_and_saveexec_b64 s[26:27], s[6:7]
	s_cbranch_execz .LBB227_27
.LBB227_49:                             ;   in Loop: Header=BB227_28 Depth=1
	s_and_b64 vcc, exec, s[2:3]
	s_cbranch_vccnz .LBB227_26
; %bb.50:                               ;   in Loop: Header=BB227_28 Depth=1
	v_ashrrev_i32_e32 v15, 31, v14
	s_waitcnt lgkmcnt(0)
	v_lshl_add_u64 v[34:35], v[14:15], 2, s[10:11]
	global_load_dword v15, v[34:35], off
	s_waitcnt vmcnt(0)
	v_sub_f32_e32 v33, v33, v15
	s_branch .LBB227_26
.LBB227_51:
	v_mov_b32_e32 v16, 0
.LBB227_52:
	v_cmp_eq_u32_e32 vcc, 0, v12
	s_and_b64 exec, exec, vcc
	s_cbranch_execz .LBB227_65
; %bb.53:
	s_andn2_b64 vcc, exec, s[4:5]
	v_cvt_f32_f64_e32 v0, s[8:9]
	s_cbranch_vccnz .LBB227_55
; %bb.54:
	v_cmp_lt_f32_e32 vcc, 0, v16
	s_nop 1
	v_cndmask_b32_e32 v1, 1.0, v16, vcc
	v_div_scale_f32 v2, s[0:1], v1, v1, v0
	v_rcp_f32_e32 v3, v2
	s_nop 0
	v_fma_f32 v4, -v2, v3, 1.0
	v_fmac_f32_e32 v3, v4, v3
	v_div_scale_f32 v4, vcc, v0, v1, v0
	v_mul_f32_e32 v5, v4, v3
	v_fma_f32 v6, -v2, v5, v4
	v_fmac_f32_e32 v5, v6, v3
	v_fma_f32 v2, -v2, v5, v4
	v_div_fmas_f32 v2, v2, v3, v5
	v_div_fixup_f32 v0, v2, v1, v0
.LBB227_55:
	s_andn2_b64 vcc, exec, s[24:25]
	s_cbranch_vccnz .LBB227_65
; %bb.56:
	v_mul_lo_u32 v2, v10, s12
	s_cmp_gt_u32 s12, 3
	v_ashrrev_i32_e32 v3, 31, v2
	s_cbranch_scc0 .LBB227_60
; %bb.57:
	s_and_b32 s0, s12, 0x7ffffffc
	v_lshl_add_u64 v[4:5], v[2:3], 2, s[20:21]
	v_mov_b32_e32 v1, v0
	v_lshl_add_u64 v[4:5], v[4:5], 0, 8
	s_mov_b32 s1, s0
.LBB227_58:                             ; =>This Inner Loop Header: Depth=1
	global_load_dwordx4 v[6:9], v[4:5], off offset:-8
	s_add_i32 s1, s1, -4
	s_cmp_lg_u32 s1, 0
	s_waitcnt vmcnt(0)
	v_pk_mul_f32 v[6:7], v[0:1], v[6:7]
	v_pk_mul_f32 v[8:9], v[0:1], v[8:9]
	global_store_dwordx4 v[4:5], v[6:9], off offset:-8
	v_lshl_add_u64 v[4:5], v[4:5], 0, 16
	s_cbranch_scc1 .LBB227_58
; %bb.59:
	s_cmp_lg_u32 s0, s12
	s_cselect_b64 s[2:3], -1, 0
	s_branch .LBB227_62
.LBB227_60:
	s_mov_b64 s[2:3], 0
                                        ; implicit-def: $sgpr0
	s_cbranch_execz .LBB227_62
; %bb.61:
	s_mov_b64 s[2:3], -1
	s_mov_b32 s0, 0
.LBB227_62:
	s_andn2_b64 vcc, exec, s[2:3]
	s_cbranch_vccnz .LBB227_65
; %bb.63:
	s_mov_b32 s1, 0
	v_lshl_add_u64 v[2:3], v[2:3], 0, s[0:1]
	s_sub_i32 s2, s12, s0
	v_lshl_add_u64 v[2:3], v[2:3], 2, s[20:21]
.LBB227_64:                             ; =>This Inner Loop Header: Depth=1
	global_load_dword v1, v[2:3], off
	s_add_i32 s2, s2, -1
	s_cmp_lg_u32 s2, 0
	s_waitcnt vmcnt(0)
	v_mul_f32_e32 v1, v0, v1
	global_store_dword v[2:3], v1, off
	v_lshl_add_u64 v[2:3], v[2:3], 0, 4
	s_cbranch_scc1 .LBB227_64
.LBB227_65:
	s_endpgm
	.section	.rodata,"a",@progbits
	.p2align	6, 0x0
	.amdhsa_kernel _ZN4vllm3moe22topkGatingSoftplusSqrtILi10ELi320ELi4ELi2ELi32ELb0Ei6__halfEEvPKT6_PKbPfiPT5_PiiiibdPKfPKS9_SF_
		.amdhsa_group_segment_fixed_size 0
		.amdhsa_private_segment_fixed_size 0
		.amdhsa_kernarg_size 96
		.amdhsa_user_sgpr_count 2
		.amdhsa_user_sgpr_dispatch_ptr 0
		.amdhsa_user_sgpr_queue_ptr 0
		.amdhsa_user_sgpr_kernarg_segment_ptr 1
		.amdhsa_user_sgpr_dispatch_id 0
		.amdhsa_user_sgpr_kernarg_preload_length 0
		.amdhsa_user_sgpr_kernarg_preload_offset 0
		.amdhsa_user_sgpr_private_segment_size 0
		.amdhsa_uses_dynamic_stack 0
		.amdhsa_enable_private_segment 0
		.amdhsa_system_sgpr_workgroup_id_x 1
		.amdhsa_system_sgpr_workgroup_id_y 0
		.amdhsa_system_sgpr_workgroup_id_z 0
		.amdhsa_system_sgpr_workgroup_info 0
		.amdhsa_system_vgpr_workitem_id 1
		.amdhsa_next_free_vgpr 38
		.amdhsa_next_free_sgpr 32
		.amdhsa_accum_offset 40
		.amdhsa_reserve_vcc 1
		.amdhsa_float_round_mode_32 0
		.amdhsa_float_round_mode_16_64 0
		.amdhsa_float_denorm_mode_32 3
		.amdhsa_float_denorm_mode_16_64 3
		.amdhsa_dx10_clamp 1
		.amdhsa_ieee_mode 1
		.amdhsa_fp16_overflow 0
		.amdhsa_tg_split 0
		.amdhsa_exception_fp_ieee_invalid_op 0
		.amdhsa_exception_fp_denorm_src 0
		.amdhsa_exception_fp_ieee_div_zero 0
		.amdhsa_exception_fp_ieee_overflow 0
		.amdhsa_exception_fp_ieee_underflow 0
		.amdhsa_exception_fp_ieee_inexact 0
		.amdhsa_exception_int_div_zero 0
	.end_amdhsa_kernel
	.section	.text._ZN4vllm3moe22topkGatingSoftplusSqrtILi10ELi320ELi4ELi2ELi32ELb0Ei6__halfEEvPKT6_PKbPfiPT5_PiiiibdPKfPKS9_SF_,"axG",@progbits,_ZN4vllm3moe22topkGatingSoftplusSqrtILi10ELi320ELi4ELi2ELi32ELb0Ei6__halfEEvPKT6_PKbPfiPT5_PiiiibdPKfPKS9_SF_,comdat
.Lfunc_end227:
	.size	_ZN4vllm3moe22topkGatingSoftplusSqrtILi10ELi320ELi4ELi2ELi32ELb0Ei6__halfEEvPKT6_PKbPfiPT5_PiiiibdPKfPKS9_SF_, .Lfunc_end227-_ZN4vllm3moe22topkGatingSoftplusSqrtILi10ELi320ELi4ELi2ELi32ELb0Ei6__halfEEvPKT6_PKbPfiPT5_PiiiibdPKfPKS9_SF_
                                        ; -- End function
	.section	.AMDGPU.csdata,"",@progbits
; Kernel info:
; codeLenInByte = 4940
; NumSgprs: 38
; NumVgprs: 38
; NumAgprs: 0
; TotalNumVgprs: 38
; ScratchSize: 0
; MemoryBound: 0
; FloatMode: 240
; IeeeMode: 1
; LDSByteSize: 0 bytes/workgroup (compile time only)
; SGPRBlocks: 4
; VGPRBlocks: 4
; NumSGPRsForWavesPerEU: 38
; NumVGPRsForWavesPerEU: 38
; AccumOffset: 40
; Occupancy: 8
; WaveLimiterHint : 0
; COMPUTE_PGM_RSRC2:SCRATCH_EN: 0
; COMPUTE_PGM_RSRC2:USER_SGPR: 2
; COMPUTE_PGM_RSRC2:TRAP_HANDLER: 0
; COMPUTE_PGM_RSRC2:TGID_X_EN: 1
; COMPUTE_PGM_RSRC2:TGID_Y_EN: 0
; COMPUTE_PGM_RSRC2:TGID_Z_EN: 0
; COMPUTE_PGM_RSRC2:TIDIG_COMP_CNT: 1
; COMPUTE_PGM_RSRC3_GFX90A:ACCUM_OFFSET: 9
; COMPUTE_PGM_RSRC3_GFX90A:TG_SPLIT: 0
	.section	.text._ZN4vllm3moe22topkGatingSoftplusSqrtILi6ELi384ELi4ELi4ELi64ELb1Ei6__halfEEvPKT6_PKbPfiPT5_PiiiibdPKfPKS9_SF_,"axG",@progbits,_ZN4vllm3moe22topkGatingSoftplusSqrtILi6ELi384ELi4ELi4ELi64ELb1Ei6__halfEEvPKT6_PKbPfiPT5_PiiiibdPKfPKS9_SF_,comdat
	.protected	_ZN4vllm3moe22topkGatingSoftplusSqrtILi6ELi384ELi4ELi4ELi64ELb1Ei6__halfEEvPKT6_PKbPfiPT5_PiiiibdPKfPKS9_SF_ ; -- Begin function _ZN4vllm3moe22topkGatingSoftplusSqrtILi6ELi384ELi4ELi4ELi64ELb1Ei6__halfEEvPKT6_PKbPfiPT5_PiiiibdPKfPKS9_SF_
	.globl	_ZN4vllm3moe22topkGatingSoftplusSqrtILi6ELi384ELi4ELi4ELi64ELb1Ei6__halfEEvPKT6_PKbPfiPT5_PiiiibdPKfPKS9_SF_
	.p2align	8
	.type	_ZN4vllm3moe22topkGatingSoftplusSqrtILi6ELi384ELi4ELi4ELi64ELb1Ei6__halfEEvPKT6_PKbPfiPT5_PiiiibdPKfPKS9_SF_,@function
_ZN4vllm3moe22topkGatingSoftplusSqrtILi6ELi384ELi4ELi4ELi64ELb1Ei6__halfEEvPKT6_PKbPfiPT5_PiiiibdPKfPKS9_SF_: ; @_ZN4vllm3moe22topkGatingSoftplusSqrtILi6ELi384ELi4ELi4ELi64ELb1Ei6__halfEEvPKT6_PKbPfiPT5_PiiiibdPKfPKS9_SF_
; %bb.0:
	s_load_dword s3, s[0:1], 0x18
	v_and_b32_e32 v1, 0x3ff, v0
	s_lshl_b32 s2, s2, 2
	v_lshrrev_b32_e32 v2, 6, v1
	v_bfe_u32 v0, v0, 10, 10
	v_add3_u32 v0, s2, v0, v2
	s_waitcnt lgkmcnt(0)
	v_cmp_gt_i32_e32 vcc, s3, v0
	s_and_saveexec_b64 s[2:3], vcc
	s_cbranch_execz .LBB228_31
; %bb.1:
	s_load_dwordx2 s[2:3], s[0:1], 0x0
	s_load_dword s24, s[0:1], 0x30
	s_movk_i32 s4, 0x180
	v_mul_lo_u32 v2, v0, s4
	v_lshlrev_b32_e32 v1, 1, v1
	v_ashrrev_i32_e32 v3, 31, v2
	v_and_b32_e32 v10, 0x7e, v1
	s_waitcnt lgkmcnt(0)
	v_lshl_add_u64 v[4:5], v[2:3], 1, s[2:3]
	v_lshlrev_b32_e32 v2, 1, v10
	v_mov_b32_e32 v3, 0
	v_lshl_add_u64 v[4:5], v[4:5], 0, v[2:3]
	global_load_dword v2, v[4:5], off
	global_load_dword v11, v[4:5], off offset:256
	s_load_dwordx4 s[8:11], s[0:1], 0x50
	v_ashrrev_i32_e32 v1, 31, v0
	global_load_dword v17, v[4:5], off offset:512
	s_mov_b32 s15, 0x800000
	v_mov_b32_e32 v14, 0x4f800000
	s_waitcnt lgkmcnt(0)
	v_mov_b32_e32 v6, s8
	v_mov_b32_e32 v7, s9
	v_lshl_add_u64 v[6:7], v[0:1], 2, v[6:7]
	global_load_dword v1, v[6:7], off
	s_mov_b32 s13, 0x3f317217
	s_mov_b32 s14, 0x7f800000
	v_mov_b32_e32 v15, 0x41b17218
	s_movk_i32 s9, 0x4d00
	s_mov_b32 s12, 0xf800000
	v_mov_b32_e32 v16, 0x260
	s_cmp_gt_i32 s24, 0
	s_mov_b32 s8, 0
	v_mul_lo_u32 v0, v0, s24
	s_waitcnt vmcnt(3)
	v_cvt_f32_f16_e32 v12, v2
	v_cvt_f32_f16_sdwa v13, v2 dst_sel:DWORD dst_unused:UNUSED_PAD src0_sel:WORD_1
	s_waitcnt vmcnt(2)
	v_cvt_f32_f16_e32 v18, v11
	v_cvt_f32_f16_sdwa v19, v11 dst_sel:DWORD dst_unused:UNUSED_PAD src0_sel:WORD_1
	v_mul_f32_e32 v4, 0x3fb8aa3b, v12
	v_mul_f32_e32 v5, 0x3fb8aa3b, v13
	v_exp_f32_e32 v4, v4
	v_exp_f32_e32 v5, v5
	v_mul_f32_e32 v6, 0x3fb8aa3b, v18
	v_mul_f32_e32 v7, 0x3fb8aa3b, v19
	v_exp_f32_e32 v6, v6
	v_exp_f32_e32 v7, v7
	v_pk_add_f32 v[4:5], v[4:5], 1.0 op_sel_hi:[1,0]
	s_waitcnt vmcnt(0)
	v_mul_lo_u32 v8, v1, s24
	v_cmp_gt_f32_e32 vcc, s15, v5
	v_pk_add_f32 v[6:7], v[6:7], 1.0 op_sel_hi:[1,0]
	v_cmp_gt_f32_e64 s[2:3], s15, v4
	v_cndmask_b32_e32 v1, 1.0, v14, vcc
	v_cmp_gt_f32_e64 s[4:5], s15, v7
	v_cndmask_b32_e64 v20, 1.0, v14, s[2:3]
	v_mul_f32_e32 v1, v5, v1
	v_cndmask_b32_e64 v21, 1.0, v14, s[4:5]
	v_mul_f32_e32 v4, v4, v20
	v_log_f32_e32 v1, v1
	v_mul_f32_e32 v7, v7, v21
	v_log_f32_e32 v4, v4
	v_cmp_gt_f32_e64 s[6:7], s15, v6
	v_log_f32_e32 v7, v7
	v_cndmask_b32_e32 v5, 0, v15, vcc
	v_cndmask_b32_e64 v22, 1.0, v14, s[6:7]
	v_mul_f32_e32 v6, v6, v22
	v_mul_f32_e32 v22, 0x3f317217, v1
	;; [unrolled: 1-line block ×3, first 2 shown]
	v_fma_f32 v22, v1, s13, -v22
	v_mul_f32_e32 v24, 0x3f317217, v7
	v_fma_f32 v23, v4, s13, -v23
	v_fmac_f32_e32 v22, 0x3377d1cf, v1
	v_fma_f32 v24, v7, s13, -v24
	v_fmac_f32_e32 v23, 0x3377d1cf, v4
	v_fmac_f32_e32 v22, 0x3f317217, v1
	v_cmp_lt_f32_e64 vcc, |v1|, s14
	v_fmac_f32_e32 v24, 0x3377d1cf, v7
	v_fmac_f32_e32 v23, 0x3f317217, v4
	v_cndmask_b32_e32 v1, v1, v22, vcc
	v_cmp_lt_f32_e64 vcc, |v4|, s14
	v_cndmask_b32_e64 v20, 0, v15, s[2:3]
	v_fmac_f32_e32 v24, 0x3f317217, v7
	v_cndmask_b32_e32 v4, v4, v23, vcc
	v_cmp_lt_f32_e64 vcc, |v7|, s14
	v_sub_f32_e32 v4, v4, v20
	v_sub_f32_e32 v1, v1, v5
	v_cndmask_b32_e32 v7, v7, v24, vcc
	v_cmp_lt_f16_e32 vcc, s9, v2
	v_cndmask_b32_e64 v21, 0, v15, s[4:5]
	v_log_f32_e32 v6, v6
	v_cndmask_b32_e32 v4, v4, v12, vcc
	v_cmp_gt_f16_sdwa vcc, v2, s9 src0_sel:WORD_1 src1_sel:DWORD
	v_mul_f32_e32 v5, 0x4f800000, v4
	v_cmp_gt_f32_e64 s[2:3], s12, v4
	v_cndmask_b32_e32 v1, v1, v13, vcc
	v_mul_f32_e32 v2, 0x4f800000, v1
	v_cmp_gt_f32_e32 vcc, s12, v1
	v_cndmask_b32_e64 v4, v4, v5, s[2:3]
	v_sqrt_f32_e32 v5, v4
	v_cndmask_b32_e32 v1, v1, v2, vcc
	v_sqrt_f32_e32 v2, v1
	v_sub_f32_e32 v7, v7, v21
	v_add_u32_e32 v20, -1, v5
	v_fma_f32 v24, -v20, v5, v4
	v_add_u32_e32 v12, -1, v2
	v_fma_f32 v22, -v12, v2, v1
	v_add_u32_e32 v13, 1, v2
	v_cmp_ge_f32_e64 s[4:5], 0, v22
	v_add_u32_e32 v21, 1, v5
	v_fma_f32 v23, -v13, v2, v1
	v_cndmask_b32_e64 v2, v2, v12, s[4:5]
	v_cmp_ge_f32_e64 s[4:5], 0, v24
	v_fma_f32 v26, -v21, v5, v4
	v_mul_f32_e32 v25, 0x3f317217, v6
	v_cndmask_b32_e64 v5, v5, v20, s[4:5]
	v_cmp_lt_f32_e64 s[4:5], 0, v23
	v_fma_f32 v25, v6, s13, -v25
	v_fmac_f32_e32 v25, 0x3377d1cf, v6
	v_cndmask_b32_e64 v2, v2, v13, s[4:5]
	v_cmp_lt_f32_e64 s[4:5], 0, v26
	v_mul_f32_e32 v12, 0x37800000, v2
	v_cndmask_b32_e32 v2, v2, v12, vcc
	v_cndmask_b32_e64 v5, v5, v21, s[4:5]
	v_mul_f32_e32 v13, 0x37800000, v5
	v_cmp_class_f32_e32 vcc, v1, v16
	v_cndmask_b32_e64 v12, v5, v13, s[2:3]
	v_fmac_f32_e32 v25, 0x3f317217, v6
	v_cndmask_b32_e32 v5, v2, v1, vcc
	v_cmp_class_f32_e32 vcc, v4, v16
	v_cndmask_b32_e64 v2, 0, v15, s[6:7]
	v_cmp_lt_f16_e64 s[2:3], s9, v11
	v_cndmask_b32_e32 v4, v12, v4, vcc
	v_cmp_lt_f32_e64 vcc, |v6|, s14
	v_ashrrev_i32_e32 v9, 31, v8
	s_nop 0
	v_cndmask_b32_e32 v1, v6, v25, vcc
	v_cmp_gt_f16_sdwa vcc, v11, s9 src0_sel:WORD_1 src1_sel:DWORD
	v_sub_f32_e32 v1, v1, v2
	v_cndmask_b32_e64 v1, v1, v18, s[2:3]
	v_cndmask_b32_e32 v6, v7, v19, vcc
	v_mul_f32_e32 v7, 0x4f800000, v6
	v_cmp_gt_f32_e32 vcc, s12, v6
	v_cvt_f32_f16_e32 v18, v17
	v_cvt_f32_f16_sdwa v19, v17 dst_sel:DWORD dst_unused:UNUSED_PAD src0_sel:WORD_1
	v_cndmask_b32_e32 v6, v6, v7, vcc
	v_sqrt_f32_e32 v7, v6
	v_mul_f32_e32 v12, 0x3fb8aa3b, v18
	v_mul_f32_e32 v13, 0x3fb8aa3b, v19
	v_exp_f32_e32 v12, v12
	v_add_u32_e32 v2, -1, v7
	v_fma_f32 v11, -v2, v7, v6
	v_cmp_ge_f32_e64 s[2:3], 0, v11
	v_add_u32_e32 v11, 1, v7
	v_exp_f32_e32 v13, v13
	v_cndmask_b32_e64 v2, v7, v2, s[2:3]
	v_fma_f32 v7, -v11, v7, v6
	v_cmp_lt_f32_e64 s[2:3], 0, v7
	v_pk_add_f32 v[12:13], v[12:13], 1.0 op_sel_hi:[1,0]
	s_nop 0
	v_cndmask_b32_e64 v2, v2, v11, s[2:3]
	v_mul_f32_e32 v11, 0x4f800000, v1
	v_cmp_gt_f32_e64 s[2:3], s12, v1
	v_mul_f32_e32 v7, 0x37800000, v2
	v_cndmask_b32_e32 v2, v2, v7, vcc
	v_cndmask_b32_e64 v1, v1, v11, s[2:3]
	v_sqrt_f32_e32 v11, v1
	v_cmp_class_f32_e32 vcc, v6, v16
	s_nop 1
	v_cndmask_b32_e32 v7, v2, v6, vcc
	v_add_u32_e32 v2, -1, v11
	v_fma_f32 v6, -v2, v11, v1
	v_cmp_ge_f32_e32 vcc, 0, v6
	v_add_u32_e32 v6, 1, v11
	s_nop 0
	v_cndmask_b32_e32 v2, v11, v2, vcc
	v_fma_f32 v11, -v6, v11, v1
	v_cmp_lt_f32_e32 vcc, 0, v11
	s_nop 1
	v_cndmask_b32_e32 v2, v2, v6, vcc
	v_mul_f32_e32 v6, 0x37800000, v2
	v_cmp_gt_f32_e32 vcc, s15, v13
	v_cndmask_b32_e64 v2, v2, v6, s[2:3]
	v_cmp_class_f32_e64 s[2:3], v1, v16
	v_cndmask_b32_e32 v6, 1.0, v14, vcc
	v_mul_f32_e32 v6, v13, v6
	v_log_f32_e32 v11, v6
	v_cndmask_b32_e64 v6, v2, v1, s[2:3]
	v_cmp_gt_f32_e64 s[2:3], s15, v12
	scratch_store_dwordx4 off, v[4:7], off
	v_mul_f32_e32 v1, 0x3f317217, v11
	v_cndmask_b32_e64 v2, 1.0, v14, s[2:3]
	v_mul_f32_e32 v2, v12, v2
	v_fma_f32 v1, v11, s13, -v1
	v_log_f32_e32 v2, v2
	v_fmac_f32_e32 v1, 0x3377d1cf, v11
	v_fmac_f32_e32 v1, 0x3f317217, v11
	v_cmp_lt_f32_e64 s[4:5], |v11|, s14
	v_cndmask_b32_e32 v4, 0, v15, vcc
	v_cmp_lt_f32_e64 vcc, |v2|, s14
	v_cndmask_b32_e64 v1, v11, v1, s[4:5]
	v_sub_f32_e32 v1, v1, v4
	v_mul_f32_e32 v4, 0x3f317217, v2
	v_fma_f32 v4, v2, s13, -v4
	v_fmac_f32_e32 v4, 0x3377d1cf, v2
	v_fmac_f32_e32 v4, 0x3f317217, v2
	v_cndmask_b32_e32 v2, v2, v4, vcc
	v_cmp_gt_f16_sdwa vcc, v17, s9 src0_sel:WORD_1 src1_sel:DWORD
	v_cndmask_b32_e64 v4, 0, v15, s[2:3]
	v_sub_f32_e32 v2, v2, v4
	v_cndmask_b32_e32 v1, v1, v19, vcc
	v_mul_f32_e32 v5, 0x4f800000, v1
	v_cmp_gt_f32_e32 vcc, s12, v1
	v_cmp_lt_f16_e64 s[2:3], s9, v17
	s_cselect_b64 s[4:5], -1, 0
	v_cndmask_b32_e32 v1, v1, v5, vcc
	v_sqrt_f32_e32 v5, v1
	v_cndmask_b32_e64 v2, v2, v18, s[2:3]
	s_cmp_lt_i32 s24, 1
	v_add_u32_e32 v4, -1, v5
	v_fma_f32 v6, -v4, v5, v1
	v_cmp_ge_f32_e64 s[2:3], 0, v6
	v_add_u32_e32 v6, 1, v5
	s_nop 0
	v_cndmask_b32_e64 v4, v5, v4, s[2:3]
	v_fma_f32 v5, -v6, v5, v1
	v_cmp_lt_f32_e64 s[2:3], 0, v5
	s_nop 1
	v_cndmask_b32_e64 v4, v4, v6, s[2:3]
	v_mul_f32_e32 v6, 0x4f800000, v2
	v_cmp_gt_f32_e64 s[2:3], s12, v2
	v_mul_f32_e32 v5, 0x37800000, v4
	v_cndmask_b32_e32 v4, v4, v5, vcc
	v_cndmask_b32_e64 v2, v2, v6, s[2:3]
	v_sqrt_f32_e32 v6, v2
	v_cmp_class_f32_e32 vcc, v1, v16
	s_nop 1
	v_cndmask_b32_e32 v5, v4, v1, vcc
	v_add_u32_e32 v1, -1, v6
	v_fma_f32 v4, -v1, v6, v2
	v_cmp_ge_f32_e32 vcc, 0, v4
	v_add_u32_e32 v4, 1, v6
	s_nop 0
	v_cndmask_b32_e32 v1, v6, v1, vcc
	v_fma_f32 v6, -v4, v6, v2
	v_cmp_lt_f32_e32 vcc, 0, v6
	s_nop 1
	v_cndmask_b32_e32 v1, v1, v4, vcc
	v_mul_f32_e32 v4, 0x37800000, v1
	v_cndmask_b32_e64 v1, v1, v4, s[2:3]
	v_cmp_class_f32_e32 vcc, v2, v16
	s_nop 1
	v_cndmask_b32_e32 v4, v1, v2, vcc
	scratch_store_dwordx2 off, v[4:5], off offset:16
	v_lshl_add_u64 v[4:5], v[8:9], 2, s[10:11]
	s_cbranch_scc1 .LBB228_28
; %bb.2:
	s_load_dwordx2 s[6:7], s[0:1], 0x20
	s_cmp_lt_u32 s24, 4
	s_cbranch_scc1 .LBB228_21
; %bb.3:
	s_mov_b32 s11, 0
	s_and_b32 s8, s24, 0x7ffffffc
	v_ashrrev_i32_e32 v1, 31, v0
	v_mov_b32_e32 v3, 0
	s_mov_b32 s10, s11
	s_branch .LBB228_5
.LBB228_4:                              ;   in Loop: Header=BB228_5 Depth=1
	s_or_b64 exec, exec, s[12:13]
	s_add_i32 s10, s10, 4
	s_cmp_eq_u32 s10, s8
	s_cbranch_scc1 .LBB228_21
.LBB228_5:                              ; =>This Loop Header: Depth=1
                                        ;     Child Loop BB228_7 Depth 2
                                        ;     Child Loop BB228_11 Depth 2
                                        ;     Child Loop BB228_15 Depth 2
                                        ;     Child Loop BB228_19 Depth 2
	v_lshl_add_u64 v[6:7], s[10:11], 2, v[4:5]
	global_load_dword v2, v[6:7], off
	v_add_u32_e32 v8, s10, v0
	v_ashrrev_i32_e32 v9, 31, v8
	s_waitcnt lgkmcnt(0)
	v_lshl_add_u64 v[8:9], v[8:9], 2, s[6:7]
	v_mov_b32_e32 v11, 0
	s_mov_b64 s[12:13], 0
	s_mov_b32 s9, 0
	s_mov_b32 s16, 0
	s_branch .LBB228_7
.LBB228_6:                              ;   in Loop: Header=BB228_7 Depth=2
	s_or_b64 exec, exec, s[14:15]
	s_add_i32 s17, s16, 1
	s_cmp_gt_u32 s16, 4
	s_cselect_b64 s[2:3], -1, 0
	s_xor_b64 s[14:15], vcc, -1
	s_or_b64 s[2:3], s[14:15], s[2:3]
	s_add_i32 s9, s9, 64
	s_and_b64 s[2:3], exec, s[2:3]
	v_add_u32_e32 v11, 4, v11
	s_or_b64 s[12:13], s[2:3], s[12:13]
	s_mov_b32 s16, s17
	s_andn2_b64 exec, exec, s[12:13]
	s_cbranch_execz .LBB228_9
.LBB228_7:                              ;   Parent Loop BB228_5 Depth=1
                                        ; =>  This Inner Loop Header: Depth=2
	s_and_b32 s2, s16, 1
	s_and_b32 s3, s9, 0x180
	s_or_b32 s2, s2, s3
	v_or_b32_e32 v12, s2, v10
	s_waitcnt vmcnt(0)
	v_cmp_ne_u32_e32 vcc, v2, v12
	v_cmp_eq_u32_e64 s[2:3], v2, v12
	s_and_saveexec_b64 s[14:15], s[2:3]
	s_cbranch_execz .LBB228_6
; %bb.8:                                ;   in Loop: Header=BB228_7 Depth=2
	scratch_load_dword v12, v11, off
	s_waitcnt vmcnt(0)
	v_add_f32_e32 v3, v3, v12
	global_store_dword v[8:9], v2, off
	s_branch .LBB228_6
.LBB228_9:                              ;   in Loop: Header=BB228_5 Depth=1
	s_or_b64 exec, exec, s[12:13]
	global_load_dword v2, v[6:7], off offset:4
	s_ashr_i32 s3, s10, 31
	s_mov_b32 s2, s10
	v_lshl_add_u64 v[8:9], s[2:3], 0, v[0:1]
	v_lshl_add_u64 v[8:9], v[8:9], 2, s[6:7]
	v_mov_b32_e32 v11, 0
	s_mov_b32 s9, 0
	s_mov_b64 s[12:13], 0
	s_mov_b32 s16, 0
	s_branch .LBB228_11
.LBB228_10:                             ;   in Loop: Header=BB228_11 Depth=2
	s_or_b64 exec, exec, s[14:15]
	s_add_i32 s17, s16, 1
	s_cmp_gt_u32 s16, 4
	s_cselect_b64 s[2:3], -1, 0
	s_xor_b64 s[14:15], vcc, -1
	s_or_b64 s[2:3], s[14:15], s[2:3]
	s_add_i32 s9, s9, 64
	s_and_b64 s[2:3], exec, s[2:3]
	v_add_u32_e32 v11, 4, v11
	s_or_b64 s[12:13], s[2:3], s[12:13]
	s_mov_b32 s16, s17
	s_andn2_b64 exec, exec, s[12:13]
	s_cbranch_execz .LBB228_13
.LBB228_11:                             ;   Parent Loop BB228_5 Depth=1
                                        ; =>  This Inner Loop Header: Depth=2
	s_and_b32 s2, s16, 1
	s_and_b32 s3, s9, 0x180
	s_or_b32 s2, s2, s3
	v_or_b32_e32 v12, s2, v10
	s_waitcnt vmcnt(0)
	v_cmp_ne_u32_e32 vcc, v2, v12
	v_cmp_eq_u32_e64 s[2:3], v2, v12
	s_and_saveexec_b64 s[14:15], s[2:3]
	s_cbranch_execz .LBB228_10
; %bb.12:                               ;   in Loop: Header=BB228_11 Depth=2
	scratch_load_dword v12, v11, off
	s_waitcnt vmcnt(0)
	v_add_f32_e32 v3, v3, v12
	global_store_dword v[8:9], v2, off offset:4
	s_branch .LBB228_10
.LBB228_13:                             ;   in Loop: Header=BB228_5 Depth=1
	s_or_b64 exec, exec, s[12:13]
	global_load_dword v2, v[6:7], off offset:8
	v_mov_b32_e32 v11, 0
	s_mov_b32 s9, 0
	s_mov_b64 s[12:13], 0
	s_mov_b32 s16, 0
	s_branch .LBB228_15
.LBB228_14:                             ;   in Loop: Header=BB228_15 Depth=2
	s_or_b64 exec, exec, s[14:15]
	s_add_i32 s17, s16, 1
	s_cmp_gt_u32 s16, 4
	s_cselect_b64 s[2:3], -1, 0
	s_xor_b64 s[14:15], vcc, -1
	s_or_b64 s[2:3], s[14:15], s[2:3]
	s_add_i32 s9, s9, 64
	s_and_b64 s[2:3], exec, s[2:3]
	v_add_u32_e32 v11, 4, v11
	s_or_b64 s[12:13], s[2:3], s[12:13]
	s_mov_b32 s16, s17
	s_andn2_b64 exec, exec, s[12:13]
	s_cbranch_execz .LBB228_17
.LBB228_15:                             ;   Parent Loop BB228_5 Depth=1
                                        ; =>  This Inner Loop Header: Depth=2
	s_and_b32 s2, s16, 1
	s_and_b32 s3, s9, 0x180
	s_or_b32 s2, s2, s3
	v_or_b32_e32 v12, s2, v10
	s_waitcnt vmcnt(0)
	v_cmp_ne_u32_e32 vcc, v2, v12
	v_cmp_eq_u32_e64 s[2:3], v2, v12
	s_and_saveexec_b64 s[14:15], s[2:3]
	s_cbranch_execz .LBB228_14
; %bb.16:                               ;   in Loop: Header=BB228_15 Depth=2
	scratch_load_dword v12, v11, off
	s_waitcnt vmcnt(0)
	v_add_f32_e32 v3, v3, v12
	global_store_dword v[8:9], v2, off offset:8
	s_branch .LBB228_14
.LBB228_17:                             ;   in Loop: Header=BB228_5 Depth=1
	s_or_b64 exec, exec, s[12:13]
	global_load_dword v2, v[6:7], off offset:12
	v_mov_b32_e32 v6, 0
	s_mov_b32 s9, 0
	s_mov_b64 s[12:13], 0
	s_mov_b32 s16, 0
	s_branch .LBB228_19
.LBB228_18:                             ;   in Loop: Header=BB228_19 Depth=2
	s_or_b64 exec, exec, s[14:15]
	s_add_i32 s17, s16, 1
	s_cmp_gt_u32 s16, 4
	s_cselect_b64 s[2:3], -1, 0
	s_xor_b64 s[14:15], vcc, -1
	s_or_b64 s[2:3], s[14:15], s[2:3]
	s_add_i32 s9, s9, 64
	s_and_b64 s[2:3], exec, s[2:3]
	v_add_u32_e32 v6, 4, v6
	s_or_b64 s[12:13], s[2:3], s[12:13]
	s_mov_b32 s16, s17
	s_andn2_b64 exec, exec, s[12:13]
	s_cbranch_execz .LBB228_4
.LBB228_19:                             ;   Parent Loop BB228_5 Depth=1
                                        ; =>  This Inner Loop Header: Depth=2
	s_and_b32 s2, s16, 1
	s_and_b32 s3, s9, 0x180
	s_or_b32 s2, s2, s3
	v_or_b32_e32 v7, s2, v10
	s_waitcnt vmcnt(0)
	v_cmp_ne_u32_e32 vcc, v2, v7
	v_cmp_eq_u32_e64 s[2:3], v2, v7
	s_and_saveexec_b64 s[14:15], s[2:3]
	s_cbranch_execz .LBB228_18
; %bb.20:                               ;   in Loop: Header=BB228_19 Depth=2
	scratch_load_dword v7, v6, off
	s_waitcnt vmcnt(0)
	v_add_f32_e32 v3, v3, v7
	global_store_dword v[8:9], v2, off offset:12
	s_branch .LBB228_18
.LBB228_21:
	s_and_b32 s14, s24, 3
	s_cmp_eq_u32 s14, 0
	s_mov_b32 s9, 0
	s_cbranch_scc1 .LBB228_28
; %bb.22:
	s_mov_b32 s15, s9
	s_branch .LBB228_24
.LBB228_23:                             ;   in Loop: Header=BB228_24 Depth=1
	s_or_b64 exec, exec, s[10:11]
	s_add_i32 s8, s8, 1
	s_add_i32 s15, s15, 1
	s_cmp_lg_u32 s15, s14
	s_cbranch_scc0 .LBB228_28
.LBB228_24:                             ; =>This Loop Header: Depth=1
                                        ;     Child Loop BB228_26 Depth 2
	v_lshl_add_u64 v[6:7], s[8:9], 2, v[4:5]
	global_load_dword v1, v[6:7], off
	v_add_u32_e32 v6, s8, v0
	v_ashrrev_i32_e32 v7, 31, v6
	s_waitcnt lgkmcnt(0)
	v_lshl_add_u64 v[6:7], v[6:7], 2, s[6:7]
	v_mov_b32_e32 v2, 0
	s_mov_b32 s16, 0
	s_mov_b64 s[10:11], 0
	s_mov_b32 s17, 0
	s_branch .LBB228_26
.LBB228_25:                             ;   in Loop: Header=BB228_26 Depth=2
	s_or_b64 exec, exec, s[12:13]
	s_add_i32 s18, s17, 1
	s_cmp_gt_u32 s17, 4
	s_cselect_b64 s[2:3], -1, 0
	s_xor_b64 s[12:13], vcc, -1
	s_or_b64 s[2:3], s[12:13], s[2:3]
	s_add_i32 s16, s16, 64
	s_and_b64 s[2:3], exec, s[2:3]
	v_add_u32_e32 v2, 4, v2
	s_or_b64 s[10:11], s[2:3], s[10:11]
	s_mov_b32 s17, s18
	s_andn2_b64 exec, exec, s[10:11]
	s_cbranch_execz .LBB228_23
.LBB228_26:                             ;   Parent Loop BB228_24 Depth=1
                                        ; =>  This Inner Loop Header: Depth=2
	s_and_b32 s2, s17, 1
	s_and_b32 s3, s16, 0x180
	s_or_b32 s2, s2, s3
	v_or_b32_e32 v8, s2, v10
	s_waitcnt vmcnt(0)
	v_cmp_ne_u32_e32 vcc, v1, v8
	v_cmp_eq_u32_e64 s[2:3], v1, v8
	s_and_saveexec_b64 s[12:13], s[2:3]
	s_cbranch_execz .LBB228_25
; %bb.27:                               ;   in Loop: Header=BB228_26 Depth=2
	scratch_load_dword v8, v2, off
	s_waitcnt vmcnt(0)
	v_add_f32_e32 v3, v3, v8
	global_store_dword v[6:7], v1, off
	s_branch .LBB228_25
.LBB228_28:
	s_waitcnt lgkmcnt(0)
	s_load_dword s6, s[0:1], 0x3c
	s_waitcnt lgkmcnt(0)
	s_bitcmp1_b32 s6, 0
	s_cselect_b64 s[2:3], -1, 0
	s_bitcmp0_b32 s6, 0
	s_cbranch_scc0 .LBB228_32
; %bb.29:
	s_load_dwordx2 s[6:7], s[0:1], 0x40
	s_andn2_b64 vcc, exec, s[2:3]
	s_waitcnt lgkmcnt(0)
	v_cvt_f32_f64_e32 v8, s[6:7]
	s_cbranch_vccz .LBB228_33
.LBB228_30:
	s_andn2_b64 vcc, exec, s[4:5]
	s_cbranch_vccz .LBB228_34
.LBB228_31:
	s_endpgm
.LBB228_32:
	v_mbcnt_lo_u32_b32 v1, -1, 0
	v_mbcnt_hi_u32_b32 v1, -1, v1
	v_and_b32_e32 v2, 64, v1
	v_add_u32_e32 v2, 64, v2
	v_xor_b32_e32 v6, 32, v1
	v_cmp_lt_i32_e32 vcc, v6, v2
	v_xor_b32_e32 v7, 16, v1
	s_nop 0
	v_cndmask_b32_e32 v6, v1, v6, vcc
	v_lshlrev_b32_e32 v6, 2, v6
	ds_bpermute_b32 v6, v6, v3
	v_cmp_lt_i32_e32 vcc, v7, v2
	s_waitcnt lgkmcnt(0)
	v_add_f32_e32 v3, v3, v6
	v_cndmask_b32_e32 v6, v1, v7, vcc
	v_lshlrev_b32_e32 v6, 2, v6
	ds_bpermute_b32 v6, v6, v3
	v_xor_b32_e32 v7, 8, v1
	v_cmp_lt_i32_e32 vcc, v7, v2
	s_waitcnt lgkmcnt(0)
	v_add_f32_e32 v3, v3, v6
	v_cndmask_b32_e32 v6, v1, v7, vcc
	v_lshlrev_b32_e32 v6, 2, v6
	ds_bpermute_b32 v6, v6, v3
	v_xor_b32_e32 v7, 4, v1
	;; [unrolled: 7-line block ×4, first 2 shown]
	v_cmp_lt_i32_e32 vcc, v7, v2
	s_waitcnt lgkmcnt(0)
	v_add_f32_e32 v3, v3, v6
	v_cndmask_b32_e32 v1, v1, v7, vcc
	v_lshlrev_b32_e32 v1, 2, v1
	ds_bpermute_b32 v1, v1, v3
	s_waitcnt lgkmcnt(0)
	v_add_f32_e32 v3, v3, v1
	s_load_dwordx2 s[6:7], s[0:1], 0x40
	s_andn2_b64 vcc, exec, s[2:3]
	s_waitcnt lgkmcnt(0)
	v_cvt_f32_f64_e32 v8, s[6:7]
	s_cbranch_vccnz .LBB228_30
.LBB228_33:
	v_cmp_lt_f32_e32 vcc, 0, v3
	s_nop 1
	v_cndmask_b32_e32 v1, 1.0, v3, vcc
	v_div_scale_f32 v2, s[2:3], v1, v1, v8
	v_rcp_f32_e32 v3, v2
	s_nop 0
	v_fma_f32 v6, -v2, v3, 1.0
	v_fmac_f32_e32 v3, v6, v3
	v_div_scale_f32 v6, vcc, v8, v1, v8
	v_mul_f32_e32 v7, v6, v3
	v_fma_f32 v9, -v2, v7, v6
	v_fmac_f32_e32 v7, v9, v3
	v_fma_f32 v2, -v2, v7, v6
	v_div_fmas_f32 v2, v2, v3, v7
	v_div_fixup_f32 v8, v2, v1, v8
	s_andn2_b64 vcc, exec, s[4:5]
	s_cbranch_vccnz .LBB228_31
.LBB228_34:
	s_load_dwordx2 s[8:9], s[0:1], 0x10
	v_mov_b32_e32 v1, 0
	v_or_b32_e32 v16, 4, v1
	v_or_b32_e32 v14, 8, v1
	;; [unrolled: 1-line block ×3, first 2 shown]
	v_add_u32_e32 v9, 16, v1
	v_add_u32_e32 v11, 20, v1
	v_or_b32_e32 v19, 1, v10
	v_or_b32_e32 v18, 0x80, v10
	;; [unrolled: 1-line block ×5, first 2 shown]
	s_cmp_eq_u32 s24, 1
	s_mov_b32 s10, 0
	s_cbranch_scc1 .LBB228_61
; %bb.35:
	v_ashrrev_i32_e32 v1, 31, v0
	s_waitcnt lgkmcnt(0)
	v_lshl_add_u64 v[2:3], v[0:1], 2, s[8:9]
	s_and_b32 s10, s24, 0x7ffffffe
	v_lshl_add_u64 v[2:3], v[2:3], 0, 4
	v_lshl_add_u64 v[6:7], v[4:5], 0, 4
	s_mov_b32 s11, 0
	s_branch .LBB228_37
.LBB228_36:                             ;   in Loop: Header=BB228_37 Depth=1
	s_or_b64 exec, exec, s[0:1]
	s_add_i32 s11, s11, 2
	v_lshl_add_u64 v[2:3], v[2:3], 0, 8
	s_cmp_eq_u32 s10, s11
	v_lshl_add_u64 v[6:7], v[6:7], 0, 8
	s_cbranch_scc1 .LBB228_61
.LBB228_37:                             ; =>This Inner Loop Header: Depth=1
	global_load_dword v20, v[6:7], off offset:-4
	v_mov_b32_e32 v1, 0
	s_waitcnt vmcnt(0)
	v_cmp_eq_u32_e32 vcc, v20, v10
	v_cmp_ne_u32_e64 s[0:1], v20, v10
	s_and_saveexec_b64 s[12:13], s[0:1]
	s_cbranch_execz .LBB228_47
; %bb.38:                               ;   in Loop: Header=BB228_37 Depth=1
	v_cmp_eq_u32_e64 s[0:1], v20, v19
	v_cmp_ne_u32_e64 s[2:3], v20, v19
	v_mov_b32_e32 v1, v16
	s_and_saveexec_b64 s[14:15], s[2:3]
	s_cbranch_execz .LBB228_46
; %bb.39:                               ;   in Loop: Header=BB228_37 Depth=1
	v_cmp_eq_u32_e64 s[2:3], v20, v18
	v_cmp_ne_u32_e64 s[4:5], v20, v18
	v_mov_b32_e32 v1, v14
	;; [unrolled: 6-line block ×4, first 2 shown]
	s_and_saveexec_b64 s[22:23], s[6:7]
	s_xor_b64 s[22:23], exec, s[22:23]
; %bb.42:                               ;   in Loop: Header=BB228_37 Depth=1
	v_cmp_eq_u32_e64 s[6:7], v20, v13
	s_andn2_b64 s[20:21], s[20:21], exec
	s_and_b64 s[6:7], s[6:7], exec
	s_or_b64 s[20:21], s[20:21], s[6:7]
	v_mov_b32_e32 v1, v11
; %bb.43:                               ;   in Loop: Header=BB228_37 Depth=1
	s_or_b64 exec, exec, s[22:23]
	s_andn2_b64 s[4:5], s[4:5], exec
	s_and_b64 s[6:7], s[20:21], exec
	s_or_b64 s[4:5], s[4:5], s[6:7]
.LBB228_44:                             ;   in Loop: Header=BB228_37 Depth=1
	s_or_b64 exec, exec, s[18:19]
	s_andn2_b64 s[2:3], s[2:3], exec
	s_and_b64 s[4:5], s[4:5], exec
	s_or_b64 s[2:3], s[2:3], s[4:5]
.LBB228_45:                             ;   in Loop: Header=BB228_37 Depth=1
	s_or_b64 exec, exec, s[16:17]
	s_andn2_b64 s[0:1], s[0:1], exec
	s_and_b64 s[2:3], s[2:3], exec
	s_or_b64 s[0:1], s[0:1], s[2:3]
.LBB228_46:                             ;   in Loop: Header=BB228_37 Depth=1
	s_or_b64 exec, exec, s[14:15]
	s_andn2_b64 s[2:3], vcc, exec
	s_and_b64 s[0:1], s[0:1], exec
	s_or_b64 vcc, s[2:3], s[0:1]
.LBB228_47:                             ;   in Loop: Header=BB228_37 Depth=1
	s_or_b64 exec, exec, s[12:13]
	s_and_saveexec_b64 s[0:1], vcc
	s_cbranch_execz .LBB228_49
; %bb.48:                               ;   in Loop: Header=BB228_37 Depth=1
	scratch_load_dword v1, v1, off
	v_add_u32_e32 v20, s11, v0
	v_ashrrev_i32_e32 v21, 31, v20
	v_lshl_add_u64 v[20:21], v[20:21], 2, s[8:9]
	s_waitcnt vmcnt(0)
	v_mul_f32_e32 v1, v8, v1
	global_store_dword v[20:21], v1, off
.LBB228_49:                             ;   in Loop: Header=BB228_37 Depth=1
	s_or_b64 exec, exec, s[0:1]
	global_load_dword v20, v[6:7], off
	v_mov_b32_e32 v1, 0
	s_waitcnt vmcnt(0)
	v_cmp_eq_u32_e64 s[4:5], v20, v10
	v_cmp_ne_u32_e32 vcc, v20, v10
	s_and_saveexec_b64 s[6:7], vcc
	s_cbranch_execz .LBB228_59
; %bb.50:                               ;   in Loop: Header=BB228_37 Depth=1
	v_cmp_eq_u32_e32 vcc, v20, v19
	v_cmp_ne_u32_e64 s[0:1], v20, v19
	v_mov_b32_e32 v1, v16
	s_and_saveexec_b64 s[12:13], s[0:1]
	s_cbranch_execz .LBB228_58
; %bb.51:                               ;   in Loop: Header=BB228_37 Depth=1
	v_cmp_eq_u32_e64 s[0:1], v20, v18
	v_cmp_ne_u32_e64 s[2:3], v20, v18
	v_mov_b32_e32 v1, v14
	s_and_saveexec_b64 s[14:15], s[2:3]
	s_cbranch_execz .LBB228_57
; %bb.52:                               ;   in Loop: Header=BB228_37 Depth=1
	v_cmp_eq_u32_e64 s[16:17], v20, v17
	;; [unrolled: 6-line block ×3, first 2 shown]
	v_cmp_ne_u32_e64 s[2:3], v20, v15
	v_mov_b32_e32 v1, v9
	s_and_saveexec_b64 s[22:23], s[2:3]
; %bb.54:                               ;   in Loop: Header=BB228_37 Depth=1
	v_cmp_eq_u32_e64 s[2:3], v20, v13
	s_andn2_b64 s[20:21], s[20:21], exec
	s_and_b64 s[2:3], s[2:3], exec
	s_or_b64 s[20:21], s[20:21], s[2:3]
	v_mov_b32_e32 v1, v11
; %bb.55:                               ;   in Loop: Header=BB228_37 Depth=1
	s_or_b64 exec, exec, s[22:23]
	s_andn2_b64 s[2:3], s[16:17], exec
	s_and_b64 s[16:17], s[20:21], exec
	s_or_b64 s[16:17], s[2:3], s[16:17]
.LBB228_56:                             ;   in Loop: Header=BB228_37 Depth=1
	s_or_b64 exec, exec, s[18:19]
	s_andn2_b64 s[0:1], s[0:1], exec
	s_and_b64 s[2:3], s[16:17], exec
	s_or_b64 s[0:1], s[0:1], s[2:3]
.LBB228_57:                             ;   in Loop: Header=BB228_37 Depth=1
	s_or_b64 exec, exec, s[14:15]
	s_andn2_b64 s[2:3], vcc, exec
	s_and_b64 s[0:1], s[0:1], exec
	s_or_b64 vcc, s[2:3], s[0:1]
.LBB228_58:                             ;   in Loop: Header=BB228_37 Depth=1
	s_or_b64 exec, exec, s[12:13]
	s_andn2_b64 s[0:1], s[4:5], exec
	s_and_b64 s[2:3], vcc, exec
	s_or_b64 s[4:5], s[0:1], s[2:3]
.LBB228_59:                             ;   in Loop: Header=BB228_37 Depth=1
	s_or_b64 exec, exec, s[6:7]
	s_and_saveexec_b64 s[0:1], s[4:5]
	s_cbranch_execz .LBB228_36
; %bb.60:                               ;   in Loop: Header=BB228_37 Depth=1
	scratch_load_dword v1, v1, off
	s_waitcnt vmcnt(0)
	v_mul_f32_e32 v1, v8, v1
	global_store_dword v[2:3], v1, off
	s_branch .LBB228_36
.LBB228_61:
	s_bitcmp0_b32 s24, 0
	s_mov_b32 s11, 0
	s_cbranch_scc1 .LBB228_31
; %bb.62:
	v_lshl_add_u64 v[2:3], s[10:11], 2, v[4:5]
	global_load_dword v1, v[2:3], off
	v_mov_b32_e32 v2, 0
	s_waitcnt vmcnt(0)
	v_cmp_eq_u32_e64 s[4:5], v1, v10
	v_cmp_ne_u32_e32 vcc, v1, v10
	s_and_saveexec_b64 s[6:7], vcc
	s_cbranch_execz .LBB228_72
; %bb.63:
	v_cmp_eq_u32_e32 vcc, v1, v19
	v_cmp_ne_u32_e64 s[0:1], v1, v19
	s_and_saveexec_b64 s[12:13], s[0:1]
	s_cbranch_execz .LBB228_71
; %bb.64:
	v_cmp_eq_u32_e64 s[0:1], v1, v18
	v_cmp_ne_u32_e64 s[2:3], v1, v18
	s_and_saveexec_b64 s[14:15], s[2:3]
	s_cbranch_execz .LBB228_70
; %bb.65:
	v_cmp_eq_u32_e64 s[16:17], v1, v17
	;; [unrolled: 5-line block ×3, first 2 shown]
	v_cmp_ne_u32_e64 s[2:3], v1, v15
	s_and_saveexec_b64 s[22:23], s[2:3]
; %bb.67:
	v_cmp_eq_u32_e64 s[2:3], v1, v13
	s_andn2_b64 s[20:21], s[20:21], exec
	s_and_b64 s[2:3], s[2:3], exec
	s_or_b64 s[20:21], s[20:21], s[2:3]
	v_mov_b32_e32 v9, v11
; %bb.68:
	s_or_b64 exec, exec, s[22:23]
	s_andn2_b64 s[2:3], s[16:17], exec
	s_and_b64 s[16:17], s[20:21], exec
	s_or_b64 s[16:17], s[2:3], s[16:17]
	v_mov_b32_e32 v12, v9
.LBB228_69:
	s_or_b64 exec, exec, s[18:19]
	s_andn2_b64 s[0:1], s[0:1], exec
	s_and_b64 s[2:3], s[16:17], exec
	s_or_b64 s[0:1], s[0:1], s[2:3]
	v_mov_b32_e32 v14, v12
.LBB228_70:
	s_or_b64 exec, exec, s[14:15]
	s_andn2_b64 s[2:3], vcc, exec
	s_and_b64 s[0:1], s[0:1], exec
	s_or_b64 vcc, s[2:3], s[0:1]
	v_mov_b32_e32 v16, v14
.LBB228_71:
	s_or_b64 exec, exec, s[12:13]
	s_andn2_b64 s[0:1], s[4:5], exec
	s_and_b64 s[2:3], vcc, exec
	s_or_b64 s[4:5], s[0:1], s[2:3]
	v_mov_b32_e32 v2, v16
.LBB228_72:
	s_or_b64 exec, exec, s[6:7]
	s_and_b64 exec, exec, s[4:5]
	s_cbranch_execz .LBB228_31
; %bb.73:
	scratch_load_dword v2, v2, off
	v_add_u32_e32 v0, s10, v0
	v_ashrrev_i32_e32 v1, 31, v0
	s_waitcnt lgkmcnt(0)
	v_lshl_add_u64 v[0:1], v[0:1], 2, s[8:9]
	s_waitcnt vmcnt(0)
	v_mul_f32_e32 v2, v8, v2
	global_store_dword v[0:1], v2, off
	s_endpgm
	.section	.rodata,"a",@progbits
	.p2align	6, 0x0
	.amdhsa_kernel _ZN4vllm3moe22topkGatingSoftplusSqrtILi6ELi384ELi4ELi4ELi64ELb1Ei6__halfEEvPKT6_PKbPfiPT5_PiiiibdPKfPKS9_SF_
		.amdhsa_group_segment_fixed_size 0
		.amdhsa_private_segment_fixed_size 32
		.amdhsa_kernarg_size 96
		.amdhsa_user_sgpr_count 2
		.amdhsa_user_sgpr_dispatch_ptr 0
		.amdhsa_user_sgpr_queue_ptr 0
		.amdhsa_user_sgpr_kernarg_segment_ptr 1
		.amdhsa_user_sgpr_dispatch_id 0
		.amdhsa_user_sgpr_kernarg_preload_length 0
		.amdhsa_user_sgpr_kernarg_preload_offset 0
		.amdhsa_user_sgpr_private_segment_size 0
		.amdhsa_uses_dynamic_stack 0
		.amdhsa_enable_private_segment 1
		.amdhsa_system_sgpr_workgroup_id_x 1
		.amdhsa_system_sgpr_workgroup_id_y 0
		.amdhsa_system_sgpr_workgroup_id_z 0
		.amdhsa_system_sgpr_workgroup_info 0
		.amdhsa_system_vgpr_workitem_id 1
		.amdhsa_next_free_vgpr 27
		.amdhsa_next_free_sgpr 25
		.amdhsa_accum_offset 28
		.amdhsa_reserve_vcc 1
		.amdhsa_float_round_mode_32 0
		.amdhsa_float_round_mode_16_64 0
		.amdhsa_float_denorm_mode_32 3
		.amdhsa_float_denorm_mode_16_64 3
		.amdhsa_dx10_clamp 1
		.amdhsa_ieee_mode 1
		.amdhsa_fp16_overflow 0
		.amdhsa_tg_split 0
		.amdhsa_exception_fp_ieee_invalid_op 0
		.amdhsa_exception_fp_denorm_src 0
		.amdhsa_exception_fp_ieee_div_zero 0
		.amdhsa_exception_fp_ieee_overflow 0
		.amdhsa_exception_fp_ieee_underflow 0
		.amdhsa_exception_fp_ieee_inexact 0
		.amdhsa_exception_int_div_zero 0
	.end_amdhsa_kernel
	.section	.text._ZN4vllm3moe22topkGatingSoftplusSqrtILi6ELi384ELi4ELi4ELi64ELb1Ei6__halfEEvPKT6_PKbPfiPT5_PiiiibdPKfPKS9_SF_,"axG",@progbits,_ZN4vllm3moe22topkGatingSoftplusSqrtILi6ELi384ELi4ELi4ELi64ELb1Ei6__halfEEvPKT6_PKbPfiPT5_PiiiibdPKfPKS9_SF_,comdat
.Lfunc_end228:
	.size	_ZN4vllm3moe22topkGatingSoftplusSqrtILi6ELi384ELi4ELi4ELi64ELb1Ei6__halfEEvPKT6_PKbPfiPT5_PiiiibdPKfPKS9_SF_, .Lfunc_end228-_ZN4vllm3moe22topkGatingSoftplusSqrtILi6ELi384ELi4ELi4ELi64ELb1Ei6__halfEEvPKT6_PKbPfiPT5_PiiiibdPKfPKS9_SF_
                                        ; -- End function
	.section	.AMDGPU.csdata,"",@progbits
; Kernel info:
; codeLenInByte = 4020
; NumSgprs: 31
; NumVgprs: 27
; NumAgprs: 0
; TotalNumVgprs: 27
; ScratchSize: 32
; MemoryBound: 0
; FloatMode: 240
; IeeeMode: 1
; LDSByteSize: 0 bytes/workgroup (compile time only)
; SGPRBlocks: 3
; VGPRBlocks: 3
; NumSGPRsForWavesPerEU: 31
; NumVGPRsForWavesPerEU: 27
; AccumOffset: 28
; Occupancy: 8
; WaveLimiterHint : 1
; COMPUTE_PGM_RSRC2:SCRATCH_EN: 1
; COMPUTE_PGM_RSRC2:USER_SGPR: 2
; COMPUTE_PGM_RSRC2:TRAP_HANDLER: 0
; COMPUTE_PGM_RSRC2:TGID_X_EN: 1
; COMPUTE_PGM_RSRC2:TGID_Y_EN: 0
; COMPUTE_PGM_RSRC2:TGID_Z_EN: 0
; COMPUTE_PGM_RSRC2:TIDIG_COMP_CNT: 1
; COMPUTE_PGM_RSRC3_GFX90A:ACCUM_OFFSET: 6
; COMPUTE_PGM_RSRC3_GFX90A:TG_SPLIT: 0
	.section	.text._ZN4vllm3moe22topkGatingSoftplusSqrtILi6ELi384ELi4ELi4ELi64ELb0Ei6__halfEEvPKT6_PKbPfiPT5_PiiiibdPKfPKS9_SF_,"axG",@progbits,_ZN4vllm3moe22topkGatingSoftplusSqrtILi6ELi384ELi4ELi4ELi64ELb0Ei6__halfEEvPKT6_PKbPfiPT5_PiiiibdPKfPKS9_SF_,comdat
	.protected	_ZN4vllm3moe22topkGatingSoftplusSqrtILi6ELi384ELi4ELi4ELi64ELb0Ei6__halfEEvPKT6_PKbPfiPT5_PiiiibdPKfPKS9_SF_ ; -- Begin function _ZN4vllm3moe22topkGatingSoftplusSqrtILi6ELi384ELi4ELi4ELi64ELb0Ei6__halfEEvPKT6_PKbPfiPT5_PiiiibdPKfPKS9_SF_
	.globl	_ZN4vllm3moe22topkGatingSoftplusSqrtILi6ELi384ELi4ELi4ELi64ELb0Ei6__halfEEvPKT6_PKbPfiPT5_PiiiibdPKfPKS9_SF_
	.p2align	8
	.type	_ZN4vllm3moe22topkGatingSoftplusSqrtILi6ELi384ELi4ELi4ELi64ELb0Ei6__halfEEvPKT6_PKbPfiPT5_PiiiibdPKfPKS9_SF_,@function
_ZN4vllm3moe22topkGatingSoftplusSqrtILi6ELi384ELi4ELi4ELi64ELb0Ei6__halfEEvPKT6_PKbPfiPT5_PiiiibdPKfPKS9_SF_: ; @_ZN4vllm3moe22topkGatingSoftplusSqrtILi6ELi384ELi4ELi4ELi64ELb0Ei6__halfEEvPKT6_PKbPfiPT5_PiiiibdPKfPKS9_SF_
; %bb.0:
	s_load_dword s30, s[0:1], 0x18
	v_and_b32_e32 v1, 0x3ff, v0
	s_lshl_b32 s2, s2, 2
	v_lshrrev_b32_e32 v2, 6, v1
	v_bfe_u32 v0, v0, 10, 10
	v_add3_u32 v6, s2, v0, v2
	s_waitcnt lgkmcnt(0)
	v_cmp_gt_i32_e32 vcc, s30, v6
	s_and_saveexec_b64 s[2:3], vcc
	s_cbranch_execz .LBB229_65
; %bb.1:
	s_load_dwordx4 s[4:7], s[0:1], 0x0
	s_load_dwordx2 s[20:21], s[0:1], 0x10
	s_waitcnt lgkmcnt(0)
	s_cmp_eq_u64 s[6:7], 0
	s_cbranch_scc1 .LBB229_3
; %bb.2:
	v_ashrrev_i32_e32 v7, 31, v6
	v_lshl_add_u64 v[2:3], s[6:7], 0, v[6:7]
	global_load_ubyte v0, v[2:3], off
	s_waitcnt vmcnt(0)
	v_and_b32_e32 v0, 1, v0
	v_cmp_eq_u32_e32 vcc, 1, v0
	s_xor_b64 s[2:3], vcc, -1
	s_orn2_b64 s[22:23], s[2:3], exec
	s_branch .LBB229_4
.LBB229_3:
	s_mov_b64 s[22:23], -1
.LBB229_4:
	s_movk_i32 s2, 0x180
	v_mul_lo_u32 v4, v6, s2
	v_mov_b32_e32 v2, s4
	v_mov_b32_e32 v3, s5
	v_ashrrev_i32_e32 v5, 31, v4
	v_and_b32_e32 v7, 63, v1
	v_lshl_add_u64 v[2:3], v[4:5], 1, v[2:3]
	v_mov_b32_e32 v1, 0
	v_lshlrev_b32_e32 v0, 2, v7
	v_lshl_add_u64 v[8:9], v[2:3], 0, v[0:1]
	global_load_dword v1, v[8:9], off
	global_load_dword v3, v[8:9], off offset:256
	global_load_dword v5, v[8:9], off offset:512
	s_mov_b32 s16, 0x800000
	v_mov_b32_e32 v4, 0x4f800000
	s_mov_b32 s13, 0x3f317217
	s_mov_b32 s14, 0x7f800000
	v_mov_b32_e32 v9, 0x41b17218
	s_movk_i32 s12, 0x4d00
	s_mov_b32 s15, 0xf800000
	s_load_dwordx4 s[8:11], s[0:1], 0x40
	s_waitcnt lgkmcnt(0)
	s_cmp_lg_u64 s[10:11], 0
	s_cselect_b64 s[6:7], -1, 0
	s_and_b64 s[2:3], exec, s[6:7]
	s_waitcnt vmcnt(2)
	v_cvt_f32_f16_e32 v0, v1
	v_mul_f32_e32 v2, 0x3fb8aa3b, v0
	v_exp_f32_e32 v8, v2
	v_mov_b32_e32 v2, 0x260
	v_add_f32_e32 v8, 1.0, v8
	v_cmp_gt_f32_e32 vcc, s16, v8
	s_nop 1
	v_cndmask_b32_e32 v10, 1.0, v4, vcc
	v_mul_f32_e32 v8, v8, v10
	v_log_f32_e32 v11, v8
	v_cndmask_b32_e32 v12, 0, v9, vcc
	v_lshlrev_b32_e32 v10, 1, v7
	v_lshlrev_b32_e32 v8, 2, v10
	v_mul_f32_e32 v13, 0x3f317217, v11
	v_fma_f32 v13, v11, s13, -v13
	v_fmac_f32_e32 v13, 0x3377d1cf, v11
	v_fmac_f32_e32 v13, 0x3f317217, v11
	v_cmp_lt_f32_e64 vcc, |v11|, s14
	s_nop 1
	v_cndmask_b32_e32 v11, v11, v13, vcc
	v_sub_f32_e32 v11, v11, v12
	v_cmp_lt_f16_e32 vcc, s12, v1
	s_nop 1
	v_cndmask_b32_e32 v0, v11, v0, vcc
	v_mul_f32_e32 v11, 0x4f800000, v0
	v_cmp_gt_f32_e32 vcc, s15, v0
	s_nop 1
	v_cndmask_b32_e32 v0, v0, v11, vcc
	v_sqrt_f32_e32 v11, v0
	s_nop 0
	v_add_u32_e32 v12, -1, v11
	v_add_u32_e32 v13, 1, v11
	v_fma_f32 v14, -v12, v11, v0
	v_fma_f32 v15, -v13, v11, v0
	v_cmp_ge_f32_e64 s[4:5], 0, v14
	s_nop 1
	v_cndmask_b32_e64 v11, v11, v12, s[4:5]
	v_cmp_lt_f32_e64 s[4:5], 0, v15
	s_nop 1
	v_cndmask_b32_e64 v11, v11, v13, s[4:5]
	v_mul_f32_e32 v12, 0x37800000, v11
	v_cndmask_b32_e32 v11, v11, v12, vcc
	v_cmp_class_f32_e32 vcc, v0, v2
	s_nop 1
	v_cndmask_b32_e32 v0, v11, v0, vcc
	s_mov_b64 vcc, s[2:3]
	s_cbranch_vccz .LBB229_6
; %bb.5:
	global_load_dword v11, v8, s[10:11]
	s_waitcnt vmcnt(0)
	v_add_f32_e32 v0, v0, v11
.LBB229_6:
	v_cvt_f32_f16_sdwa v11, v1 dst_sel:DWORD dst_unused:UNUSED_PAD src0_sel:WORD_1
	v_mul_f32_e32 v12, 0x3fb8aa3b, v11
	v_exp_f32_e32 v12, v12
	s_nop 0
	v_add_f32_e32 v12, 1.0, v12
	v_cmp_gt_f32_e32 vcc, s16, v12
	s_nop 1
	v_cndmask_b32_e32 v4, 1.0, v4, vcc
	v_mul_f32_e32 v4, v12, v4
	v_log_f32_e32 v4, v4
	v_cndmask_b32_e32 v9, 0, v9, vcc
	v_mul_f32_e32 v12, 0x3f317217, v4
	v_fma_f32 v12, v4, s13, -v12
	v_fmac_f32_e32 v12, 0x3377d1cf, v4
	v_fmac_f32_e32 v12, 0x3f317217, v4
	v_cmp_lt_f32_e64 vcc, |v4|, s14
	s_nop 1
	v_cndmask_b32_e32 v4, v4, v12, vcc
	v_sub_f32_e32 v4, v4, v9
	v_cmp_gt_f16_sdwa vcc, v1, s12 src0_sel:WORD_1 src1_sel:DWORD
	v_cndmask_b32_e64 v9, 0, 1, s[6:7]
	v_cmp_ne_u32_e64 s[2:3], 1, v9
	v_cndmask_b32_e32 v1, v4, v11, vcc
	v_mul_f32_e32 v4, 0x4f800000, v1
	v_cmp_gt_f32_e64 s[4:5], s15, v1
	s_andn2_b64 vcc, exec, s[6:7]
	s_nop 0
	v_cndmask_b32_e64 v1, v1, v4, s[4:5]
	v_sqrt_f32_e32 v4, v1
	s_nop 0
	v_add_u32_e32 v9, -1, v4
	v_add_u32_e32 v11, 1, v4
	v_fma_f32 v12, -v9, v4, v1
	v_fma_f32 v13, -v11, v4, v1
	v_cmp_ge_f32_e64 s[6:7], 0, v12
	s_nop 1
	v_cndmask_b32_e64 v4, v4, v9, s[6:7]
	v_cmp_lt_f32_e64 s[6:7], 0, v13
	s_nop 1
	v_cndmask_b32_e64 v4, v4, v11, s[6:7]
	v_mul_f32_e32 v9, 0x37800000, v4
	v_cndmask_b32_e64 v4, v4, v9, s[4:5]
	v_cmp_class_f32_e64 s[4:5], v1, v2
	s_nop 1
	v_cndmask_b32_e64 v1, v4, v1, s[4:5]
	s_cbranch_vccnz .LBB229_8
; %bb.7:
	global_load_dword v2, v8, s[10:11] offset:4
	s_waitcnt vmcnt(0)
	v_add_f32_e32 v1, v1, v2
.LBB229_8:
	s_waitcnt vmcnt(1)
	v_cvt_f32_f16_e32 v2, v3
	s_mov_b32 s12, 0x800000
	v_mov_b32_e32 v9, 0x4f800000
	s_mov_b32 s7, 0x3f317217
	v_mul_f32_e32 v4, 0x3fb8aa3b, v2
	v_exp_f32_e32 v4, v4
	s_mov_b32 s13, 0x7f800000
	s_movk_i32 s6, 0x4d00
	s_mov_b32 s14, 0xf800000
	v_add_f32_e32 v4, 1.0, v4
	v_cmp_gt_f32_e32 vcc, s12, v4
	s_nop 1
	v_cndmask_b32_e32 v11, 1.0, v9, vcc
	v_mul_f32_e32 v4, v4, v11
	v_log_f32_e32 v4, v4
	v_mov_b32_e32 v11, 0x41b17218
	v_cndmask_b32_e32 v12, 0, v11, vcc
	v_mul_f32_e32 v13, 0x3f317217, v4
	v_fma_f32 v13, v4, s7, -v13
	v_fmac_f32_e32 v13, 0x3377d1cf, v4
	v_fmac_f32_e32 v13, 0x3f317217, v4
	v_cmp_lt_f32_e64 vcc, |v4|, s13
	s_nop 1
	v_cndmask_b32_e32 v4, v4, v13, vcc
	v_sub_f32_e32 v4, v4, v12
	v_cmp_lt_f16_e32 vcc, s6, v3
	s_nop 1
	v_cndmask_b32_e32 v2, v4, v2, vcc
	v_mul_f32_e32 v4, 0x4f800000, v2
	v_cmp_gt_f32_e32 vcc, s14, v2
	s_nop 1
	v_cndmask_b32_e32 v2, v2, v4, vcc
	v_sqrt_f32_e32 v4, v2
	s_nop 0
	v_add_u32_e32 v12, -1, v4
	v_fma_f32 v13, -v12, v4, v2
	v_cmp_ge_f32_e64 s[4:5], 0, v13
	v_add_u32_e32 v13, 1, v4
	s_nop 0
	v_cndmask_b32_e64 v12, v4, v12, s[4:5]
	v_fma_f32 v4, -v13, v4, v2
	v_cmp_lt_f32_e64 s[4:5], 0, v4
	s_nop 1
	v_cndmask_b32_e64 v4, v12, v13, s[4:5]
	v_mul_f32_e32 v12, 0x37800000, v4
	v_cndmask_b32_e32 v12, v4, v12, vcc
	v_mov_b32_e32 v4, 0x260
	v_cmp_class_f32_e64 s[4:5], v2, v4
	s_and_b64 vcc, exec, s[2:3]
	s_nop 0
	v_cndmask_b32_e64 v2, v12, v2, s[4:5]
	s_cbranch_vccnz .LBB229_10
; %bb.9:
	global_load_dword v12, v8, s[10:11] offset:512
	s_waitcnt vmcnt(0)
	v_add_f32_e32 v2, v2, v12
.LBB229_10:
	v_cvt_f32_f16_sdwa v12, v3 dst_sel:DWORD dst_unused:UNUSED_PAD src0_sel:WORD_1
	v_mul_f32_e32 v13, 0x3fb8aa3b, v12
	v_exp_f32_e32 v13, v13
	s_nop 0
	v_add_f32_e32 v13, 1.0, v13
	v_cmp_gt_f32_e32 vcc, s12, v13
	s_nop 1
	v_cndmask_b32_e32 v9, 1.0, v9, vcc
	v_mul_f32_e32 v9, v13, v9
	v_log_f32_e32 v9, v9
	v_cndmask_b32_e32 v11, 0, v11, vcc
	v_mul_f32_e32 v13, 0x3f317217, v9
	v_fma_f32 v13, v9, s7, -v13
	v_fmac_f32_e32 v13, 0x3377d1cf, v9
	v_fmac_f32_e32 v13, 0x3f317217, v9
	v_cmp_lt_f32_e64 vcc, |v9|, s13
	s_nop 1
	v_cndmask_b32_e32 v9, v9, v13, vcc
	v_sub_f32_e32 v9, v9, v11
	v_cmp_gt_f16_sdwa vcc, v3, s6 src0_sel:WORD_1 src1_sel:DWORD
	s_nop 1
	v_cndmask_b32_e32 v3, v9, v12, vcc
	v_mul_f32_e32 v9, 0x4f800000, v3
	v_cmp_gt_f32_e64 s[4:5], s14, v3
	s_and_b64 vcc, exec, s[2:3]
	s_nop 0
	v_cndmask_b32_e64 v3, v3, v9, s[4:5]
	v_sqrt_f32_e32 v9, v3
	s_nop 0
	v_add_u32_e32 v11, -1, v9
	v_add_u32_e32 v12, 1, v9
	v_fma_f32 v13, -v11, v9, v3
	v_fma_f32 v14, -v12, v9, v3
	v_cmp_ge_f32_e64 s[6:7], 0, v13
	s_nop 1
	v_cndmask_b32_e64 v9, v9, v11, s[6:7]
	v_cmp_lt_f32_e64 s[6:7], 0, v14
	s_nop 1
	v_cndmask_b32_e64 v9, v9, v12, s[6:7]
	v_mul_f32_e32 v11, 0x37800000, v9
	v_cndmask_b32_e64 v9, v9, v11, s[4:5]
	v_cmp_class_f32_e64 s[4:5], v3, v4
	s_nop 1
	v_cndmask_b32_e64 v3, v9, v3, s[4:5]
	s_cbranch_vccnz .LBB229_12
; %bb.11:
	global_load_dword v4, v8, s[10:11] offset:516
	s_waitcnt vmcnt(0)
	v_add_f32_e32 v3, v3, v4
.LBB229_12:
	s_waitcnt vmcnt(0)
	v_cvt_f32_f16_e32 v4, v5
	v_mov_b32_e32 v11, 0x4f800000
	s_mov_b32 s7, 0x3f317217
	s_movk_i32 s6, 0x4d00
	v_mul_f32_e32 v9, 0x3fb8aa3b, v4
	v_exp_f32_e32 v9, v9
	s_nop 0
	v_add_f32_e32 v9, 1.0, v9
	v_cmp_gt_f32_e32 vcc, s12, v9
	s_nop 1
	v_cndmask_b32_e32 v12, 1.0, v11, vcc
	v_mul_f32_e32 v9, v9, v12
	v_log_f32_e32 v9, v9
	v_mov_b32_e32 v12, 0x41b17218
	v_cndmask_b32_e32 v13, 0, v12, vcc
	v_mul_f32_e32 v14, 0x3f317217, v9
	v_fma_f32 v14, v9, s7, -v14
	v_fmac_f32_e32 v14, 0x3377d1cf, v9
	v_fmac_f32_e32 v14, 0x3f317217, v9
	v_cmp_lt_f32_e64 vcc, |v9|, s13
	s_nop 1
	v_cndmask_b32_e32 v9, v9, v14, vcc
	v_sub_f32_e32 v9, v9, v13
	v_cmp_lt_f16_e32 vcc, s6, v5
	s_nop 1
	v_cndmask_b32_e32 v4, v9, v4, vcc
	v_mul_f32_e32 v9, 0x4f800000, v4
	v_cmp_gt_f32_e32 vcc, s14, v4
	s_nop 1
	v_cndmask_b32_e32 v4, v4, v9, vcc
	v_sqrt_f32_e32 v9, v4
	s_nop 0
	v_add_u32_e32 v13, -1, v9
	v_fma_f32 v14, -v13, v9, v4
	v_cmp_ge_f32_e64 s[4:5], 0, v14
	v_add_u32_e32 v14, 1, v9
	s_nop 0
	v_cndmask_b32_e64 v13, v9, v13, s[4:5]
	v_fma_f32 v9, -v14, v9, v4
	v_cmp_lt_f32_e64 s[4:5], 0, v9
	s_nop 1
	v_cndmask_b32_e64 v9, v13, v14, s[4:5]
	v_mul_f32_e32 v13, 0x37800000, v9
	v_cndmask_b32_e32 v13, v9, v13, vcc
	v_mov_b32_e32 v9, 0x260
	v_cmp_class_f32_e64 s[4:5], v4, v9
	s_and_b64 vcc, exec, s[2:3]
	s_nop 0
	v_cndmask_b32_e64 v4, v13, v4, s[4:5]
	s_cbranch_vccnz .LBB229_14
; %bb.13:
	global_load_dword v13, v8, s[10:11] offset:1024
	s_waitcnt vmcnt(0)
	v_add_f32_e32 v4, v4, v13
.LBB229_14:
	v_cvt_f32_f16_sdwa v13, v5 dst_sel:DWORD dst_unused:UNUSED_PAD src0_sel:WORD_1
	v_mul_f32_e32 v14, 0x3fb8aa3b, v13
	v_exp_f32_e32 v14, v14
	s_nop 0
	v_add_f32_e32 v14, 1.0, v14
	v_cmp_gt_f32_e32 vcc, s12, v14
	s_nop 1
	v_cndmask_b32_e32 v11, 1.0, v11, vcc
	v_mul_f32_e32 v11, v14, v11
	v_log_f32_e32 v11, v11
	v_cndmask_b32_e32 v12, 0, v12, vcc
	v_mul_f32_e32 v14, 0x3f317217, v11
	v_fma_f32 v14, v11, s7, -v14
	v_fmac_f32_e32 v14, 0x3377d1cf, v11
	v_fmac_f32_e32 v14, 0x3f317217, v11
	v_cmp_lt_f32_e64 vcc, |v11|, s13
	s_nop 1
	v_cndmask_b32_e32 v11, v11, v14, vcc
	v_sub_f32_e32 v11, v11, v12
	v_cmp_gt_f16_sdwa vcc, v5, s6 src0_sel:WORD_1 src1_sel:DWORD
	s_nop 1
	v_cndmask_b32_e32 v5, v11, v13, vcc
	v_mul_f32_e32 v11, 0x4f800000, v5
	v_cmp_gt_f32_e64 s[4:5], s14, v5
	s_and_b64 vcc, exec, s[2:3]
	s_nop 0
	v_cndmask_b32_e64 v5, v5, v11, s[4:5]
	v_sqrt_f32_e32 v11, v5
	s_nop 0
	v_add_u32_e32 v12, -1, v11
	v_add_u32_e32 v13, 1, v11
	v_fma_f32 v14, -v12, v11, v5
	v_fma_f32 v15, -v13, v11, v5
	v_cmp_ge_f32_e64 s[6:7], 0, v14
	s_nop 1
	v_cndmask_b32_e64 v11, v11, v12, s[6:7]
	v_cmp_lt_f32_e64 s[6:7], 0, v15
	s_nop 1
	v_cndmask_b32_e64 v11, v11, v13, s[6:7]
	v_mul_f32_e32 v12, 0x37800000, v11
	v_cndmask_b32_e64 v11, v11, v12, s[4:5]
	v_cmp_class_f32_e64 s[4:5], v5, v9
	s_nop 1
	v_cndmask_b32_e64 v5, v11, v5, s[4:5]
	s_cbranch_vccnz .LBB229_16
; %bb.15:
	global_load_dword v8, v8, s[10:11] offset:1028
	s_waitcnt vmcnt(0)
	v_add_f32_e32 v5, v5, v8
.LBB229_16:
	s_load_dwordx4 s[12:15], s[0:1], 0x30
	s_mov_b32 s31, 0
	v_cmp_eq_u32_e64 s[6:7], 0, v7
	s_waitcnt lgkmcnt(0)
	s_bitcmp1_b32 s15, 0
	s_cselect_b64 s[4:5], -1, 0
	s_cmp_gt_i32 s12, 0
	s_cselect_b64 s[24:25], -1, 0
	s_and_b64 vcc, exec, s[24:25]
	s_cbranch_vccz .LBB229_51
; %bb.17:
	v_mbcnt_lo_u32_b32 v8, -1, 0
	v_mbcnt_hi_u32_b32 v8, -1, v8
	v_and_b32_e32 v9, 64, v8
	v_add_u32_e32 v9, 64, v9
	v_xor_b32_e32 v11, 32, v8
	v_cmp_lt_i32_e32 vcc, v11, v9
	s_load_dwordx4 s[16:19], s[0:1], 0x20
	v_mul_lo_u32 v12, v6, s12
	v_cndmask_b32_e32 v11, v8, v11, vcc
	v_lshlrev_b32_e32 v13, 2, v11
	v_xor_b32_e32 v11, 16, v8
	v_cmp_lt_i32_e32 vcc, v11, v9
	v_mov_b32_e32 v19, 0x80
	v_mov_b32_e32 v20, 0x81
	v_cndmask_b32_e32 v11, v8, v11, vcc
	v_lshlrev_b32_e32 v14, 2, v11
	v_xor_b32_e32 v11, 8, v8
	v_cmp_lt_i32_e32 vcc, v11, v9
	v_mov_b32_e32 v21, 0x100
	v_mov_b32_e32 v22, 0x101
	;; [unrolled: 6-line block ×3, first 2 shown]
	v_cndmask_b32_e32 v11, v8, v11, vcc
	v_lshlrev_b32_e32 v16, 2, v11
	v_xor_b32_e32 v11, 2, v8
	v_cmp_lt_i32_e32 vcc, v11, v9
	v_mov_b32_e32 v25, v6
	s_nop 0
	v_cndmask_b32_e32 v11, v8, v11, vcc
	v_lshlrev_b32_e32 v17, 2, v11
	v_xor_b32_e32 v11, 1, v8
	v_cmp_lt_i32_e32 vcc, v11, v9
	s_nop 1
	v_cndmask_b32_e32 v8, v8, v11, vcc
	v_lshlrev_b32_e32 v18, 2, v8
	v_mov_b32_e32 v11, 0
	s_branch .LBB229_20
.LBB229_18:                             ;   in Loop: Header=BB229_20 Depth=1
	s_or_b64 exec, exec, s[0:1]
.LBB229_19:                             ;   in Loop: Header=BB229_20 Depth=1
	s_cmp_eq_u32 s12, s31
	v_add_u32_e32 v25, s30, v25
	s_cbranch_scc1 .LBB229_52
.LBB229_20:                             ; =>This Inner Loop Header: Depth=1
	v_cmp_gt_f32_e32 vcc, v1, v0
	s_nop 1
	v_cndmask_b32_e32 v9, v0, v1, vcc
	v_cndmask_b32_e64 v8, 0, 1, vcc
	v_cmp_gt_f32_e32 vcc, v2, v9
	s_nop 1
	v_cndmask_b32_e32 v9, v9, v2, vcc
	v_cndmask_b32_e32 v8, v8, v19, vcc
	v_cmp_gt_f32_e32 vcc, v3, v9
	s_nop 1
	v_cndmask_b32_e32 v9, v9, v3, vcc
	v_cndmask_b32_e32 v8, v8, v20, vcc
	;; [unrolled: 4-line block ×4, first 2 shown]
	ds_bpermute_b32 v9, v13, v26
	v_or_b32_e32 v8, v10, v8
	s_waitcnt lgkmcnt(0)
	ds_bpermute_b32 v27, v13, v8
	s_waitcnt lgkmcnt(0)
	v_cmp_lt_f32_e64 s[26:27], v26, v9
	v_cmp_nlt_f32_e32 vcc, v26, v9
	s_and_saveexec_b64 s[28:29], vcc
; %bb.21:                               ;   in Loop: Header=BB229_20 Depth=1
	v_cmp_eq_f32_e32 vcc, v26, v9
	v_cmp_lt_i32_e64 s[0:1], v27, v8
	s_and_b64 s[0:1], vcc, s[0:1]
	s_andn2_b64 s[26:27], s[26:27], exec
	s_and_b64 s[0:1], s[0:1], exec
	s_or_b64 s[26:27], s[26:27], s[0:1]
; %bb.22:                               ;   in Loop: Header=BB229_20 Depth=1
	s_or_b64 exec, exec, s[28:29]
	s_and_saveexec_b64 s[0:1], s[26:27]
; %bb.23:                               ;   in Loop: Header=BB229_20 Depth=1
	v_mov_b32_e32 v26, v9
	v_mov_b32_e32 v8, v27
; %bb.24:                               ;   in Loop: Header=BB229_20 Depth=1
	s_or_b64 exec, exec, s[0:1]
	ds_bpermute_b32 v9, v14, v26
	ds_bpermute_b32 v27, v14, v8
	s_waitcnt lgkmcnt(1)
	v_cmp_lt_f32_e64 s[26:27], v26, v9
	v_cmp_nlt_f32_e32 vcc, v26, v9
	s_and_saveexec_b64 s[28:29], vcc
	s_cbranch_execz .LBB229_26
; %bb.25:                               ;   in Loop: Header=BB229_20 Depth=1
	v_cmp_eq_f32_e32 vcc, v26, v9
	s_waitcnt lgkmcnt(0)
	v_cmp_lt_i32_e64 s[0:1], v27, v8
	s_and_b64 s[0:1], vcc, s[0:1]
	s_andn2_b64 s[26:27], s[26:27], exec
	s_and_b64 s[0:1], s[0:1], exec
	s_or_b64 s[26:27], s[26:27], s[0:1]
.LBB229_26:                             ;   in Loop: Header=BB229_20 Depth=1
	s_or_b64 exec, exec, s[28:29]
	s_and_saveexec_b64 s[0:1], s[26:27]
	s_cbranch_execz .LBB229_28
; %bb.27:                               ;   in Loop: Header=BB229_20 Depth=1
	v_mov_b32_e32 v26, v9
	s_waitcnt lgkmcnt(0)
	v_mov_b32_e32 v8, v27
.LBB229_28:                             ;   in Loop: Header=BB229_20 Depth=1
	s_or_b64 exec, exec, s[0:1]
	ds_bpermute_b32 v9, v15, v26
	s_waitcnt lgkmcnt(1)
	ds_bpermute_b32 v27, v15, v8
	s_waitcnt lgkmcnt(1)
	v_cmp_lt_f32_e64 s[26:27], v26, v9
	v_cmp_nlt_f32_e32 vcc, v26, v9
	s_and_saveexec_b64 s[28:29], vcc
	s_cbranch_execz .LBB229_30
; %bb.29:                               ;   in Loop: Header=BB229_20 Depth=1
	v_cmp_eq_f32_e32 vcc, v26, v9
	s_waitcnt lgkmcnt(0)
	v_cmp_lt_i32_e64 s[0:1], v27, v8
	s_and_b64 s[0:1], vcc, s[0:1]
	s_andn2_b64 s[26:27], s[26:27], exec
	s_and_b64 s[0:1], s[0:1], exec
	s_or_b64 s[26:27], s[26:27], s[0:1]
.LBB229_30:                             ;   in Loop: Header=BB229_20 Depth=1
	s_or_b64 exec, exec, s[28:29]
	s_and_saveexec_b64 s[0:1], s[26:27]
	s_cbranch_execz .LBB229_32
; %bb.31:                               ;   in Loop: Header=BB229_20 Depth=1
	v_mov_b32_e32 v26, v9
	s_waitcnt lgkmcnt(0)
	v_mov_b32_e32 v8, v27
.LBB229_32:                             ;   in Loop: Header=BB229_20 Depth=1
	s_or_b64 exec, exec, s[0:1]
	ds_bpermute_b32 v9, v16, v26
	s_waitcnt lgkmcnt(1)
	;; [unrolled: 26-line block ×4, first 2 shown]
	ds_bpermute_b32 v27, v18, v8
	s_waitcnt lgkmcnt(1)
	v_cmp_lt_f32_e64 s[26:27], v26, v9
	v_cmp_nlt_f32_e32 vcc, v26, v9
	s_and_saveexec_b64 s[28:29], vcc
	s_cbranch_execnz .LBB229_44
; %bb.41:                               ;   in Loop: Header=BB229_20 Depth=1
	s_or_b64 exec, exec, s[28:29]
	s_and_saveexec_b64 s[0:1], s[26:27]
	s_cbranch_execnz .LBB229_45
.LBB229_42:                             ;   in Loop: Header=BB229_20 Depth=1
	s_or_b64 exec, exec, s[0:1]
	s_and_saveexec_b64 s[26:27], s[6:7]
	s_cbranch_execnz .LBB229_46
.LBB229_43:                             ;   in Loop: Header=BB229_20 Depth=1
	s_or_b64 exec, exec, s[26:27]
	s_add_i32 s31, s31, 1
	s_cmp_ge_i32 s31, s12
	s_cbranch_scc1 .LBB229_19
	s_branch .LBB229_49
.LBB229_44:                             ;   in Loop: Header=BB229_20 Depth=1
	v_cmp_eq_f32_e32 vcc, v26, v9
	s_waitcnt lgkmcnt(0)
	v_cmp_lt_i32_e64 s[0:1], v27, v8
	s_and_b64 s[0:1], vcc, s[0:1]
	s_andn2_b64 s[26:27], s[26:27], exec
	s_and_b64 s[0:1], s[0:1], exec
	s_or_b64 s[26:27], s[26:27], s[0:1]
	s_or_b64 exec, exec, s[28:29]
	s_and_saveexec_b64 s[0:1], s[26:27]
	s_cbranch_execz .LBB229_42
.LBB229_45:                             ;   in Loop: Header=BB229_20 Depth=1
	s_waitcnt lgkmcnt(0)
	v_mov_b32_e32 v8, v27
	v_mov_b32_e32 v26, v9
	s_or_b64 exec, exec, s[0:1]
	s_and_saveexec_b64 s[26:27], s[6:7]
	s_cbranch_execz .LBB229_43
.LBB229_46:                             ;   in Loop: Header=BB229_20 Depth=1
	s_and_b64 vcc, exec, s[2:3]
	s_cbranch_vccnz .LBB229_48
; %bb.47:                               ;   in Loop: Header=BB229_20 Depth=1
	v_ashrrev_i32_e32 v9, 31, v8
	v_lshl_add_u64 v[28:29], v[8:9], 2, s[10:11]
	global_load_dword v9, v[28:29], off
	s_waitcnt vmcnt(0)
	v_sub_f32_e32 v26, v26, v9
.LBB229_48:                             ;   in Loop: Header=BB229_20 Depth=1
	v_add_u32_e32 v28, s31, v12
	v_cmp_le_i32_e32 vcc, s13, v8
	v_cmp_gt_i32_e64 s[0:1], s14, v8
	v_ashrrev_i32_e32 v29, 31, v28
	s_and_b64 s[0:1], vcc, s[0:1]
	v_lshlrev_b64 v[28:29], 2, v[28:29]
	v_lshl_add_u64 v[30:31], s[20:21], 0, v[28:29]
	v_subrev_u32_e32 v9, s13, v8
	s_and_b64 vcc, s[22:23], s[0:1]
	global_store_dword v[30:31], v26, off
	v_cndmask_b32_e32 v9, v23, v9, vcc
	v_lshl_add_u64 v[30:31], s[16:17], 0, v[28:29]
	global_store_dword v[30:31], v9, off
	v_add_f32_e32 v9, v11, v26
	v_lshl_add_u64 v[28:29], s[18:19], 0, v[28:29]
	v_cndmask_b32_e64 v11, v11, v9, s[4:5]
	global_store_dword v[28:29], v25, off
	s_or_b64 exec, exec, s[26:27]
	s_add_i32 s31, s31, 1
	s_cmp_ge_i32 s31, s12
	s_cbranch_scc1 .LBB229_19
.LBB229_49:                             ;   in Loop: Header=BB229_20 Depth=1
	v_lshrrev_b32_e32 v9, 31, v8
	v_add_u32_e32 v26, v8, v9
	v_ashrrev_i32_e32 v9, 1, v26
	v_ashrrev_i32_e32 v26, 31, v26
	v_lshrrev_b32_e32 v26, 26, v26
	v_add_u32_e32 v26, v9, v26
	v_and_b32_e32 v26, 0xffffffc0, v26
	v_sub_u32_e32 v26, v9, v26
	v_cmp_eq_u32_e32 vcc, v7, v26
	s_and_saveexec_b64 s[0:1], vcc
	s_cbranch_execz .LBB229_18
; %bb.50:                               ;   in Loop: Header=BB229_20 Depth=1
	v_ashrrev_i32_e32 v26, 31, v8
	v_lshrrev_b32_e32 v26, 25, v26
	v_add_u32_e32 v26, v8, v26
	v_lshlrev_b32_e32 v9, 1, v9
	v_ashrrev_i32_e32 v26, 7, v26
	v_sub_u32_e32 v8, v8, v9
	v_lshl_add_u32 v8, v26, 1, v8
	v_cmp_ne_u32_e32 vcc, 5, v8
	s_nop 1
	v_cndmask_b32_e32 v5, v24, v5, vcc
	v_cmp_ne_u32_e32 vcc, 4, v8
	s_nop 1
	v_cndmask_b32_e32 v4, v24, v4, vcc
	;; [unrolled: 3-line block ×6, first 2 shown]
	s_branch .LBB229_18
.LBB229_51:
	v_mov_b32_e32 v11, 0
.LBB229_52:
	v_cmp_eq_u32_e32 vcc, 0, v7
	s_and_b64 exec, exec, vcc
	s_cbranch_execz .LBB229_65
; %bb.53:
	s_andn2_b64 vcc, exec, s[4:5]
	v_cvt_f32_f64_e32 v0, s[8:9]
	s_cbranch_vccnz .LBB229_55
; %bb.54:
	v_cmp_lt_f32_e32 vcc, 0, v11
	s_nop 1
	v_cndmask_b32_e32 v1, 1.0, v11, vcc
	v_div_scale_f32 v2, s[0:1], v1, v1, v0
	v_rcp_f32_e32 v3, v2
	s_nop 0
	v_fma_f32 v4, -v2, v3, 1.0
	v_fmac_f32_e32 v3, v4, v3
	v_div_scale_f32 v4, vcc, v0, v1, v0
	v_mul_f32_e32 v5, v4, v3
	v_fma_f32 v7, -v2, v5, v4
	v_fmac_f32_e32 v5, v7, v3
	v_fma_f32 v2, -v2, v5, v4
	v_div_fmas_f32 v2, v2, v3, v5
	v_div_fixup_f32 v0, v2, v1, v0
.LBB229_55:
	s_andn2_b64 vcc, exec, s[24:25]
	s_cbranch_vccnz .LBB229_65
; %bb.56:
	v_mul_lo_u32 v2, v6, s12
	s_cmp_gt_u32 s12, 3
	v_ashrrev_i32_e32 v3, 31, v2
	s_cbranch_scc0 .LBB229_60
; %bb.57:
	s_and_b32 s0, s12, 0x7ffffffc
	v_lshl_add_u64 v[4:5], v[2:3], 2, s[20:21]
	v_mov_b32_e32 v1, v0
	v_lshl_add_u64 v[4:5], v[4:5], 0, 8
	s_mov_b32 s1, s0
.LBB229_58:                             ; =>This Inner Loop Header: Depth=1
	global_load_dwordx4 v[6:9], v[4:5], off offset:-8
	s_add_i32 s1, s1, -4
	s_cmp_lg_u32 s1, 0
	s_waitcnt vmcnt(0)
	v_pk_mul_f32 v[6:7], v[0:1], v[6:7]
	v_pk_mul_f32 v[8:9], v[0:1], v[8:9]
	global_store_dwordx4 v[4:5], v[6:9], off offset:-8
	v_lshl_add_u64 v[4:5], v[4:5], 0, 16
	s_cbranch_scc1 .LBB229_58
; %bb.59:
	s_cmp_lg_u32 s0, s12
	s_cselect_b64 s[2:3], -1, 0
	s_branch .LBB229_62
.LBB229_60:
	s_mov_b64 s[2:3], 0
                                        ; implicit-def: $sgpr0
	s_cbranch_execz .LBB229_62
; %bb.61:
	s_mov_b64 s[2:3], -1
	s_mov_b32 s0, 0
.LBB229_62:
	s_andn2_b64 vcc, exec, s[2:3]
	s_cbranch_vccnz .LBB229_65
; %bb.63:
	s_mov_b32 s1, 0
	v_lshl_add_u64 v[2:3], v[2:3], 0, s[0:1]
	s_sub_i32 s2, s12, s0
	v_lshl_add_u64 v[2:3], v[2:3], 2, s[20:21]
.LBB229_64:                             ; =>This Inner Loop Header: Depth=1
	global_load_dword v1, v[2:3], off
	s_add_i32 s2, s2, -1
	s_cmp_lg_u32 s2, 0
	s_waitcnt vmcnt(0)
	v_mul_f32_e32 v1, v0, v1
	global_store_dword v[2:3], v1, off
	v_lshl_add_u64 v[2:3], v[2:3], 0, 4
	s_cbranch_scc1 .LBB229_64
.LBB229_65:
	s_endpgm
	.section	.rodata,"a",@progbits
	.p2align	6, 0x0
	.amdhsa_kernel _ZN4vllm3moe22topkGatingSoftplusSqrtILi6ELi384ELi4ELi4ELi64ELb0Ei6__halfEEvPKT6_PKbPfiPT5_PiiiibdPKfPKS9_SF_
		.amdhsa_group_segment_fixed_size 0
		.amdhsa_private_segment_fixed_size 0
		.amdhsa_kernarg_size 96
		.amdhsa_user_sgpr_count 2
		.amdhsa_user_sgpr_dispatch_ptr 0
		.amdhsa_user_sgpr_queue_ptr 0
		.amdhsa_user_sgpr_kernarg_segment_ptr 1
		.amdhsa_user_sgpr_dispatch_id 0
		.amdhsa_user_sgpr_kernarg_preload_length 0
		.amdhsa_user_sgpr_kernarg_preload_offset 0
		.amdhsa_user_sgpr_private_segment_size 0
		.amdhsa_uses_dynamic_stack 0
		.amdhsa_enable_private_segment 0
		.amdhsa_system_sgpr_workgroup_id_x 1
		.amdhsa_system_sgpr_workgroup_id_y 0
		.amdhsa_system_sgpr_workgroup_id_z 0
		.amdhsa_system_sgpr_workgroup_info 0
		.amdhsa_system_vgpr_workitem_id 1
		.amdhsa_next_free_vgpr 32
		.amdhsa_next_free_sgpr 32
		.amdhsa_accum_offset 32
		.amdhsa_reserve_vcc 1
		.amdhsa_float_round_mode_32 0
		.amdhsa_float_round_mode_16_64 0
		.amdhsa_float_denorm_mode_32 3
		.amdhsa_float_denorm_mode_16_64 3
		.amdhsa_dx10_clamp 1
		.amdhsa_ieee_mode 1
		.amdhsa_fp16_overflow 0
		.amdhsa_tg_split 0
		.amdhsa_exception_fp_ieee_invalid_op 0
		.amdhsa_exception_fp_denorm_src 0
		.amdhsa_exception_fp_ieee_div_zero 0
		.amdhsa_exception_fp_ieee_overflow 0
		.amdhsa_exception_fp_ieee_underflow 0
		.amdhsa_exception_fp_ieee_inexact 0
		.amdhsa_exception_int_div_zero 0
	.end_amdhsa_kernel
	.section	.text._ZN4vllm3moe22topkGatingSoftplusSqrtILi6ELi384ELi4ELi4ELi64ELb0Ei6__halfEEvPKT6_PKbPfiPT5_PiiiibdPKfPKS9_SF_,"axG",@progbits,_ZN4vllm3moe22topkGatingSoftplusSqrtILi6ELi384ELi4ELi4ELi64ELb0Ei6__halfEEvPKT6_PKbPfiPT5_PiiiibdPKfPKS9_SF_,comdat
.Lfunc_end229:
	.size	_ZN4vllm3moe22topkGatingSoftplusSqrtILi6ELi384ELi4ELi4ELi64ELb0Ei6__halfEEvPKT6_PKbPfiPT5_PiiiibdPKfPKS9_SF_, .Lfunc_end229-_ZN4vllm3moe22topkGatingSoftplusSqrtILi6ELi384ELi4ELi4ELi64ELb0Ei6__halfEEvPKT6_PKbPfiPT5_PiiiibdPKfPKS9_SF_
                                        ; -- End function
	.section	.AMDGPU.csdata,"",@progbits
; Kernel info:
; codeLenInByte = 3688
; NumSgprs: 38
; NumVgprs: 32
; NumAgprs: 0
; TotalNumVgprs: 32
; ScratchSize: 0
; MemoryBound: 0
; FloatMode: 240
; IeeeMode: 1
; LDSByteSize: 0 bytes/workgroup (compile time only)
; SGPRBlocks: 4
; VGPRBlocks: 3
; NumSGPRsForWavesPerEU: 38
; NumVGPRsForWavesPerEU: 32
; AccumOffset: 32
; Occupancy: 8
; WaveLimiterHint : 1
; COMPUTE_PGM_RSRC2:SCRATCH_EN: 0
; COMPUTE_PGM_RSRC2:USER_SGPR: 2
; COMPUTE_PGM_RSRC2:TRAP_HANDLER: 0
; COMPUTE_PGM_RSRC2:TGID_X_EN: 1
; COMPUTE_PGM_RSRC2:TGID_Y_EN: 0
; COMPUTE_PGM_RSRC2:TGID_Z_EN: 0
; COMPUTE_PGM_RSRC2:TIDIG_COMP_CNT: 1
; COMPUTE_PGM_RSRC3_GFX90A:ACCUM_OFFSET: 7
; COMPUTE_PGM_RSRC3_GFX90A:TG_SPLIT: 0
	.section	.text._ZN4vllm3moe22topkGatingSoftplusSqrtILi12ELi384ELi4ELi4ELi32ELb1Ei6__halfEEvPKT6_PKbPfiPT5_PiiiibdPKfPKS9_SF_,"axG",@progbits,_ZN4vllm3moe22topkGatingSoftplusSqrtILi12ELi384ELi4ELi4ELi32ELb1Ei6__halfEEvPKT6_PKbPfiPT5_PiiiibdPKfPKS9_SF_,comdat
	.protected	_ZN4vllm3moe22topkGatingSoftplusSqrtILi12ELi384ELi4ELi4ELi32ELb1Ei6__halfEEvPKT6_PKbPfiPT5_PiiiibdPKfPKS9_SF_ ; -- Begin function _ZN4vllm3moe22topkGatingSoftplusSqrtILi12ELi384ELi4ELi4ELi32ELb1Ei6__halfEEvPKT6_PKbPfiPT5_PiiiibdPKfPKS9_SF_
	.globl	_ZN4vllm3moe22topkGatingSoftplusSqrtILi12ELi384ELi4ELi4ELi32ELb1Ei6__halfEEvPKT6_PKbPfiPT5_PiiiibdPKfPKS9_SF_
	.p2align	8
	.type	_ZN4vllm3moe22topkGatingSoftplusSqrtILi12ELi384ELi4ELi4ELi32ELb1Ei6__halfEEvPKT6_PKbPfiPT5_PiiiibdPKfPKS9_SF_,@function
_ZN4vllm3moe22topkGatingSoftplusSqrtILi12ELi384ELi4ELi4ELi32ELb1Ei6__halfEEvPKT6_PKbPfiPT5_PiiiibdPKfPKS9_SF_: ; @_ZN4vllm3moe22topkGatingSoftplusSqrtILi12ELi384ELi4ELi4ELi32ELb1Ei6__halfEEvPKT6_PKbPfiPT5_PiiiibdPKfPKS9_SF_
; %bb.0:
	s_load_dword s3, s[0:1], 0x18
	v_and_b32_e32 v1, 0x3ff, v0
	s_lshl_b32 s2, s2, 2
	v_lshrrev_b32_e32 v2, 5, v1
	v_bfe_u32 v0, v0, 10, 10
	v_add3_u32 v4, s2, v0, v2
	s_waitcnt lgkmcnt(0)
	v_cmp_gt_i32_e32 vcc, s3, v4
	s_and_saveexec_b64 s[2:3], vcc
	s_cbranch_execz .LBB230_59
; %bb.1:
	s_load_dwordx2 s[2:3], s[0:1], 0x0
	s_load_dword s33, s[0:1], 0x30
	s_movk_i32 s4, 0x180
	v_mul_lo_u32 v2, v4, s4
	v_lshlrev_b32_e32 v0, 1, v1
	v_ashrrev_i32_e32 v3, 31, v2
	v_and_b32_e32 v10, 62, v0
	s_waitcnt lgkmcnt(0)
	v_lshl_add_u64 v[2:3], v[2:3], 1, s[2:3]
	v_lshlrev_b32_e32 v0, 1, v10
	v_mov_b32_e32 v1, 0
	v_lshl_add_u64 v[6:7], v[2:3], 0, v[0:1]
	global_load_dword v11, v[6:7], off
	global_load_dword v16, v[6:7], off offset:128
	s_load_dwordx4 s[4:7], s[0:1], 0x50
	v_ashrrev_i32_e32 v5, 31, v4
	s_mov_b32 s15, 0x800000
	s_mov_b32 s13, 0x3f317217
	s_mov_b32 s14, 0x7f800000
	s_waitcnt lgkmcnt(0)
	v_mov_b32_e32 v2, s4
	v_mov_b32_e32 v3, s5
	v_lshl_add_u64 v[2:3], v[4:5], 2, v[2:3]
	global_load_dword v17, v[2:3], off
	global_load_dword v18, v[6:7], off offset:256
	global_load_dword v19, v[6:7], off offset:384
	;; [unrolled: 1-line block ×4, first 2 shown]
	v_mov_b32_e32 v5, 0x4f800000
	v_mov_b32_e32 v2, s6
	;; [unrolled: 1-line block ×4, first 2 shown]
	s_movk_i32 s11, 0x4d00
	s_mov_b32 s12, 0xf800000
	v_mov_b32_e32 v0, 0x260
	s_cmp_gt_i32 s33, 0
	s_mov_b32 s10, 0
	s_waitcnt vmcnt(6)
	v_cvt_f32_f16_e32 v21, v11
	v_cvt_f32_f16_sdwa v22, v11 dst_sel:DWORD dst_unused:UNUSED_PAD src0_sel:WORD_1
	s_waitcnt vmcnt(5)
	v_cvt_f32_f16_e32 v23, v16
	v_cvt_f32_f16_sdwa v24, v16 dst_sel:DWORD dst_unused:UNUSED_PAD src0_sel:WORD_1
	v_mul_f32_e32 v6, 0x3fb8aa3b, v21
	v_mul_f32_e32 v7, 0x3fb8aa3b, v22
	v_exp_f32_e32 v12, v6
	v_exp_f32_e32 v13, v7
	v_mul_f32_e32 v14, 0x3fb8aa3b, v23
	v_mul_f32_e32 v15, 0x3fb8aa3b, v24
	v_exp_f32_e32 v14, v14
	v_pk_add_f32 v[12:13], v[12:13], 1.0 op_sel_hi:[1,0]
	v_exp_f32_e32 v15, v15
	v_cmp_gt_f32_e32 vcc, s15, v13
	s_waitcnt vmcnt(4)
	v_mul_lo_u32 v6, v17, s33
	v_cmp_gt_f32_e64 s[2:3], s15, v12
	v_cndmask_b32_e32 v17, 1.0, v5, vcc
	v_mul_f32_e32 v13, v13, v17
	v_cndmask_b32_e64 v25, 1.0, v5, s[2:3]
	v_mul_f32_e32 v12, v12, v25
	v_log_f32_e32 v13, v13
	v_pk_add_f32 v[14:15], v[14:15], 1.0 op_sel_hi:[1,0]
	v_log_f32_e32 v12, v12
	v_cmp_gt_f32_e64 s[4:5], s15, v15
	v_cmp_gt_f32_e64 s[6:7], s15, v14
	v_cndmask_b32_e32 v17, 0, v8, vcc
	v_cndmask_b32_e64 v26, 1.0, v5, s[4:5]
	v_cndmask_b32_e64 v27, 1.0, v5, s[6:7]
	v_mul_f32_e32 v15, v15, v26
	v_mul_f32_e32 v26, 0x3f317217, v13
	v_mul_f32_e32 v14, v14, v27
	v_mul_f32_e32 v27, 0x3f317217, v12
	v_fma_f32 v26, v13, s13, -v26
	v_fma_f32 v27, v12, s13, -v27
	v_fmac_f32_e32 v26, 0x3377d1cf, v13
	v_fmac_f32_e32 v27, 0x3377d1cf, v12
	;; [unrolled: 1-line block ×3, first 2 shown]
	v_cmp_lt_f32_e64 vcc, |v13|, s14
	v_fmac_f32_e32 v27, 0x3f317217, v12
	v_cndmask_b32_e64 v25, 0, v8, s[2:3]
	v_cndmask_b32_e32 v13, v13, v26, vcc
	v_cmp_lt_f32_e64 vcc, |v12|, s14
	v_sub_f32_e32 v13, v13, v17
	v_log_f32_e32 v15, v15
	v_cndmask_b32_e32 v12, v12, v27, vcc
	v_sub_f32_e32 v12, v12, v25
	v_cmp_lt_f16_e32 vcc, s11, v11
	v_mul_f32_e32 v28, 0x3f317217, v15
	v_log_f32_e32 v14, v14
	v_cndmask_b32_e32 v12, v12, v21, vcc
	v_cmp_gt_f16_sdwa vcc, v11, s11 src0_sel:WORD_1 src1_sel:DWORD
	v_mul_f32_e32 v17, 0x4f800000, v12
	v_cmp_gt_f32_e64 s[2:3], s12, v12
	v_cndmask_b32_e32 v11, v13, v22, vcc
	v_mul_f32_e32 v13, 0x4f800000, v11
	v_cmp_gt_f32_e32 vcc, s12, v11
	v_cndmask_b32_e64 v12, v12, v17, s[2:3]
	v_sqrt_f32_e32 v17, v12
	v_cndmask_b32_e32 v11, v11, v13, vcc
	v_sqrt_f32_e32 v13, v11
	v_fma_f32 v28, v15, s13, -v28
	v_add_u32_e32 v25, -1, v17
	v_fma_f32 v30, -v25, v17, v12
	v_add_u32_e32 v21, -1, v13
	v_fma_f32 v27, -v21, v13, v11
	v_add_u32_e32 v22, 1, v13
	v_cmp_ge_f32_e64 s[8:9], 0, v27
	v_add_u32_e32 v26, 1, v17
	v_fma_f32 v29, -v22, v13, v11
	v_cndmask_b32_e64 v13, v13, v21, s[8:9]
	v_cmp_ge_f32_e64 s[8:9], 0, v30
	v_fma_f32 v31, -v26, v17, v12
	v_fmac_f32_e32 v28, 0x3377d1cf, v15
	v_cndmask_b32_e64 v17, v17, v25, s[8:9]
	v_cmp_lt_f32_e64 s[8:9], 0, v29
	v_fmac_f32_e32 v28, 0x3f317217, v15
	v_ashrrev_i32_e32 v7, 31, v6
	v_cndmask_b32_e64 v13, v13, v22, s[8:9]
	v_cmp_lt_f32_e64 s[8:9], 0, v31
	v_mul_f32_e32 v21, 0x37800000, v13
	v_cndmask_b32_e32 v13, v13, v21, vcc
	v_cndmask_b32_e64 v17, v17, v26, s[8:9]
	v_mul_f32_e32 v22, 0x37800000, v17
	v_cmp_class_f32_e32 vcc, v11, v0
	v_cndmask_b32_e64 v17, v17, v22, s[2:3]
	v_cmp_lt_f16_e64 s[2:3], s11, v16
	v_cndmask_b32_e32 v13, v13, v11, vcc
	v_cmp_class_f32_e32 vcc, v12, v0
	s_waitcnt vmcnt(3)
	v_cvt_f32_f16_e32 v21, v18
	v_lshl_add_u64 v[2:3], v[6:7], 2, v[2:3]
	v_cndmask_b32_e32 v12, v17, v12, vcc
	v_cmp_lt_f32_e64 vcc, |v15|, s14
	s_nop 1
	v_cndmask_b32_e32 v11, v15, v28, vcc
	v_cndmask_b32_e64 v15, 0, v8, s[4:5]
	v_sub_f32_e32 v11, v11, v15
	v_mul_f32_e32 v15, 0x3f317217, v14
	v_fma_f32 v15, v14, s13, -v15
	v_fmac_f32_e32 v15, 0x3377d1cf, v14
	v_fmac_f32_e32 v15, 0x3f317217, v14
	v_cmp_lt_f32_e64 vcc, |v14|, s14
	s_nop 1
	v_cndmask_b32_e32 v14, v14, v15, vcc
	v_cmp_gt_f16_sdwa vcc, v16, s11 src0_sel:WORD_1 src1_sel:DWORD
	v_cndmask_b32_e64 v15, 0, v8, s[6:7]
	v_sub_f32_e32 v14, v14, v15
	v_cndmask_b32_e32 v11, v11, v24, vcc
	v_mul_f32_e32 v17, 0x4f800000, v11
	v_cmp_gt_f32_e32 vcc, s12, v11
	v_cndmask_b32_e64 v14, v14, v23, s[2:3]
	v_cvt_f32_f16_sdwa v23, v18 dst_sel:DWORD dst_unused:UNUSED_PAD src0_sel:WORD_1
	v_cndmask_b32_e32 v11, v11, v17, vcc
	v_sqrt_f32_e32 v17, v11
	s_nop 0
	v_add_u32_e32 v15, -1, v17
	v_fma_f32 v16, -v15, v17, v11
	v_cmp_ge_f32_e64 s[2:3], 0, v16
	v_add_u32_e32 v16, 1, v17
	s_nop 0
	v_cndmask_b32_e64 v15, v17, v15, s[2:3]
	v_fma_f32 v17, -v16, v17, v11
	v_cmp_lt_f32_e64 s[2:3], 0, v17
	v_mul_f32_e32 v17, 0x4f800000, v14
	s_nop 0
	v_cndmask_b32_e64 v15, v15, v16, s[2:3]
	v_cmp_gt_f32_e64 s[2:3], s12, v14
	v_mul_f32_e32 v16, 0x37800000, v15
	v_cndmask_b32_e32 v15, v15, v16, vcc
	v_cndmask_b32_e64 v14, v14, v17, s[2:3]
	v_sqrt_f32_e32 v17, v14
	v_cmp_class_f32_e32 vcc, v11, v0
	v_add_u32_e32 v22, 1, v17
	s_nop 0
	v_cndmask_b32_e32 v15, v15, v11, vcc
	v_add_u32_e32 v11, -1, v17
	v_fma_f32 v16, -v11, v17, v14
	v_cmp_ge_f32_e32 vcc, 0, v16
	v_fma_f32 v24, -v22, v17, v14
	v_mul_f32_e32 v16, 0x3fb8aa3b, v21
	v_cndmask_b32_e32 v11, v17, v11, vcc
	v_mul_f32_e32 v17, 0x3fb8aa3b, v23
	v_exp_f32_e32 v16, v16
	v_exp_f32_e32 v17, v17
	v_cmp_lt_f32_e32 vcc, 0, v24
	v_pk_add_f32 v[16:17], v[16:17], 1.0 op_sel_hi:[1,0]
	s_nop 0
	v_cndmask_b32_e32 v11, v11, v22, vcc
	v_mul_f32_e32 v22, 0x37800000, v11
	v_cmp_gt_f32_e32 vcc, s15, v17
	v_cndmask_b32_e64 v11, v11, v22, s[2:3]
	v_cmp_class_f32_e64 s[2:3], v14, v0
	v_cndmask_b32_e32 v22, 1.0, v5, vcc
	v_mul_f32_e32 v17, v17, v22
	v_log_f32_e32 v17, v17
	v_cndmask_b32_e64 v14, v11, v14, s[2:3]
	v_cmp_gt_f32_e64 s[2:3], s15, v16
	scratch_store_dwordx4 off, v[12:15], off
	v_mul_f32_e32 v11, 0x3f317217, v17
	v_fma_f32 v11, v17, s13, -v11
	v_cndmask_b32_e64 v12, 1.0, v5, s[2:3]
	v_mul_f32_e32 v12, v16, v12
	v_log_f32_e32 v12, v12
	v_fmac_f32_e32 v11, 0x3377d1cf, v17
	v_fmac_f32_e32 v11, 0x3f317217, v17
	v_cmp_lt_f32_e64 s[4:5], |v17|, s14
	v_cndmask_b32_e32 v13, 0, v8, vcc
	v_cmp_lt_f32_e64 vcc, |v12|, s14
	v_cndmask_b32_e64 v11, v17, v11, s[4:5]
	v_sub_f32_e32 v11, v11, v13
	v_mul_f32_e32 v13, 0x3f317217, v12
	v_fma_f32 v13, v12, s13, -v13
	v_fmac_f32_e32 v13, 0x3377d1cf, v12
	v_fmac_f32_e32 v13, 0x3f317217, v12
	v_cndmask_b32_e32 v12, v12, v13, vcc
	v_cmp_gt_f16_sdwa vcc, v18, s11 src0_sel:WORD_1 src1_sel:DWORD
	v_cndmask_b32_e64 v13, 0, v8, s[2:3]
	v_sub_f32_e32 v12, v12, v13
	v_cndmask_b32_e32 v11, v11, v23, vcc
	v_mul_f32_e32 v14, 0x4f800000, v11
	v_cmp_gt_f32_e32 vcc, s12, v11
	v_cmp_lt_f16_e64 s[2:3], s11, v18
	s_waitcnt vmcnt(3)
	v_cvt_f32_f16_e32 v16, v19
	v_cndmask_b32_e32 v11, v11, v14, vcc
	v_sqrt_f32_e32 v14, v11
	v_cndmask_b32_e64 v12, v12, v21, s[2:3]
	v_cvt_f32_f16_sdwa v18, v19 dst_sel:DWORD dst_unused:UNUSED_PAD src0_sel:WORD_1
	v_add_u32_e32 v13, -1, v14
	v_fma_f32 v15, -v13, v14, v11
	v_cmp_ge_f32_e64 s[2:3], 0, v15
	v_add_u32_e32 v15, 1, v14
	s_nop 0
	v_cndmask_b32_e64 v13, v14, v13, s[2:3]
	v_fma_f32 v14, -v15, v14, v11
	v_cmp_lt_f32_e64 s[2:3], 0, v14
	s_nop 1
	v_cndmask_b32_e64 v13, v13, v15, s[2:3]
	v_mul_f32_e32 v15, 0x4f800000, v12
	v_cmp_gt_f32_e64 s[2:3], s12, v12
	v_mul_f32_e32 v14, 0x37800000, v13
	v_cndmask_b32_e32 v13, v13, v14, vcc
	v_cndmask_b32_e64 v12, v12, v15, s[2:3]
	v_sqrt_f32_e32 v15, v12
	v_cmp_class_f32_e32 vcc, v11, v0
	v_add_u32_e32 v17, 1, v15
	s_nop 0
	v_cndmask_b32_e32 v13, v13, v11, vcc
	v_add_u32_e32 v11, -1, v15
	v_fma_f32 v14, -v11, v15, v12
	v_cmp_ge_f32_e32 vcc, 0, v14
	v_fma_f32 v21, -v17, v15, v12
	v_mul_f32_e32 v14, 0x3fb8aa3b, v16
	v_cndmask_b32_e32 v11, v15, v11, vcc
	v_mul_f32_e32 v15, 0x3fb8aa3b, v18
	v_exp_f32_e32 v14, v14
	v_exp_f32_e32 v15, v15
	v_cmp_lt_f32_e32 vcc, 0, v21
	v_pk_add_f32 v[14:15], v[14:15], 1.0 op_sel_hi:[1,0]
	s_nop 0
	v_cndmask_b32_e32 v11, v11, v17, vcc
	v_cmp_gt_f32_e32 vcc, s15, v15
	v_mul_f32_e32 v17, 0x37800000, v11
	v_cndmask_b32_e64 v11, v11, v17, s[2:3]
	v_cndmask_b32_e32 v21, 1.0, v5, vcc
	v_mul_f32_e32 v15, v15, v21
	v_log_f32_e32 v15, v15
	v_cmp_class_f32_e64 s[2:3], v12, v0
	s_waitcnt vmcnt(2)
	v_cvt_f32_f16_sdwa v21, v20 dst_sel:DWORD dst_unused:UNUSED_PAD src0_sel:WORD_1
	v_cmp_lt_f32_e64 s[4:5], |v15|, s14
	v_cndmask_b32_e64 v12, v11, v12, s[2:3]
	v_cmp_gt_f32_e64 s[2:3], s15, v14
	v_mul_f32_e32 v11, 0x3f317217, v15
	v_fma_f32 v11, v15, s13, -v11
	v_cndmask_b32_e64 v17, 1.0, v5, s[2:3]
	v_mul_f32_e32 v14, v14, v17
	v_log_f32_e32 v14, v14
	v_fmac_f32_e32 v11, 0x3377d1cf, v15
	v_fmac_f32_e32 v11, 0x3f317217, v15
	v_cndmask_b32_e64 v11, v15, v11, s[4:5]
	v_cndmask_b32_e32 v15, 0, v8, vcc
	v_sub_f32_e32 v11, v11, v15
	v_mul_f32_e32 v15, 0x3f317217, v14
	v_fma_f32 v15, v14, s13, -v15
	v_fmac_f32_e32 v15, 0x3377d1cf, v14
	v_fmac_f32_e32 v15, 0x3f317217, v14
	v_cmp_lt_f32_e64 vcc, |v14|, s14
	s_nop 1
	v_cndmask_b32_e32 v14, v14, v15, vcc
	v_cmp_gt_f16_sdwa vcc, v19, s11 src0_sel:WORD_1 src1_sel:DWORD
	v_cndmask_b32_e64 v15, 0, v8, s[2:3]
	v_sub_f32_e32 v14, v14, v15
	v_cndmask_b32_e32 v11, v11, v18, vcc
	v_mul_f32_e32 v17, 0x4f800000, v11
	v_cmp_gt_f32_e32 vcc, s12, v11
	v_cmp_lt_f16_e64 s[2:3], s11, v19
	v_cvt_f32_f16_e32 v18, v20
	v_cndmask_b32_e32 v11, v11, v17, vcc
	v_sqrt_f32_e32 v17, v11
	v_cndmask_b32_e64 v14, v14, v16, s[2:3]
	v_add_u32_e32 v15, -1, v17
	v_fma_f32 v16, -v15, v17, v11
	v_cmp_ge_f32_e64 s[2:3], 0, v16
	v_add_u32_e32 v16, 1, v17
	s_nop 0
	v_cndmask_b32_e64 v15, v17, v15, s[2:3]
	v_fma_f32 v17, -v16, v17, v11
	v_cmp_lt_f32_e64 s[2:3], 0, v17
	v_mul_f32_e32 v17, 0x4f800000, v14
	s_nop 0
	v_cndmask_b32_e64 v15, v15, v16, s[2:3]
	v_cmp_gt_f32_e64 s[2:3], s12, v14
	v_mul_f32_e32 v16, 0x37800000, v15
	v_cndmask_b32_e32 v15, v15, v16, vcc
	v_cndmask_b32_e64 v14, v14, v17, s[2:3]
	v_sqrt_f32_e32 v17, v14
	v_cmp_class_f32_e32 vcc, v11, v0
	v_add_u32_e32 v19, 1, v17
	s_nop 0
	v_cndmask_b32_e32 v15, v15, v11, vcc
	v_add_u32_e32 v11, -1, v17
	v_fma_f32 v16, -v11, v17, v14
	v_cmp_ge_f32_e32 vcc, 0, v16
	v_fma_f32 v22, -v19, v17, v14
	v_mul_f32_e32 v16, 0x3fb8aa3b, v18
	v_cndmask_b32_e32 v11, v17, v11, vcc
	v_mul_f32_e32 v17, 0x3fb8aa3b, v21
	v_exp_f32_e32 v16, v16
	v_exp_f32_e32 v17, v17
	v_cmp_lt_f32_e32 vcc, 0, v22
	v_pk_add_f32 v[16:17], v[16:17], 1.0 op_sel_hi:[1,0]
	s_nop 0
	v_cndmask_b32_e32 v11, v11, v19, vcc
	v_mul_f32_e32 v19, 0x37800000, v11
	v_cmp_gt_f32_e32 vcc, s15, v17
	v_cndmask_b32_e64 v11, v11, v19, s[2:3]
	v_cmp_class_f32_e64 s[2:3], v14, v0
	v_cndmask_b32_e32 v19, 1.0, v5, vcc
	v_mul_f32_e32 v17, v17, v19
	v_log_f32_e32 v17, v17
	v_cndmask_b32_e64 v14, v11, v14, s[2:3]
	v_cmp_gt_f32_e64 s[2:3], s15, v16
	scratch_store_dwordx4 off, v[12:15], off offset:16
	v_mul_f32_e32 v11, 0x3f317217, v17
	v_fma_f32 v11, v17, s13, -v11
	v_cndmask_b32_e64 v12, 1.0, v5, s[2:3]
	v_mul_f32_e32 v12, v16, v12
	v_log_f32_e32 v12, v12
	v_fmac_f32_e32 v11, 0x3377d1cf, v17
	v_fmac_f32_e32 v11, 0x3f317217, v17
	v_cmp_lt_f32_e64 s[4:5], |v17|, s14
	v_cndmask_b32_e32 v13, 0, v8, vcc
	v_cmp_lt_f32_e64 vcc, |v12|, s14
	v_cndmask_b32_e64 v11, v17, v11, s[4:5]
	v_sub_f32_e32 v11, v11, v13
	v_mul_f32_e32 v13, 0x3f317217, v12
	v_fma_f32 v13, v12, s13, -v13
	v_fmac_f32_e32 v13, 0x3377d1cf, v12
	v_fmac_f32_e32 v13, 0x3f317217, v12
	v_cndmask_b32_e32 v12, v12, v13, vcc
	v_cmp_gt_f16_sdwa vcc, v20, s11 src0_sel:WORD_1 src1_sel:DWORD
	v_cndmask_b32_e64 v13, 0, v8, s[2:3]
	v_sub_f32_e32 v12, v12, v13
	v_cndmask_b32_e32 v11, v11, v21, vcc
	v_mul_f32_e32 v14, 0x4f800000, v11
	v_cmp_gt_f32_e32 vcc, s12, v11
	v_cmp_lt_f16_e64 s[2:3], s11, v20
	s_waitcnt vmcnt(2)
	v_cvt_f32_f16_e32 v16, v9
	v_cndmask_b32_e32 v11, v11, v14, vcc
	v_sqrt_f32_e32 v14, v11
	v_cndmask_b32_e64 v12, v12, v18, s[2:3]
	v_cvt_f32_f16_sdwa v18, v9 dst_sel:DWORD dst_unused:UNUSED_PAD src0_sel:WORD_1
	v_add_u32_e32 v13, -1, v14
	v_fma_f32 v15, -v13, v14, v11
	v_cmp_ge_f32_e64 s[2:3], 0, v15
	v_add_u32_e32 v15, 1, v14
	s_nop 0
	v_cndmask_b32_e64 v13, v14, v13, s[2:3]
	v_fma_f32 v14, -v15, v14, v11
	v_cmp_lt_f32_e64 s[2:3], 0, v14
	s_nop 1
	v_cndmask_b32_e64 v13, v13, v15, s[2:3]
	v_mul_f32_e32 v15, 0x4f800000, v12
	v_cmp_gt_f32_e64 s[2:3], s12, v12
	v_mul_f32_e32 v14, 0x37800000, v13
	v_cndmask_b32_e32 v13, v13, v14, vcc
	v_cndmask_b32_e64 v12, v12, v15, s[2:3]
	v_sqrt_f32_e32 v15, v12
	v_cmp_class_f32_e32 vcc, v11, v0
	v_add_u32_e32 v17, 1, v15
	s_nop 0
	v_cndmask_b32_e32 v13, v13, v11, vcc
	v_add_u32_e32 v11, -1, v15
	v_fma_f32 v14, -v11, v15, v12
	v_cmp_ge_f32_e32 vcc, 0, v14
	v_fma_f32 v19, -v17, v15, v12
	v_mul_f32_e32 v14, 0x3fb8aa3b, v16
	v_cndmask_b32_e32 v11, v15, v11, vcc
	v_mul_f32_e32 v15, 0x3fb8aa3b, v18
	v_exp_f32_e32 v14, v14
	v_exp_f32_e32 v15, v15
	v_cmp_lt_f32_e32 vcc, 0, v19
	v_pk_add_f32 v[14:15], v[14:15], 1.0 op_sel_hi:[1,0]
	s_nop 0
	v_cndmask_b32_e32 v11, v11, v17, vcc
	v_cmp_gt_f32_e32 vcc, s15, v15
	v_mul_f32_e32 v17, 0x37800000, v11
	v_cndmask_b32_e64 v11, v11, v17, s[2:3]
	v_cndmask_b32_e32 v19, 1.0, v5, vcc
	v_mul_f32_e32 v15, v15, v19
	v_log_f32_e32 v15, v15
	v_cmp_class_f32_e64 s[2:3], v12, v0
	v_cmp_lt_f32_e64 s[4:5], |v15|, s14
	s_nop 0
	v_cndmask_b32_e64 v12, v11, v12, s[2:3]
	v_cmp_gt_f32_e64 s[2:3], s15, v14
	v_mul_f32_e32 v11, 0x3f317217, v15
	v_fma_f32 v11, v15, s13, -v11
	v_cndmask_b32_e64 v5, 1.0, v5, s[2:3]
	v_mul_f32_e32 v5, v14, v5
	v_log_f32_e32 v5, v5
	v_fmac_f32_e32 v11, 0x3377d1cf, v15
	v_fmac_f32_e32 v11, 0x3f317217, v15
	v_cndmask_b32_e64 v11, v15, v11, s[4:5]
	v_cndmask_b32_e32 v14, 0, v8, vcc
	v_sub_f32_e32 v11, v11, v14
	v_mul_f32_e32 v14, 0x3f317217, v5
	v_fma_f32 v14, v5, s13, -v14
	v_fmac_f32_e32 v14, 0x3377d1cf, v5
	v_fmac_f32_e32 v14, 0x3f317217, v5
	v_cmp_lt_f32_e64 vcc, |v5|, s14
	v_cndmask_b32_e64 v8, 0, v8, s[2:3]
	v_cmp_lt_f16_e64 s[2:3], s11, v9
	v_cndmask_b32_e32 v5, v5, v14, vcc
	v_cmp_gt_f16_sdwa vcc, v9, s11 src0_sel:WORD_1 src1_sel:DWORD
	v_sub_f32_e32 v5, v5, v8
	v_cndmask_b32_e64 v5, v5, v16, s[2:3]
	v_cndmask_b32_e32 v11, v11, v18, vcc
	v_mul_f32_e32 v14, 0x4f800000, v11
	v_cmp_gt_f32_e32 vcc, s12, v11
	s_cselect_b64 s[4:5], -1, 0
	s_cmp_lt_i32 s33, 1
	v_cndmask_b32_e32 v11, v11, v14, vcc
	v_sqrt_f32_e32 v14, v11
	s_nop 0
	v_add_u32_e32 v8, -1, v14
	v_fma_f32 v9, -v8, v14, v11
	v_cmp_ge_f32_e64 s[2:3], 0, v9
	v_add_u32_e32 v9, 1, v14
	s_nop 0
	v_cndmask_b32_e64 v8, v14, v8, s[2:3]
	v_fma_f32 v14, -v9, v14, v11
	v_cmp_lt_f32_e64 s[2:3], 0, v14
	v_mul_f32_e32 v14, 0x4f800000, v5
	s_nop 0
	v_cndmask_b32_e64 v8, v8, v9, s[2:3]
	v_cmp_gt_f32_e64 s[2:3], s12, v5
	v_mul_f32_e32 v9, 0x37800000, v8
	v_cndmask_b32_e32 v8, v8, v9, vcc
	v_cndmask_b32_e64 v5, v5, v14, s[2:3]
	v_sqrt_f32_e32 v14, v5
	v_cmp_class_f32_e32 vcc, v11, v0
	s_nop 1
	v_cndmask_b32_e32 v15, v8, v11, vcc
	v_add_u32_e32 v8, -1, v14
	v_fma_f32 v9, -v8, v14, v5
	v_cmp_ge_f32_e32 vcc, 0, v9
	v_add_u32_e32 v9, 1, v14
	v_fma_f32 v11, -v9, v14, v5
	v_cndmask_b32_e32 v8, v14, v8, vcc
	v_cmp_lt_f32_e32 vcc, 0, v11
	s_nop 1
	v_cndmask_b32_e32 v8, v8, v9, vcc
	v_mul_f32_e32 v9, 0x37800000, v8
	v_cndmask_b32_e64 v8, v8, v9, s[2:3]
	v_cmp_class_f32_e32 vcc, v5, v0
	v_mul_lo_u32 v0, v4, s33
	s_nop 0
	v_cndmask_b32_e32 v14, v8, v5, vcc
	scratch_store_dwordx4 off, v[12:15], off offset:32
	s_cbranch_scc1 .LBB230_28
; %bb.2:
	s_load_dwordx2 s[6:7], s[0:1], 0x20
	s_cmp_lt_u32 s33, 4
	v_mul_lo_u32 v4, v4, s33
	s_cbranch_scc1 .LBB230_21
; %bb.3:
	s_mov_b32 s9, 0
	s_and_b32 s10, s33, 0x7ffffffc
	v_ashrrev_i32_e32 v5, 31, v4
	v_mov_b32_e32 v1, 0
	s_mov_b32 s8, s9
	s_branch .LBB230_5
.LBB230_4:                              ;   in Loop: Header=BB230_5 Depth=1
	s_or_b64 exec, exec, s[12:13]
	s_add_i32 s8, s8, 4
	s_cmp_eq_u32 s8, s10
	s_cbranch_scc1 .LBB230_21
.LBB230_5:                              ; =>This Loop Header: Depth=1
                                        ;     Child Loop BB230_7 Depth 2
                                        ;     Child Loop BB230_11 Depth 2
	;; [unrolled: 1-line block ×4, first 2 shown]
	v_lshl_add_u64 v[6:7], s[8:9], 2, v[2:3]
	global_load_dword v11, v[6:7], off
	v_add_u32_e32 v8, s8, v4
	v_ashrrev_i32_e32 v9, 31, v8
	s_waitcnt lgkmcnt(0)
	v_lshl_add_u64 v[8:9], v[8:9], 2, s[6:7]
	v_mov_b32_e32 v12, 0
	s_mov_b64 s[12:13], 0
	s_mov_b32 s11, 0
	s_mov_b32 s16, 0
	s_branch .LBB230_7
.LBB230_6:                              ;   in Loop: Header=BB230_7 Depth=2
	s_or_b64 exec, exec, s[14:15]
	s_add_i32 s17, s16, 1
	s_cmp_gt_u32 s16, 10
	s_cselect_b64 s[2:3], -1, 0
	s_xor_b64 s[14:15], vcc, -1
	s_or_b64 s[2:3], s[14:15], s[2:3]
	s_add_i32 s11, s11, 32
	s_and_b64 s[2:3], exec, s[2:3]
	v_add_u32_e32 v12, 4, v12
	s_or_b64 s[12:13], s[2:3], s[12:13]
	s_mov_b32 s16, s17
	s_andn2_b64 exec, exec, s[12:13]
	s_cbranch_execz .LBB230_9
.LBB230_7:                              ;   Parent Loop BB230_5 Depth=1
                                        ; =>  This Inner Loop Header: Depth=2
	s_and_b32 s2, s16, 1
	s_and_b32 s3, s11, 0x1c0
	s_or_b32 s2, s2, s3
	v_or_b32_e32 v13, s2, v10
	s_waitcnt vmcnt(0)
	v_cmp_ne_u32_e32 vcc, v11, v13
	v_cmp_eq_u32_e64 s[2:3], v11, v13
	s_and_saveexec_b64 s[14:15], s[2:3]
	s_cbranch_execz .LBB230_6
; %bb.8:                                ;   in Loop: Header=BB230_7 Depth=2
	scratch_load_dword v13, v12, off
	s_waitcnt vmcnt(0)
	v_add_f32_e32 v1, v1, v13
	global_store_dword v[8:9], v11, off
	s_branch .LBB230_6
.LBB230_9:                              ;   in Loop: Header=BB230_5 Depth=1
	s_or_b64 exec, exec, s[12:13]
	global_load_dword v11, v[6:7], off offset:4
	s_ashr_i32 s3, s8, 31
	s_mov_b32 s2, s8
	v_lshl_add_u64 v[8:9], s[2:3], 0, v[4:5]
	v_lshl_add_u64 v[8:9], v[8:9], 2, s[6:7]
	v_mov_b32_e32 v12, 0
	s_mov_b32 s11, 0
	s_mov_b64 s[12:13], 0
	s_mov_b32 s16, 0
	s_branch .LBB230_11
.LBB230_10:                             ;   in Loop: Header=BB230_11 Depth=2
	s_or_b64 exec, exec, s[14:15]
	s_add_i32 s17, s16, 1
	s_cmp_gt_u32 s16, 10
	s_cselect_b64 s[2:3], -1, 0
	s_xor_b64 s[14:15], vcc, -1
	s_or_b64 s[2:3], s[14:15], s[2:3]
	s_add_i32 s11, s11, 32
	s_and_b64 s[2:3], exec, s[2:3]
	v_add_u32_e32 v12, 4, v12
	s_or_b64 s[12:13], s[2:3], s[12:13]
	s_mov_b32 s16, s17
	s_andn2_b64 exec, exec, s[12:13]
	s_cbranch_execz .LBB230_13
.LBB230_11:                             ;   Parent Loop BB230_5 Depth=1
                                        ; =>  This Inner Loop Header: Depth=2
	s_and_b32 s2, s16, 1
	s_and_b32 s3, s11, 0x1c0
	s_or_b32 s2, s2, s3
	v_or_b32_e32 v13, s2, v10
	s_waitcnt vmcnt(0)
	v_cmp_ne_u32_e32 vcc, v11, v13
	v_cmp_eq_u32_e64 s[2:3], v11, v13
	s_and_saveexec_b64 s[14:15], s[2:3]
	s_cbranch_execz .LBB230_10
; %bb.12:                               ;   in Loop: Header=BB230_11 Depth=2
	scratch_load_dword v13, v12, off
	s_waitcnt vmcnt(0)
	v_add_f32_e32 v1, v1, v13
	global_store_dword v[8:9], v11, off offset:4
	s_branch .LBB230_10
.LBB230_13:                             ;   in Loop: Header=BB230_5 Depth=1
	s_or_b64 exec, exec, s[12:13]
	global_load_dword v11, v[6:7], off offset:8
	v_mov_b32_e32 v12, 0
	s_mov_b32 s11, 0
	s_mov_b64 s[12:13], 0
	s_mov_b32 s16, 0
	s_branch .LBB230_15
.LBB230_14:                             ;   in Loop: Header=BB230_15 Depth=2
	s_or_b64 exec, exec, s[14:15]
	s_add_i32 s17, s16, 1
	s_cmp_gt_u32 s16, 10
	s_cselect_b64 s[2:3], -1, 0
	s_xor_b64 s[14:15], vcc, -1
	s_or_b64 s[2:3], s[14:15], s[2:3]
	s_add_i32 s11, s11, 32
	s_and_b64 s[2:3], exec, s[2:3]
	v_add_u32_e32 v12, 4, v12
	s_or_b64 s[12:13], s[2:3], s[12:13]
	s_mov_b32 s16, s17
	s_andn2_b64 exec, exec, s[12:13]
	s_cbranch_execz .LBB230_17
.LBB230_15:                             ;   Parent Loop BB230_5 Depth=1
                                        ; =>  This Inner Loop Header: Depth=2
	s_and_b32 s2, s16, 1
	s_and_b32 s3, s11, 0x1c0
	s_or_b32 s2, s2, s3
	v_or_b32_e32 v13, s2, v10
	s_waitcnt vmcnt(0)
	v_cmp_ne_u32_e32 vcc, v11, v13
	v_cmp_eq_u32_e64 s[2:3], v11, v13
	s_and_saveexec_b64 s[14:15], s[2:3]
	s_cbranch_execz .LBB230_14
; %bb.16:                               ;   in Loop: Header=BB230_15 Depth=2
	scratch_load_dword v13, v12, off
	s_waitcnt vmcnt(0)
	v_add_f32_e32 v1, v1, v13
	global_store_dword v[8:9], v11, off offset:8
	s_branch .LBB230_14
.LBB230_17:                             ;   in Loop: Header=BB230_5 Depth=1
	s_or_b64 exec, exec, s[12:13]
	global_load_dword v6, v[6:7], off offset:12
	v_mov_b32_e32 v7, 0
	s_mov_b32 s11, 0
	s_mov_b64 s[12:13], 0
	s_mov_b32 s16, 0
	s_branch .LBB230_19
.LBB230_18:                             ;   in Loop: Header=BB230_19 Depth=2
	s_or_b64 exec, exec, s[14:15]
	s_add_i32 s17, s16, 1
	s_cmp_gt_u32 s16, 10
	s_cselect_b64 s[2:3], -1, 0
	s_xor_b64 s[14:15], vcc, -1
	s_or_b64 s[2:3], s[14:15], s[2:3]
	s_add_i32 s11, s11, 32
	s_and_b64 s[2:3], exec, s[2:3]
	v_add_u32_e32 v7, 4, v7
	s_or_b64 s[12:13], s[2:3], s[12:13]
	s_mov_b32 s16, s17
	s_andn2_b64 exec, exec, s[12:13]
	s_cbranch_execz .LBB230_4
.LBB230_19:                             ;   Parent Loop BB230_5 Depth=1
                                        ; =>  This Inner Loop Header: Depth=2
	s_and_b32 s2, s16, 1
	s_and_b32 s3, s11, 0x1c0
	s_or_b32 s2, s2, s3
	v_or_b32_e32 v11, s2, v10
	s_waitcnt vmcnt(0)
	v_cmp_ne_u32_e32 vcc, v6, v11
	v_cmp_eq_u32_e64 s[2:3], v6, v11
	s_and_saveexec_b64 s[14:15], s[2:3]
	s_cbranch_execz .LBB230_18
; %bb.20:                               ;   in Loop: Header=BB230_19 Depth=2
	scratch_load_dword v11, v7, off
	s_waitcnt vmcnt(0)
	v_add_f32_e32 v1, v1, v11
	global_store_dword v[8:9], v6, off offset:12
	s_branch .LBB230_18
.LBB230_21:
	s_and_b32 s14, s33, 3
	s_cmp_eq_u32 s14, 0
	s_mov_b32 s11, 0
	s_cbranch_scc1 .LBB230_28
; %bb.22:
	s_mov_b32 s15, s11
	s_branch .LBB230_24
.LBB230_23:                             ;   in Loop: Header=BB230_24 Depth=1
	s_or_b64 exec, exec, s[8:9]
	s_add_i32 s10, s10, 1
	s_add_i32 s15, s15, 1
	s_cmp_lg_u32 s15, s14
	s_cbranch_scc0 .LBB230_28
.LBB230_24:                             ; =>This Loop Header: Depth=1
                                        ;     Child Loop BB230_26 Depth 2
	v_lshl_add_u64 v[6:7], s[10:11], 2, v[2:3]
	global_load_dword v5, v[6:7], off
	v_add_u32_e32 v6, s10, v4
	v_ashrrev_i32_e32 v7, 31, v6
	s_waitcnt lgkmcnt(0)
	v_lshl_add_u64 v[6:7], v[6:7], 2, s[6:7]
	v_mov_b32_e32 v8, 0
	s_mov_b32 s16, 0
	s_mov_b64 s[8:9], 0
	s_mov_b32 s17, 0
	s_branch .LBB230_26
.LBB230_25:                             ;   in Loop: Header=BB230_26 Depth=2
	s_or_b64 exec, exec, s[12:13]
	s_add_i32 s18, s17, 1
	s_cmp_gt_u32 s17, 10
	s_cselect_b64 s[2:3], -1, 0
	s_xor_b64 s[12:13], vcc, -1
	s_or_b64 s[2:3], s[12:13], s[2:3]
	s_add_i32 s16, s16, 32
	s_and_b64 s[2:3], exec, s[2:3]
	v_add_u32_e32 v8, 4, v8
	s_or_b64 s[8:9], s[2:3], s[8:9]
	s_mov_b32 s17, s18
	s_andn2_b64 exec, exec, s[8:9]
	s_cbranch_execz .LBB230_23
.LBB230_26:                             ;   Parent Loop BB230_24 Depth=1
                                        ; =>  This Inner Loop Header: Depth=2
	s_and_b32 s2, s17, 1
	s_and_b32 s3, s16, 0x1c0
	s_or_b32 s2, s2, s3
	v_or_b32_e32 v9, s2, v10
	s_waitcnt vmcnt(0)
	v_cmp_ne_u32_e32 vcc, v5, v9
	v_cmp_eq_u32_e64 s[2:3], v5, v9
	s_and_saveexec_b64 s[12:13], s[2:3]
	s_cbranch_execz .LBB230_25
; %bb.27:                               ;   in Loop: Header=BB230_26 Depth=2
	scratch_load_dword v9, v8, off
	s_waitcnt vmcnt(0)
	v_add_f32_e32 v1, v1, v9
	global_store_dword v[6:7], v5, off
	s_branch .LBB230_25
.LBB230_28:
	s_waitcnt lgkmcnt(0)
	s_load_dword s6, s[0:1], 0x3c
	s_waitcnt lgkmcnt(0)
	s_bitcmp1_b32 s6, 0
	s_cselect_b64 s[2:3], -1, 0
	s_bitcmp0_b32 s6, 0
	s_cbranch_scc0 .LBB230_31
; %bb.29:
	s_load_dwordx2 s[6:7], s[0:1], 0x40
	s_andn2_b64 vcc, exec, s[2:3]
	s_waitcnt lgkmcnt(0)
	v_cvt_f32_f64_e32 v4, s[6:7]
	s_cbranch_vccz .LBB230_32
.LBB230_30:
	s_andn2_b64 vcc, exec, s[4:5]
	s_cbranch_vccz .LBB230_33
	s_branch .LBB230_59
.LBB230_31:
	v_mbcnt_lo_u32_b32 v4, -1, 0
	v_mbcnt_hi_u32_b32 v4, -1, v4
	v_and_b32_e32 v5, 0x60, v4
	v_add_u32_e32 v5, 32, v5
	v_xor_b32_e32 v6, 16, v4
	v_cmp_lt_i32_e32 vcc, v6, v5
	v_xor_b32_e32 v7, 8, v4
	s_nop 0
	v_cndmask_b32_e32 v6, v4, v6, vcc
	v_lshlrev_b32_e32 v6, 2, v6
	ds_bpermute_b32 v6, v6, v1
	v_cmp_lt_i32_e32 vcc, v7, v5
	s_waitcnt lgkmcnt(0)
	v_add_f32_e32 v1, v1, v6
	v_cndmask_b32_e32 v6, v4, v7, vcc
	v_lshlrev_b32_e32 v6, 2, v6
	ds_bpermute_b32 v6, v6, v1
	v_xor_b32_e32 v7, 4, v4
	v_cmp_lt_i32_e32 vcc, v7, v5
	s_waitcnt lgkmcnt(0)
	v_add_f32_e32 v1, v1, v6
	v_cndmask_b32_e32 v6, v4, v7, vcc
	v_lshlrev_b32_e32 v6, 2, v6
	ds_bpermute_b32 v6, v6, v1
	v_xor_b32_e32 v7, 2, v4
	;; [unrolled: 7-line block ×3, first 2 shown]
	v_cmp_lt_i32_e32 vcc, v7, v5
	s_waitcnt lgkmcnt(0)
	v_add_f32_e32 v1, v1, v6
	v_cndmask_b32_e32 v4, v4, v7, vcc
	v_lshlrev_b32_e32 v4, 2, v4
	ds_bpermute_b32 v4, v4, v1
	s_waitcnt lgkmcnt(0)
	v_add_f32_e32 v1, v1, v4
	s_load_dwordx2 s[6:7], s[0:1], 0x40
	s_andn2_b64 vcc, exec, s[2:3]
	s_waitcnt lgkmcnt(0)
	v_cvt_f32_f64_e32 v4, s[6:7]
	s_cbranch_vccnz .LBB230_30
.LBB230_32:
	v_cmp_lt_f32_e32 vcc, 0, v1
	s_nop 1
	v_cndmask_b32_e32 v1, 1.0, v1, vcc
	v_div_scale_f32 v5, s[2:3], v1, v1, v4
	v_rcp_f32_e32 v6, v5
	s_nop 0
	v_fma_f32 v7, -v5, v6, 1.0
	v_fmac_f32_e32 v6, v7, v6
	v_div_scale_f32 v7, vcc, v4, v1, v4
	v_mul_f32_e32 v8, v7, v6
	v_fma_f32 v9, -v5, v8, v7
	v_fmac_f32_e32 v8, v9, v6
	v_fma_f32 v5, -v5, v8, v7
	v_div_fmas_f32 v5, v5, v6, v8
	v_div_fixup_f32 v4, v5, v1, v4
	s_andn2_b64 vcc, exec, s[4:5]
	s_cbranch_vccnz .LBB230_59
.LBB230_33:
	s_load_dwordx2 s[20:21], s[0:1], 0x10
	v_mov_b32_e32 v1, 0
	v_or_b32_e32 v5, 4, v1
	v_or_b32_e32 v6, 8, v1
	;; [unrolled: 1-line block ×3, first 2 shown]
	v_add_u32_e32 v8, 16, v1
	v_add_u32_e32 v9, 20, v1
	;; [unrolled: 1-line block ×8, first 2 shown]
	v_or_b32_e32 v17, 1, v10
	v_or_b32_e32 v18, 64, v10
	;; [unrolled: 1-line block ×11, first 2 shown]
	s_branch .LBB230_35
.LBB230_34:                             ;   in Loop: Header=BB230_35 Depth=1
	s_or_b64 exec, exec, s[0:1]
	s_add_i32 s33, s33, -1
	v_add_u32_e32 v0, 1, v0
	s_cmp_eq_u32 s33, 0
	v_lshl_add_u64 v[2:3], v[2:3], 0, 4
	s_cbranch_scc1 .LBB230_59
.LBB230_35:                             ; =>This Inner Loop Header: Depth=1
	global_load_dword v28, v[2:3], off
	v_mov_b32_e32 v1, 0
	s_waitcnt vmcnt(0)
	v_cmp_eq_u32_e32 vcc, v28, v10
	v_cmp_ne_u32_e64 s[0:1], v28, v10
	s_and_saveexec_b64 s[22:23], s[0:1]
	s_cbranch_execz .LBB230_57
; %bb.36:                               ;   in Loop: Header=BB230_35 Depth=1
	v_cmp_eq_u32_e64 s[0:1], v28, v17
	v_cmp_ne_u32_e64 s[2:3], v28, v17
	v_mov_b32_e32 v1, v5
	s_and_saveexec_b64 s[24:25], s[2:3]
	s_cbranch_execz .LBB230_56
; %bb.37:                               ;   in Loop: Header=BB230_35 Depth=1
	v_cmp_eq_u32_e64 s[2:3], v28, v18
	v_cmp_ne_u32_e64 s[4:5], v28, v18
	v_mov_b32_e32 v1, v6
	;; [unrolled: 6-line block ×10, first 2 shown]
	s_and_saveexec_b64 s[46:47], s[18:19]
	s_xor_b64 s[46:47], exec, s[46:47]
; %bb.46:                               ;   in Loop: Header=BB230_35 Depth=1
	v_cmp_eq_u32_e64 s[18:19], v28, v27
	s_andn2_b64 s[44:45], s[44:45], exec
	s_and_b64 s[18:19], s[18:19], exec
	s_or_b64 s[44:45], s[44:45], s[18:19]
	v_mov_b32_e32 v1, v16
; %bb.47:                               ;   in Loop: Header=BB230_35 Depth=1
	s_or_b64 exec, exec, s[46:47]
	s_andn2_b64 s[16:17], s[16:17], exec
	s_and_b64 s[18:19], s[44:45], exec
	s_or_b64 s[16:17], s[16:17], s[18:19]
.LBB230_48:                             ;   in Loop: Header=BB230_35 Depth=1
	s_or_b64 exec, exec, s[42:43]
	s_andn2_b64 s[14:15], s[14:15], exec
	s_and_b64 s[16:17], s[16:17], exec
	s_or_b64 s[14:15], s[14:15], s[16:17]
.LBB230_49:                             ;   in Loop: Header=BB230_35 Depth=1
	s_or_b64 exec, exec, s[40:41]
	s_andn2_b64 s[12:13], s[12:13], exec
	s_and_b64 s[14:15], s[14:15], exec
	s_or_b64 s[12:13], s[12:13], s[14:15]
.LBB230_50:                             ;   in Loop: Header=BB230_35 Depth=1
	s_or_b64 exec, exec, s[38:39]
	s_andn2_b64 s[10:11], s[10:11], exec
	s_and_b64 s[12:13], s[12:13], exec
	s_or_b64 s[10:11], s[10:11], s[12:13]
.LBB230_51:                             ;   in Loop: Header=BB230_35 Depth=1
	s_or_b64 exec, exec, s[36:37]
	s_andn2_b64 s[8:9], s[8:9], exec
	s_and_b64 s[10:11], s[10:11], exec
	s_or_b64 s[8:9], s[8:9], s[10:11]
.LBB230_52:                             ;   in Loop: Header=BB230_35 Depth=1
	s_or_b64 exec, exec, s[34:35]
	s_andn2_b64 s[6:7], s[6:7], exec
	s_and_b64 s[8:9], s[8:9], exec
	s_or_b64 s[6:7], s[6:7], s[8:9]
.LBB230_53:                             ;   in Loop: Header=BB230_35 Depth=1
	s_or_b64 exec, exec, s[30:31]
	s_andn2_b64 s[4:5], s[4:5], exec
	s_and_b64 s[6:7], s[6:7], exec
	s_or_b64 s[4:5], s[4:5], s[6:7]
.LBB230_54:                             ;   in Loop: Header=BB230_35 Depth=1
	s_or_b64 exec, exec, s[28:29]
	s_andn2_b64 s[2:3], s[2:3], exec
	s_and_b64 s[4:5], s[4:5], exec
	s_or_b64 s[2:3], s[2:3], s[4:5]
.LBB230_55:                             ;   in Loop: Header=BB230_35 Depth=1
	s_or_b64 exec, exec, s[26:27]
	s_andn2_b64 s[0:1], s[0:1], exec
	s_and_b64 s[2:3], s[2:3], exec
	s_or_b64 s[0:1], s[0:1], s[2:3]
.LBB230_56:                             ;   in Loop: Header=BB230_35 Depth=1
	s_or_b64 exec, exec, s[24:25]
	s_andn2_b64 s[2:3], vcc, exec
	s_and_b64 s[0:1], s[0:1], exec
	s_or_b64 vcc, s[2:3], s[0:1]
.LBB230_57:                             ;   in Loop: Header=BB230_35 Depth=1
	s_or_b64 exec, exec, s[22:23]
	s_and_saveexec_b64 s[0:1], vcc
	s_cbranch_execz .LBB230_34
; %bb.58:                               ;   in Loop: Header=BB230_35 Depth=1
	scratch_load_dword v28, v1, off
	v_ashrrev_i32_e32 v1, 31, v0
	s_waitcnt vmcnt(0)
	v_mul_f32_e32 v30, v4, v28
	s_waitcnt lgkmcnt(0)
	v_lshl_add_u64 v[28:29], v[0:1], 2, s[20:21]
	global_store_dword v[28:29], v30, off
	s_branch .LBB230_34
.LBB230_59:
	s_endpgm
	.section	.rodata,"a",@progbits
	.p2align	6, 0x0
	.amdhsa_kernel _ZN4vllm3moe22topkGatingSoftplusSqrtILi12ELi384ELi4ELi4ELi32ELb1Ei6__halfEEvPKT6_PKbPfiPT5_PiiiibdPKfPKS9_SF_
		.amdhsa_group_segment_fixed_size 0
		.amdhsa_private_segment_fixed_size 64
		.amdhsa_kernarg_size 96
		.amdhsa_user_sgpr_count 2
		.amdhsa_user_sgpr_dispatch_ptr 0
		.amdhsa_user_sgpr_queue_ptr 0
		.amdhsa_user_sgpr_kernarg_segment_ptr 1
		.amdhsa_user_sgpr_dispatch_id 0
		.amdhsa_user_sgpr_kernarg_preload_length 0
		.amdhsa_user_sgpr_kernarg_preload_offset 0
		.amdhsa_user_sgpr_private_segment_size 0
		.amdhsa_uses_dynamic_stack 0
		.amdhsa_enable_private_segment 1
		.amdhsa_system_sgpr_workgroup_id_x 1
		.amdhsa_system_sgpr_workgroup_id_y 0
		.amdhsa_system_sgpr_workgroup_id_z 0
		.amdhsa_system_sgpr_workgroup_info 0
		.amdhsa_system_vgpr_workitem_id 1
		.amdhsa_next_free_vgpr 32
		.amdhsa_next_free_sgpr 48
		.amdhsa_accum_offset 32
		.amdhsa_reserve_vcc 1
		.amdhsa_float_round_mode_32 0
		.amdhsa_float_round_mode_16_64 0
		.amdhsa_float_denorm_mode_32 3
		.amdhsa_float_denorm_mode_16_64 3
		.amdhsa_dx10_clamp 1
		.amdhsa_ieee_mode 1
		.amdhsa_fp16_overflow 0
		.amdhsa_tg_split 0
		.amdhsa_exception_fp_ieee_invalid_op 0
		.amdhsa_exception_fp_denorm_src 0
		.amdhsa_exception_fp_ieee_div_zero 0
		.amdhsa_exception_fp_ieee_overflow 0
		.amdhsa_exception_fp_ieee_underflow 0
		.amdhsa_exception_fp_ieee_inexact 0
		.amdhsa_exception_int_div_zero 0
	.end_amdhsa_kernel
	.section	.text._ZN4vllm3moe22topkGatingSoftplusSqrtILi12ELi384ELi4ELi4ELi32ELb1Ei6__halfEEvPKT6_PKbPfiPT5_PiiiibdPKfPKS9_SF_,"axG",@progbits,_ZN4vllm3moe22topkGatingSoftplusSqrtILi12ELi384ELi4ELi4ELi32ELb1Ei6__halfEEvPKT6_PKbPfiPT5_PiiiibdPKfPKS9_SF_,comdat
.Lfunc_end230:
	.size	_ZN4vllm3moe22topkGatingSoftplusSqrtILi12ELi384ELi4ELi4ELi32ELb1Ei6__halfEEvPKT6_PKbPfiPT5_PiiiibdPKfPKS9_SF_, .Lfunc_end230-_ZN4vllm3moe22topkGatingSoftplusSqrtILi12ELi384ELi4ELi4ELi32ELb1Ei6__halfEEvPKT6_PKbPfiPT5_PiiiibdPKfPKS9_SF_
                                        ; -- End function
	.section	.AMDGPU.csdata,"",@progbits
; Kernel info:
; codeLenInByte = 5076
; NumSgprs: 54
; NumVgprs: 32
; NumAgprs: 0
; TotalNumVgprs: 32
; ScratchSize: 64
; MemoryBound: 0
; FloatMode: 240
; IeeeMode: 1
; LDSByteSize: 0 bytes/workgroup (compile time only)
; SGPRBlocks: 6
; VGPRBlocks: 3
; NumSGPRsForWavesPerEU: 54
; NumVGPRsForWavesPerEU: 32
; AccumOffset: 32
; Occupancy: 8
; WaveLimiterHint : 1
; COMPUTE_PGM_RSRC2:SCRATCH_EN: 1
; COMPUTE_PGM_RSRC2:USER_SGPR: 2
; COMPUTE_PGM_RSRC2:TRAP_HANDLER: 0
; COMPUTE_PGM_RSRC2:TGID_X_EN: 1
; COMPUTE_PGM_RSRC2:TGID_Y_EN: 0
; COMPUTE_PGM_RSRC2:TGID_Z_EN: 0
; COMPUTE_PGM_RSRC2:TIDIG_COMP_CNT: 1
; COMPUTE_PGM_RSRC3_GFX90A:ACCUM_OFFSET: 7
; COMPUTE_PGM_RSRC3_GFX90A:TG_SPLIT: 0
	.section	.text._ZN4vllm3moe22topkGatingSoftplusSqrtILi12ELi384ELi4ELi4ELi32ELb0Ei6__halfEEvPKT6_PKbPfiPT5_PiiiibdPKfPKS9_SF_,"axG",@progbits,_ZN4vllm3moe22topkGatingSoftplusSqrtILi12ELi384ELi4ELi4ELi32ELb0Ei6__halfEEvPKT6_PKbPfiPT5_PiiiibdPKfPKS9_SF_,comdat
	.protected	_ZN4vllm3moe22topkGatingSoftplusSqrtILi12ELi384ELi4ELi4ELi32ELb0Ei6__halfEEvPKT6_PKbPfiPT5_PiiiibdPKfPKS9_SF_ ; -- Begin function _ZN4vllm3moe22topkGatingSoftplusSqrtILi12ELi384ELi4ELi4ELi32ELb0Ei6__halfEEvPKT6_PKbPfiPT5_PiiiibdPKfPKS9_SF_
	.globl	_ZN4vllm3moe22topkGatingSoftplusSqrtILi12ELi384ELi4ELi4ELi32ELb0Ei6__halfEEvPKT6_PKbPfiPT5_PiiiibdPKfPKS9_SF_
	.p2align	8
	.type	_ZN4vllm3moe22topkGatingSoftplusSqrtILi12ELi384ELi4ELi4ELi32ELb0Ei6__halfEEvPKT6_PKbPfiPT5_PiiiibdPKfPKS9_SF_,@function
_ZN4vllm3moe22topkGatingSoftplusSqrtILi12ELi384ELi4ELi4ELi32ELb0Ei6__halfEEvPKT6_PKbPfiPT5_PiiiibdPKfPKS9_SF_: ; @_ZN4vllm3moe22topkGatingSoftplusSqrtILi12ELi384ELi4ELi4ELi32ELb0Ei6__halfEEvPKT6_PKbPfiPT5_PiiiibdPKfPKS9_SF_
; %bb.0:
	s_load_dword s33, s[0:1], 0x18
	v_and_b32_e32 v1, 0x3ff, v0
	s_lshl_b32 s2, s2, 2
	v_lshrrev_b32_e32 v2, 5, v1
	v_bfe_u32 v0, v0, 10, 10
	v_add3_u32 v12, s2, v0, v2
	s_waitcnt lgkmcnt(0)
	v_cmp_gt_i32_e32 vcc, s33, v12
	s_and_saveexec_b64 s[2:3], vcc
	s_cbranch_execz .LBB231_73
; %bb.1:
	s_load_dwordx4 s[4:7], s[0:1], 0x0
	s_load_dwordx2 s[34:35], s[0:1], 0x10
	s_waitcnt lgkmcnt(0)
	s_cmp_eq_u64 s[6:7], 0
	s_cbranch_scc1 .LBB231_3
; %bb.2:
	v_ashrrev_i32_e32 v13, 31, v12
	v_lshl_add_u64 v[2:3], s[6:7], 0, v[12:13]
	global_load_ubyte v0, v[2:3], off
	s_waitcnt vmcnt(0)
	v_and_b32_e32 v0, 1, v0
	v_cmp_eq_u32_e32 vcc, 1, v0
	s_xor_b64 s[2:3], vcc, -1
	s_orn2_b64 s[44:45], s[2:3], exec
	s_branch .LBB231_4
.LBB231_3:
	s_mov_b64 s[44:45], -1
.LBB231_4:
	s_movk_i32 s2, 0x180
	v_mul_lo_u32 v4, v12, s2
	v_mov_b32_e32 v2, s4
	v_mov_b32_e32 v3, s5
	v_ashrrev_i32_e32 v5, 31, v4
	v_and_b32_e32 v13, 31, v1
	v_lshl_add_u64 v[2:3], v[4:5], 1, v[2:3]
	v_mov_b32_e32 v1, 0
	v_lshlrev_b32_e32 v0, 2, v13
	v_lshl_add_u64 v[14:15], v[2:3], 0, v[0:1]
	global_load_dword v1, v[14:15], off
	global_load_dword v3, v[14:15], off offset:128
	global_load_dword v5, v[14:15], off offset:256
	;; [unrolled: 1-line block ×5, first 2 shown]
	s_mov_b32 s12, 0x800000
	v_mov_b32_e32 v4, 0x4f800000
	s_mov_b32 s9, 0x3f317217
	s_mov_b32 s10, 0x7f800000
	v_mov_b32_e32 v6, 0x41b17218
	s_movk_i32 s8, 0x4d00
	s_mov_b32 s11, 0xf800000
	s_load_dwordx4 s[28:31], s[0:1], 0x40
	v_lshlrev_b32_e32 v16, 1, v13
	v_lshlrev_b32_e32 v14, 2, v16
	s_waitcnt lgkmcnt(0)
	s_cmp_lg_u64 s[30:31], 0
	s_cselect_b64 s[6:7], -1, 0
	s_and_b64 s[2:3], exec, s[6:7]
	s_waitcnt vmcnt(5)
	v_cvt_f32_f16_e32 v0, v1
	v_mul_f32_e32 v2, 0x3fb8aa3b, v0
	v_exp_f32_e32 v8, v2
	v_mov_b32_e32 v2, 0x260
	v_add_f32_e32 v8, 1.0, v8
	v_cmp_gt_f32_e32 vcc, s12, v8
	s_nop 1
	v_cndmask_b32_e32 v10, 1.0, v4, vcc
	v_mul_f32_e32 v8, v8, v10
	v_log_f32_e32 v8, v8
	v_cndmask_b32_e32 v10, 0, v6, vcc
	v_mul_f32_e32 v15, 0x3f317217, v8
	v_fma_f32 v15, v8, s9, -v15
	v_fmac_f32_e32 v15, 0x3377d1cf, v8
	v_fmac_f32_e32 v15, 0x3f317217, v8
	v_cmp_lt_f32_e64 vcc, |v8|, s10
	s_nop 1
	v_cndmask_b32_e32 v8, v8, v15, vcc
	v_sub_f32_e32 v8, v8, v10
	v_cmp_lt_f16_e32 vcc, s8, v1
	s_nop 1
	v_cndmask_b32_e32 v0, v8, v0, vcc
	v_mul_f32_e32 v8, 0x4f800000, v0
	v_cmp_gt_f32_e32 vcc, s11, v0
	s_nop 1
	v_cndmask_b32_e32 v0, v0, v8, vcc
	v_sqrt_f32_e32 v8, v0
	s_nop 0
	v_add_u32_e32 v10, -1, v8
	v_add_u32_e32 v15, 1, v8
	v_fma_f32 v17, -v10, v8, v0
	v_fma_f32 v18, -v15, v8, v0
	v_cmp_ge_f32_e64 s[4:5], 0, v17
	s_nop 1
	v_cndmask_b32_e64 v8, v8, v10, s[4:5]
	v_cmp_lt_f32_e64 s[4:5], 0, v18
	s_nop 1
	v_cndmask_b32_e64 v8, v8, v15, s[4:5]
	v_mul_f32_e32 v10, 0x37800000, v8
	v_cndmask_b32_e32 v8, v8, v10, vcc
	v_cmp_class_f32_e32 vcc, v0, v2
	s_nop 1
	v_cndmask_b32_e32 v0, v8, v0, vcc
	s_mov_b64 vcc, s[2:3]
	s_cbranch_vccz .LBB231_6
; %bb.5:
	global_load_dword v8, v14, s[30:31]
	s_waitcnt vmcnt(0)
	v_add_f32_e32 v0, v0, v8
.LBB231_6:
	v_cvt_f32_f16_sdwa v8, v1 dst_sel:DWORD dst_unused:UNUSED_PAD src0_sel:WORD_1
	v_mul_f32_e32 v10, 0x3fb8aa3b, v8
	v_exp_f32_e32 v10, v10
	s_nop 0
	v_add_f32_e32 v10, 1.0, v10
	v_cmp_gt_f32_e32 vcc, s12, v10
	s_nop 1
	v_cndmask_b32_e32 v4, 1.0, v4, vcc
	v_mul_f32_e32 v4, v10, v4
	v_log_f32_e32 v4, v4
	v_cndmask_b32_e32 v6, 0, v6, vcc
	v_mul_f32_e32 v10, 0x3f317217, v4
	v_fma_f32 v10, v4, s9, -v10
	v_fmac_f32_e32 v10, 0x3377d1cf, v4
	v_fmac_f32_e32 v10, 0x3f317217, v4
	v_cmp_lt_f32_e64 vcc, |v4|, s10
	s_nop 1
	v_cndmask_b32_e32 v4, v4, v10, vcc
	v_sub_f32_e32 v4, v4, v6
	v_cmp_gt_f16_sdwa vcc, v1, s8 src0_sel:WORD_1 src1_sel:DWORD
	v_cndmask_b32_e64 v6, 0, 1, s[6:7]
	v_cmp_ne_u32_e64 s[2:3], 1, v6
	v_cndmask_b32_e32 v1, v4, v8, vcc
	v_mul_f32_e32 v4, 0x4f800000, v1
	v_cmp_gt_f32_e64 s[4:5], s11, v1
	s_andn2_b64 vcc, exec, s[6:7]
	s_nop 0
	v_cndmask_b32_e64 v1, v1, v4, s[4:5]
	v_sqrt_f32_e32 v4, v1
	s_nop 0
	v_add_u32_e32 v6, -1, v4
	v_add_u32_e32 v8, 1, v4
	v_fma_f32 v10, -v6, v4, v1
	v_fma_f32 v15, -v8, v4, v1
	v_cmp_ge_f32_e64 s[6:7], 0, v10
	s_nop 1
	v_cndmask_b32_e64 v4, v4, v6, s[6:7]
	v_cmp_lt_f32_e64 s[6:7], 0, v15
	s_nop 1
	v_cndmask_b32_e64 v4, v4, v8, s[6:7]
	v_mul_f32_e32 v6, 0x37800000, v4
	v_cndmask_b32_e64 v4, v4, v6, s[4:5]
	v_cmp_class_f32_e64 s[4:5], v1, v2
	s_nop 1
	v_cndmask_b32_e64 v1, v4, v1, s[4:5]
	s_cbranch_vccnz .LBB231_8
; %bb.7:
	global_load_dword v2, v14, s[30:31] offset:4
	s_waitcnt vmcnt(0)
	v_add_f32_e32 v1, v1, v2
.LBB231_8:
	s_waitcnt vmcnt(4)
	v_cvt_f32_f16_e32 v2, v3
	s_mov_b32 s8, 0x800000
	v_mov_b32_e32 v6, 0x4f800000
	s_mov_b32 s7, 0x3f317217
	v_mul_f32_e32 v4, 0x3fb8aa3b, v2
	v_exp_f32_e32 v4, v4
	s_mov_b32 s9, 0x7f800000
	s_movk_i32 s6, 0x4d00
	s_mov_b32 s10, 0xf800000
	v_add_f32_e32 v4, 1.0, v4
	v_cmp_gt_f32_e32 vcc, s8, v4
	s_nop 1
	v_cndmask_b32_e32 v8, 1.0, v6, vcc
	v_mul_f32_e32 v4, v4, v8
	v_log_f32_e32 v4, v4
	v_mov_b32_e32 v8, 0x41b17218
	v_cndmask_b32_e32 v10, 0, v8, vcc
	v_mul_f32_e32 v15, 0x3f317217, v4
	v_fma_f32 v15, v4, s7, -v15
	v_fmac_f32_e32 v15, 0x3377d1cf, v4
	v_fmac_f32_e32 v15, 0x3f317217, v4
	v_cmp_lt_f32_e64 vcc, |v4|, s9
	s_nop 1
	v_cndmask_b32_e32 v4, v4, v15, vcc
	v_sub_f32_e32 v4, v4, v10
	v_cmp_lt_f16_e32 vcc, s6, v3
	s_nop 1
	v_cndmask_b32_e32 v2, v4, v2, vcc
	v_mul_f32_e32 v4, 0x4f800000, v2
	v_cmp_gt_f32_e32 vcc, s10, v2
	s_nop 1
	v_cndmask_b32_e32 v2, v2, v4, vcc
	v_sqrt_f32_e32 v4, v2
	s_nop 0
	v_add_u32_e32 v10, -1, v4
	v_fma_f32 v15, -v10, v4, v2
	v_cmp_ge_f32_e64 s[4:5], 0, v15
	v_add_u32_e32 v15, 1, v4
	s_nop 0
	v_cndmask_b32_e64 v10, v4, v10, s[4:5]
	v_fma_f32 v4, -v15, v4, v2
	v_cmp_lt_f32_e64 s[4:5], 0, v4
	s_nop 1
	v_cndmask_b32_e64 v4, v10, v15, s[4:5]
	v_mul_f32_e32 v10, 0x37800000, v4
	v_cndmask_b32_e32 v10, v4, v10, vcc
	v_mov_b32_e32 v4, 0x260
	v_cmp_class_f32_e64 s[4:5], v2, v4
	s_and_b64 vcc, exec, s[2:3]
	s_nop 0
	v_cndmask_b32_e64 v2, v10, v2, s[4:5]
	s_cbranch_vccnz .LBB231_10
; %bb.9:
	global_load_dword v10, v14, s[30:31] offset:256
	s_waitcnt vmcnt(0)
	v_add_f32_e32 v2, v2, v10
.LBB231_10:
	v_cvt_f32_f16_sdwa v10, v3 dst_sel:DWORD dst_unused:UNUSED_PAD src0_sel:WORD_1
	v_mul_f32_e32 v15, 0x3fb8aa3b, v10
	v_exp_f32_e32 v15, v15
	s_nop 0
	v_add_f32_e32 v15, 1.0, v15
	v_cmp_gt_f32_e32 vcc, s8, v15
	s_nop 1
	v_cndmask_b32_e32 v6, 1.0, v6, vcc
	v_mul_f32_e32 v6, v15, v6
	v_log_f32_e32 v6, v6
	v_cndmask_b32_e32 v8, 0, v8, vcc
	v_mul_f32_e32 v15, 0x3f317217, v6
	v_fma_f32 v15, v6, s7, -v15
	v_fmac_f32_e32 v15, 0x3377d1cf, v6
	v_fmac_f32_e32 v15, 0x3f317217, v6
	v_cmp_lt_f32_e64 vcc, |v6|, s9
	s_nop 1
	v_cndmask_b32_e32 v6, v6, v15, vcc
	v_sub_f32_e32 v6, v6, v8
	v_cmp_gt_f16_sdwa vcc, v3, s6 src0_sel:WORD_1 src1_sel:DWORD
	s_nop 1
	v_cndmask_b32_e32 v3, v6, v10, vcc
	v_mul_f32_e32 v6, 0x4f800000, v3
	v_cmp_gt_f32_e64 s[4:5], s10, v3
	s_and_b64 vcc, exec, s[2:3]
	s_nop 0
	v_cndmask_b32_e64 v3, v3, v6, s[4:5]
	v_sqrt_f32_e32 v6, v3
	s_nop 0
	v_add_u32_e32 v8, -1, v6
	v_add_u32_e32 v10, 1, v6
	v_fma_f32 v15, -v8, v6, v3
	v_fma_f32 v17, -v10, v6, v3
	v_cmp_ge_f32_e64 s[6:7], 0, v15
	s_nop 1
	v_cndmask_b32_e64 v6, v6, v8, s[6:7]
	v_cmp_lt_f32_e64 s[6:7], 0, v17
	s_nop 1
	v_cndmask_b32_e64 v6, v6, v10, s[6:7]
	v_mul_f32_e32 v8, 0x37800000, v6
	v_cndmask_b32_e64 v6, v6, v8, s[4:5]
	v_cmp_class_f32_e64 s[4:5], v3, v4
	s_nop 1
	v_cndmask_b32_e64 v3, v6, v3, s[4:5]
	s_cbranch_vccnz .LBB231_12
; %bb.11:
	global_load_dword v4, v14, s[30:31] offset:260
	s_waitcnt vmcnt(0)
	v_add_f32_e32 v3, v3, v4
.LBB231_12:
	s_waitcnt vmcnt(3)
	v_cvt_f32_f16_e32 v4, v5
	v_mov_b32_e32 v8, 0x4f800000
	s_mov_b32 s7, 0x3f317217
	s_movk_i32 s6, 0x4d00
	v_mul_f32_e32 v6, 0x3fb8aa3b, v4
	v_exp_f32_e32 v6, v6
	s_nop 0
	v_add_f32_e32 v6, 1.0, v6
	v_cmp_gt_f32_e32 vcc, s8, v6
	s_nop 1
	v_cndmask_b32_e32 v10, 1.0, v8, vcc
	v_mul_f32_e32 v6, v6, v10
	v_log_f32_e32 v6, v6
	v_mov_b32_e32 v10, 0x41b17218
	v_cndmask_b32_e32 v15, 0, v10, vcc
	v_mul_f32_e32 v17, 0x3f317217, v6
	v_fma_f32 v17, v6, s7, -v17
	v_fmac_f32_e32 v17, 0x3377d1cf, v6
	v_fmac_f32_e32 v17, 0x3f317217, v6
	v_cmp_lt_f32_e64 vcc, |v6|, s9
	s_nop 1
	v_cndmask_b32_e32 v6, v6, v17, vcc
	v_sub_f32_e32 v6, v6, v15
	v_cmp_lt_f16_e32 vcc, s6, v5
	s_nop 1
	v_cndmask_b32_e32 v4, v6, v4, vcc
	v_mul_f32_e32 v6, 0x4f800000, v4
	v_cmp_gt_f32_e32 vcc, s10, v4
	s_nop 1
	v_cndmask_b32_e32 v4, v4, v6, vcc
	v_sqrt_f32_e32 v6, v4
	s_nop 0
	v_add_u32_e32 v15, -1, v6
	v_fma_f32 v17, -v15, v6, v4
	v_cmp_ge_f32_e64 s[4:5], 0, v17
	v_add_u32_e32 v17, 1, v6
	s_nop 0
	v_cndmask_b32_e64 v15, v6, v15, s[4:5]
	v_fma_f32 v6, -v17, v6, v4
	v_cmp_lt_f32_e64 s[4:5], 0, v6
	s_nop 1
	v_cndmask_b32_e64 v6, v15, v17, s[4:5]
	v_mul_f32_e32 v15, 0x37800000, v6
	v_cndmask_b32_e32 v15, v6, v15, vcc
	v_mov_b32_e32 v6, 0x260
	v_cmp_class_f32_e64 s[4:5], v4, v6
	s_and_b64 vcc, exec, s[2:3]
	s_nop 0
	v_cndmask_b32_e64 v4, v15, v4, s[4:5]
	s_cbranch_vccnz .LBB231_14
; %bb.13:
	global_load_dword v15, v14, s[30:31] offset:512
	s_waitcnt vmcnt(0)
	v_add_f32_e32 v4, v4, v15
.LBB231_14:
	v_cvt_f32_f16_sdwa v15, v5 dst_sel:DWORD dst_unused:UNUSED_PAD src0_sel:WORD_1
	v_mul_f32_e32 v17, 0x3fb8aa3b, v15
	v_exp_f32_e32 v17, v17
	s_nop 0
	v_add_f32_e32 v17, 1.0, v17
	v_cmp_gt_f32_e32 vcc, s8, v17
	s_nop 1
	v_cndmask_b32_e32 v8, 1.0, v8, vcc
	v_mul_f32_e32 v8, v17, v8
	v_log_f32_e32 v8, v8
	v_cndmask_b32_e32 v10, 0, v10, vcc
	v_mul_f32_e32 v17, 0x3f317217, v8
	v_fma_f32 v17, v8, s7, -v17
	v_fmac_f32_e32 v17, 0x3377d1cf, v8
	v_fmac_f32_e32 v17, 0x3f317217, v8
	v_cmp_lt_f32_e64 vcc, |v8|, s9
	s_nop 1
	v_cndmask_b32_e32 v8, v8, v17, vcc
	v_sub_f32_e32 v8, v8, v10
	v_cmp_gt_f16_sdwa vcc, v5, s6 src0_sel:WORD_1 src1_sel:DWORD
	s_nop 1
	v_cndmask_b32_e32 v5, v8, v15, vcc
	v_mul_f32_e32 v8, 0x4f800000, v5
	v_cmp_gt_f32_e64 s[4:5], s10, v5
	s_and_b64 vcc, exec, s[2:3]
	s_nop 0
	v_cndmask_b32_e64 v5, v5, v8, s[4:5]
	v_sqrt_f32_e32 v8, v5
	s_nop 0
	v_add_u32_e32 v10, -1, v8
	v_add_u32_e32 v15, 1, v8
	v_fma_f32 v17, -v10, v8, v5
	v_fma_f32 v18, -v15, v8, v5
	v_cmp_ge_f32_e64 s[6:7], 0, v17
	s_nop 1
	v_cndmask_b32_e64 v8, v8, v10, s[6:7]
	v_cmp_lt_f32_e64 s[6:7], 0, v18
	s_nop 1
	v_cndmask_b32_e64 v8, v8, v15, s[6:7]
	v_mul_f32_e32 v10, 0x37800000, v8
	v_cndmask_b32_e64 v8, v8, v10, s[4:5]
	v_cmp_class_f32_e64 s[4:5], v5, v6
	s_nop 1
	v_cndmask_b32_e64 v5, v8, v5, s[4:5]
	s_cbranch_vccnz .LBB231_16
; %bb.15:
	global_load_dword v6, v14, s[30:31] offset:516
	s_waitcnt vmcnt(0)
	v_add_f32_e32 v5, v5, v6
.LBB231_16:
	s_waitcnt vmcnt(2)
	v_cvt_f32_f16_e32 v6, v7
	v_mov_b32_e32 v10, 0x4f800000
	s_mov_b32 s7, 0x3f317217
	s_movk_i32 s6, 0x4d00
	v_mul_f32_e32 v8, 0x3fb8aa3b, v6
	v_exp_f32_e32 v8, v8
	s_nop 0
	v_add_f32_e32 v8, 1.0, v8
	v_cmp_gt_f32_e32 vcc, s8, v8
	s_nop 1
	v_cndmask_b32_e32 v15, 1.0, v10, vcc
	v_mul_f32_e32 v8, v8, v15
	v_log_f32_e32 v8, v8
	v_mov_b32_e32 v15, 0x41b17218
	v_cndmask_b32_e32 v17, 0, v15, vcc
	v_mul_f32_e32 v18, 0x3f317217, v8
	v_fma_f32 v18, v8, s7, -v18
	v_fmac_f32_e32 v18, 0x3377d1cf, v8
	v_fmac_f32_e32 v18, 0x3f317217, v8
	v_cmp_lt_f32_e64 vcc, |v8|, s9
	s_nop 1
	v_cndmask_b32_e32 v8, v8, v18, vcc
	v_sub_f32_e32 v8, v8, v17
	v_cmp_lt_f16_e32 vcc, s6, v7
	s_nop 1
	v_cndmask_b32_e32 v6, v8, v6, vcc
	v_mul_f32_e32 v8, 0x4f800000, v6
	v_cmp_gt_f32_e32 vcc, s10, v6
	s_nop 1
	v_cndmask_b32_e32 v6, v6, v8, vcc
	v_sqrt_f32_e32 v8, v6
	s_nop 0
	v_add_u32_e32 v17, -1, v8
	v_fma_f32 v18, -v17, v8, v6
	v_cmp_ge_f32_e64 s[4:5], 0, v18
	v_add_u32_e32 v18, 1, v8
	s_nop 0
	v_cndmask_b32_e64 v17, v8, v17, s[4:5]
	v_fma_f32 v8, -v18, v8, v6
	v_cmp_lt_f32_e64 s[4:5], 0, v8
	s_nop 1
	v_cndmask_b32_e64 v8, v17, v18, s[4:5]
	v_mul_f32_e32 v17, 0x37800000, v8
	v_cndmask_b32_e32 v17, v8, v17, vcc
	v_mov_b32_e32 v8, 0x260
	v_cmp_class_f32_e64 s[4:5], v6, v8
	s_and_b64 vcc, exec, s[2:3]
	s_nop 0
	v_cndmask_b32_e64 v6, v17, v6, s[4:5]
	s_cbranch_vccnz .LBB231_18
; %bb.17:
	global_load_dword v17, v14, s[30:31] offset:768
	s_waitcnt vmcnt(0)
	v_add_f32_e32 v6, v6, v17
.LBB231_18:
	v_cvt_f32_f16_sdwa v17, v7 dst_sel:DWORD dst_unused:UNUSED_PAD src0_sel:WORD_1
	v_mul_f32_e32 v18, 0x3fb8aa3b, v17
	v_exp_f32_e32 v18, v18
	s_nop 0
	v_add_f32_e32 v18, 1.0, v18
	v_cmp_gt_f32_e32 vcc, s8, v18
	s_nop 1
	v_cndmask_b32_e32 v10, 1.0, v10, vcc
	v_mul_f32_e32 v10, v18, v10
	v_log_f32_e32 v10, v10
	v_cndmask_b32_e32 v15, 0, v15, vcc
	v_mul_f32_e32 v18, 0x3f317217, v10
	v_fma_f32 v18, v10, s7, -v18
	v_fmac_f32_e32 v18, 0x3377d1cf, v10
	v_fmac_f32_e32 v18, 0x3f317217, v10
	v_cmp_lt_f32_e64 vcc, |v10|, s9
	s_nop 1
	v_cndmask_b32_e32 v10, v10, v18, vcc
	v_sub_f32_e32 v10, v10, v15
	v_cmp_gt_f16_sdwa vcc, v7, s6 src0_sel:WORD_1 src1_sel:DWORD
	s_nop 1
	v_cndmask_b32_e32 v7, v10, v17, vcc
	v_mul_f32_e32 v10, 0x4f800000, v7
	v_cmp_gt_f32_e64 s[4:5], s10, v7
	s_and_b64 vcc, exec, s[2:3]
	s_nop 0
	v_cndmask_b32_e64 v7, v7, v10, s[4:5]
	v_sqrt_f32_e32 v10, v7
	s_nop 0
	v_add_u32_e32 v15, -1, v10
	v_add_u32_e32 v17, 1, v10
	v_fma_f32 v18, -v15, v10, v7
	v_fma_f32 v19, -v17, v10, v7
	v_cmp_ge_f32_e64 s[6:7], 0, v18
	s_nop 1
	v_cndmask_b32_e64 v10, v10, v15, s[6:7]
	v_cmp_lt_f32_e64 s[6:7], 0, v19
	s_nop 1
	v_cndmask_b32_e64 v10, v10, v17, s[6:7]
	v_mul_f32_e32 v15, 0x37800000, v10
	v_cndmask_b32_e64 v10, v10, v15, s[4:5]
	v_cmp_class_f32_e64 s[4:5], v7, v8
	s_nop 1
	v_cndmask_b32_e64 v7, v10, v7, s[4:5]
	s_cbranch_vccnz .LBB231_20
; %bb.19:
	global_load_dword v8, v14, s[30:31] offset:772
	s_waitcnt vmcnt(0)
	v_add_f32_e32 v7, v7, v8
.LBB231_20:
	s_waitcnt vmcnt(1)
	v_cvt_f32_f16_e32 v8, v9
	v_mov_b32_e32 v15, 0x4f800000
	s_mov_b32 s7, 0x3f317217
	s_movk_i32 s6, 0x4d00
	v_mul_f32_e32 v10, 0x3fb8aa3b, v8
	v_exp_f32_e32 v10, v10
	s_nop 0
	v_add_f32_e32 v10, 1.0, v10
	v_cmp_gt_f32_e32 vcc, s8, v10
	s_nop 1
	v_cndmask_b32_e32 v17, 1.0, v15, vcc
	v_mul_f32_e32 v10, v10, v17
	v_log_f32_e32 v10, v10
	v_mov_b32_e32 v17, 0x41b17218
	v_cndmask_b32_e32 v18, 0, v17, vcc
	v_mul_f32_e32 v19, 0x3f317217, v10
	v_fma_f32 v19, v10, s7, -v19
	v_fmac_f32_e32 v19, 0x3377d1cf, v10
	v_fmac_f32_e32 v19, 0x3f317217, v10
	v_cmp_lt_f32_e64 vcc, |v10|, s9
	s_nop 1
	v_cndmask_b32_e32 v10, v10, v19, vcc
	v_sub_f32_e32 v10, v10, v18
	v_cmp_lt_f16_e32 vcc, s6, v9
	s_nop 1
	v_cndmask_b32_e32 v8, v10, v8, vcc
	v_mul_f32_e32 v10, 0x4f800000, v8
	v_cmp_gt_f32_e32 vcc, s10, v8
	s_nop 1
	v_cndmask_b32_e32 v8, v8, v10, vcc
	v_sqrt_f32_e32 v10, v8
	s_nop 0
	v_add_u32_e32 v18, -1, v10
	v_fma_f32 v19, -v18, v10, v8
	v_cmp_ge_f32_e64 s[4:5], 0, v19
	v_add_u32_e32 v19, 1, v10
	s_nop 0
	v_cndmask_b32_e64 v18, v10, v18, s[4:5]
	v_fma_f32 v10, -v19, v10, v8
	v_cmp_lt_f32_e64 s[4:5], 0, v10
	s_nop 1
	v_cndmask_b32_e64 v10, v18, v19, s[4:5]
	v_mul_f32_e32 v18, 0x37800000, v10
	v_cndmask_b32_e32 v18, v10, v18, vcc
	v_mov_b32_e32 v10, 0x260
	v_cmp_class_f32_e64 s[4:5], v8, v10
	s_and_b64 vcc, exec, s[2:3]
	s_nop 0
	v_cndmask_b32_e64 v8, v18, v8, s[4:5]
	s_cbranch_vccnz .LBB231_22
; %bb.21:
	global_load_dword v18, v14, s[30:31] offset:1024
	s_waitcnt vmcnt(0)
	v_add_f32_e32 v8, v8, v18
.LBB231_22:
	v_cvt_f32_f16_sdwa v18, v9 dst_sel:DWORD dst_unused:UNUSED_PAD src0_sel:WORD_1
	v_mul_f32_e32 v19, 0x3fb8aa3b, v18
	v_exp_f32_e32 v19, v19
	s_nop 0
	v_add_f32_e32 v19, 1.0, v19
	v_cmp_gt_f32_e32 vcc, s8, v19
	s_nop 1
	v_cndmask_b32_e32 v15, 1.0, v15, vcc
	v_mul_f32_e32 v15, v19, v15
	v_log_f32_e32 v15, v15
	v_cndmask_b32_e32 v17, 0, v17, vcc
	v_mul_f32_e32 v19, 0x3f317217, v15
	v_fma_f32 v19, v15, s7, -v19
	v_fmac_f32_e32 v19, 0x3377d1cf, v15
	v_fmac_f32_e32 v19, 0x3f317217, v15
	v_cmp_lt_f32_e64 vcc, |v15|, s9
	s_nop 1
	v_cndmask_b32_e32 v15, v15, v19, vcc
	v_sub_f32_e32 v15, v15, v17
	v_cmp_gt_f16_sdwa vcc, v9, s6 src0_sel:WORD_1 src1_sel:DWORD
	s_nop 1
	v_cndmask_b32_e32 v9, v15, v18, vcc
	v_mul_f32_e32 v15, 0x4f800000, v9
	v_cmp_gt_f32_e64 s[4:5], s10, v9
	s_and_b64 vcc, exec, s[2:3]
	s_nop 0
	v_cndmask_b32_e64 v9, v9, v15, s[4:5]
	v_sqrt_f32_e32 v15, v9
	s_nop 0
	v_add_u32_e32 v17, -1, v15
	v_add_u32_e32 v18, 1, v15
	v_fma_f32 v19, -v17, v15, v9
	v_fma_f32 v20, -v18, v15, v9
	v_cmp_ge_f32_e64 s[6:7], 0, v19
	s_nop 1
	v_cndmask_b32_e64 v15, v15, v17, s[6:7]
	v_cmp_lt_f32_e64 s[6:7], 0, v20
	s_nop 1
	v_cndmask_b32_e64 v15, v15, v18, s[6:7]
	v_mul_f32_e32 v17, 0x37800000, v15
	v_cndmask_b32_e64 v15, v15, v17, s[4:5]
	v_cmp_class_f32_e64 s[4:5], v9, v10
	s_nop 1
	v_cndmask_b32_e64 v9, v15, v9, s[4:5]
	s_cbranch_vccnz .LBB231_24
; %bb.23:
	global_load_dword v10, v14, s[30:31] offset:1028
	s_waitcnt vmcnt(0)
	v_add_f32_e32 v9, v9, v10
.LBB231_24:
	s_waitcnt vmcnt(0)
	v_cvt_f32_f16_e32 v10, v11
	v_mov_b32_e32 v17, 0x4f800000
	s_mov_b32 s7, 0x3f317217
	s_movk_i32 s6, 0x4d00
	v_mul_f32_e32 v15, 0x3fb8aa3b, v10
	v_exp_f32_e32 v15, v15
	s_nop 0
	v_add_f32_e32 v15, 1.0, v15
	v_cmp_gt_f32_e32 vcc, s8, v15
	s_nop 1
	v_cndmask_b32_e32 v18, 1.0, v17, vcc
	v_mul_f32_e32 v15, v15, v18
	v_log_f32_e32 v15, v15
	v_mov_b32_e32 v18, 0x41b17218
	v_cndmask_b32_e32 v19, 0, v18, vcc
	v_mul_f32_e32 v20, 0x3f317217, v15
	v_fma_f32 v20, v15, s7, -v20
	v_fmac_f32_e32 v20, 0x3377d1cf, v15
	v_fmac_f32_e32 v20, 0x3f317217, v15
	v_cmp_lt_f32_e64 vcc, |v15|, s9
	s_nop 1
	v_cndmask_b32_e32 v15, v15, v20, vcc
	v_sub_f32_e32 v15, v15, v19
	v_cmp_lt_f16_e32 vcc, s6, v11
	s_nop 1
	v_cndmask_b32_e32 v10, v15, v10, vcc
	v_mul_f32_e32 v15, 0x4f800000, v10
	v_cmp_gt_f32_e32 vcc, s10, v10
	s_nop 1
	v_cndmask_b32_e32 v10, v10, v15, vcc
	v_sqrt_f32_e32 v15, v10
	s_nop 0
	v_add_u32_e32 v19, -1, v15
	v_fma_f32 v20, -v19, v15, v10
	v_cmp_ge_f32_e64 s[4:5], 0, v20
	v_add_u32_e32 v20, 1, v15
	s_nop 0
	v_cndmask_b32_e64 v19, v15, v19, s[4:5]
	v_fma_f32 v15, -v20, v15, v10
	v_cmp_lt_f32_e64 s[4:5], 0, v15
	s_nop 1
	v_cndmask_b32_e64 v15, v19, v20, s[4:5]
	v_mul_f32_e32 v19, 0x37800000, v15
	v_cndmask_b32_e32 v19, v15, v19, vcc
	v_mov_b32_e32 v15, 0x260
	v_cmp_class_f32_e64 s[4:5], v10, v15
	s_and_b64 vcc, exec, s[2:3]
	s_nop 0
	v_cndmask_b32_e64 v10, v19, v10, s[4:5]
	s_cbranch_vccnz .LBB231_26
; %bb.25:
	global_load_dword v19, v14, s[30:31] offset:1280
	s_waitcnt vmcnt(0)
	v_add_f32_e32 v10, v10, v19
.LBB231_26:
	v_cvt_f32_f16_sdwa v19, v11 dst_sel:DWORD dst_unused:UNUSED_PAD src0_sel:WORD_1
	v_mul_f32_e32 v20, 0x3fb8aa3b, v19
	v_exp_f32_e32 v20, v20
	s_nop 0
	v_add_f32_e32 v20, 1.0, v20
	v_cmp_gt_f32_e32 vcc, s8, v20
	s_nop 1
	v_cndmask_b32_e32 v17, 1.0, v17, vcc
	v_mul_f32_e32 v17, v20, v17
	v_log_f32_e32 v17, v17
	v_cndmask_b32_e32 v18, 0, v18, vcc
	v_mul_f32_e32 v20, 0x3f317217, v17
	v_fma_f32 v20, v17, s7, -v20
	v_fmac_f32_e32 v20, 0x3377d1cf, v17
	v_fmac_f32_e32 v20, 0x3f317217, v17
	v_cmp_lt_f32_e64 vcc, |v17|, s9
	s_nop 1
	v_cndmask_b32_e32 v17, v17, v20, vcc
	v_sub_f32_e32 v17, v17, v18
	v_cmp_gt_f16_sdwa vcc, v11, s6 src0_sel:WORD_1 src1_sel:DWORD
	s_nop 1
	v_cndmask_b32_e32 v11, v17, v19, vcc
	v_mul_f32_e32 v17, 0x4f800000, v11
	v_cmp_gt_f32_e64 s[4:5], s10, v11
	s_and_b64 vcc, exec, s[2:3]
	s_nop 0
	v_cndmask_b32_e64 v11, v11, v17, s[4:5]
	v_sqrt_f32_e32 v17, v11
	s_nop 0
	v_add_u32_e32 v18, -1, v17
	v_add_u32_e32 v19, 1, v17
	v_fma_f32 v20, -v18, v17, v11
	v_fma_f32 v21, -v19, v17, v11
	v_cmp_ge_f32_e64 s[6:7], 0, v20
	s_nop 1
	v_cndmask_b32_e64 v17, v17, v18, s[6:7]
	v_cmp_lt_f32_e64 s[6:7], 0, v21
	s_nop 1
	v_cndmask_b32_e64 v17, v17, v19, s[6:7]
	v_mul_f32_e32 v18, 0x37800000, v17
	v_cndmask_b32_e64 v17, v17, v18, s[4:5]
	v_cmp_class_f32_e64 s[4:5], v11, v15
	s_nop 1
	v_cndmask_b32_e64 v11, v17, v11, s[4:5]
	s_cbranch_vccnz .LBB231_28
; %bb.27:
	global_load_dword v14, v14, s[30:31] offset:1284
	s_waitcnt vmcnt(0)
	v_add_f32_e32 v11, v11, v14
.LBB231_28:
	s_load_dwordx4 s[36:39], s[0:1], 0x30
	s_mov_b32 s50, 0
	v_cmp_eq_u32_e64 s[6:7], 0, v13
	s_waitcnt lgkmcnt(0)
	s_bitcmp1_b32 s39, 0
	s_cselect_b64 s[4:5], -1, 0
	s_cmp_gt_i32 s36, 0
	s_cselect_b64 s[46:47], -1, 0
	s_and_b64 vcc, exec, s[46:47]
	s_cbranch_vccz .LBB231_59
; %bb.29:
	v_mbcnt_lo_u32_b32 v14, -1, 0
	v_mbcnt_hi_u32_b32 v14, -1, v14
	v_and_b32_e32 v15, 0x60, v14
	v_add_u32_e32 v15, 32, v15
	v_xor_b32_e32 v17, 16, v14
	v_cmp_lt_i32_e32 vcc, v17, v15
	s_load_dwordx4 s[40:43], s[0:1], 0x20
	v_mul_lo_u32 v18, v12, s36
	v_cndmask_b32_e32 v17, v14, v17, vcc
	v_lshlrev_b32_e32 v19, 2, v17
	v_xor_b32_e32 v17, 8, v14
	v_cmp_lt_i32_e32 vcc, v17, v15
	v_mov_b32_e32 v24, 0x41
	v_mov_b32_e32 v25, 0x80
	v_cndmask_b32_e32 v17, v14, v17, vcc
	v_lshlrev_b32_e32 v20, 2, v17
	v_xor_b32_e32 v17, 4, v14
	v_cmp_lt_i32_e32 vcc, v17, v15
	v_mov_b32_e32 v26, 0x81
	v_mov_b32_e32 v27, 0xc0
	;; [unrolled: 6-line block ×4, first 2 shown]
	v_cndmask_b32_e32 v14, v14, v17, vcc
	v_lshlrev_b32_e32 v23, 2, v14
	v_mov_b32_e32 v17, 0
	v_mov_b32_e32 v32, 0x141
	;; [unrolled: 1-line block ×5, first 2 shown]
	s_branch .LBB231_32
.LBB231_30:                             ;   in Loop: Header=BB231_32 Depth=1
	s_or_b64 exec, exec, s[48:49]
.LBB231_31:                             ;   in Loop: Header=BB231_32 Depth=1
	s_cmp_eq_u32 s36, s50
	v_add_u32_e32 v35, s33, v35
	s_cbranch_scc1 .LBB231_60
.LBB231_32:                             ; =>This Inner Loop Header: Depth=1
	v_cmp_gt_f32_e32 vcc, v1, v0
	s_nop 1
	v_cndmask_b32_e32 v15, v0, v1, vcc
	v_cndmask_b32_e64 v14, 0, 1, vcc
	v_cmp_gt_f32_e32 vcc, v2, v15
	s_nop 1
	v_cndmask_b32_e32 v15, v15, v2, vcc
	v_cndmask_b32_e64 v14, v14, 64, vcc
	v_cmp_gt_f32_e32 vcc, v3, v15
	s_nop 1
	v_cndmask_b32_e32 v15, v15, v3, vcc
	v_cndmask_b32_e32 v14, v14, v24, vcc
	v_cmp_gt_f32_e32 vcc, v4, v15
	s_nop 1
	v_cndmask_b32_e32 v15, v15, v4, vcc
	v_cndmask_b32_e32 v14, v14, v25, vcc
	;; [unrolled: 4-line block ×9, first 2 shown]
	ds_bpermute_b32 v15, v19, v36
	v_or_b32_e32 v14, v16, v14
	s_waitcnt lgkmcnt(0)
	ds_bpermute_b32 v37, v19, v14
	s_waitcnt lgkmcnt(0)
	v_cmp_lt_f32_e64 s[8:9], v36, v15
	v_cmp_nlt_f32_e32 vcc, v36, v15
	s_and_saveexec_b64 s[10:11], vcc
; %bb.33:                               ;   in Loop: Header=BB231_32 Depth=1
	v_cmp_eq_f32_e32 vcc, v36, v15
	v_cmp_lt_i32_e64 s[0:1], v37, v14
	s_and_b64 s[0:1], vcc, s[0:1]
	s_andn2_b64 s[8:9], s[8:9], exec
	s_and_b64 s[0:1], s[0:1], exec
	s_or_b64 s[8:9], s[8:9], s[0:1]
; %bb.34:                               ;   in Loop: Header=BB231_32 Depth=1
	s_or_b64 exec, exec, s[10:11]
	s_and_saveexec_b64 s[0:1], s[8:9]
; %bb.35:                               ;   in Loop: Header=BB231_32 Depth=1
	v_mov_b32_e32 v36, v15
	v_mov_b32_e32 v14, v37
; %bb.36:                               ;   in Loop: Header=BB231_32 Depth=1
	s_or_b64 exec, exec, s[0:1]
	ds_bpermute_b32 v15, v20, v36
	ds_bpermute_b32 v37, v20, v14
	s_waitcnt lgkmcnt(1)
	v_cmp_lt_f32_e64 s[8:9], v36, v15
	v_cmp_nlt_f32_e32 vcc, v36, v15
	s_and_saveexec_b64 s[10:11], vcc
	s_cbranch_execz .LBB231_38
; %bb.37:                               ;   in Loop: Header=BB231_32 Depth=1
	v_cmp_eq_f32_e32 vcc, v36, v15
	s_waitcnt lgkmcnt(0)
	v_cmp_lt_i32_e64 s[0:1], v37, v14
	s_and_b64 s[0:1], vcc, s[0:1]
	s_andn2_b64 s[8:9], s[8:9], exec
	s_and_b64 s[0:1], s[0:1], exec
	s_or_b64 s[8:9], s[8:9], s[0:1]
.LBB231_38:                             ;   in Loop: Header=BB231_32 Depth=1
	s_or_b64 exec, exec, s[10:11]
	s_and_saveexec_b64 s[0:1], s[8:9]
	s_cbranch_execz .LBB231_40
; %bb.39:                               ;   in Loop: Header=BB231_32 Depth=1
	v_mov_b32_e32 v36, v15
	s_waitcnt lgkmcnt(0)
	v_mov_b32_e32 v14, v37
.LBB231_40:                             ;   in Loop: Header=BB231_32 Depth=1
	s_or_b64 exec, exec, s[0:1]
	ds_bpermute_b32 v15, v21, v36
	s_waitcnt lgkmcnt(1)
	ds_bpermute_b32 v37, v21, v14
	s_waitcnt lgkmcnt(1)
	v_cmp_lt_f32_e64 s[8:9], v36, v15
	v_cmp_nlt_f32_e32 vcc, v36, v15
	s_and_saveexec_b64 s[10:11], vcc
	s_cbranch_execz .LBB231_42
; %bb.41:                               ;   in Loop: Header=BB231_32 Depth=1
	v_cmp_eq_f32_e32 vcc, v36, v15
	s_waitcnt lgkmcnt(0)
	v_cmp_lt_i32_e64 s[0:1], v37, v14
	s_and_b64 s[0:1], vcc, s[0:1]
	s_andn2_b64 s[8:9], s[8:9], exec
	s_and_b64 s[0:1], s[0:1], exec
	s_or_b64 s[8:9], s[8:9], s[0:1]
.LBB231_42:                             ;   in Loop: Header=BB231_32 Depth=1
	s_or_b64 exec, exec, s[10:11]
	s_and_saveexec_b64 s[0:1], s[8:9]
	s_cbranch_execz .LBB231_44
; %bb.43:                               ;   in Loop: Header=BB231_32 Depth=1
	v_mov_b32_e32 v36, v15
	s_waitcnt lgkmcnt(0)
	v_mov_b32_e32 v14, v37
.LBB231_44:                             ;   in Loop: Header=BB231_32 Depth=1
	s_or_b64 exec, exec, s[0:1]
	ds_bpermute_b32 v15, v22, v36
	s_waitcnt lgkmcnt(1)
	;; [unrolled: 26-line block ×3, first 2 shown]
	ds_bpermute_b32 v37, v23, v14
	s_waitcnt lgkmcnt(1)
	v_cmp_lt_f32_e64 s[8:9], v36, v15
	v_cmp_nlt_f32_e32 vcc, v36, v15
	s_and_saveexec_b64 s[10:11], vcc
	s_cbranch_execnz .LBB231_52
; %bb.49:                               ;   in Loop: Header=BB231_32 Depth=1
	s_or_b64 exec, exec, s[10:11]
	s_and_saveexec_b64 s[0:1], s[8:9]
	s_cbranch_execnz .LBB231_53
.LBB231_50:                             ;   in Loop: Header=BB231_32 Depth=1
	s_or_b64 exec, exec, s[0:1]
	s_and_saveexec_b64 s[8:9], s[6:7]
	s_cbranch_execnz .LBB231_54
.LBB231_51:                             ;   in Loop: Header=BB231_32 Depth=1
	s_or_b64 exec, exec, s[8:9]
	s_add_i32 s50, s50, 1
	s_cmp_ge_i32 s50, s36
	s_cbranch_scc1 .LBB231_31
	s_branch .LBB231_57
.LBB231_52:                             ;   in Loop: Header=BB231_32 Depth=1
	v_cmp_eq_f32_e32 vcc, v36, v15
	s_waitcnt lgkmcnt(0)
	v_cmp_lt_i32_e64 s[0:1], v37, v14
	s_and_b64 s[0:1], vcc, s[0:1]
	s_andn2_b64 s[8:9], s[8:9], exec
	s_and_b64 s[0:1], s[0:1], exec
	s_or_b64 s[8:9], s[8:9], s[0:1]
	s_or_b64 exec, exec, s[10:11]
	s_and_saveexec_b64 s[0:1], s[8:9]
	s_cbranch_execz .LBB231_50
.LBB231_53:                             ;   in Loop: Header=BB231_32 Depth=1
	s_waitcnt lgkmcnt(0)
	v_mov_b32_e32 v14, v37
	v_mov_b32_e32 v36, v15
	s_or_b64 exec, exec, s[0:1]
	s_and_saveexec_b64 s[8:9], s[6:7]
	s_cbranch_execz .LBB231_51
.LBB231_54:                             ;   in Loop: Header=BB231_32 Depth=1
	s_and_b64 vcc, exec, s[2:3]
	s_cbranch_vccnz .LBB231_56
; %bb.55:                               ;   in Loop: Header=BB231_32 Depth=1
	v_ashrrev_i32_e32 v15, 31, v14
	v_lshl_add_u64 v[38:39], v[14:15], 2, s[30:31]
	global_load_dword v15, v[38:39], off
	s_waitcnt vmcnt(0)
	v_sub_f32_e32 v36, v36, v15
.LBB231_56:                             ;   in Loop: Header=BB231_32 Depth=1
	v_add_u32_e32 v38, s50, v18
	v_cmp_le_i32_e32 vcc, s37, v14
	v_cmp_gt_i32_e64 s[0:1], s38, v14
	v_ashrrev_i32_e32 v39, 31, v38
	s_and_b64 s[0:1], vcc, s[0:1]
	v_lshlrev_b64 v[38:39], 2, v[38:39]
	v_lshl_add_u64 v[40:41], s[34:35], 0, v[38:39]
	v_subrev_u32_e32 v15, s37, v14
	s_and_b64 vcc, s[44:45], s[0:1]
	global_store_dword v[40:41], v36, off
	v_cndmask_b32_e32 v15, v33, v15, vcc
	v_lshl_add_u64 v[40:41], s[40:41], 0, v[38:39]
	global_store_dword v[40:41], v15, off
	v_add_f32_e32 v15, v17, v36
	v_lshl_add_u64 v[38:39], s[42:43], 0, v[38:39]
	v_cndmask_b32_e64 v17, v17, v15, s[4:5]
	global_store_dword v[38:39], v35, off
	s_or_b64 exec, exec, s[8:9]
	s_add_i32 s50, s50, 1
	s_cmp_ge_i32 s50, s36
	s_cbranch_scc1 .LBB231_31
.LBB231_57:                             ;   in Loop: Header=BB231_32 Depth=1
	v_lshrrev_b32_e32 v15, 31, v14
	v_add_u32_e32 v36, v14, v15
	v_ashrrev_i32_e32 v15, 1, v36
	v_ashrrev_i32_e32 v36, 31, v36
	v_lshrrev_b32_e32 v36, 27, v36
	v_add_u32_e32 v36, v15, v36
	v_and_b32_e32 v36, 0xffffffe0, v36
	v_sub_u32_e32 v36, v15, v36
	v_cmp_eq_u32_e32 vcc, v13, v36
	s_and_saveexec_b64 s[48:49], vcc
	s_cbranch_execz .LBB231_30
; %bb.58:                               ;   in Loop: Header=BB231_32 Depth=1
	v_ashrrev_i32_e32 v36, 31, v14
	v_lshrrev_b32_e32 v36, 26, v36
	v_add_u32_e32 v36, v14, v36
	v_lshlrev_b32_e32 v15, 1, v15
	v_sub_u32_e32 v14, v14, v15
	v_ashrrev_i32_e32 v15, 6, v36
	v_lshl_add_u32 v14, v15, 1, v14
	v_cmp_ne_u32_e32 vcc, 10, v14
	v_cmp_ne_u32_e64 s[0:1], 9, v14
	v_cmp_ne_u32_e64 s[8:9], 8, v14
	;; [unrolled: 1-line block ×11, first 2 shown]
	v_cndmask_b32_e32 v10, v34, v10, vcc
	v_cndmask_b32_e64 v9, v34, v9, s[0:1]
	v_cndmask_b32_e64 v11, v34, v11, s[26:27]
	;; [unrolled: 1-line block ×11, first 2 shown]
	s_branch .LBB231_30
.LBB231_59:
	v_mov_b32_e32 v17, 0
.LBB231_60:
	v_cmp_eq_u32_e32 vcc, 0, v13
	s_and_b64 exec, exec, vcc
	s_cbranch_execz .LBB231_73
; %bb.61:
	s_andn2_b64 vcc, exec, s[4:5]
	v_cvt_f32_f64_e32 v0, s[28:29]
	s_cbranch_vccnz .LBB231_63
; %bb.62:
	v_cmp_lt_f32_e32 vcc, 0, v17
	s_nop 1
	v_cndmask_b32_e32 v1, 1.0, v17, vcc
	v_div_scale_f32 v2, s[0:1], v1, v1, v0
	v_rcp_f32_e32 v3, v2
	s_nop 0
	v_fma_f32 v4, -v2, v3, 1.0
	v_fmac_f32_e32 v3, v4, v3
	v_div_scale_f32 v4, vcc, v0, v1, v0
	v_mul_f32_e32 v5, v4, v3
	v_fma_f32 v6, -v2, v5, v4
	v_fmac_f32_e32 v5, v6, v3
	v_fma_f32 v2, -v2, v5, v4
	v_div_fmas_f32 v2, v2, v3, v5
	v_div_fixup_f32 v0, v2, v1, v0
.LBB231_63:
	s_andn2_b64 vcc, exec, s[46:47]
	s_cbranch_vccnz .LBB231_73
; %bb.64:
	v_mul_lo_u32 v2, v12, s36
	s_cmp_gt_u32 s36, 3
	v_ashrrev_i32_e32 v3, 31, v2
	s_cbranch_scc0 .LBB231_68
; %bb.65:
	s_and_b32 s0, s36, 0x7ffffffc
	v_lshl_add_u64 v[4:5], v[2:3], 2, s[34:35]
	v_mov_b32_e32 v1, v0
	v_lshl_add_u64 v[4:5], v[4:5], 0, 8
	s_mov_b32 s1, s0
.LBB231_66:                             ; =>This Inner Loop Header: Depth=1
	global_load_dwordx4 v[6:9], v[4:5], off offset:-8
	s_add_i32 s1, s1, -4
	s_cmp_lg_u32 s1, 0
	s_waitcnt vmcnt(0)
	v_pk_mul_f32 v[6:7], v[0:1], v[6:7]
	v_pk_mul_f32 v[8:9], v[0:1], v[8:9]
	global_store_dwordx4 v[4:5], v[6:9], off offset:-8
	v_lshl_add_u64 v[4:5], v[4:5], 0, 16
	s_cbranch_scc1 .LBB231_66
; %bb.67:
	s_cmp_lg_u32 s0, s36
	s_cselect_b64 s[2:3], -1, 0
	s_branch .LBB231_70
.LBB231_68:
	s_mov_b64 s[2:3], 0
                                        ; implicit-def: $sgpr0
	s_cbranch_execz .LBB231_70
; %bb.69:
	s_mov_b64 s[2:3], -1
	s_mov_b32 s0, 0
.LBB231_70:
	s_andn2_b64 vcc, exec, s[2:3]
	s_cbranch_vccnz .LBB231_73
; %bb.71:
	s_mov_b32 s1, 0
	v_lshl_add_u64 v[2:3], v[2:3], 0, s[0:1]
	s_sub_i32 s2, s36, s0
	v_lshl_add_u64 v[2:3], v[2:3], 2, s[34:35]
.LBB231_72:                             ; =>This Inner Loop Header: Depth=1
	global_load_dword v1, v[2:3], off
	s_add_i32 s2, s2, -1
	s_cmp_lg_u32 s2, 0
	s_waitcnt vmcnt(0)
	v_mul_f32_e32 v1, v0, v1
	global_store_dword v[2:3], v1, off
	v_lshl_add_u64 v[2:3], v[2:3], 0, 4
	s_cbranch_scc1 .LBB231_72
.LBB231_73:
	s_endpgm
	.section	.rodata,"a",@progbits
	.p2align	6, 0x0
	.amdhsa_kernel _ZN4vllm3moe22topkGatingSoftplusSqrtILi12ELi384ELi4ELi4ELi32ELb0Ei6__halfEEvPKT6_PKbPfiPT5_PiiiibdPKfPKS9_SF_
		.amdhsa_group_segment_fixed_size 0
		.amdhsa_private_segment_fixed_size 0
		.amdhsa_kernarg_size 96
		.amdhsa_user_sgpr_count 2
		.amdhsa_user_sgpr_dispatch_ptr 0
		.amdhsa_user_sgpr_queue_ptr 0
		.amdhsa_user_sgpr_kernarg_segment_ptr 1
		.amdhsa_user_sgpr_dispatch_id 0
		.amdhsa_user_sgpr_kernarg_preload_length 0
		.amdhsa_user_sgpr_kernarg_preload_offset 0
		.amdhsa_user_sgpr_private_segment_size 0
		.amdhsa_uses_dynamic_stack 0
		.amdhsa_enable_private_segment 0
		.amdhsa_system_sgpr_workgroup_id_x 1
		.amdhsa_system_sgpr_workgroup_id_y 0
		.amdhsa_system_sgpr_workgroup_id_z 0
		.amdhsa_system_sgpr_workgroup_info 0
		.amdhsa_system_vgpr_workitem_id 1
		.amdhsa_next_free_vgpr 42
		.amdhsa_next_free_sgpr 51
		.amdhsa_accum_offset 44
		.amdhsa_reserve_vcc 1
		.amdhsa_float_round_mode_32 0
		.amdhsa_float_round_mode_16_64 0
		.amdhsa_float_denorm_mode_32 3
		.amdhsa_float_denorm_mode_16_64 3
		.amdhsa_dx10_clamp 1
		.amdhsa_ieee_mode 1
		.amdhsa_fp16_overflow 0
		.amdhsa_tg_split 0
		.amdhsa_exception_fp_ieee_invalid_op 0
		.amdhsa_exception_fp_denorm_src 0
		.amdhsa_exception_fp_ieee_div_zero 0
		.amdhsa_exception_fp_ieee_overflow 0
		.amdhsa_exception_fp_ieee_underflow 0
		.amdhsa_exception_fp_ieee_inexact 0
		.amdhsa_exception_int_div_zero 0
	.end_amdhsa_kernel
	.section	.text._ZN4vllm3moe22topkGatingSoftplusSqrtILi12ELi384ELi4ELi4ELi32ELb0Ei6__halfEEvPKT6_PKbPfiPT5_PiiiibdPKfPKS9_SF_,"axG",@progbits,_ZN4vllm3moe22topkGatingSoftplusSqrtILi12ELi384ELi4ELi4ELi32ELb0Ei6__halfEEvPKT6_PKbPfiPT5_PiiiibdPKfPKS9_SF_,comdat
.Lfunc_end231:
	.size	_ZN4vllm3moe22topkGatingSoftplusSqrtILi12ELi384ELi4ELi4ELi32ELb0Ei6__halfEEvPKT6_PKbPfiPT5_PiiiibdPKfPKS9_SF_, .Lfunc_end231-_ZN4vllm3moe22topkGatingSoftplusSqrtILi12ELi384ELi4ELi4ELi32ELb0Ei6__halfEEvPKT6_PKbPfiPT5_PiiiibdPKfPKS9_SF_
                                        ; -- End function
	.section	.AMDGPU.csdata,"",@progbits
; Kernel info:
; codeLenInByte = 5580
; NumSgprs: 57
; NumVgprs: 42
; NumAgprs: 0
; TotalNumVgprs: 42
; ScratchSize: 0
; MemoryBound: 0
; FloatMode: 240
; IeeeMode: 1
; LDSByteSize: 0 bytes/workgroup (compile time only)
; SGPRBlocks: 7
; VGPRBlocks: 5
; NumSGPRsForWavesPerEU: 57
; NumVGPRsForWavesPerEU: 42
; AccumOffset: 44
; Occupancy: 8
; WaveLimiterHint : 1
; COMPUTE_PGM_RSRC2:SCRATCH_EN: 0
; COMPUTE_PGM_RSRC2:USER_SGPR: 2
; COMPUTE_PGM_RSRC2:TRAP_HANDLER: 0
; COMPUTE_PGM_RSRC2:TGID_X_EN: 1
; COMPUTE_PGM_RSRC2:TGID_Y_EN: 0
; COMPUTE_PGM_RSRC2:TGID_Z_EN: 0
; COMPUTE_PGM_RSRC2:TIDIG_COMP_CNT: 1
; COMPUTE_PGM_RSRC3_GFX90A:ACCUM_OFFSET: 10
; COMPUTE_PGM_RSRC3_GFX90A:TG_SPLIT: 0
	.section	.text._ZN4vllm3moe22topkGatingSoftplusSqrtILi7ELi448ELi4ELi2ELi64ELb1Ei6__halfEEvPKT6_PKbPfiPT5_PiiiibdPKfPKS9_SF_,"axG",@progbits,_ZN4vllm3moe22topkGatingSoftplusSqrtILi7ELi448ELi4ELi2ELi64ELb1Ei6__halfEEvPKT6_PKbPfiPT5_PiiiibdPKfPKS9_SF_,comdat
	.protected	_ZN4vllm3moe22topkGatingSoftplusSqrtILi7ELi448ELi4ELi2ELi64ELb1Ei6__halfEEvPKT6_PKbPfiPT5_PiiiibdPKfPKS9_SF_ ; -- Begin function _ZN4vllm3moe22topkGatingSoftplusSqrtILi7ELi448ELi4ELi2ELi64ELb1Ei6__halfEEvPKT6_PKbPfiPT5_PiiiibdPKfPKS9_SF_
	.globl	_ZN4vllm3moe22topkGatingSoftplusSqrtILi7ELi448ELi4ELi2ELi64ELb1Ei6__halfEEvPKT6_PKbPfiPT5_PiiiibdPKfPKS9_SF_
	.p2align	8
	.type	_ZN4vllm3moe22topkGatingSoftplusSqrtILi7ELi448ELi4ELi2ELi64ELb1Ei6__halfEEvPKT6_PKbPfiPT5_PiiiibdPKfPKS9_SF_,@function
_ZN4vllm3moe22topkGatingSoftplusSqrtILi7ELi448ELi4ELi2ELi64ELb1Ei6__halfEEvPKT6_PKbPfiPT5_PiiiibdPKfPKS9_SF_: ; @_ZN4vllm3moe22topkGatingSoftplusSqrtILi7ELi448ELi4ELi2ELi64ELb1Ei6__halfEEvPKT6_PKbPfiPT5_PiiiibdPKfPKS9_SF_
; %bb.0:
	s_load_dword s3, s[0:1], 0x18
	v_and_b32_e32 v1, 0x3ff, v0
	s_lshl_b32 s2, s2, 2
	v_lshrrev_b32_e32 v2, 6, v1
	v_bfe_u32 v0, v0, 10, 10
	v_add3_u32 v0, s2, v0, v2
	s_waitcnt lgkmcnt(0)
	v_cmp_gt_i32_e32 vcc, s3, v0
	s_and_saveexec_b64 s[2:3], vcc
	s_cbranch_execz .LBB232_31
; %bb.1:
	s_load_dwordx4 s[4:7], s[0:1], 0x50
	s_load_dwordx2 s[2:3], s[0:1], 0x0
	s_load_dword s28, s[0:1], 0x30
	s_movk_i32 s8, 0x1c0
	v_mul_lo_u32 v4, v0, s8
	v_ashrrev_i32_e32 v5, 31, v4
	v_and_b32_e32 v10, 63, v1
	s_waitcnt lgkmcnt(0)
	v_mov_b32_e32 v2, s4
	v_mov_b32_e32 v3, s5
	v_lshl_add_u64 v[6:7], v[4:5], 1, s[2:3]
	v_lshlrev_b32_e32 v4, 1, v10
	v_mov_b32_e32 v5, 0
	v_ashrrev_i32_e32 v1, 31, v0
	v_lshl_add_u64 v[6:7], v[6:7], 0, v[4:5]
	v_lshl_add_u64 v[2:3], v[0:1], 2, v[2:3]
	global_load_ushort v4, v[6:7], off
	global_load_ushort v8, v[6:7], off offset:128
	global_load_ushort v9, v[6:7], off offset:256
	;; [unrolled: 1-line block ×6, first 2 shown]
	global_load_dword v1, v[2:3], off
	s_mov_b32 s11, 0x800000
	v_mov_b32_e32 v6, 0x4f800000
	s_mov_b32 s10, 0x3f317217
	s_mov_b32 s12, 0x7f800000
	v_mov_b32_e32 v7, 0x41b17218
	s_movk_i32 s9, 0x4d00
	s_mov_b32 s13, 0xf800000
	v_mov_b32_e32 v17, 0x260
	s_cmp_gt_i32 s28, 0
	s_mov_b32 s8, 0
	v_mul_lo_u32 v0, v0, s28
	s_waitcnt vmcnt(7)
	v_cvt_f32_f16_e32 v11, v4
	s_waitcnt vmcnt(6)
	v_cvt_f32_f16_e32 v12, v8
	s_waitcnt vmcnt(5)
	v_cvt_f32_f16_e32 v18, v9
	s_waitcnt vmcnt(4)
	v_cvt_f32_f16_e32 v19, v13
	s_waitcnt vmcnt(3)
	v_cvt_f32_f16_e32 v20, v14
	v_mul_f32_e32 v3, 0x3fb8aa3b, v12
	v_mul_f32_e32 v23, 0x3fb8aa3b, v18
	s_waitcnt vmcnt(0)
	v_mul_lo_u32 v2, v1, s28
	v_mul_f32_e32 v1, 0x3fb8aa3b, v11
	v_exp_f32_e32 v1, v1
	v_exp_f32_e32 v24, v3
	;; [unrolled: 1-line block ×3, first 2 shown]
	v_cvt_f32_f16_e32 v21, v15
	v_add_f32_e32 v1, 1.0, v1
	v_add_f32_e32 v24, 1.0, v24
	v_cmp_gt_f32_e32 vcc, s11, v1
	v_add_f32_e32 v23, 1.0, v23
	v_cmp_gt_f32_e64 s[2:3], s11, v24
	v_cndmask_b32_e32 v25, 1.0, v6, vcc
	v_cmp_gt_f32_e64 s[4:5], s11, v23
	v_cndmask_b32_e64 v26, 1.0, v6, s[2:3]
	v_mul_f32_e32 v1, v1, v25
	v_cndmask_b32_e64 v27, 1.0, v6, s[4:5]
	v_mul_f32_e32 v24, v24, v26
	v_log_f32_e32 v1, v1
	v_mul_f32_e32 v23, v23, v27
	v_log_f32_e32 v24, v24
	v_log_f32_e32 v23, v23
	v_mul_f32_e32 v28, 0x3f317217, v1
	v_fma_f32 v28, v1, s10, -v28
	v_mul_f32_e32 v29, 0x3f317217, v24
	v_mul_f32_e32 v30, 0x3f317217, v23
	v_fma_f32 v29, v24, s10, -v29
	v_fmac_f32_e32 v28, 0x3377d1cf, v1
	v_cndmask_b32_e32 v25, 0, v7, vcc
	v_fma_f32 v30, v23, s10, -v30
	v_fmac_f32_e32 v29, 0x3377d1cf, v24
	v_fmac_f32_e32 v28, 0x3f317217, v1
	v_cmp_lt_f32_e64 vcc, |v1|, s12
	v_fmac_f32_e32 v30, 0x3377d1cf, v23
	v_fmac_f32_e32 v29, 0x3f317217, v24
	v_cndmask_b32_e32 v1, v1, v28, vcc
	v_cmp_lt_f32_e64 vcc, |v24|, s12
	v_fmac_f32_e32 v30, 0x3f317217, v23
	v_cndmask_b32_e64 v26, 0, v7, s[2:3]
	v_cndmask_b32_e32 v24, v24, v29, vcc
	v_cmp_lt_f32_e64 vcc, |v23|, s12
	v_sub_f32_e32 v1, v1, v25
	v_cndmask_b32_e64 v27, 0, v7, s[4:5]
	v_cndmask_b32_e32 v23, v23, v30, vcc
	v_cmp_lt_f16_e32 vcc, s9, v4
	v_sub_f32_e32 v24, v24, v26
	v_sub_f32_e32 v23, v23, v27
	v_cndmask_b32_e32 v1, v1, v11, vcc
	v_cmp_lt_f16_e32 vcc, s9, v8
	v_cvt_f32_f16_e32 v22, v16
	v_ashrrev_i32_e32 v3, 31, v2
	v_cndmask_b32_e32 v4, v24, v12, vcc
	v_cmp_lt_f16_e32 vcc, s9, v9
	v_mul_f32_e32 v9, 0x4f800000, v1
	v_mul_f32_e32 v11, 0x4f800000, v4
	v_cndmask_b32_e32 v8, v23, v18, vcc
	v_cmp_gt_f32_e32 vcc, s13, v1
	v_cmp_gt_f32_e64 s[2:3], s13, v4
	v_mul_f32_e32 v12, 0x4f800000, v8
	v_cndmask_b32_e32 v1, v1, v9, vcc
	v_sqrt_f32_e32 v9, v1
	v_cndmask_b32_e64 v4, v4, v11, s[2:3]
	v_sqrt_f32_e32 v11, v4
	v_lshl_add_u64 v[2:3], v[2:3], 2, s[6:7]
	v_add_u32_e32 v18, -1, v9
	v_fma_f32 v26, -v18, v9, v1
	v_add_u32_e32 v24, -1, v11
	v_add_u32_e32 v23, 1, v9
	v_fma_f32 v28, -v24, v11, v4
	v_cmp_ge_f32_e64 s[4:5], 0, v26
	v_add_u32_e32 v25, 1, v11
	v_fma_f32 v27, -v23, v9, v1
	v_cndmask_b32_e64 v9, v9, v18, s[4:5]
	v_cmp_ge_f32_e64 s[4:5], 0, v28
	v_fma_f32 v29, -v25, v11, v4
	s_nop 0
	v_cndmask_b32_e64 v11, v11, v24, s[4:5]
	v_cmp_lt_f32_e64 s[4:5], 0, v27
	s_nop 1
	v_cndmask_b32_e64 v9, v9, v23, s[4:5]
	v_cmp_lt_f32_e64 s[4:5], 0, v29
	s_nop 1
	v_cndmask_b32_e64 v18, v11, v25, s[4:5]
	v_mul_f32_e32 v11, 0x37800000, v9
	v_cndmask_b32_e32 v9, v9, v11, vcc
	v_cmp_class_f32_e32 vcc, v1, v17
	v_mul_f32_e32 v23, 0x37800000, v18
	s_nop 0
	v_cndmask_b32_e32 v11, v9, v1, vcc
	v_cmp_gt_f32_e32 vcc, s13, v8
	v_cndmask_b32_e64 v9, v18, v23, s[2:3]
	v_mul_f32_e32 v18, 0x3fb8aa3b, v19
	v_cndmask_b32_e32 v1, v8, v12, vcc
	v_sqrt_f32_e32 v8, v1
	v_exp_f32_e32 v18, v18
	v_cmp_class_f32_e64 s[2:3], v4, v17
	v_add_f32_e32 v18, 1.0, v18
	s_nop 0
	v_cndmask_b32_e64 v12, v9, v4, s[2:3]
	v_add_u32_e32 v4, -1, v8
	v_fma_f32 v9, -v4, v8, v1
	v_cmp_ge_f32_e64 s[2:3], 0, v9
	v_add_u32_e32 v9, 1, v8
	s_nop 0
	v_cndmask_b32_e64 v4, v8, v4, s[2:3]
	v_cmp_gt_f32_e64 s[2:3], s11, v18
	v_fma_f32 v8, -v9, v8, v1
	v_cmp_lt_f32_e64 s[4:5], 0, v8
	v_cndmask_b32_e64 v23, 1.0, v6, s[2:3]
	v_mul_f32_e32 v18, v18, v23
	v_log_f32_e32 v18, v18
	v_cndmask_b32_e64 v4, v4, v9, s[4:5]
	v_mul_f32_e32 v8, 0x37800000, v4
	v_cndmask_b32_e32 v4, v4, v8, vcc
	v_mul_f32_e32 v9, 0x3f317217, v18
	v_fma_f32 v9, v18, s10, -v9
	v_fmac_f32_e32 v9, 0x3377d1cf, v18
	v_fmac_f32_e32 v9, 0x3f317217, v18
	v_cmp_lt_f32_e64 s[4:5], |v18|, s12
	v_mul_f32_e32 v8, 0x3fb8aa3b, v20
	v_exp_f32_e32 v8, v8
	v_cndmask_b32_e64 v9, v18, v9, s[4:5]
	v_cndmask_b32_e64 v18, 0, v7, s[2:3]
	v_sub_f32_e32 v9, v9, v18
	v_cmp_lt_f16_e64 s[2:3], s9, v13
	v_cmp_class_f32_e32 vcc, v1, v17
	v_add_f32_e32 v8, 1.0, v8
	v_cndmask_b32_e64 v9, v9, v19, s[2:3]
	v_mul_f32_e32 v13, 0x4f800000, v9
	v_cmp_gt_f32_e64 s[2:3], s13, v9
	s_nop 1
	v_cndmask_b32_e64 v9, v9, v13, s[2:3]
	v_sqrt_f32_e32 v18, v9
	v_cndmask_b32_e32 v13, v4, v1, vcc
	v_add_u32_e32 v1, -1, v18
	v_fma_f32 v4, -v1, v18, v9
	v_cmp_ge_f32_e32 vcc, 0, v4
	v_add_u32_e32 v4, 1, v18
	s_nop 0
	v_cndmask_b32_e32 v1, v18, v1, vcc
	v_cmp_gt_f32_e32 vcc, s11, v8
	v_fma_f32 v18, -v4, v18, v9
	v_cmp_lt_f32_e64 s[4:5], 0, v18
	v_cndmask_b32_e32 v19, 1.0, v6, vcc
	v_mul_f32_e32 v8, v8, v19
	v_log_f32_e32 v8, v8
	v_cndmask_b32_e64 v1, v1, v4, s[4:5]
	v_mul_f32_e32 v4, 0x37800000, v1
	v_cndmask_b32_e64 v1, v1, v4, s[2:3]
	v_mul_f32_e32 v18, 0x3f317217, v8
	v_fma_f32 v18, v8, s10, -v18
	v_fmac_f32_e32 v18, 0x3377d1cf, v8
	v_fmac_f32_e32 v18, 0x3f317217, v8
	v_cmp_lt_f32_e64 s[4:5], |v8|, s12
	v_cmp_class_f32_e64 s[2:3], v9, v17
	s_nop 0
	v_cndmask_b32_e64 v8, v8, v18, s[4:5]
	v_cndmask_b32_e32 v18, 0, v7, vcc
	v_sub_f32_e32 v8, v8, v18
	v_cmp_lt_f16_e32 vcc, s9, v14
	s_nop 1
	v_cndmask_b32_e32 v8, v8, v20, vcc
	v_mul_f32_e32 v14, 0x4f800000, v8
	v_cmp_gt_f32_e32 vcc, s13, v8
	s_nop 1
	v_cndmask_b32_e32 v8, v8, v14, vcc
	v_sqrt_f32_e32 v18, v8
	v_cndmask_b32_e64 v14, v1, v9, s[2:3]
	v_mul_f32_e32 v9, 0x3fb8aa3b, v21
	v_exp_f32_e32 v9, v9
	v_add_u32_e32 v1, -1, v18
	v_fma_f32 v4, -v1, v18, v8
	v_cmp_ge_f32_e64 s[2:3], 0, v4
	v_add_f32_e32 v9, 1.0, v9
	v_add_u32_e32 v4, 1, v18
	v_cndmask_b32_e64 v1, v18, v1, s[2:3]
	v_cmp_gt_f32_e64 s[2:3], s11, v9
	v_fma_f32 v18, -v4, v18, v8
	v_cmp_lt_f32_e64 s[4:5], 0, v18
	v_cndmask_b32_e64 v19, 1.0, v6, s[2:3]
	v_mul_f32_e32 v9, v9, v19
	v_log_f32_e32 v9, v9
	v_cndmask_b32_e64 v1, v1, v4, s[4:5]
	v_mul_f32_e32 v4, 0x37800000, v1
	v_cndmask_b32_e32 v1, v1, v4, vcc
	v_mul_f32_e32 v18, 0x3f317217, v9
	v_fma_f32 v18, v9, s10, -v18
	v_fmac_f32_e32 v18, 0x3377d1cf, v9
	v_fmac_f32_e32 v18, 0x3f317217, v9
	v_cmp_lt_f32_e64 s[4:5], |v9|, s12
	v_cmp_class_f32_e32 vcc, v8, v17
	s_nop 0
	v_cndmask_b32_e64 v9, v9, v18, s[4:5]
	v_cndmask_b32_e64 v18, 0, v7, s[2:3]
	v_sub_f32_e32 v9, v9, v18
	v_cmp_lt_f16_e64 s[2:3], s9, v15
	s_nop 1
	v_cndmask_b32_e64 v9, v9, v21, s[2:3]
	v_mul_f32_e32 v15, 0x4f800000, v9
	v_cmp_gt_f32_e64 s[2:3], s13, v9
	s_nop 1
	v_cndmask_b32_e64 v9, v9, v15, s[2:3]
	v_sqrt_f32_e32 v18, v9
	v_cndmask_b32_e32 v15, v1, v8, vcc
	v_mul_f32_e32 v8, 0x3fb8aa3b, v22
	v_exp_f32_e32 v8, v8
	v_add_u32_e32 v1, -1, v18
	v_fma_f32 v4, -v1, v18, v9
	v_cmp_ge_f32_e32 vcc, 0, v4
	v_add_f32_e32 v8, 1.0, v8
	v_add_u32_e32 v4, 1, v18
	v_cndmask_b32_e32 v1, v18, v1, vcc
	v_cmp_gt_f32_e32 vcc, s11, v8
	v_fma_f32 v18, -v4, v18, v9
	v_cmp_lt_f32_e64 s[4:5], 0, v18
	v_cndmask_b32_e32 v6, 1.0, v6, vcc
	v_mul_f32_e32 v6, v8, v6
	v_log_f32_e32 v6, v6
	v_cndmask_b32_e64 v1, v1, v4, s[4:5]
	v_cndmask_b32_e32 v7, 0, v7, vcc
	v_cmp_lt_f16_e32 vcc, s9, v16
	v_mul_f32_e32 v8, 0x3f317217, v6
	v_fma_f32 v8, v6, s10, -v8
	v_fmac_f32_e32 v8, 0x3377d1cf, v6
	v_fmac_f32_e32 v8, 0x3f317217, v6
	v_cmp_lt_f32_e64 s[4:5], |v6|, s12
	v_mul_f32_e32 v4, 0x37800000, v1
	v_cndmask_b32_e64 v1, v1, v4, s[2:3]
	v_cndmask_b32_e64 v6, v6, v8, s[4:5]
	v_sub_f32_e32 v6, v6, v7
	v_cndmask_b32_e32 v6, v6, v22, vcc
	v_mul_f32_e32 v7, 0x4f800000, v6
	v_cmp_gt_f32_e32 vcc, s13, v6
	v_cmp_class_f32_e64 s[2:3], v9, v17
	s_cselect_b64 s[4:5], -1, 0
	v_cndmask_b32_e32 v6, v6, v7, vcc
	v_sqrt_f32_e32 v7, v6
	v_cndmask_b32_e64 v16, v1, v9, s[2:3]
	s_cmp_lt_i32 s28, 1
	v_add_u32_e32 v1, -1, v7
	v_fma_f32 v4, -v1, v7, v6
	v_cmp_ge_f32_e64 s[2:3], 0, v4
	v_add_u32_e32 v4, 1, v7
	s_nop 0
	v_cndmask_b32_e64 v1, v7, v1, s[2:3]
	v_fma_f32 v7, -v4, v7, v6
	v_cmp_lt_f32_e64 s[2:3], 0, v7
	s_nop 1
	v_cndmask_b32_e64 v1, v1, v4, s[2:3]
	v_mul_f32_e32 v4, 0x37800000, v1
	v_cndmask_b32_e32 v1, v1, v4, vcc
	v_cmp_class_f32_e32 vcc, v6, v17
	s_nop 1
	v_cndmask_b32_e32 v17, v1, v6, vcc
	s_cbranch_scc1 .LBB232_28
; %bb.2:
	s_load_dwordx2 s[6:7], s[0:1], 0x20
	s_cmp_lt_u32 s28, 4
	s_cbranch_scc1 .LBB232_21
; %bb.3:
	s_mov_b32 s11, 0
	s_and_b32 s8, s28, 0x7ffffffc
	v_ashrrev_i32_e32 v1, 31, v0
	v_mov_b32_e32 v5, 0
	s_mov_b32 s10, s11
	s_branch .LBB232_5
.LBB232_4:                              ;   in Loop: Header=BB232_5 Depth=1
	s_or_b64 exec, exec, s[12:13]
	s_add_i32 s10, s10, 4
	s_cmp_eq_u32 s10, s8
	s_cbranch_scc1 .LBB232_21
.LBB232_5:                              ; =>This Loop Header: Depth=1
                                        ;     Child Loop BB232_7 Depth 2
                                        ;     Child Loop BB232_11 Depth 2
	;; [unrolled: 1-line block ×4, first 2 shown]
	v_lshl_add_u64 v[6:7], s[10:11], 2, v[2:3]
	global_load_dword v4, v[6:7], off
	v_add_u32_e32 v8, s10, v0
	v_ashrrev_i32_e32 v9, 31, v8
	s_waitcnt lgkmcnt(0)
	v_lshl_add_u64 v[8:9], v[8:9], 2, s[6:7]
	s_mov_b64 s[12:13], 0
	v_mov_b32_e32 v18, v10
	s_mov_b64 s[14:15], 0
	s_waitcnt vmcnt(0)
	s_branch .LBB232_7
.LBB232_6:                              ;   in Loop: Header=BB232_7 Depth=2
	s_or_b64 exec, exec, s[16:17]
	s_cmp_gt_u32 s14, 5
	s_cselect_b64 s[2:3], -1, 0
	s_xor_b64 s[16:17], vcc, -1
	s_or_b64 s[2:3], s[16:17], s[2:3]
	s_add_u32 s14, s14, 1
	s_addc_u32 s15, s15, 0
	s_and_b64 s[2:3], exec, s[2:3]
	s_or_b64 s[12:13], s[2:3], s[12:13]
	v_add_u32_e32 v18, 64, v18
	s_andn2_b64 exec, exec, s[12:13]
	s_cbranch_execz .LBB232_9
.LBB232_7:                              ;   Parent Loop BB232_5 Depth=1
                                        ; =>  This Inner Loop Header: Depth=2
	v_cmp_ne_u32_e32 vcc, v4, v18
	v_cmp_eq_u32_e64 s[2:3], v4, v18
	s_and_saveexec_b64 s[16:17], s[2:3]
	s_cbranch_execz .LBB232_6
; %bb.8:                                ;   in Loop: Header=BB232_7 Depth=2
	s_cmp_eq_u32 s14, 1
	s_cselect_b64 s[2:3], -1, 0
	s_cmp_eq_u32 s14, 2
	v_cndmask_b32_e64 v19, v11, v12, s[2:3]
	s_cselect_b64 s[2:3], -1, 0
	s_cmp_eq_u32 s14, 3
	v_cndmask_b32_e64 v19, v19, v13, s[2:3]
	;; [unrolled: 3-line block ×5, first 2 shown]
	s_cselect_b64 s[2:3], -1, 0
	v_cndmask_b32_e64 v19, v19, v17, s[2:3]
	v_add_f32_e32 v5, v5, v19
	global_store_dword v[8:9], v4, off
	s_branch .LBB232_6
.LBB232_9:                              ;   in Loop: Header=BB232_5 Depth=1
	s_or_b64 exec, exec, s[12:13]
	global_load_dword v4, v[6:7], off offset:4
	s_ashr_i32 s3, s10, 31
	s_mov_b32 s2, s10
	v_lshl_add_u64 v[8:9], s[2:3], 0, v[0:1]
	v_lshl_add_u64 v[8:9], v[8:9], 2, s[6:7]
	s_mov_b64 s[12:13], 0
	v_mov_b32_e32 v18, v10
	s_mov_b64 s[14:15], 0
	s_waitcnt vmcnt(0)
	s_branch .LBB232_11
.LBB232_10:                             ;   in Loop: Header=BB232_11 Depth=2
	s_or_b64 exec, exec, s[16:17]
	s_cmp_gt_u32 s14, 5
	s_cselect_b64 s[2:3], -1, 0
	s_xor_b64 s[16:17], vcc, -1
	s_or_b64 s[2:3], s[16:17], s[2:3]
	s_add_u32 s14, s14, 1
	s_addc_u32 s15, s15, 0
	s_and_b64 s[2:3], exec, s[2:3]
	s_or_b64 s[12:13], s[2:3], s[12:13]
	v_add_u32_e32 v18, 64, v18
	s_andn2_b64 exec, exec, s[12:13]
	s_cbranch_execz .LBB232_13
.LBB232_11:                             ;   Parent Loop BB232_5 Depth=1
                                        ; =>  This Inner Loop Header: Depth=2
	v_cmp_ne_u32_e32 vcc, v4, v18
	v_cmp_eq_u32_e64 s[2:3], v4, v18
	s_and_saveexec_b64 s[16:17], s[2:3]
	s_cbranch_execz .LBB232_10
; %bb.12:                               ;   in Loop: Header=BB232_11 Depth=2
	s_cmp_eq_u32 s14, 1
	s_cselect_b64 s[2:3], -1, 0
	s_cmp_eq_u32 s14, 2
	v_cndmask_b32_e64 v19, v11, v12, s[2:3]
	s_cselect_b64 s[2:3], -1, 0
	s_cmp_eq_u32 s14, 3
	v_cndmask_b32_e64 v19, v19, v13, s[2:3]
	;; [unrolled: 3-line block ×5, first 2 shown]
	s_cselect_b64 s[2:3], -1, 0
	v_cndmask_b32_e64 v19, v19, v17, s[2:3]
	v_add_f32_e32 v5, v5, v19
	global_store_dword v[8:9], v4, off offset:4
	s_branch .LBB232_10
.LBB232_13:                             ;   in Loop: Header=BB232_5 Depth=1
	s_or_b64 exec, exec, s[12:13]
	global_load_dword v4, v[6:7], off offset:8
	s_mov_b64 s[12:13], 0
	v_mov_b32_e32 v18, v10
	s_mov_b64 s[14:15], 0
	s_waitcnt vmcnt(0)
	s_branch .LBB232_15
.LBB232_14:                             ;   in Loop: Header=BB232_15 Depth=2
	s_or_b64 exec, exec, s[16:17]
	s_cmp_gt_u32 s14, 5
	s_cselect_b64 s[2:3], -1, 0
	s_xor_b64 s[16:17], vcc, -1
	s_or_b64 s[2:3], s[16:17], s[2:3]
	s_add_u32 s14, s14, 1
	s_addc_u32 s15, s15, 0
	s_and_b64 s[2:3], exec, s[2:3]
	s_or_b64 s[12:13], s[2:3], s[12:13]
	v_add_u32_e32 v18, 64, v18
	s_andn2_b64 exec, exec, s[12:13]
	s_cbranch_execz .LBB232_17
.LBB232_15:                             ;   Parent Loop BB232_5 Depth=1
                                        ; =>  This Inner Loop Header: Depth=2
	v_cmp_ne_u32_e32 vcc, v4, v18
	v_cmp_eq_u32_e64 s[2:3], v4, v18
	s_and_saveexec_b64 s[16:17], s[2:3]
	s_cbranch_execz .LBB232_14
; %bb.16:                               ;   in Loop: Header=BB232_15 Depth=2
	s_cmp_eq_u32 s14, 1
	s_cselect_b64 s[2:3], -1, 0
	s_cmp_eq_u32 s14, 2
	v_cndmask_b32_e64 v19, v11, v12, s[2:3]
	s_cselect_b64 s[2:3], -1, 0
	s_cmp_eq_u32 s14, 3
	v_cndmask_b32_e64 v19, v19, v13, s[2:3]
	;; [unrolled: 3-line block ×5, first 2 shown]
	s_cselect_b64 s[2:3], -1, 0
	v_cndmask_b32_e64 v19, v19, v17, s[2:3]
	v_add_f32_e32 v5, v5, v19
	global_store_dword v[8:9], v4, off offset:8
	s_branch .LBB232_14
.LBB232_17:                             ;   in Loop: Header=BB232_5 Depth=1
	s_or_b64 exec, exec, s[12:13]
	global_load_dword v4, v[6:7], off offset:12
	s_mov_b64 s[12:13], 0
	v_mov_b32_e32 v6, v10
	s_mov_b64 s[14:15], 0
	s_waitcnt vmcnt(0)
	s_branch .LBB232_19
.LBB232_18:                             ;   in Loop: Header=BB232_19 Depth=2
	s_or_b64 exec, exec, s[16:17]
	s_cmp_gt_u32 s14, 5
	s_cselect_b64 s[2:3], -1, 0
	s_xor_b64 s[16:17], vcc, -1
	s_or_b64 s[2:3], s[16:17], s[2:3]
	s_add_u32 s14, s14, 1
	s_addc_u32 s15, s15, 0
	s_and_b64 s[2:3], exec, s[2:3]
	s_or_b64 s[12:13], s[2:3], s[12:13]
	v_add_u32_e32 v6, 64, v6
	s_andn2_b64 exec, exec, s[12:13]
	s_cbranch_execz .LBB232_4
.LBB232_19:                             ;   Parent Loop BB232_5 Depth=1
                                        ; =>  This Inner Loop Header: Depth=2
	v_cmp_ne_u32_e32 vcc, v4, v6
	v_cmp_eq_u32_e64 s[2:3], v4, v6
	s_and_saveexec_b64 s[16:17], s[2:3]
	s_cbranch_execz .LBB232_18
; %bb.20:                               ;   in Loop: Header=BB232_19 Depth=2
	s_cmp_eq_u32 s14, 1
	s_cselect_b64 s[2:3], -1, 0
	s_cmp_eq_u32 s14, 2
	v_cndmask_b32_e64 v7, v11, v12, s[2:3]
	s_cselect_b64 s[2:3], -1, 0
	s_cmp_eq_u32 s14, 3
	v_cndmask_b32_e64 v7, v7, v13, s[2:3]
	;; [unrolled: 3-line block ×5, first 2 shown]
	s_cselect_b64 s[2:3], -1, 0
	v_cndmask_b32_e64 v7, v7, v17, s[2:3]
	v_add_f32_e32 v5, v5, v7
	global_store_dword v[8:9], v4, off offset:12
	s_branch .LBB232_18
.LBB232_21:
	s_and_b32 s16, s28, 3
	s_cmp_eq_u32 s16, 0
	s_mov_b32 s9, 0
	s_cbranch_scc1 .LBB232_28
; %bb.22:
	s_mov_b32 s17, s9
	s_branch .LBB232_24
.LBB232_23:                             ;   in Loop: Header=BB232_24 Depth=1
	s_or_b64 exec, exec, s[10:11]
	s_add_i32 s8, s8, 1
	s_add_i32 s17, s17, 1
	s_cmp_lg_u32 s17, s16
	s_cbranch_scc0 .LBB232_28
.LBB232_24:                             ; =>This Loop Header: Depth=1
                                        ;     Child Loop BB232_26 Depth 2
	v_lshl_add_u64 v[6:7], s[8:9], 2, v[2:3]
	global_load_dword v1, v[6:7], off
	v_add_u32_e32 v6, s8, v0
	v_ashrrev_i32_e32 v7, 31, v6
	s_waitcnt lgkmcnt(0)
	v_lshl_add_u64 v[6:7], v[6:7], 2, s[6:7]
	s_mov_b64 s[10:11], 0
	v_mov_b32_e32 v4, v10
	s_mov_b64 s[12:13], 0
	s_waitcnt vmcnt(0)
	s_branch .LBB232_26
.LBB232_25:                             ;   in Loop: Header=BB232_26 Depth=2
	s_or_b64 exec, exec, s[14:15]
	s_cmp_gt_u32 s12, 5
	s_cselect_b64 s[2:3], -1, 0
	s_xor_b64 s[14:15], vcc, -1
	s_or_b64 s[2:3], s[14:15], s[2:3]
	s_add_u32 s12, s12, 1
	s_addc_u32 s13, s13, 0
	s_and_b64 s[2:3], exec, s[2:3]
	s_or_b64 s[10:11], s[2:3], s[10:11]
	v_add_u32_e32 v4, 64, v4
	s_andn2_b64 exec, exec, s[10:11]
	s_cbranch_execz .LBB232_23
.LBB232_26:                             ;   Parent Loop BB232_24 Depth=1
                                        ; =>  This Inner Loop Header: Depth=2
	v_cmp_ne_u32_e32 vcc, v1, v4
	v_cmp_eq_u32_e64 s[2:3], v1, v4
	s_and_saveexec_b64 s[14:15], s[2:3]
	s_cbranch_execz .LBB232_25
; %bb.27:                               ;   in Loop: Header=BB232_26 Depth=2
	s_cmp_eq_u32 s12, 1
	s_cselect_b64 s[2:3], -1, 0
	s_cmp_eq_u32 s12, 2
	v_cndmask_b32_e64 v8, v11, v12, s[2:3]
	s_cselect_b64 s[2:3], -1, 0
	s_cmp_eq_u32 s12, 3
	v_cndmask_b32_e64 v8, v8, v13, s[2:3]
	;; [unrolled: 3-line block ×5, first 2 shown]
	s_cselect_b64 s[2:3], -1, 0
	v_cndmask_b32_e64 v8, v8, v17, s[2:3]
	v_add_f32_e32 v5, v5, v8
	global_store_dword v[6:7], v1, off
	s_branch .LBB232_25
.LBB232_28:
	s_waitcnt lgkmcnt(0)
	s_load_dword s6, s[0:1], 0x3c
	s_waitcnt lgkmcnt(0)
	s_bitcmp1_b32 s6, 0
	s_cselect_b64 s[2:3], -1, 0
	s_bitcmp0_b32 s6, 0
	s_cbranch_scc0 .LBB232_32
; %bb.29:
	s_load_dwordx2 s[6:7], s[0:1], 0x40
	s_andn2_b64 vcc, exec, s[2:3]
	s_waitcnt lgkmcnt(0)
	v_cvt_f32_f64_e32 v18, s[6:7]
	s_cbranch_vccz .LBB232_33
.LBB232_30:
	s_andn2_b64 vcc, exec, s[4:5]
	s_cbranch_vccz .LBB232_34
.LBB232_31:
	s_endpgm
.LBB232_32:
	v_mbcnt_lo_u32_b32 v1, -1, 0
	v_mbcnt_hi_u32_b32 v1, -1, v1
	v_and_b32_e32 v4, 64, v1
	v_add_u32_e32 v4, 64, v4
	v_xor_b32_e32 v6, 32, v1
	v_cmp_lt_i32_e32 vcc, v6, v4
	v_xor_b32_e32 v7, 16, v1
	s_nop 0
	v_cndmask_b32_e32 v6, v1, v6, vcc
	v_lshlrev_b32_e32 v6, 2, v6
	ds_bpermute_b32 v6, v6, v5
	v_cmp_lt_i32_e32 vcc, v7, v4
	s_waitcnt lgkmcnt(0)
	v_add_f32_e32 v5, v5, v6
	v_cndmask_b32_e32 v6, v1, v7, vcc
	v_lshlrev_b32_e32 v6, 2, v6
	ds_bpermute_b32 v6, v6, v5
	v_xor_b32_e32 v7, 8, v1
	v_cmp_lt_i32_e32 vcc, v7, v4
	s_waitcnt lgkmcnt(0)
	v_add_f32_e32 v5, v5, v6
	v_cndmask_b32_e32 v6, v1, v7, vcc
	v_lshlrev_b32_e32 v6, 2, v6
	ds_bpermute_b32 v6, v6, v5
	v_xor_b32_e32 v7, 4, v1
	;; [unrolled: 7-line block ×4, first 2 shown]
	v_cmp_lt_i32_e32 vcc, v7, v4
	s_waitcnt lgkmcnt(0)
	v_add_f32_e32 v5, v5, v6
	v_cndmask_b32_e32 v1, v1, v7, vcc
	v_lshlrev_b32_e32 v1, 2, v1
	ds_bpermute_b32 v1, v1, v5
	s_waitcnt lgkmcnt(0)
	v_add_f32_e32 v5, v5, v1
	s_load_dwordx2 s[6:7], s[0:1], 0x40
	s_andn2_b64 vcc, exec, s[2:3]
	s_waitcnt lgkmcnt(0)
	v_cvt_f32_f64_e32 v18, s[6:7]
	s_cbranch_vccnz .LBB232_30
.LBB232_33:
	v_cmp_lt_f32_e32 vcc, 0, v5
	s_nop 1
	v_cndmask_b32_e32 v1, 1.0, v5, vcc
	v_div_scale_f32 v4, s[2:3], v1, v1, v18
	v_rcp_f32_e32 v5, v4
	s_nop 0
	v_fma_f32 v6, -v4, v5, 1.0
	v_fmac_f32_e32 v5, v6, v5
	v_div_scale_f32 v6, vcc, v18, v1, v18
	v_mul_f32_e32 v7, v6, v5
	v_fma_f32 v8, -v4, v7, v6
	v_fmac_f32_e32 v7, v8, v5
	v_fma_f32 v4, -v4, v7, v6
	v_div_fmas_f32 v4, v4, v5, v7
	v_div_fixup_f32 v18, v4, v1, v18
	s_andn2_b64 vcc, exec, s[4:5]
	s_cbranch_vccnz .LBB232_31
.LBB232_34:
	s_load_dwordx2 s[10:11], s[0:1], 0x10
	v_or_b32_e32 v24, 64, v10
	v_or_b32_e32 v23, 0x80, v10
	;; [unrolled: 1-line block ×6, first 2 shown]
	s_cmp_eq_u32 s28, 1
	s_mov_b32 s12, 0
	s_cbranch_scc1 .LBB232_65
; %bb.35:
	v_ashrrev_i32_e32 v1, 31, v0
	s_waitcnt lgkmcnt(0)
	v_lshl_add_u64 v[4:5], v[0:1], 2, s[10:11]
	s_and_b32 s12, s28, 0x7ffffffe
	v_lshl_add_u64 v[4:5], v[4:5], 0, 4
	v_lshl_add_u64 v[6:7], v[2:3], 0, 4
	s_mov_b32 s13, 0
	s_branch .LBB232_37
.LBB232_36:                             ;   in Loop: Header=BB232_37 Depth=1
	s_or_b64 exec, exec, s[0:1]
	s_add_i32 s13, s13, 2
	v_lshl_add_u64 v[4:5], v[4:5], 0, 8
	s_cmp_lg_u32 s12, s13
	v_lshl_add_u64 v[6:7], v[6:7], 0, 8
	s_cbranch_scc0 .LBB232_65
.LBB232_37:                             ; =>This Inner Loop Header: Depth=1
	global_load_dword v1, v[6:7], off offset:-4
	v_mov_b64_e32 v[8:9], 0
	s_waitcnt vmcnt(0)
	v_cmp_eq_u32_e32 vcc, v1, v10
	v_cmp_ne_u32_e64 s[0:1], v1, v10
	s_and_saveexec_b64 s[14:15], s[0:1]
	s_cbranch_execz .LBB232_49
; %bb.38:                               ;   in Loop: Header=BB232_37 Depth=1
	v_cmp_eq_u32_e64 s[0:1], v1, v24
	v_cmp_ne_u32_e64 s[2:3], v1, v24
	v_mov_b64_e32 v[8:9], 1
	s_and_saveexec_b64 s[16:17], s[2:3]
	s_cbranch_execz .LBB232_48
; %bb.39:                               ;   in Loop: Header=BB232_37 Depth=1
	v_cmp_eq_u32_e64 s[2:3], v1, v23
	v_cmp_ne_u32_e64 s[4:5], v1, v23
	v_mov_b64_e32 v[8:9], 2
	;; [unrolled: 6-line block ×5, first 2 shown]
	s_and_saveexec_b64 s[26:27], s[8:9]
	s_xor_b64 s[26:27], exec, s[26:27]
; %bb.43:                               ;   in Loop: Header=BB232_37 Depth=1
	v_cmp_eq_u32_e64 s[8:9], v1, v19
	s_andn2_b64 s[24:25], s[24:25], exec
	s_and_b64 s[8:9], s[8:9], exec
	v_mov_b64_e32 v[8:9], 6
	s_or_b64 s[24:25], s[24:25], s[8:9]
; %bb.44:                               ;   in Loop: Header=BB232_37 Depth=1
	s_or_b64 exec, exec, s[26:27]
	s_andn2_b64 s[6:7], s[6:7], exec
	s_and_b64 s[8:9], s[24:25], exec
	s_or_b64 s[6:7], s[6:7], s[8:9]
.LBB232_45:                             ;   in Loop: Header=BB232_37 Depth=1
	s_or_b64 exec, exec, s[22:23]
	s_andn2_b64 s[4:5], s[4:5], exec
	s_and_b64 s[6:7], s[6:7], exec
	s_or_b64 s[4:5], s[4:5], s[6:7]
.LBB232_46:                             ;   in Loop: Header=BB232_37 Depth=1
	s_or_b64 exec, exec, s[20:21]
	s_andn2_b64 s[2:3], s[2:3], exec
	s_and_b64 s[4:5], s[4:5], exec
	s_or_b64 s[2:3], s[2:3], s[4:5]
.LBB232_47:                             ;   in Loop: Header=BB232_37 Depth=1
	s_or_b64 exec, exec, s[18:19]
	s_andn2_b64 s[0:1], s[0:1], exec
	s_and_b64 s[2:3], s[2:3], exec
	s_or_b64 s[0:1], s[0:1], s[2:3]
.LBB232_48:                             ;   in Loop: Header=BB232_37 Depth=1
	s_or_b64 exec, exec, s[16:17]
	s_andn2_b64 s[2:3], vcc, exec
	s_and_b64 s[0:1], s[0:1], exec
	s_or_b64 vcc, s[2:3], s[0:1]
.LBB232_49:                             ;   in Loop: Header=BB232_37 Depth=1
	s_or_b64 exec, exec, s[14:15]
	s_and_saveexec_b64 s[0:1], vcc
	s_cbranch_execz .LBB232_51
; %bb.50:                               ;   in Loop: Header=BB232_37 Depth=1
	v_cmp_eq_u32_e32 vcc, 1, v8
	v_add_u32_e32 v26, s13, v0
	v_ashrrev_i32_e32 v27, 31, v26
	v_cndmask_b32_e32 v1, v11, v12, vcc
	v_cmp_eq_u32_e32 vcc, 2, v8
	s_nop 1
	v_cndmask_b32_e32 v1, v1, v13, vcc
	v_cmp_eq_u32_e32 vcc, 3, v8
	s_nop 1
	;; [unrolled: 3-line block ×4, first 2 shown]
	v_cndmask_b32_e32 v1, v1, v16, vcc
	v_cmp_eq_u32_e32 vcc, 6, v8
	v_lshl_add_u64 v[8:9], v[26:27], 2, s[10:11]
	s_nop 0
	v_cndmask_b32_e32 v1, v1, v17, vcc
	v_mul_f32_e32 v1, v18, v1
	global_store_dword v[8:9], v1, off
.LBB232_51:                             ;   in Loop: Header=BB232_37 Depth=1
	s_or_b64 exec, exec, s[0:1]
	global_load_dword v1, v[6:7], off
	v_mov_b64_e32 v[8:9], 0
	s_waitcnt vmcnt(0)
	v_cmp_eq_u32_e64 s[6:7], v1, v10
	v_cmp_ne_u32_e32 vcc, v1, v10
	s_and_saveexec_b64 s[8:9], vcc
	s_cbranch_execz .LBB232_63
; %bb.52:                               ;   in Loop: Header=BB232_37 Depth=1
	v_cmp_eq_u32_e32 vcc, v1, v24
	v_cmp_ne_u32_e64 s[0:1], v1, v24
	v_mov_b64_e32 v[8:9], 1
	s_and_saveexec_b64 s[14:15], s[0:1]
	s_cbranch_execz .LBB232_62
; %bb.53:                               ;   in Loop: Header=BB232_37 Depth=1
	v_cmp_eq_u32_e64 s[0:1], v1, v23
	v_cmp_ne_u32_e64 s[2:3], v1, v23
	v_mov_b64_e32 v[8:9], 2
	s_and_saveexec_b64 s[16:17], s[2:3]
	s_cbranch_execz .LBB232_61
; %bb.54:                               ;   in Loop: Header=BB232_37 Depth=1
	v_cmp_eq_u32_e64 s[2:3], v1, v22
	;; [unrolled: 6-line block ×4, first 2 shown]
	v_cmp_ne_u32_e64 s[4:5], v1, v20
	v_mov_b64_e32 v[8:9], 5
	s_and_saveexec_b64 s[26:27], s[4:5]
; %bb.57:                               ;   in Loop: Header=BB232_37 Depth=1
	v_cmp_eq_u32_e64 s[4:5], v1, v19
	s_andn2_b64 s[24:25], s[24:25], exec
	s_and_b64 s[4:5], s[4:5], exec
	v_mov_b64_e32 v[8:9], 6
	s_or_b64 s[24:25], s[24:25], s[4:5]
; %bb.58:                               ;   in Loop: Header=BB232_37 Depth=1
	s_or_b64 exec, exec, s[26:27]
	s_andn2_b64 s[4:5], s[20:21], exec
	s_and_b64 s[20:21], s[24:25], exec
	s_or_b64 s[20:21], s[4:5], s[20:21]
.LBB232_59:                             ;   in Loop: Header=BB232_37 Depth=1
	s_or_b64 exec, exec, s[22:23]
	s_andn2_b64 s[2:3], s[2:3], exec
	s_and_b64 s[4:5], s[20:21], exec
	s_or_b64 s[2:3], s[2:3], s[4:5]
.LBB232_60:                             ;   in Loop: Header=BB232_37 Depth=1
	s_or_b64 exec, exec, s[18:19]
	s_andn2_b64 s[0:1], s[0:1], exec
	s_and_b64 s[2:3], s[2:3], exec
	s_or_b64 s[0:1], s[0:1], s[2:3]
.LBB232_61:                             ;   in Loop: Header=BB232_37 Depth=1
	s_or_b64 exec, exec, s[16:17]
	s_andn2_b64 s[2:3], vcc, exec
	s_and_b64 s[0:1], s[0:1], exec
	s_or_b64 vcc, s[2:3], s[0:1]
.LBB232_62:                             ;   in Loop: Header=BB232_37 Depth=1
	s_or_b64 exec, exec, s[14:15]
	s_andn2_b64 s[0:1], s[6:7], exec
	s_and_b64 s[2:3], vcc, exec
	s_or_b64 s[6:7], s[0:1], s[2:3]
.LBB232_63:                             ;   in Loop: Header=BB232_37 Depth=1
	s_or_b64 exec, exec, s[8:9]
	s_and_saveexec_b64 s[0:1], s[6:7]
	s_cbranch_execz .LBB232_36
; %bb.64:                               ;   in Loop: Header=BB232_37 Depth=1
	v_cmp_eq_u32_e32 vcc, 1, v8
	s_nop 1
	v_cndmask_b32_e32 v1, v11, v12, vcc
	v_cmp_eq_u32_e32 vcc, 2, v8
	s_nop 1
	v_cndmask_b32_e32 v1, v1, v13, vcc
	;; [unrolled: 3-line block ×6, first 2 shown]
	v_mul_f32_e32 v1, v18, v1
	global_store_dword v[4:5], v1, off
	s_branch .LBB232_36
.LBB232_65:
	s_bitcmp0_b32 s28, 0
	s_mov_b32 s13, 0
	s_cbranch_scc1 .LBB232_31
; %bb.66:
	v_lshl_add_u64 v[2:3], s[12:13], 2, v[2:3]
	global_load_dword v1, v[2:3], off
	v_mov_b64_e32 v[2:3], 0
	s_waitcnt vmcnt(0)
	v_cmp_eq_u32_e64 s[6:7], v1, v10
	v_cmp_ne_u32_e32 vcc, v1, v10
	s_and_saveexec_b64 s[8:9], vcc
	s_cbranch_execz .LBB232_78
; %bb.67:
	v_cmp_eq_u32_e32 vcc, v1, v24
	v_cmp_ne_u32_e64 s[0:1], v1, v24
	v_mov_b64_e32 v[2:3], 1
	s_and_saveexec_b64 s[14:15], s[0:1]
	s_cbranch_execz .LBB232_77
; %bb.68:
	v_cmp_eq_u32_e64 s[0:1], v1, v23
	v_cmp_ne_u32_e64 s[2:3], v1, v23
	v_mov_b64_e32 v[2:3], 2
	s_and_saveexec_b64 s[16:17], s[2:3]
	s_cbranch_execz .LBB232_76
; %bb.69:
	v_cmp_eq_u32_e64 s[2:3], v1, v22
	;; [unrolled: 6-line block ×4, first 2 shown]
	v_cmp_ne_u32_e64 s[4:5], v1, v20
	v_mov_b64_e32 v[2:3], 5
	s_and_saveexec_b64 s[26:27], s[4:5]
; %bb.72:
	v_cmp_eq_u32_e64 s[4:5], v1, v19
	s_andn2_b64 s[24:25], s[24:25], exec
	s_and_b64 s[4:5], s[4:5], exec
	v_mov_b64_e32 v[2:3], 6
	s_or_b64 s[24:25], s[24:25], s[4:5]
; %bb.73:
	s_or_b64 exec, exec, s[26:27]
	s_andn2_b64 s[4:5], s[20:21], exec
	s_and_b64 s[20:21], s[24:25], exec
	s_or_b64 s[20:21], s[4:5], s[20:21]
.LBB232_74:
	s_or_b64 exec, exec, s[22:23]
	s_andn2_b64 s[2:3], s[2:3], exec
	s_and_b64 s[4:5], s[20:21], exec
	s_or_b64 s[2:3], s[2:3], s[4:5]
.LBB232_75:
	s_or_b64 exec, exec, s[18:19]
	s_andn2_b64 s[0:1], s[0:1], exec
	s_and_b64 s[2:3], s[2:3], exec
	s_or_b64 s[0:1], s[0:1], s[2:3]
.LBB232_76:
	s_or_b64 exec, exec, s[16:17]
	s_andn2_b64 s[2:3], vcc, exec
	s_and_b64 s[0:1], s[0:1], exec
	s_or_b64 vcc, s[2:3], s[0:1]
.LBB232_77:
	s_or_b64 exec, exec, s[14:15]
	s_andn2_b64 s[0:1], s[6:7], exec
	s_and_b64 s[2:3], vcc, exec
	s_or_b64 s[6:7], s[0:1], s[2:3]
.LBB232_78:
	s_or_b64 exec, exec, s[8:9]
	s_and_b64 exec, exec, s[6:7]
	s_cbranch_execz .LBB232_31
; %bb.79:
	v_cmp_eq_u32_e32 vcc, 1, v2
	v_add_u32_e32 v0, s12, v0
	s_nop 0
	v_cndmask_b32_e32 v1, v11, v12, vcc
	v_cmp_eq_u32_e32 vcc, 2, v2
	s_nop 1
	v_cndmask_b32_e32 v1, v1, v13, vcc
	v_cmp_eq_u32_e32 vcc, 3, v2
	;; [unrolled: 3-line block ×5, first 2 shown]
	s_nop 1
	v_cndmask_b32_e32 v1, v1, v17, vcc
	v_mul_f32_e32 v2, v18, v1
	v_ashrrev_i32_e32 v1, 31, v0
	s_waitcnt lgkmcnt(0)
	v_lshl_add_u64 v[0:1], v[0:1], 2, s[10:11]
	global_store_dword v[0:1], v2, off
	s_endpgm
	.section	.rodata,"a",@progbits
	.p2align	6, 0x0
	.amdhsa_kernel _ZN4vllm3moe22topkGatingSoftplusSqrtILi7ELi448ELi4ELi2ELi64ELb1Ei6__halfEEvPKT6_PKbPfiPT5_PiiiibdPKfPKS9_SF_
		.amdhsa_group_segment_fixed_size 0
		.amdhsa_private_segment_fixed_size 0
		.amdhsa_kernarg_size 96
		.amdhsa_user_sgpr_count 2
		.amdhsa_user_sgpr_dispatch_ptr 0
		.amdhsa_user_sgpr_queue_ptr 0
		.amdhsa_user_sgpr_kernarg_segment_ptr 1
		.amdhsa_user_sgpr_dispatch_id 0
		.amdhsa_user_sgpr_kernarg_preload_length 0
		.amdhsa_user_sgpr_kernarg_preload_offset 0
		.amdhsa_user_sgpr_private_segment_size 0
		.amdhsa_uses_dynamic_stack 0
		.amdhsa_enable_private_segment 0
		.amdhsa_system_sgpr_workgroup_id_x 1
		.amdhsa_system_sgpr_workgroup_id_y 0
		.amdhsa_system_sgpr_workgroup_id_z 0
		.amdhsa_system_sgpr_workgroup_info 0
		.amdhsa_system_vgpr_workitem_id 1
		.amdhsa_next_free_vgpr 31
		.amdhsa_next_free_sgpr 29
		.amdhsa_accum_offset 32
		.amdhsa_reserve_vcc 1
		.amdhsa_float_round_mode_32 0
		.amdhsa_float_round_mode_16_64 0
		.amdhsa_float_denorm_mode_32 3
		.amdhsa_float_denorm_mode_16_64 3
		.amdhsa_dx10_clamp 1
		.amdhsa_ieee_mode 1
		.amdhsa_fp16_overflow 0
		.amdhsa_tg_split 0
		.amdhsa_exception_fp_ieee_invalid_op 0
		.amdhsa_exception_fp_denorm_src 0
		.amdhsa_exception_fp_ieee_div_zero 0
		.amdhsa_exception_fp_ieee_overflow 0
		.amdhsa_exception_fp_ieee_underflow 0
		.amdhsa_exception_fp_ieee_inexact 0
		.amdhsa_exception_int_div_zero 0
	.end_amdhsa_kernel
	.section	.text._ZN4vllm3moe22topkGatingSoftplusSqrtILi7ELi448ELi4ELi2ELi64ELb1Ei6__halfEEvPKT6_PKbPfiPT5_PiiiibdPKfPKS9_SF_,"axG",@progbits,_ZN4vllm3moe22topkGatingSoftplusSqrtILi7ELi448ELi4ELi2ELi64ELb1Ei6__halfEEvPKT6_PKbPfiPT5_PiiiibdPKfPKS9_SF_,comdat
.Lfunc_end232:
	.size	_ZN4vllm3moe22topkGatingSoftplusSqrtILi7ELi448ELi4ELi2ELi64ELb1Ei6__halfEEvPKT6_PKbPfiPT5_PiiiibdPKfPKS9_SF_, .Lfunc_end232-_ZN4vllm3moe22topkGatingSoftplusSqrtILi7ELi448ELi4ELi2ELi64ELb1Ei6__halfEEvPKT6_PKbPfiPT5_PiiiibdPKfPKS9_SF_
                                        ; -- End function
	.section	.AMDGPU.csdata,"",@progbits
; Kernel info:
; codeLenInByte = 4844
; NumSgprs: 35
; NumVgprs: 31
; NumAgprs: 0
; TotalNumVgprs: 31
; ScratchSize: 0
; MemoryBound: 0
; FloatMode: 240
; IeeeMode: 1
; LDSByteSize: 0 bytes/workgroup (compile time only)
; SGPRBlocks: 4
; VGPRBlocks: 3
; NumSGPRsForWavesPerEU: 35
; NumVGPRsForWavesPerEU: 31
; AccumOffset: 32
; Occupancy: 8
; WaveLimiterHint : 1
; COMPUTE_PGM_RSRC2:SCRATCH_EN: 0
; COMPUTE_PGM_RSRC2:USER_SGPR: 2
; COMPUTE_PGM_RSRC2:TRAP_HANDLER: 0
; COMPUTE_PGM_RSRC2:TGID_X_EN: 1
; COMPUTE_PGM_RSRC2:TGID_Y_EN: 0
; COMPUTE_PGM_RSRC2:TGID_Z_EN: 0
; COMPUTE_PGM_RSRC2:TIDIG_COMP_CNT: 1
; COMPUTE_PGM_RSRC3_GFX90A:ACCUM_OFFSET: 7
; COMPUTE_PGM_RSRC3_GFX90A:TG_SPLIT: 0
	.section	.text._ZN4vllm3moe22topkGatingSoftplusSqrtILi7ELi448ELi4ELi2ELi64ELb0Ei6__halfEEvPKT6_PKbPfiPT5_PiiiibdPKfPKS9_SF_,"axG",@progbits,_ZN4vllm3moe22topkGatingSoftplusSqrtILi7ELi448ELi4ELi2ELi64ELb0Ei6__halfEEvPKT6_PKbPfiPT5_PiiiibdPKfPKS9_SF_,comdat
	.protected	_ZN4vllm3moe22topkGatingSoftplusSqrtILi7ELi448ELi4ELi2ELi64ELb0Ei6__halfEEvPKT6_PKbPfiPT5_PiiiibdPKfPKS9_SF_ ; -- Begin function _ZN4vllm3moe22topkGatingSoftplusSqrtILi7ELi448ELi4ELi2ELi64ELb0Ei6__halfEEvPKT6_PKbPfiPT5_PiiiibdPKfPKS9_SF_
	.globl	_ZN4vllm3moe22topkGatingSoftplusSqrtILi7ELi448ELi4ELi2ELi64ELb0Ei6__halfEEvPKT6_PKbPfiPT5_PiiiibdPKfPKS9_SF_
	.p2align	8
	.type	_ZN4vllm3moe22topkGatingSoftplusSqrtILi7ELi448ELi4ELi2ELi64ELb0Ei6__halfEEvPKT6_PKbPfiPT5_PiiiibdPKfPKS9_SF_,@function
_ZN4vllm3moe22topkGatingSoftplusSqrtILi7ELi448ELi4ELi2ELi64ELb0Ei6__halfEEvPKT6_PKbPfiPT5_PiiiibdPKfPKS9_SF_: ; @_ZN4vllm3moe22topkGatingSoftplusSqrtILi7ELi448ELi4ELi2ELi64ELb0Ei6__halfEEvPKT6_PKbPfiPT5_PiiiibdPKfPKS9_SF_
; %bb.0:
	s_load_dword s30, s[0:1], 0x18
	v_and_b32_e32 v1, 0x3ff, v0
	s_lshl_b32 s2, s2, 2
	v_lshrrev_b32_e32 v2, 6, v1
	v_bfe_u32 v0, v0, 10, 10
	v_add3_u32 v8, s2, v0, v2
	s_waitcnt lgkmcnt(0)
	v_cmp_gt_i32_e32 vcc, s30, v8
	s_and_saveexec_b64 s[2:3], vcc
	s_cbranch_execz .LBB233_63
; %bb.1:
	s_load_dwordx4 s[4:7], s[0:1], 0x0
	s_load_dwordx2 s[20:21], s[0:1], 0x10
	s_waitcnt lgkmcnt(0)
	s_cmp_eq_u64 s[6:7], 0
	s_cbranch_scc1 .LBB233_3
; %bb.2:
	v_ashrrev_i32_e32 v9, 31, v8
	v_lshl_add_u64 v[2:3], s[6:7], 0, v[8:9]
	global_load_ubyte v0, v[2:3], off
	s_waitcnt vmcnt(0)
	v_and_b32_e32 v0, 1, v0
	v_cmp_eq_u32_e32 vcc, 1, v0
	s_xor_b64 s[2:3], vcc, -1
	s_orn2_b64 s[22:23], s[2:3], exec
	s_branch .LBB233_4
.LBB233_3:
	s_mov_b64 s[22:23], -1
.LBB233_4:
	s_movk_i32 s2, 0x1c0
	v_mul_lo_u32 v4, v8, s2
	v_mov_b32_e32 v2, s4
	v_mov_b32_e32 v3, s5
	v_ashrrev_i32_e32 v5, 31, v4
	v_and_b32_e32 v10, 63, v1
	v_lshl_add_u64 v[2:3], v[4:5], 1, v[2:3]
	v_mov_b32_e32 v1, 0
	v_lshlrev_b32_e32 v0, 1, v10
	v_lshl_add_u64 v[12:13], v[2:3], 0, v[0:1]
	global_load_ushort v0, v[12:13], off
	global_load_ushort v1, v[12:13], off offset:128
	global_load_ushort v2, v[12:13], off offset:256
	;; [unrolled: 1-line block ×6, first 2 shown]
	s_mov_b32 s16, 0x800000
	v_mov_b32_e32 v11, 0x4f800000
	s_mov_b32 s13, 0x3f317217
	s_mov_b32 s14, 0x7f800000
	v_mov_b32_e32 v12, 0x41b17218
	s_movk_i32 s12, 0x4d00
	s_mov_b32 s15, 0xf800000
	s_load_dwordx4 s[8:11], s[0:1], 0x40
	s_waitcnt lgkmcnt(0)
	s_cmp_lg_u64 s[10:11], 0
	s_cselect_b64 s[6:7], -1, 0
	s_and_b64 s[2:3], exec, s[6:7]
	s_waitcnt vmcnt(6)
	v_cvt_f32_f16_e32 v13, v0
	v_mul_f32_e32 v7, 0x3fb8aa3b, v13
	v_exp_f32_e32 v7, v7
	s_nop 0
	v_add_f32_e32 v7, 1.0, v7
	v_cmp_gt_f32_e32 vcc, s16, v7
	s_nop 1
	v_cndmask_b32_e32 v9, 1.0, v11, vcc
	v_mul_f32_e32 v7, v7, v9
	v_log_f32_e32 v14, v7
	v_cndmask_b32_e32 v15, 0, v12, vcc
	v_mov_b32_e32 v9, 0x260
	v_lshlrev_b32_e32 v7, 2, v10
	v_mul_f32_e32 v16, 0x3f317217, v14
	v_fma_f32 v16, v14, s13, -v16
	v_fmac_f32_e32 v16, 0x3377d1cf, v14
	v_fmac_f32_e32 v16, 0x3f317217, v14
	v_cmp_lt_f32_e64 vcc, |v14|, s14
	s_nop 1
	v_cndmask_b32_e32 v14, v14, v16, vcc
	v_sub_f32_e32 v14, v14, v15
	v_cmp_lt_f16_e32 vcc, s12, v0
	s_nop 1
	v_cndmask_b32_e32 v0, v14, v13, vcc
	v_mul_f32_e32 v13, 0x4f800000, v0
	v_cmp_gt_f32_e32 vcc, s15, v0
	s_nop 1
	v_cndmask_b32_e32 v0, v0, v13, vcc
	v_sqrt_f32_e32 v13, v0
	s_nop 0
	v_add_u32_e32 v14, -1, v13
	v_add_u32_e32 v15, 1, v13
	v_fma_f32 v16, -v14, v13, v0
	v_fma_f32 v17, -v15, v13, v0
	v_cmp_ge_f32_e64 s[4:5], 0, v16
	s_nop 1
	v_cndmask_b32_e64 v13, v13, v14, s[4:5]
	v_cmp_lt_f32_e64 s[4:5], 0, v17
	s_nop 1
	v_cndmask_b32_e64 v13, v13, v15, s[4:5]
	v_mul_f32_e32 v14, 0x37800000, v13
	v_cndmask_b32_e32 v13, v13, v14, vcc
	v_cmp_class_f32_e32 vcc, v0, v9
	s_nop 1
	v_cndmask_b32_e32 v0, v13, v0, vcc
	s_mov_b64 vcc, s[2:3]
	s_cbranch_vccz .LBB233_6
; %bb.5:
	global_load_dword v13, v7, s[10:11]
	s_waitcnt vmcnt(0)
	v_add_f32_e32 v0, v0, v13
.LBB233_6:
	s_waitcnt vmcnt(5)
	v_cvt_f32_f16_e32 v13, v1
	v_mul_f32_e32 v14, 0x3fb8aa3b, v13
	v_exp_f32_e32 v14, v14
	s_nop 0
	v_add_f32_e32 v14, 1.0, v14
	v_cmp_gt_f32_e32 vcc, s16, v14
	s_nop 1
	v_cndmask_b32_e32 v11, 1.0, v11, vcc
	v_mul_f32_e32 v11, v14, v11
	v_log_f32_e32 v11, v11
	v_cndmask_b32_e32 v12, 0, v12, vcc
	v_mul_f32_e32 v14, 0x3f317217, v11
	v_fma_f32 v14, v11, s13, -v14
	v_fmac_f32_e32 v14, 0x3377d1cf, v11
	v_fmac_f32_e32 v14, 0x3f317217, v11
	v_cmp_lt_f32_e64 vcc, |v11|, s14
	s_nop 1
	v_cndmask_b32_e32 v11, v11, v14, vcc
	v_sub_f32_e32 v11, v11, v12
	v_cmp_lt_f16_e32 vcc, s12, v1
	v_cndmask_b32_e64 v12, 0, 1, s[6:7]
	v_cmp_ne_u32_e64 s[2:3], 1, v12
	v_cndmask_b32_e32 v1, v11, v13, vcc
	v_mul_f32_e32 v11, 0x4f800000, v1
	v_cmp_gt_f32_e64 s[4:5], s15, v1
	s_andn2_b64 vcc, exec, s[6:7]
	s_nop 0
	v_cndmask_b32_e64 v1, v1, v11, s[4:5]
	v_sqrt_f32_e32 v11, v1
	s_nop 0
	v_add_u32_e32 v12, -1, v11
	v_add_u32_e32 v13, 1, v11
	v_fma_f32 v14, -v12, v11, v1
	v_fma_f32 v15, -v13, v11, v1
	v_cmp_ge_f32_e64 s[6:7], 0, v14
	s_nop 1
	v_cndmask_b32_e64 v11, v11, v12, s[6:7]
	v_cmp_lt_f32_e64 s[6:7], 0, v15
	s_nop 1
	v_cndmask_b32_e64 v11, v11, v13, s[6:7]
	v_mul_f32_e32 v12, 0x37800000, v11
	v_cndmask_b32_e64 v11, v11, v12, s[4:5]
	v_cmp_class_f32_e64 s[4:5], v1, v9
	s_nop 1
	v_cndmask_b32_e64 v1, v11, v1, s[4:5]
	s_cbranch_vccnz .LBB233_8
; %bb.7:
	global_load_dword v9, v7, s[10:11] offset:256
	s_waitcnt vmcnt(0)
	v_add_f32_e32 v1, v1, v9
.LBB233_8:
	s_waitcnt vmcnt(4)
	v_cvt_f32_f16_e32 v9, v2
	s_mov_b32 s12, 0x800000
	s_mov_b32 s7, 0x3f317217
	;; [unrolled: 1-line block ×3, first 2 shown]
	v_mul_f32_e32 v11, 0x3fb8aa3b, v9
	v_exp_f32_e32 v12, v11
	v_mov_b32_e32 v11, 0x4f800000
	s_movk_i32 s6, 0x4d00
	s_mov_b32 s14, 0xf800000
	v_add_f32_e32 v12, 1.0, v12
	v_cmp_gt_f32_e32 vcc, s12, v12
	s_nop 1
	v_cndmask_b32_e32 v13, 1.0, v11, vcc
	v_mul_f32_e32 v12, v12, v13
	v_log_f32_e32 v13, v12
	v_mov_b32_e32 v12, 0x41b17218
	v_cndmask_b32_e32 v14, 0, v12, vcc
	v_mul_f32_e32 v15, 0x3f317217, v13
	v_fma_f32 v15, v13, s7, -v15
	v_fmac_f32_e32 v15, 0x3377d1cf, v13
	v_fmac_f32_e32 v15, 0x3f317217, v13
	v_cmp_lt_f32_e64 vcc, |v13|, s13
	s_nop 1
	v_cndmask_b32_e32 v13, v13, v15, vcc
	v_sub_f32_e32 v13, v13, v14
	v_cmp_lt_f16_e32 vcc, s6, v2
	s_nop 1
	v_cndmask_b32_e32 v2, v13, v9, vcc
	v_mul_f32_e32 v9, 0x4f800000, v2
	v_cmp_gt_f32_e32 vcc, s14, v2
	s_nop 1
	v_cndmask_b32_e32 v2, v2, v9, vcc
	v_sqrt_f32_e32 v9, v2
	s_nop 0
	v_add_u32_e32 v13, -1, v9
	v_fma_f32 v14, -v13, v9, v2
	v_cmp_ge_f32_e64 s[4:5], 0, v14
	v_add_u32_e32 v14, 1, v9
	s_nop 0
	v_cndmask_b32_e64 v13, v9, v13, s[4:5]
	v_fma_f32 v9, -v14, v9, v2
	v_cmp_lt_f32_e64 s[4:5], 0, v9
	s_nop 1
	v_cndmask_b32_e64 v9, v13, v14, s[4:5]
	v_mul_f32_e32 v13, 0x37800000, v9
	v_cndmask_b32_e32 v13, v9, v13, vcc
	v_mov_b32_e32 v9, 0x260
	v_cmp_class_f32_e64 s[4:5], v2, v9
	s_and_b64 vcc, exec, s[2:3]
	s_nop 0
	v_cndmask_b32_e64 v2, v13, v2, s[4:5]
	s_cbranch_vccnz .LBB233_10
; %bb.9:
	global_load_dword v13, v7, s[10:11] offset:512
	s_waitcnt vmcnt(0)
	v_add_f32_e32 v2, v2, v13
.LBB233_10:
	s_waitcnt vmcnt(3)
	v_cvt_f32_f16_e32 v13, v3
	v_mul_f32_e32 v14, 0x3fb8aa3b, v13
	v_exp_f32_e32 v14, v14
	s_nop 0
	v_add_f32_e32 v14, 1.0, v14
	v_cmp_gt_f32_e32 vcc, s12, v14
	s_nop 1
	v_cndmask_b32_e32 v11, 1.0, v11, vcc
	v_mul_f32_e32 v11, v14, v11
	v_log_f32_e32 v11, v11
	v_cndmask_b32_e32 v12, 0, v12, vcc
	v_mul_f32_e32 v14, 0x3f317217, v11
	v_fma_f32 v14, v11, s7, -v14
	v_fmac_f32_e32 v14, 0x3377d1cf, v11
	v_fmac_f32_e32 v14, 0x3f317217, v11
	v_cmp_lt_f32_e64 vcc, |v11|, s13
	s_nop 1
	v_cndmask_b32_e32 v11, v11, v14, vcc
	v_sub_f32_e32 v11, v11, v12
	v_cmp_lt_f16_e32 vcc, s6, v3
	s_nop 1
	v_cndmask_b32_e32 v3, v11, v13, vcc
	v_mul_f32_e32 v11, 0x4f800000, v3
	v_cmp_gt_f32_e64 s[4:5], s14, v3
	s_and_b64 vcc, exec, s[2:3]
	s_nop 0
	v_cndmask_b32_e64 v3, v3, v11, s[4:5]
	v_sqrt_f32_e32 v11, v3
	s_nop 0
	v_add_u32_e32 v12, -1, v11
	v_add_u32_e32 v13, 1, v11
	v_fma_f32 v14, -v12, v11, v3
	v_fma_f32 v15, -v13, v11, v3
	v_cmp_ge_f32_e64 s[6:7], 0, v14
	s_nop 1
	v_cndmask_b32_e64 v11, v11, v12, s[6:7]
	v_cmp_lt_f32_e64 s[6:7], 0, v15
	s_nop 1
	v_cndmask_b32_e64 v11, v11, v13, s[6:7]
	v_mul_f32_e32 v12, 0x37800000, v11
	v_cndmask_b32_e64 v11, v11, v12, s[4:5]
	v_cmp_class_f32_e64 s[4:5], v3, v9
	s_nop 1
	v_cndmask_b32_e64 v3, v11, v3, s[4:5]
	s_cbranch_vccnz .LBB233_12
; %bb.11:
	global_load_dword v9, v7, s[10:11] offset:768
	s_waitcnt vmcnt(0)
	v_add_f32_e32 v3, v3, v9
.LBB233_12:
	s_waitcnt vmcnt(2)
	v_cvt_f32_f16_e32 v9, v4
	s_mov_b32 s7, 0x3f317217
	s_movk_i32 s6, 0x4d00
	v_mul_f32_e32 v11, 0x3fb8aa3b, v9
	v_exp_f32_e32 v12, v11
	v_mov_b32_e32 v11, 0x4f800000
	v_add_f32_e32 v12, 1.0, v12
	v_cmp_gt_f32_e32 vcc, s12, v12
	s_nop 1
	v_cndmask_b32_e32 v13, 1.0, v11, vcc
	v_mul_f32_e32 v12, v12, v13
	v_log_f32_e32 v13, v12
	v_mov_b32_e32 v12, 0x41b17218
	v_cndmask_b32_e32 v14, 0, v12, vcc
	v_mul_f32_e32 v15, 0x3f317217, v13
	v_fma_f32 v15, v13, s7, -v15
	v_fmac_f32_e32 v15, 0x3377d1cf, v13
	v_fmac_f32_e32 v15, 0x3f317217, v13
	v_cmp_lt_f32_e64 vcc, |v13|, s13
	s_nop 1
	v_cndmask_b32_e32 v13, v13, v15, vcc
	v_sub_f32_e32 v13, v13, v14
	v_cmp_lt_f16_e32 vcc, s6, v4
	s_nop 1
	v_cndmask_b32_e32 v4, v13, v9, vcc
	v_mul_f32_e32 v9, 0x4f800000, v4
	v_cmp_gt_f32_e32 vcc, s14, v4
	s_nop 1
	v_cndmask_b32_e32 v4, v4, v9, vcc
	v_sqrt_f32_e32 v9, v4
	s_nop 0
	v_add_u32_e32 v13, -1, v9
	v_fma_f32 v14, -v13, v9, v4
	v_cmp_ge_f32_e64 s[4:5], 0, v14
	v_add_u32_e32 v14, 1, v9
	s_nop 0
	v_cndmask_b32_e64 v13, v9, v13, s[4:5]
	v_fma_f32 v9, -v14, v9, v4
	v_cmp_lt_f32_e64 s[4:5], 0, v9
	s_nop 1
	v_cndmask_b32_e64 v9, v13, v14, s[4:5]
	v_mul_f32_e32 v13, 0x37800000, v9
	v_cndmask_b32_e32 v13, v9, v13, vcc
	v_mov_b32_e32 v9, 0x260
	v_cmp_class_f32_e64 s[4:5], v4, v9
	s_and_b64 vcc, exec, s[2:3]
	s_nop 0
	v_cndmask_b32_e64 v4, v13, v4, s[4:5]
	s_cbranch_vccnz .LBB233_14
; %bb.13:
	global_load_dword v13, v7, s[10:11] offset:1024
	s_waitcnt vmcnt(0)
	v_add_f32_e32 v4, v4, v13
.LBB233_14:
	s_waitcnt vmcnt(1)
	v_cvt_f32_f16_e32 v13, v5
	v_mul_f32_e32 v14, 0x3fb8aa3b, v13
	v_exp_f32_e32 v14, v14
	s_nop 0
	v_add_f32_e32 v14, 1.0, v14
	v_cmp_gt_f32_e32 vcc, s12, v14
	s_nop 1
	v_cndmask_b32_e32 v11, 1.0, v11, vcc
	v_mul_f32_e32 v11, v14, v11
	v_log_f32_e32 v11, v11
	v_cndmask_b32_e32 v12, 0, v12, vcc
	v_mul_f32_e32 v14, 0x3f317217, v11
	v_fma_f32 v14, v11, s7, -v14
	v_fmac_f32_e32 v14, 0x3377d1cf, v11
	v_fmac_f32_e32 v14, 0x3f317217, v11
	v_cmp_lt_f32_e64 vcc, |v11|, s13
	s_nop 1
	v_cndmask_b32_e32 v11, v11, v14, vcc
	v_sub_f32_e32 v11, v11, v12
	v_cmp_lt_f16_e32 vcc, s6, v5
	s_nop 1
	v_cndmask_b32_e32 v5, v11, v13, vcc
	v_mul_f32_e32 v11, 0x4f800000, v5
	v_cmp_gt_f32_e64 s[4:5], s14, v5
	s_and_b64 vcc, exec, s[2:3]
	s_nop 0
	v_cndmask_b32_e64 v5, v5, v11, s[4:5]
	v_sqrt_f32_e32 v11, v5
	s_nop 0
	v_add_u32_e32 v12, -1, v11
	v_add_u32_e32 v13, 1, v11
	v_fma_f32 v14, -v12, v11, v5
	v_fma_f32 v15, -v13, v11, v5
	v_cmp_ge_f32_e64 s[6:7], 0, v14
	s_nop 1
	v_cndmask_b32_e64 v11, v11, v12, s[6:7]
	v_cmp_lt_f32_e64 s[6:7], 0, v15
	s_nop 1
	v_cndmask_b32_e64 v11, v11, v13, s[6:7]
	v_mul_f32_e32 v12, 0x37800000, v11
	v_cndmask_b32_e64 v11, v11, v12, s[4:5]
	v_cmp_class_f32_e64 s[4:5], v5, v9
	s_nop 1
	v_cndmask_b32_e64 v5, v11, v5, s[4:5]
	s_cbranch_vccnz .LBB233_16
; %bb.15:
	global_load_dword v9, v7, s[10:11] offset:1280
	s_waitcnt vmcnt(0)
	v_add_f32_e32 v5, v5, v9
.LBB233_16:
	s_waitcnt vmcnt(0)
	v_cvt_f32_f16_e32 v9, v6
	s_mov_b32 s5, 0x800000
	v_mov_b32_e32 v12, 0x4f800000
	s_mov_b32 s6, 0x3f317217
	v_mul_f32_e32 v11, 0x3fb8aa3b, v9
	v_exp_f32_e32 v11, v11
	s_movk_i32 s4, 0x4d00
	v_add_f32_e32 v11, 1.0, v11
	v_cmp_gt_f32_e32 vcc, s5, v11
	s_mov_b32 s5, 0x7f800000
	s_nop 0
	v_cndmask_b32_e32 v12, 1.0, v12, vcc
	v_mul_f32_e32 v11, v11, v12
	v_log_f32_e32 v11, v11
	v_mov_b32_e32 v12, 0x41b17218
	v_cndmask_b32_e32 v12, 0, v12, vcc
	v_mul_f32_e32 v13, 0x3f317217, v11
	v_fma_f32 v13, v11, s6, -v13
	v_fmamk_f32 v13, v11, 0x3377d1cf, v13
	v_fmac_f32_e32 v13, 0x3f317217, v11
	v_cmp_lt_f32_e64 vcc, |v11|, s5
	s_nop 1
	v_cndmask_b32_e32 v11, v11, v13, vcc
	v_sub_f32_e32 v11, v11, v12
	v_cmp_lt_f16_e32 vcc, s4, v6
	s_mov_b32 s4, 0xf800000
	s_nop 0
	v_cndmask_b32_e32 v6, v11, v9, vcc
	v_mul_f32_e32 v9, 0x4f800000, v6
	v_cmp_gt_f32_e32 vcc, s4, v6
	s_nop 1
	v_cndmask_b32_e32 v6, v6, v9, vcc
	v_sqrt_f32_e32 v9, v6
	s_nop 0
	v_add_u32_e32 v11, -1, v9
	v_fma_f32 v12, -v11, v9, v6
	v_cmp_ge_f32_e64 s[4:5], 0, v12
	v_add_u32_e32 v12, 1, v9
	s_nop 0
	v_cndmask_b32_e64 v11, v9, v11, s[4:5]
	v_fma_f32 v9, -v12, v9, v6
	v_cmp_lt_f32_e64 s[4:5], 0, v9
	s_nop 1
	v_cndmask_b32_e64 v9, v11, v12, s[4:5]
	v_mul_f32_e32 v11, 0x37800000, v9
	v_cndmask_b32_e32 v9, v9, v11, vcc
	v_mov_b32_e32 v11, 0x260
	v_cmp_class_f32_e64 s[4:5], v6, v11
	s_and_b64 vcc, exec, s[2:3]
	s_nop 0
	v_cndmask_b32_e64 v6, v9, v6, s[4:5]
	s_cbranch_vccnz .LBB233_18
; %bb.17:
	global_load_dword v7, v7, s[10:11] offset:1536
	s_waitcnt vmcnt(0)
	v_add_f32_e32 v6, v6, v7
.LBB233_18:
	s_load_dwordx4 s[12:15], s[0:1], 0x30
	v_cmp_eq_u32_e64 s[6:7], 0, v10
	s_waitcnt lgkmcnt(0)
	s_bitcmp1_b32 s15, 0
	s_cselect_b64 s[4:5], -1, 0
	s_cmp_gt_i32 s12, 0
	s_cselect_b64 s[24:25], -1, 0
	s_and_b64 vcc, exec, s[24:25]
	s_cbranch_vccz .LBB233_49
; %bb.19:
	v_mbcnt_lo_u32_b32 v7, -1, 0
	v_mbcnt_hi_u32_b32 v12, -1, v7
	v_and_b32_e32 v7, 64, v12
	v_add_u32_e32 v13, 64, v7
	v_xor_b32_e32 v14, 32, v12
	v_cmp_lt_i32_e32 vcc, v14, v13
	s_load_dwordx4 s[16:19], s[0:1], 0x20
	s_mov_b32 s15, 0
	v_cndmask_b32_e32 v14, v12, v14, vcc
	v_lshlrev_b32_e32 v19, 2, v14
	v_xor_b32_e32 v14, 16, v12
	v_cmp_lt_i32_e32 vcc, v14, v13
	v_mul_lo_u32 v7, v8, s12
	v_or_b32_e32 v9, 64, v10
	v_cndmask_b32_e32 v14, v12, v14, vcc
	v_lshlrev_b32_e32 v20, 2, v14
	v_xor_b32_e32 v14, 8, v12
	v_cmp_lt_i32_e32 vcc, v14, v13
	v_or_b32_e32 v11, 0x80, v10
	v_or_b32_e32 v15, 0xc0, v10
	v_cndmask_b32_e32 v14, v12, v14, vcc
	v_lshlrev_b32_e32 v21, 2, v14
	v_xor_b32_e32 v14, 4, v12
	v_cmp_lt_i32_e32 vcc, v14, v13
	v_or_b32_e32 v16, 0x100, v10
	;; [unrolled: 6-line block ×3, first 2 shown]
	v_mov_b32_e32 v25, 0x1c0
	v_cndmask_b32_e32 v14, v12, v14, vcc
	v_lshlrev_b32_e32 v23, 2, v14
	v_xor_b32_e32 v14, 1, v12
	v_cmp_lt_i32_e32 vcc, v14, v13
	v_mov_b32_e32 v26, 0xc61c4000
	v_mov_b32_e32 v27, v8
	v_cndmask_b32_e32 v12, v12, v14, vcc
	v_lshlrev_b32_e32 v24, 2, v12
	v_mov_b32_e32 v14, 0
	s_branch .LBB233_22
.LBB233_20:                             ;   in Loop: Header=BB233_22 Depth=1
	v_add_u32_e32 v30, s15, v7
	v_cmp_le_i32_e32 vcc, s13, v12
	v_cmp_gt_i32_e64 s[0:1], s14, v12
	v_ashrrev_i32_e32 v31, 31, v30
	s_and_b64 s[0:1], vcc, s[0:1]
	v_lshlrev_b64 v[30:31], 2, v[30:31]
	v_lshl_add_u64 v[32:33], s[20:21], 0, v[30:31]
	v_subrev_u32_e32 v13, s13, v12
	s_and_b64 vcc, s[22:23], s[0:1]
	global_store_dword v[32:33], v28, off
	v_cndmask_b32_e32 v13, v25, v13, vcc
	v_lshl_add_u64 v[32:33], s[16:17], 0, v[30:31]
	global_store_dword v[32:33], v13, off
	v_add_f32_e32 v13, v14, v28
	v_lshl_add_u64 v[30:31], s[18:19], 0, v[30:31]
	v_cndmask_b32_e64 v14, v14, v13, s[4:5]
	global_store_dword v[30:31], v27, off
.LBB233_21:                             ;   in Loop: Header=BB233_22 Depth=1
	s_or_b64 exec, exec, s[26:27]
	v_ashrrev_i32_e32 v13, 31, v12
	v_lshrrev_b32_e32 v13, 26, v13
	v_add_u32_e32 v13, v12, v13
	v_ashrrev_i32_e32 v28, 6, v13
	v_and_b32_e32 v13, 0xffffffc0, v13
	v_sub_u32_e32 v12, v12, v13
	v_cmp_ne_u32_e64 s[0:1], 0, v28
	v_cmp_eq_u32_e32 vcc, v10, v12
	s_add_i32 s15, s15, 1
	v_cndmask_b32_e64 v12, v26, v0, s[0:1]
	v_cmp_ne_u32_e64 s[0:1], 1, v28
	s_cmp_lt_i32 s15, s12
	s_cselect_b64 s[26:27], -1, 0
	v_cndmask_b32_e64 v13, v26, v1, s[0:1]
	v_cmp_ne_u32_e64 s[0:1], 2, v28
	s_and_b64 vcc, s[26:27], vcc
	v_cndmask_b32_e32 v1, v1, v13, vcc
	s_waitcnt lgkmcnt(0)
	v_cndmask_b32_e64 v29, v26, v2, s[0:1]
	v_cmp_ne_u32_e64 s[0:1], 3, v28
	v_cndmask_b32_e32 v2, v2, v29, vcc
	v_cndmask_b32_e32 v0, v0, v12, vcc
	v_cndmask_b32_e64 v30, v26, v3, s[0:1]
	v_cmp_ne_u32_e64 s[0:1], 4, v28
	v_cndmask_b32_e32 v3, v3, v30, vcc
	s_cmp_eq_u32 s12, s15
	v_cndmask_b32_e64 v31, v26, v4, s[0:1]
	v_cmp_ne_u32_e64 s[0:1], 5, v28
	v_cndmask_b32_e32 v4, v4, v31, vcc
	v_add_u32_e32 v27, s30, v27
	v_cndmask_b32_e64 v32, v26, v5, s[0:1]
	v_cmp_ne_u32_e64 s[0:1], 6, v28
	v_cndmask_b32_e32 v5, v5, v32, vcc
	s_nop 0
	v_cndmask_b32_e64 v28, v26, v6, s[0:1]
	v_cndmask_b32_e32 v6, v6, v28, vcc
	s_cbranch_scc1 .LBB233_50
.LBB233_22:                             ; =>This Inner Loop Header: Depth=1
	v_cmp_gt_f32_e32 vcc, v1, v0
	s_nop 1
	v_cndmask_b32_e32 v13, v0, v1, vcc
	v_cndmask_b32_e32 v12, v10, v9, vcc
	v_cmp_gt_f32_e32 vcc, v2, v13
	s_nop 1
	v_cndmask_b32_e32 v13, v13, v2, vcc
	v_cndmask_b32_e32 v12, v12, v11, vcc
	;; [unrolled: 4-line block ×6, first 2 shown]
	ds_bpermute_b32 v13, v19, v28
	ds_bpermute_b32 v29, v19, v12
	s_waitcnt lgkmcnt(0)
	v_cmp_lt_f32_e64 s[26:27], v28, v13
	v_cmp_nlt_f32_e32 vcc, v28, v13
	s_and_saveexec_b64 s[28:29], vcc
; %bb.23:                               ;   in Loop: Header=BB233_22 Depth=1
	v_cmp_eq_f32_e32 vcc, v28, v13
	v_cmp_lt_i32_e64 s[0:1], v29, v12
	s_and_b64 s[0:1], vcc, s[0:1]
	s_andn2_b64 s[26:27], s[26:27], exec
	s_and_b64 s[0:1], s[0:1], exec
	s_or_b64 s[26:27], s[26:27], s[0:1]
; %bb.24:                               ;   in Loop: Header=BB233_22 Depth=1
	s_or_b64 exec, exec, s[28:29]
	s_and_saveexec_b64 s[0:1], s[26:27]
; %bb.25:                               ;   in Loop: Header=BB233_22 Depth=1
	v_mov_b32_e32 v28, v13
	v_mov_b32_e32 v12, v29
; %bb.26:                               ;   in Loop: Header=BB233_22 Depth=1
	s_or_b64 exec, exec, s[0:1]
	ds_bpermute_b32 v13, v20, v28
	ds_bpermute_b32 v29, v20, v12
	s_waitcnt lgkmcnt(1)
	v_cmp_lt_f32_e64 s[26:27], v28, v13
	v_cmp_nlt_f32_e32 vcc, v28, v13
	s_and_saveexec_b64 s[28:29], vcc
	s_cbranch_execz .LBB233_28
; %bb.27:                               ;   in Loop: Header=BB233_22 Depth=1
	v_cmp_eq_f32_e32 vcc, v28, v13
	s_waitcnt lgkmcnt(0)
	v_cmp_lt_i32_e64 s[0:1], v29, v12
	s_and_b64 s[0:1], vcc, s[0:1]
	s_andn2_b64 s[26:27], s[26:27], exec
	s_and_b64 s[0:1], s[0:1], exec
	s_or_b64 s[26:27], s[26:27], s[0:1]
.LBB233_28:                             ;   in Loop: Header=BB233_22 Depth=1
	s_or_b64 exec, exec, s[28:29]
	s_and_saveexec_b64 s[0:1], s[26:27]
	s_cbranch_execz .LBB233_30
; %bb.29:                               ;   in Loop: Header=BB233_22 Depth=1
	v_mov_b32_e32 v28, v13
	s_waitcnt lgkmcnt(0)
	v_mov_b32_e32 v12, v29
.LBB233_30:                             ;   in Loop: Header=BB233_22 Depth=1
	s_or_b64 exec, exec, s[0:1]
	ds_bpermute_b32 v13, v21, v28
	s_waitcnt lgkmcnt(1)
	ds_bpermute_b32 v29, v21, v12
	s_waitcnt lgkmcnt(1)
	v_cmp_lt_f32_e64 s[26:27], v28, v13
	v_cmp_nlt_f32_e32 vcc, v28, v13
	s_and_saveexec_b64 s[28:29], vcc
	s_cbranch_execz .LBB233_32
; %bb.31:                               ;   in Loop: Header=BB233_22 Depth=1
	v_cmp_eq_f32_e32 vcc, v28, v13
	s_waitcnt lgkmcnt(0)
	v_cmp_lt_i32_e64 s[0:1], v29, v12
	s_and_b64 s[0:1], vcc, s[0:1]
	s_andn2_b64 s[26:27], s[26:27], exec
	s_and_b64 s[0:1], s[0:1], exec
	s_or_b64 s[26:27], s[26:27], s[0:1]
.LBB233_32:                             ;   in Loop: Header=BB233_22 Depth=1
	s_or_b64 exec, exec, s[28:29]
	s_and_saveexec_b64 s[0:1], s[26:27]
	s_cbranch_execz .LBB233_34
; %bb.33:                               ;   in Loop: Header=BB233_22 Depth=1
	v_mov_b32_e32 v28, v13
	s_waitcnt lgkmcnt(0)
	v_mov_b32_e32 v12, v29
.LBB233_34:                             ;   in Loop: Header=BB233_22 Depth=1
	s_or_b64 exec, exec, s[0:1]
	ds_bpermute_b32 v13, v22, v28
	s_waitcnt lgkmcnt(1)
	;; [unrolled: 26-line block ×4, first 2 shown]
	ds_bpermute_b32 v29, v24, v12
	s_waitcnt lgkmcnt(1)
	v_cmp_lt_f32_e64 s[26:27], v28, v13
	v_cmp_nlt_f32_e32 vcc, v28, v13
	s_and_saveexec_b64 s[28:29], vcc
	s_cbranch_execnz .LBB233_45
; %bb.43:                               ;   in Loop: Header=BB233_22 Depth=1
	s_or_b64 exec, exec, s[28:29]
	s_and_saveexec_b64 s[0:1], s[26:27]
	s_cbranch_execnz .LBB233_46
.LBB233_44:                             ;   in Loop: Header=BB233_22 Depth=1
	s_or_b64 exec, exec, s[0:1]
	s_and_saveexec_b64 s[26:27], s[6:7]
	s_cbranch_execz .LBB233_21
	s_branch .LBB233_47
.LBB233_45:                             ;   in Loop: Header=BB233_22 Depth=1
	v_cmp_eq_f32_e32 vcc, v28, v13
	s_waitcnt lgkmcnt(0)
	v_cmp_lt_i32_e64 s[0:1], v29, v12
	s_and_b64 s[0:1], vcc, s[0:1]
	s_andn2_b64 s[26:27], s[26:27], exec
	s_and_b64 s[0:1], s[0:1], exec
	s_or_b64 s[26:27], s[26:27], s[0:1]
	s_or_b64 exec, exec, s[28:29]
	s_and_saveexec_b64 s[0:1], s[26:27]
	s_cbranch_execz .LBB233_44
.LBB233_46:                             ;   in Loop: Header=BB233_22 Depth=1
	s_waitcnt lgkmcnt(0)
	v_mov_b32_e32 v12, v29
	v_mov_b32_e32 v28, v13
	s_or_b64 exec, exec, s[0:1]
	s_and_saveexec_b64 s[26:27], s[6:7]
	s_cbranch_execz .LBB233_21
.LBB233_47:                             ;   in Loop: Header=BB233_22 Depth=1
	s_and_b64 vcc, exec, s[2:3]
	s_cbranch_vccnz .LBB233_20
; %bb.48:                               ;   in Loop: Header=BB233_22 Depth=1
	v_ashrrev_i32_e32 v13, 31, v12
	v_lshl_add_u64 v[30:31], v[12:13], 2, s[10:11]
	global_load_dword v13, v[30:31], off
	s_waitcnt vmcnt(0)
	v_sub_f32_e32 v28, v28, v13
	s_branch .LBB233_20
.LBB233_49:
	v_mov_b32_e32 v14, 0
.LBB233_50:
	v_cmp_eq_u32_e32 vcc, 0, v10
	s_and_b64 exec, exec, vcc
	s_cbranch_execz .LBB233_63
; %bb.51:
	s_andn2_b64 vcc, exec, s[4:5]
	v_cvt_f32_f64_e32 v0, s[8:9]
	s_cbranch_vccnz .LBB233_53
; %bb.52:
	v_cmp_lt_f32_e32 vcc, 0, v14
	s_nop 1
	v_cndmask_b32_e32 v1, 1.0, v14, vcc
	v_div_scale_f32 v2, s[0:1], v1, v1, v0
	v_rcp_f32_e32 v3, v2
	s_nop 0
	v_fma_f32 v4, -v2, v3, 1.0
	v_fmac_f32_e32 v3, v4, v3
	v_div_scale_f32 v4, vcc, v0, v1, v0
	v_mul_f32_e32 v5, v4, v3
	v_fma_f32 v6, -v2, v5, v4
	v_fmac_f32_e32 v5, v6, v3
	v_fma_f32 v2, -v2, v5, v4
	v_div_fmas_f32 v2, v2, v3, v5
	v_div_fixup_f32 v0, v2, v1, v0
.LBB233_53:
	s_andn2_b64 vcc, exec, s[24:25]
	s_cbranch_vccnz .LBB233_63
; %bb.54:
	v_mul_lo_u32 v2, v8, s12
	s_cmp_gt_u32 s12, 3
	v_ashrrev_i32_e32 v3, 31, v2
	s_cbranch_scc0 .LBB233_58
; %bb.55:
	s_and_b32 s0, s12, 0x7ffffffc
	v_lshl_add_u64 v[4:5], v[2:3], 2, s[20:21]
	v_mov_b32_e32 v1, v0
	v_lshl_add_u64 v[4:5], v[4:5], 0, 8
	s_mov_b32 s1, s0
.LBB233_56:                             ; =>This Inner Loop Header: Depth=1
	global_load_dwordx4 v[6:9], v[4:5], off offset:-8
	s_add_i32 s1, s1, -4
	s_cmp_lg_u32 s1, 0
	s_waitcnt vmcnt(0)
	v_pk_mul_f32 v[6:7], v[0:1], v[6:7]
	v_pk_mul_f32 v[8:9], v[0:1], v[8:9]
	global_store_dwordx4 v[4:5], v[6:9], off offset:-8
	v_lshl_add_u64 v[4:5], v[4:5], 0, 16
	s_cbranch_scc1 .LBB233_56
; %bb.57:
	s_cmp_lg_u32 s0, s12
	s_cselect_b64 s[2:3], -1, 0
	s_branch .LBB233_60
.LBB233_58:
	s_mov_b64 s[2:3], 0
                                        ; implicit-def: $sgpr0
	s_cbranch_execz .LBB233_60
; %bb.59:
	s_mov_b64 s[2:3], -1
	s_mov_b32 s0, 0
.LBB233_60:
	s_andn2_b64 vcc, exec, s[2:3]
	s_cbranch_vccnz .LBB233_63
; %bb.61:
	s_mov_b32 s1, 0
	v_lshl_add_u64 v[2:3], v[2:3], 0, s[0:1]
	s_sub_i32 s2, s12, s0
	v_lshl_add_u64 v[2:3], v[2:3], 2, s[20:21]
.LBB233_62:                             ; =>This Inner Loop Header: Depth=1
	global_load_dword v1, v[2:3], off
	s_add_i32 s2, s2, -1
	s_cmp_lg_u32 s2, 0
	s_waitcnt vmcnt(0)
	v_mul_f32_e32 v1, v0, v1
	global_store_dword v[2:3], v1, off
	v_lshl_add_u64 v[2:3], v[2:3], 0, 4
	s_cbranch_scc1 .LBB233_62
.LBB233_63:
	s_endpgm
	.section	.rodata,"a",@progbits
	.p2align	6, 0x0
	.amdhsa_kernel _ZN4vllm3moe22topkGatingSoftplusSqrtILi7ELi448ELi4ELi2ELi64ELb0Ei6__halfEEvPKT6_PKbPfiPT5_PiiiibdPKfPKS9_SF_
		.amdhsa_group_segment_fixed_size 0
		.amdhsa_private_segment_fixed_size 0
		.amdhsa_kernarg_size 96
		.amdhsa_user_sgpr_count 2
		.amdhsa_user_sgpr_dispatch_ptr 0
		.amdhsa_user_sgpr_queue_ptr 0
		.amdhsa_user_sgpr_kernarg_segment_ptr 1
		.amdhsa_user_sgpr_dispatch_id 0
		.amdhsa_user_sgpr_kernarg_preload_length 0
		.amdhsa_user_sgpr_kernarg_preload_offset 0
		.amdhsa_user_sgpr_private_segment_size 0
		.amdhsa_uses_dynamic_stack 0
		.amdhsa_enable_private_segment 0
		.amdhsa_system_sgpr_workgroup_id_x 1
		.amdhsa_system_sgpr_workgroup_id_y 0
		.amdhsa_system_sgpr_workgroup_id_z 0
		.amdhsa_system_sgpr_workgroup_info 0
		.amdhsa_system_vgpr_workitem_id 1
		.amdhsa_next_free_vgpr 34
		.amdhsa_next_free_sgpr 31
		.amdhsa_accum_offset 36
		.amdhsa_reserve_vcc 1
		.amdhsa_float_round_mode_32 0
		.amdhsa_float_round_mode_16_64 0
		.amdhsa_float_denorm_mode_32 3
		.amdhsa_float_denorm_mode_16_64 3
		.amdhsa_dx10_clamp 1
		.amdhsa_ieee_mode 1
		.amdhsa_fp16_overflow 0
		.amdhsa_tg_split 0
		.amdhsa_exception_fp_ieee_invalid_op 0
		.amdhsa_exception_fp_denorm_src 0
		.amdhsa_exception_fp_ieee_div_zero 0
		.amdhsa_exception_fp_ieee_overflow 0
		.amdhsa_exception_fp_ieee_underflow 0
		.amdhsa_exception_fp_ieee_inexact 0
		.amdhsa_exception_int_div_zero 0
	.end_amdhsa_kernel
	.section	.text._ZN4vllm3moe22topkGatingSoftplusSqrtILi7ELi448ELi4ELi2ELi64ELb0Ei6__halfEEvPKT6_PKbPfiPT5_PiiiibdPKfPKS9_SF_,"axG",@progbits,_ZN4vllm3moe22topkGatingSoftplusSqrtILi7ELi448ELi4ELi2ELi64ELb0Ei6__halfEEvPKT6_PKbPfiPT5_PiiiibdPKfPKS9_SF_,comdat
.Lfunc_end233:
	.size	_ZN4vllm3moe22topkGatingSoftplusSqrtILi7ELi448ELi4ELi2ELi64ELb0Ei6__halfEEvPKT6_PKbPfiPT5_PiiiibdPKfPKS9_SF_, .Lfunc_end233-_ZN4vllm3moe22topkGatingSoftplusSqrtILi7ELi448ELi4ELi2ELi64ELb0Ei6__halfEEvPKT6_PKbPfiPT5_PiiiibdPKfPKS9_SF_
                                        ; -- End function
	.section	.AMDGPU.csdata,"",@progbits
; Kernel info:
; codeLenInByte = 4044
; NumSgprs: 37
; NumVgprs: 34
; NumAgprs: 0
; TotalNumVgprs: 34
; ScratchSize: 0
; MemoryBound: 0
; FloatMode: 240
; IeeeMode: 1
; LDSByteSize: 0 bytes/workgroup (compile time only)
; SGPRBlocks: 4
; VGPRBlocks: 4
; NumSGPRsForWavesPerEU: 37
; NumVGPRsForWavesPerEU: 34
; AccumOffset: 36
; Occupancy: 8
; WaveLimiterHint : 1
; COMPUTE_PGM_RSRC2:SCRATCH_EN: 0
; COMPUTE_PGM_RSRC2:USER_SGPR: 2
; COMPUTE_PGM_RSRC2:TRAP_HANDLER: 0
; COMPUTE_PGM_RSRC2:TGID_X_EN: 1
; COMPUTE_PGM_RSRC2:TGID_Y_EN: 0
; COMPUTE_PGM_RSRC2:TGID_Z_EN: 0
; COMPUTE_PGM_RSRC2:TIDIG_COMP_CNT: 1
; COMPUTE_PGM_RSRC3_GFX90A:ACCUM_OFFSET: 8
; COMPUTE_PGM_RSRC3_GFX90A:TG_SPLIT: 0
	.section	.text._ZN4vllm3moe22topkGatingSoftplusSqrtILi14ELi448ELi4ELi2ELi32ELb1Ei6__halfEEvPKT6_PKbPfiPT5_PiiiibdPKfPKS9_SF_,"axG",@progbits,_ZN4vllm3moe22topkGatingSoftplusSqrtILi14ELi448ELi4ELi2ELi32ELb1Ei6__halfEEvPKT6_PKbPfiPT5_PiiiibdPKfPKS9_SF_,comdat
	.protected	_ZN4vllm3moe22topkGatingSoftplusSqrtILi14ELi448ELi4ELi2ELi32ELb1Ei6__halfEEvPKT6_PKbPfiPT5_PiiiibdPKfPKS9_SF_ ; -- Begin function _ZN4vllm3moe22topkGatingSoftplusSqrtILi14ELi448ELi4ELi2ELi32ELb1Ei6__halfEEvPKT6_PKbPfiPT5_PiiiibdPKfPKS9_SF_
	.globl	_ZN4vllm3moe22topkGatingSoftplusSqrtILi14ELi448ELi4ELi2ELi32ELb1Ei6__halfEEvPKT6_PKbPfiPT5_PiiiibdPKfPKS9_SF_
	.p2align	8
	.type	_ZN4vllm3moe22topkGatingSoftplusSqrtILi14ELi448ELi4ELi2ELi32ELb1Ei6__halfEEvPKT6_PKbPfiPT5_PiiiibdPKfPKS9_SF_,@function
_ZN4vllm3moe22topkGatingSoftplusSqrtILi14ELi448ELi4ELi2ELi32ELb1Ei6__halfEEvPKT6_PKbPfiPT5_PiiiibdPKfPKS9_SF_: ; @_ZN4vllm3moe22topkGatingSoftplusSqrtILi14ELi448ELi4ELi2ELi32ELb1Ei6__halfEEvPKT6_PKbPfiPT5_PiiiibdPKfPKS9_SF_
; %bb.0:
	s_load_dword s3, s[0:1], 0x18
	v_and_b32_e32 v1, 0x3ff, v0
	s_lshl_b32 s2, s2, 2
	v_lshrrev_b32_e32 v2, 5, v1
	v_bfe_u32 v0, v0, 10, 10
	v_add3_u32 v16, s2, v0, v2
	s_waitcnt lgkmcnt(0)
	v_cmp_gt_i32_e32 vcc, s3, v16
	s_and_saveexec_b64 s[2:3], vcc
	s_cbranch_execz .LBB234_63
; %bb.1:
	s_load_dwordx4 s[4:7], s[0:1], 0x50
	s_load_dwordx2 s[2:3], s[0:1], 0x0
	s_load_dword s33, s[0:1], 0x30
	s_movk_i32 s8, 0x1c0
	v_mul_lo_u32 v4, v16, s8
	v_ashrrev_i32_e32 v5, 31, v4
	v_and_b32_e32 v24, 31, v1
	s_waitcnt lgkmcnt(0)
	v_lshl_add_u64 v[4:5], v[4:5], 1, s[2:3]
	v_lshlrev_b32_e32 v14, 1, v24
	v_mov_b32_e32 v15, 0
	v_mov_b32_e32 v2, s4
	;; [unrolled: 1-line block ×3, first 2 shown]
	v_lshl_add_u64 v[0:1], v[4:5], 0, v[14:15]
	v_ashrrev_i32_e32 v17, 31, v16
	global_load_ushort v4, v[0:1], off
	global_load_ushort v5, v[0:1], off offset:64
	global_load_ushort v6, v[0:1], off offset:128
	;; [unrolled: 1-line block ×13, first 2 shown]
	v_lshl_add_u64 v[0:1], v[16:17], 2, v[2:3]
	global_load_dword v0, v[0:1], off
	s_mov_b32 s11, 0x800000
	v_mov_b32_e32 v14, 0x4f800000
	s_mov_b32 s10, 0x3f317217
	s_mov_b32 s12, 0x7f800000
	v_mov_b32_e32 v17, 0x41b17218
	s_movk_i32 s9, 0x4d00
	s_mov_b32 s13, 0xf800000
	v_mov_b32_e32 v18, s6
	v_mov_b32_e32 v19, s7
	;; [unrolled: 1-line block ×3, first 2 shown]
	s_cmp_gt_i32 s33, 0
	s_mov_b32 s8, 0
	s_waitcnt vmcnt(14)
	v_cvt_f32_f16_e32 v1, v4
	s_waitcnt vmcnt(13)
	v_cvt_f32_f16_e32 v2, v5
	;; [unrolled: 2-line block ×5, first 2 shown]
	v_mul_f32_e32 v21, 0x3fb8aa3b, v2
	v_exp_f32_e32 v40, v21
	v_mul_f32_e32 v39, 0x3fb8aa3b, v3
	v_exp_f32_e32 v39, v39
	s_waitcnt vmcnt(9)
	v_cvt_f32_f16_e32 v33, v27
	v_add_f32_e32 v40, 1.0, v40
	v_cmp_gt_f32_e64 s[2:3], s11, v40
	v_add_f32_e32 v39, 1.0, v39
	v_cmp_gt_f32_e64 s[4:5], s11, v39
	v_cndmask_b32_e64 v42, 1.0, v14, s[2:3]
	s_waitcnt vmcnt(0)
	v_mul_lo_u32 v20, v0, s33
	v_mul_f32_e32 v0, 0x3fb8aa3b, v1
	v_exp_f32_e32 v0, v0
	v_mul_f32_e32 v40, v40, v42
	v_log_f32_e32 v40, v40
	v_cndmask_b32_e64 v42, 0, v17, s[2:3]
	v_add_f32_e32 v0, 1.0, v0
	v_cmp_gt_f32_e32 vcc, s11, v0
	v_mul_f32_e32 v45, 0x3f317217, v40
	v_fma_f32 v45, v40, s10, -v45
	v_cndmask_b32_e32 v41, 1.0, v14, vcc
	v_mul_f32_e32 v0, v0, v41
	v_log_f32_e32 v0, v0
	v_cndmask_b32_e32 v41, 0, v17, vcc
	v_fmac_f32_e32 v45, 0x3377d1cf, v40
	v_fmac_f32_e32 v45, 0x3f317217, v40
	v_mul_f32_e32 v44, 0x3f317217, v0
	v_fma_f32 v44, v0, s10, -v44
	v_fmac_f32_e32 v44, 0x3377d1cf, v0
	v_fmac_f32_e32 v44, 0x3f317217, v0
	v_cmp_lt_f32_e64 vcc, |v0|, s12
	v_cndmask_b32_e64 v43, 1.0, v14, s[4:5]
	v_cvt_f32_f16_e32 v34, v28
	v_cndmask_b32_e32 v0, v0, v44, vcc
	v_cmp_lt_f32_e64 vcc, |v40|, s12
	v_sub_f32_e32 v0, v0, v41
	v_cvt_f32_f16_e32 v35, v29
	v_cndmask_b32_e32 v40, v40, v45, vcc
	v_cmp_lt_f16_e32 vcc, s9, v4
	v_sub_f32_e32 v40, v40, v42
	v_cvt_f32_f16_e32 v36, v30
	v_cndmask_b32_e32 v0, v0, v1, vcc
	v_cmp_lt_f16_e32 vcc, s9, v5
	v_mul_f32_e32 v5, v39, v43
	v_cvt_f32_f16_e32 v37, v8
	v_cndmask_b32_e32 v1, v40, v2, vcc
	v_mul_f32_e32 v2, 0x4f800000, v0
	v_cmp_gt_f32_e32 vcc, s13, v0
	v_mul_f32_e32 v4, 0x4f800000, v1
	v_cmp_gt_f32_e64 s[2:3], s13, v1
	v_cndmask_b32_e32 v0, v0, v2, vcc
	v_sqrt_f32_e32 v2, v0
	v_cndmask_b32_e64 v1, v1, v4, s[2:3]
	v_sqrt_f32_e32 v4, v1
	v_cvt_f32_f16_e32 v38, v9
	v_add_u32_e32 v39, -1, v2
	v_fma_f32 v43, -v39, v2, v0
	v_add_u32_e32 v41, -1, v4
	v_add_u32_e32 v40, 1, v2
	v_fma_f32 v45, -v41, v4, v1
	v_cmp_ge_f32_e64 s[6:7], 0, v43
	v_add_u32_e32 v42, 1, v4
	v_fma_f32 v44, -v40, v2, v0
	v_cndmask_b32_e64 v2, v2, v39, s[6:7]
	v_cmp_ge_f32_e64 s[6:7], 0, v45
	v_fma_f32 v46, -v42, v4, v1
	v_cvt_f32_f16_e32 v25, v10
	v_cndmask_b32_e64 v4, v4, v41, s[6:7]
	v_cmp_lt_f32_e64 s[6:7], 0, v44
	v_cvt_f32_f16_e32 v23, v11
	v_cvt_f32_f16_e32 v22, v12
	v_cndmask_b32_e64 v2, v2, v40, s[6:7]
	v_mul_f32_e32 v39, 0x37800000, v2
	v_cndmask_b32_e32 v2, v2, v39, vcc
	v_cmp_class_f32_e32 vcc, v0, v13
	v_ashrrev_i32_e32 v21, 31, v20
	v_lshl_add_u64 v[18:19], v[20:21], 2, v[18:19]
	v_cndmask_b32_e32 v0, v2, v0, vcc
	v_log_f32_e32 v2, v5
	v_cmp_lt_f32_e32 vcc, 0, v46
	v_mul_f32_e32 v39, 0x3f317217, v2
	v_fma_f32 v39, v2, s10, -v39
	v_fmac_f32_e32 v39, 0x3377d1cf, v2
	v_cndmask_b32_e32 v4, v4, v42, vcc
	v_fmac_f32_e32 v39, 0x3f317217, v2
	v_cmp_lt_f32_e64 vcc, |v2|, s12
	v_mul_f32_e32 v5, 0x37800000, v4
	v_cndmask_b32_e64 v4, v4, v5, s[2:3]
	v_cndmask_b32_e32 v2, v2, v39, vcc
	v_cndmask_b32_e64 v39, 0, v17, s[4:5]
	v_sub_f32_e32 v2, v2, v39
	v_cmp_lt_f16_e32 vcc, s9, v6
	v_mul_f32_e32 v6, 0x3fb8aa3b, v31
	v_exp_f32_e32 v6, v6
	v_cndmask_b32_e32 v2, v2, v3, vcc
	v_mul_f32_e32 v3, 0x4f800000, v2
	v_cmp_gt_f32_e32 vcc, s13, v2
	v_cmp_class_f32_e64 s[2:3], v1, v13
	v_add_f32_e32 v6, 1.0, v6
	v_cndmask_b32_e32 v2, v2, v3, vcc
	v_sqrt_f32_e32 v3, v2
	v_cndmask_b32_e64 v1, v4, v1, s[2:3]
	v_add_u32_e32 v4, -1, v3
	v_fma_f32 v5, -v4, v3, v2
	v_cmp_ge_f32_e64 s[2:3], 0, v5
	v_add_u32_e32 v5, 1, v3
	s_nop 0
	v_cndmask_b32_e64 v4, v3, v4, s[2:3]
	v_cmp_gt_f32_e64 s[2:3], s11, v6
	v_fma_f32 v3, -v5, v3, v2
	v_cmp_lt_f32_e64 s[4:5], 0, v3
	v_cndmask_b32_e64 v39, 1.0, v14, s[2:3]
	v_mul_f32_e32 v6, v6, v39
	v_log_f32_e32 v6, v6
	v_cndmask_b32_e64 v3, v4, v5, s[4:5]
	v_mul_f32_e32 v4, 0x37800000, v3
	v_cndmask_b32_e32 v3, v3, v4, vcc
	v_mul_f32_e32 v5, 0x3f317217, v6
	v_fma_f32 v5, v6, s10, -v5
	v_fmac_f32_e32 v5, 0x3377d1cf, v6
	v_fmac_f32_e32 v5, 0x3f317217, v6
	v_cmp_lt_f32_e64 s[4:5], |v6|, s12
	v_cmp_class_f32_e32 vcc, v2, v13
	s_nop 0
	v_cndmask_b32_e64 v5, v6, v5, s[4:5]
	v_cndmask_b32_e64 v6, 0, v17, s[2:3]
	v_sub_f32_e32 v5, v5, v6
	v_cmp_lt_f16_e64 s[2:3], s9, v7
	v_mul_f32_e32 v7, 0x3fb8aa3b, v32
	v_exp_f32_e32 v7, v7
	v_cndmask_b32_e64 v5, v5, v31, s[2:3]
	v_mul_f32_e32 v6, 0x4f800000, v5
	v_cmp_gt_f32_e64 s[2:3], s13, v5
	v_cndmask_b32_e32 v2, v3, v2, vcc
	v_add_f32_e32 v7, 1.0, v7
	v_cndmask_b32_e64 v5, v5, v6, s[2:3]
	v_sqrt_f32_e32 v6, v5
	s_nop 0
	v_add_u32_e32 v3, -1, v6
	v_fma_f32 v4, -v3, v6, v5
	v_cmp_ge_f32_e32 vcc, 0, v4
	v_add_u32_e32 v4, 1, v6
	s_nop 0
	v_cndmask_b32_e32 v3, v6, v3, vcc
	v_cmp_gt_f32_e32 vcc, s11, v7
	v_fma_f32 v6, -v4, v6, v5
	v_cmp_lt_f32_e64 s[4:5], 0, v6
	v_cndmask_b32_e32 v31, 1.0, v14, vcc
	v_mul_f32_e32 v7, v7, v31
	v_log_f32_e32 v7, v7
	v_cndmask_b32_e64 v3, v3, v4, s[4:5]
	v_mul_f32_e32 v4, 0x37800000, v3
	v_cndmask_b32_e64 v3, v3, v4, s[2:3]
	v_mul_f32_e32 v6, 0x3f317217, v7
	v_fma_f32 v6, v7, s10, -v6
	v_fmac_f32_e32 v6, 0x3377d1cf, v7
	v_fmac_f32_e32 v6, 0x3f317217, v7
	v_cmp_lt_f32_e64 s[4:5], |v7|, s12
	v_cmp_class_f32_e64 s[2:3], v5, v13
	s_nop 0
	v_cndmask_b32_e64 v6, v7, v6, s[4:5]
	v_cndmask_b32_e32 v7, 0, v17, vcc
	v_sub_f32_e32 v6, v6, v7
	v_cmp_lt_f16_e32 vcc, s9, v26
	v_mul_f32_e32 v26, 0x3fb8aa3b, v33
	v_exp_f32_e32 v26, v26
	v_cndmask_b32_e32 v6, v6, v32, vcc
	v_mul_f32_e32 v7, 0x4f800000, v6
	v_cmp_gt_f32_e32 vcc, s13, v6
	v_cndmask_b32_e64 v3, v3, v5, s[2:3]
	v_add_f32_e32 v26, 1.0, v26
	v_cndmask_b32_e32 v6, v6, v7, vcc
	v_sqrt_f32_e32 v7, v6
	s_nop 0
	v_add_u32_e32 v4, -1, v7
	v_fma_f32 v5, -v4, v7, v6
	v_cmp_ge_f32_e64 s[2:3], 0, v5
	v_add_u32_e32 v5, 1, v7
	s_nop 0
	v_cndmask_b32_e64 v4, v7, v4, s[2:3]
	v_cmp_gt_f32_e64 s[2:3], s11, v26
	v_fma_f32 v7, -v5, v7, v6
	v_cmp_lt_f32_e64 s[4:5], 0, v7
	v_cndmask_b32_e64 v31, 1.0, v14, s[2:3]
	v_mul_f32_e32 v26, v26, v31
	v_log_f32_e32 v26, v26
	v_cndmask_b32_e64 v4, v4, v5, s[4:5]
	v_mul_f32_e32 v5, 0x37800000, v4
	v_cndmask_b32_e32 v4, v4, v5, vcc
	v_mul_f32_e32 v7, 0x3f317217, v26
	v_fma_f32 v7, v26, s10, -v7
	v_fmac_f32_e32 v7, 0x3377d1cf, v26
	v_fmac_f32_e32 v7, 0x3f317217, v26
	v_cmp_lt_f32_e64 s[4:5], |v26|, s12
	v_cmp_class_f32_e32 vcc, v6, v13
	s_nop 0
	v_cndmask_b32_e64 v7, v26, v7, s[4:5]
	v_cndmask_b32_e64 v26, 0, v17, s[2:3]
	v_sub_f32_e32 v7, v7, v26
	v_cmp_lt_f16_e64 s[2:3], s9, v27
	v_mul_f32_e32 v27, 0x3fb8aa3b, v34
	v_exp_f32_e32 v27, v27
	v_cndmask_b32_e64 v7, v7, v33, s[2:3]
	v_mul_f32_e32 v26, 0x4f800000, v7
	v_cmp_gt_f32_e64 s[2:3], s13, v7
	v_cndmask_b32_e32 v4, v4, v6, vcc
	v_add_f32_e32 v27, 1.0, v27
	v_cndmask_b32_e64 v7, v7, v26, s[2:3]
	v_sqrt_f32_e32 v26, v7
	s_nop 0
	v_add_u32_e32 v5, -1, v26
	v_fma_f32 v6, -v5, v26, v7
	v_cmp_ge_f32_e32 vcc, 0, v6
	v_add_u32_e32 v6, 1, v26
	s_nop 0
	v_cndmask_b32_e32 v5, v26, v5, vcc
	v_cmp_gt_f32_e32 vcc, s11, v27
	v_fma_f32 v26, -v6, v26, v7
	v_cmp_lt_f32_e64 s[4:5], 0, v26
	v_cndmask_b32_e32 v31, 1.0, v14, vcc
	v_mul_f32_e32 v27, v27, v31
	v_log_f32_e32 v27, v27
	v_cndmask_b32_e64 v5, v5, v6, s[4:5]
	v_mul_f32_e32 v6, 0x37800000, v5
	v_cndmask_b32_e64 v5, v5, v6, s[2:3]
	v_mul_f32_e32 v26, 0x3f317217, v27
	v_fma_f32 v26, v27, s10, -v26
	v_fmac_f32_e32 v26, 0x3377d1cf, v27
	v_fmac_f32_e32 v26, 0x3f317217, v27
	v_cmp_lt_f32_e64 s[4:5], |v27|, s12
	v_cmp_class_f32_e64 s[2:3], v7, v13
	s_nop 0
	v_cndmask_b32_e64 v26, v27, v26, s[4:5]
	v_cndmask_b32_e32 v27, 0, v17, vcc
	v_sub_f32_e32 v26, v26, v27
	v_cmp_lt_f16_e32 vcc, s9, v28
	v_mul_f32_e32 v28, 0x3fb8aa3b, v35
	v_exp_f32_e32 v28, v28
	v_cndmask_b32_e32 v26, v26, v34, vcc
	v_mul_f32_e32 v27, 0x4f800000, v26
	v_cmp_gt_f32_e32 vcc, s13, v26
	v_cndmask_b32_e64 v5, v5, v7, s[2:3]
	v_add_f32_e32 v28, 1.0, v28
	v_cndmask_b32_e32 v26, v26, v27, vcc
	v_sqrt_f32_e32 v27, v26
	s_nop 0
	v_add_u32_e32 v6, -1, v27
	v_fma_f32 v7, -v6, v27, v26
	v_cmp_ge_f32_e64 s[2:3], 0, v7
	v_add_u32_e32 v7, 1, v27
	s_nop 0
	v_cndmask_b32_e64 v6, v27, v6, s[2:3]
	v_cmp_gt_f32_e64 s[2:3], s11, v28
	v_fma_f32 v27, -v7, v27, v26
	v_cmp_lt_f32_e64 s[4:5], 0, v27
	v_cndmask_b32_e64 v31, 1.0, v14, s[2:3]
	v_mul_f32_e32 v28, v28, v31
	v_log_f32_e32 v28, v28
	v_cndmask_b32_e64 v6, v6, v7, s[4:5]
	v_mul_f32_e32 v7, 0x37800000, v6
	v_cndmask_b32_e32 v6, v6, v7, vcc
	v_mul_f32_e32 v27, 0x3f317217, v28
	v_fma_f32 v27, v28, s10, -v27
	v_fmac_f32_e32 v27, 0x3377d1cf, v28
	v_fmac_f32_e32 v27, 0x3f317217, v28
	v_cmp_lt_f32_e64 s[4:5], |v28|, s12
	v_cmp_class_f32_e32 vcc, v26, v13
	s_nop 0
	v_cndmask_b32_e64 v27, v28, v27, s[4:5]
	v_cndmask_b32_e64 v28, 0, v17, s[2:3]
	v_sub_f32_e32 v27, v27, v28
	v_cmp_lt_f16_e64 s[2:3], s9, v29
	v_mul_f32_e32 v29, 0x3fb8aa3b, v36
	v_exp_f32_e32 v29, v29
	v_cndmask_b32_e64 v27, v27, v35, s[2:3]
	v_mul_f32_e32 v28, 0x4f800000, v27
	v_cmp_gt_f32_e64 s[2:3], s13, v27
	v_cndmask_b32_e32 v6, v6, v26, vcc
	v_add_f32_e32 v29, 1.0, v29
	v_cndmask_b32_e64 v27, v27, v28, s[2:3]
	v_sqrt_f32_e32 v28, v27
	s_nop 0
	v_add_u32_e32 v7, -1, v28
	v_fma_f32 v26, -v7, v28, v27
	v_cmp_ge_f32_e32 vcc, 0, v26
	v_add_u32_e32 v26, 1, v28
	s_nop 0
	v_cndmask_b32_e32 v7, v28, v7, vcc
	v_cmp_gt_f32_e32 vcc, s11, v29
	v_fma_f32 v28, -v26, v28, v27
	v_cmp_lt_f32_e64 s[4:5], 0, v28
	v_cndmask_b32_e32 v31, 1.0, v14, vcc
	v_mul_f32_e32 v29, v29, v31
	v_log_f32_e32 v29, v29
	v_cndmask_b32_e64 v7, v7, v26, s[4:5]
	v_mul_f32_e32 v26, 0x37800000, v7
	v_cndmask_b32_e64 v7, v7, v26, s[2:3]
	v_mul_f32_e32 v28, 0x3f317217, v29
	v_fma_f32 v28, v29, s10, -v28
	v_fmac_f32_e32 v28, 0x3377d1cf, v29
	v_fmac_f32_e32 v28, 0x3f317217, v29
	v_cmp_lt_f32_e64 s[4:5], |v29|, s12
	v_cmp_class_f32_e64 s[2:3], v27, v13
	s_nop 0
	v_cndmask_b32_e64 v28, v29, v28, s[4:5]
	v_cndmask_b32_e32 v29, 0, v17, vcc
	v_sub_f32_e32 v28, v28, v29
	v_cmp_lt_f16_e32 vcc, s9, v30
	v_mul_f32_e32 v30, 0x3fb8aa3b, v37
	v_exp_f32_e32 v30, v30
	v_cndmask_b32_e32 v28, v28, v36, vcc
	v_mul_f32_e32 v29, 0x4f800000, v28
	v_cmp_gt_f32_e32 vcc, s13, v28
	v_cndmask_b32_e64 v7, v7, v27, s[2:3]
	v_add_f32_e32 v30, 1.0, v30
	v_cndmask_b32_e32 v28, v28, v29, vcc
	v_sqrt_f32_e32 v29, v28
	s_nop 0
	v_add_u32_e32 v26, -1, v29
	v_fma_f32 v27, -v26, v29, v28
	v_cmp_ge_f32_e64 s[2:3], 0, v27
	v_add_u32_e32 v27, 1, v29
	s_nop 0
	v_cndmask_b32_e64 v26, v29, v26, s[2:3]
	v_cmp_gt_f32_e64 s[2:3], s11, v30
	v_fma_f32 v29, -v27, v29, v28
	v_cmp_lt_f32_e64 s[4:5], 0, v29
	v_cndmask_b32_e64 v31, 1.0, v14, s[2:3]
	v_mul_f32_e32 v30, v30, v31
	v_log_f32_e32 v30, v30
	v_cndmask_b32_e64 v26, v26, v27, s[4:5]
	v_mul_f32_e32 v27, 0x37800000, v26
	v_mul_f32_e32 v29, 0x3f317217, v30
	v_fma_f32 v29, v30, s10, -v29
	v_fmac_f32_e32 v29, 0x3377d1cf, v30
	v_fmac_f32_e32 v29, 0x3f317217, v30
	v_cmp_lt_f32_e64 s[4:5], |v30|, s12
	s_nop 1
	v_cndmask_b32_e64 v29, v30, v29, s[4:5]
	v_cndmask_b32_e64 v30, 0, v17, s[2:3]
	v_sub_f32_e32 v29, v29, v30
	v_cmp_lt_f16_e64 s[2:3], s9, v8
	s_nop 1
	v_cndmask_b32_e64 v8, v29, v37, s[2:3]
	v_mul_f32_e32 v29, 0x4f800000, v8
	v_cmp_gt_f32_e64 s[2:3], s13, v8
	s_nop 1
	v_cndmask_b32_e64 v29, v8, v29, s[2:3]
	v_sqrt_f32_e32 v30, v29
	v_cndmask_b32_e32 v8, v26, v27, vcc
	v_cmp_class_f32_e32 vcc, v28, v13
	v_add_u32_e32 v26, -1, v30
	s_nop 0
	v_cndmask_b32_e32 v8, v8, v28, vcc
	v_mul_f32_e32 v28, 0x3fb8aa3b, v38
	v_exp_f32_e32 v28, v28
	v_fma_f32 v27, -v26, v30, v29
	v_cmp_ge_f32_e32 vcc, 0, v27
	v_add_u32_e32 v27, 1, v30
	v_add_f32_e32 v28, 1.0, v28
	v_cndmask_b32_e32 v26, v30, v26, vcc
	v_cmp_gt_f32_e32 vcc, s11, v28
	v_fma_f32 v30, -v27, v30, v29
	v_cmp_lt_f32_e64 s[4:5], 0, v30
	v_cndmask_b32_e32 v31, 1.0, v14, vcc
	v_mul_f32_e32 v28, v28, v31
	v_log_f32_e32 v28, v28
	v_cndmask_b32_e64 v26, v26, v27, s[4:5]
	v_mul_f32_e32 v27, 0x37800000, v26
	v_mul_f32_e32 v30, 0x3f317217, v28
	v_fma_f32 v30, v28, s10, -v30
	v_fmac_f32_e32 v30, 0x3377d1cf, v28
	v_fmac_f32_e32 v30, 0x3f317217, v28
	v_cmp_lt_f32_e64 s[4:5], |v28|, s12
	s_nop 1
	v_cndmask_b32_e64 v28, v28, v30, s[4:5]
	v_cndmask_b32_e32 v30, 0, v17, vcc
	v_sub_f32_e32 v28, v28, v30
	v_cmp_lt_f16_e32 vcc, s9, v9
	s_nop 1
	v_cndmask_b32_e32 v9, v28, v38, vcc
	v_mul_f32_e32 v28, 0x4f800000, v9
	v_cmp_gt_f32_e32 vcc, s13, v9
	s_nop 1
	v_cndmask_b32_e32 v28, v9, v28, vcc
	v_sqrt_f32_e32 v30, v28
	v_cndmask_b32_e64 v9, v26, v27, s[2:3]
	v_cmp_class_f32_e64 s[2:3], v29, v13
	v_add_u32_e32 v26, -1, v30
	s_nop 0
	v_cndmask_b32_e64 v9, v9, v29, s[2:3]
	v_mul_f32_e32 v29, 0x3fb8aa3b, v25
	v_exp_f32_e32 v29, v29
	v_fma_f32 v27, -v26, v30, v28
	v_cmp_ge_f32_e64 s[2:3], 0, v27
	v_add_u32_e32 v27, 1, v30
	v_add_f32_e32 v29, 1.0, v29
	v_cndmask_b32_e64 v26, v30, v26, s[2:3]
	v_cmp_gt_f32_e64 s[2:3], s11, v29
	v_fma_f32 v30, -v27, v30, v28
	v_cmp_lt_f32_e64 s[4:5], 0, v30
	v_cndmask_b32_e64 v31, 1.0, v14, s[2:3]
	v_mul_f32_e32 v29, v29, v31
	v_log_f32_e32 v29, v29
	v_cndmask_b32_e64 v26, v26, v27, s[4:5]
	v_mul_f32_e32 v27, 0x37800000, v26
	v_mul_f32_e32 v30, 0x3f317217, v29
	v_fma_f32 v30, v29, s10, -v30
	v_fmac_f32_e32 v30, 0x3377d1cf, v29
	v_fmac_f32_e32 v30, 0x3f317217, v29
	v_cmp_lt_f32_e64 s[4:5], |v29|, s12
	s_nop 1
	v_cndmask_b32_e64 v29, v29, v30, s[4:5]
	v_cndmask_b32_e64 v30, 0, v17, s[2:3]
	v_sub_f32_e32 v29, v29, v30
	v_cmp_lt_f16_e64 s[2:3], s9, v10
	s_nop 1
	v_cndmask_b32_e64 v10, v29, v25, s[2:3]
	v_mul_f32_e32 v25, 0x4f800000, v10
	v_cmp_gt_f32_e64 s[2:3], s13, v10
	s_nop 1
	v_cndmask_b32_e64 v25, v10, v25, s[2:3]
	v_sqrt_f32_e32 v29, v25
	v_cndmask_b32_e32 v10, v26, v27, vcc
	v_cmp_class_f32_e32 vcc, v28, v13
	v_add_u32_e32 v26, -1, v29
	s_nop 0
	v_cndmask_b32_e32 v10, v10, v28, vcc
	v_mul_f32_e32 v28, 0x3fb8aa3b, v23
	v_exp_f32_e32 v28, v28
	v_fma_f32 v27, -v26, v29, v25
	v_cmp_ge_f32_e32 vcc, 0, v27
	v_add_u32_e32 v27, 1, v29
	v_add_f32_e32 v28, 1.0, v28
	v_cndmask_b32_e32 v26, v29, v26, vcc
	v_cmp_gt_f32_e32 vcc, s11, v28
	v_fma_f32 v29, -v27, v29, v25
	v_cmp_lt_f32_e64 s[4:5], 0, v29
	v_cndmask_b32_e32 v30, 1.0, v14, vcc
	v_mul_f32_e32 v28, v28, v30
	v_log_f32_e32 v28, v28
	v_cndmask_b32_e64 v26, v26, v27, s[4:5]
	v_mul_f32_e32 v27, 0x37800000, v26
	v_mul_f32_e32 v29, 0x3f317217, v28
	v_fma_f32 v29, v28, s10, -v29
	v_fmac_f32_e32 v29, 0x3377d1cf, v28
	v_fmac_f32_e32 v29, 0x3f317217, v28
	v_cmp_lt_f32_e64 s[4:5], |v28|, s12
	s_nop 1
	v_cndmask_b32_e64 v28, v28, v29, s[4:5]
	v_cndmask_b32_e32 v29, 0, v17, vcc
	v_sub_f32_e32 v28, v28, v29
	v_cmp_lt_f16_e32 vcc, s9, v11
	s_nop 1
	v_cndmask_b32_e32 v11, v28, v23, vcc
	v_mul_f32_e32 v23, 0x4f800000, v11
	v_cmp_gt_f32_e32 vcc, s13, v11
	s_nop 1
	v_cndmask_b32_e32 v23, v11, v23, vcc
	v_sqrt_f32_e32 v28, v23
	v_cndmask_b32_e64 v11, v26, v27, s[2:3]
	v_mul_f32_e32 v27, 0x3fb8aa3b, v22
	v_exp_f32_e32 v27, v27
	v_cmp_class_f32_e64 s[2:3], v25, v13
	v_add_f32_e32 v27, 1.0, v27
	s_nop 0
	v_cndmask_b32_e64 v11, v11, v25, s[2:3]
	v_add_u32_e32 v25, -1, v28
	v_fma_f32 v26, -v25, v28, v23
	v_cmp_ge_f32_e64 s[2:3], 0, v26
	v_add_u32_e32 v26, 1, v28
	s_nop 0
	v_cndmask_b32_e64 v25, v28, v25, s[2:3]
	v_cmp_gt_f32_e64 s[2:3], s11, v27
	v_fma_f32 v28, -v26, v28, v23
	v_cmp_lt_f32_e64 s[4:5], 0, v28
	v_cndmask_b32_e64 v14, 1.0, v14, s[2:3]
	v_mul_f32_e32 v14, v27, v14
	v_log_f32_e32 v14, v14
	v_cndmask_b32_e64 v25, v25, v26, s[4:5]
	v_cndmask_b32_e64 v17, 0, v17, s[2:3]
	v_cmp_lt_f16_e64 s[2:3], s9, v12
	v_mul_f32_e32 v27, 0x3f317217, v14
	v_fma_f32 v27, v14, s10, -v27
	v_fmac_f32_e32 v27, 0x3377d1cf, v14
	v_fmac_f32_e32 v27, 0x3f317217, v14
	v_cmp_lt_f32_e64 s[4:5], |v14|, s12
	v_mul_f32_e32 v26, 0x37800000, v25
	s_nop 0
	v_cndmask_b32_e64 v14, v14, v27, s[4:5]
	v_sub_f32_e32 v14, v14, v17
	v_cndmask_b32_e64 v12, v14, v22, s[2:3]
	v_mul_f32_e32 v14, 0x4f800000, v12
	v_cmp_gt_f32_e64 s[2:3], s13, v12
	s_cselect_b64 s[4:5], -1, 0
	s_cmp_lt_i32 s33, 1
	v_cndmask_b32_e64 v14, v12, v14, s[2:3]
	v_sqrt_f32_e32 v17, v14
	v_cndmask_b32_e32 v12, v25, v26, vcc
	v_cmp_class_f32_e32 vcc, v23, v13
	v_add_u32_e32 v22, -1, v17
	s_nop 0
	v_cndmask_b32_e32 v12, v12, v23, vcc
	v_fma_f32 v23, -v22, v17, v14
	v_cmp_ge_f32_e32 vcc, 0, v23
	v_add_u32_e32 v23, 1, v17
	s_nop 0
	v_cndmask_b32_e32 v22, v17, v22, vcc
	v_fma_f32 v17, -v23, v17, v14
	v_cmp_lt_f32_e32 vcc, 0, v17
	s_nop 1
	v_cndmask_b32_e32 v17, v22, v23, vcc
	v_mul_f32_e32 v22, 0x37800000, v17
	v_cndmask_b32_e64 v17, v17, v22, s[2:3]
	v_cmp_class_f32_e32 vcc, v14, v13
	s_nop 1
	v_cndmask_b32_e32 v13, v17, v14, vcc
	v_mul_lo_u32 v14, v16, s33
	s_cbranch_scc1 .LBB234_28
; %bb.2:
	s_load_dwordx2 s[6:7], s[0:1], 0x20
	s_cmp_lt_u32 s33, 4
	v_mul_lo_u32 v16, v16, s33
	s_cbranch_scc1 .LBB234_21
; %bb.3:
	s_mov_b32 s11, 0
	s_and_b32 s8, s33, 0x7ffffffc
	v_ashrrev_i32_e32 v17, 31, v16
	v_mov_b32_e32 v15, 0
	s_mov_b32 s10, s11
	s_branch .LBB234_5
.LBB234_4:                              ;   in Loop: Header=BB234_5 Depth=1
	s_or_b64 exec, exec, s[12:13]
	s_add_i32 s10, s10, 4
	s_cmp_eq_u32 s10, s8
	s_cbranch_scc1 .LBB234_21
.LBB234_5:                              ; =>This Loop Header: Depth=1
                                        ;     Child Loop BB234_7 Depth 2
                                        ;     Child Loop BB234_11 Depth 2
	;; [unrolled: 1-line block ×4, first 2 shown]
	v_lshl_add_u64 v[20:21], s[10:11], 2, v[18:19]
	global_load_dword v25, v[20:21], off
	v_add_u32_e32 v22, s10, v16
	v_ashrrev_i32_e32 v23, 31, v22
	s_waitcnt lgkmcnt(0)
	v_lshl_add_u64 v[22:23], v[22:23], 2, s[6:7]
	s_mov_b64 s[12:13], 0
	v_mov_b32_e32 v26, v24
	s_mov_b64 s[14:15], 0
	s_waitcnt vmcnt(0)
	s_branch .LBB234_7
.LBB234_6:                              ;   in Loop: Header=BB234_7 Depth=2
	s_or_b64 exec, exec, s[16:17]
	s_cmp_gt_u32 s14, 12
	s_cselect_b64 s[2:3], -1, 0
	s_xor_b64 s[16:17], vcc, -1
	s_or_b64 s[2:3], s[16:17], s[2:3]
	s_add_u32 s14, s14, 1
	s_addc_u32 s15, s15, 0
	s_and_b64 s[2:3], exec, s[2:3]
	s_or_b64 s[12:13], s[2:3], s[12:13]
	v_add_u32_e32 v26, 32, v26
	s_andn2_b64 exec, exec, s[12:13]
	s_cbranch_execz .LBB234_9
.LBB234_7:                              ;   Parent Loop BB234_5 Depth=1
                                        ; =>  This Inner Loop Header: Depth=2
	v_cmp_ne_u32_e32 vcc, v25, v26
	v_cmp_eq_u32_e64 s[2:3], v25, v26
	s_and_saveexec_b64 s[16:17], s[2:3]
	s_cbranch_execz .LBB234_6
; %bb.8:                                ;   in Loop: Header=BB234_7 Depth=2
	s_set_gpr_idx_on s14, gpr_idx(SRC0)
	v_mov_b32_e32 v27, v0
	s_set_gpr_idx_off
	v_add_f32_e32 v15, v15, v27
	global_store_dword v[22:23], v25, off
	s_branch .LBB234_6
.LBB234_9:                              ;   in Loop: Header=BB234_5 Depth=1
	s_or_b64 exec, exec, s[12:13]
	global_load_dword v25, v[20:21], off offset:4
	s_ashr_i32 s3, s10, 31
	s_mov_b32 s2, s10
	v_lshl_add_u64 v[22:23], s[2:3], 0, v[16:17]
	v_lshl_add_u64 v[22:23], v[22:23], 2, s[6:7]
	s_mov_b64 s[12:13], 0
	v_mov_b32_e32 v26, v24
	s_mov_b64 s[14:15], 0
	s_waitcnt vmcnt(0)
	s_branch .LBB234_11
.LBB234_10:                             ;   in Loop: Header=BB234_11 Depth=2
	s_or_b64 exec, exec, s[16:17]
	s_cmp_gt_u32 s14, 12
	s_cselect_b64 s[2:3], -1, 0
	s_xor_b64 s[16:17], vcc, -1
	s_or_b64 s[2:3], s[16:17], s[2:3]
	s_add_u32 s14, s14, 1
	s_addc_u32 s15, s15, 0
	s_and_b64 s[2:3], exec, s[2:3]
	s_or_b64 s[12:13], s[2:3], s[12:13]
	v_add_u32_e32 v26, 32, v26
	s_andn2_b64 exec, exec, s[12:13]
	s_cbranch_execz .LBB234_13
.LBB234_11:                             ;   Parent Loop BB234_5 Depth=1
                                        ; =>  This Inner Loop Header: Depth=2
	v_cmp_ne_u32_e32 vcc, v25, v26
	v_cmp_eq_u32_e64 s[2:3], v25, v26
	s_and_saveexec_b64 s[16:17], s[2:3]
	s_cbranch_execz .LBB234_10
; %bb.12:                               ;   in Loop: Header=BB234_11 Depth=2
	s_set_gpr_idx_on s14, gpr_idx(SRC0)
	v_mov_b32_e32 v27, v0
	s_set_gpr_idx_off
	v_add_f32_e32 v15, v15, v27
	global_store_dword v[22:23], v25, off offset:4
	s_branch .LBB234_10
.LBB234_13:                             ;   in Loop: Header=BB234_5 Depth=1
	s_or_b64 exec, exec, s[12:13]
	global_load_dword v25, v[20:21], off offset:8
	s_mov_b64 s[12:13], 0
	v_mov_b32_e32 v26, v24
	s_mov_b64 s[14:15], 0
	s_waitcnt vmcnt(0)
	s_branch .LBB234_15
.LBB234_14:                             ;   in Loop: Header=BB234_15 Depth=2
	s_or_b64 exec, exec, s[16:17]
	s_cmp_gt_u32 s14, 12
	s_cselect_b64 s[2:3], -1, 0
	s_xor_b64 s[16:17], vcc, -1
	s_or_b64 s[2:3], s[16:17], s[2:3]
	s_add_u32 s14, s14, 1
	s_addc_u32 s15, s15, 0
	s_and_b64 s[2:3], exec, s[2:3]
	s_or_b64 s[12:13], s[2:3], s[12:13]
	v_add_u32_e32 v26, 32, v26
	s_andn2_b64 exec, exec, s[12:13]
	s_cbranch_execz .LBB234_17
.LBB234_15:                             ;   Parent Loop BB234_5 Depth=1
                                        ; =>  This Inner Loop Header: Depth=2
	v_cmp_ne_u32_e32 vcc, v25, v26
	v_cmp_eq_u32_e64 s[2:3], v25, v26
	s_and_saveexec_b64 s[16:17], s[2:3]
	s_cbranch_execz .LBB234_14
; %bb.16:                               ;   in Loop: Header=BB234_15 Depth=2
	s_set_gpr_idx_on s14, gpr_idx(SRC0)
	v_mov_b32_e32 v27, v0
	s_set_gpr_idx_off
	v_add_f32_e32 v15, v15, v27
	global_store_dword v[22:23], v25, off offset:8
	s_branch .LBB234_14
.LBB234_17:                             ;   in Loop: Header=BB234_5 Depth=1
	s_or_b64 exec, exec, s[12:13]
	global_load_dword v20, v[20:21], off offset:12
	s_mov_b64 s[12:13], 0
	v_mov_b32_e32 v21, v24
	s_mov_b64 s[14:15], 0
	s_waitcnt vmcnt(0)
	s_branch .LBB234_19
.LBB234_18:                             ;   in Loop: Header=BB234_19 Depth=2
	s_or_b64 exec, exec, s[16:17]
	s_cmp_gt_u32 s14, 12
	s_cselect_b64 s[2:3], -1, 0
	s_xor_b64 s[16:17], vcc, -1
	s_or_b64 s[2:3], s[16:17], s[2:3]
	s_add_u32 s14, s14, 1
	s_addc_u32 s15, s15, 0
	s_and_b64 s[2:3], exec, s[2:3]
	s_or_b64 s[12:13], s[2:3], s[12:13]
	v_add_u32_e32 v21, 32, v21
	s_andn2_b64 exec, exec, s[12:13]
	s_cbranch_execz .LBB234_4
.LBB234_19:                             ;   Parent Loop BB234_5 Depth=1
                                        ; =>  This Inner Loop Header: Depth=2
	v_cmp_ne_u32_e32 vcc, v20, v21
	v_cmp_eq_u32_e64 s[2:3], v20, v21
	s_and_saveexec_b64 s[16:17], s[2:3]
	s_cbranch_execz .LBB234_18
; %bb.20:                               ;   in Loop: Header=BB234_19 Depth=2
	s_set_gpr_idx_on s14, gpr_idx(SRC0)
	v_mov_b32_e32 v25, v0
	s_set_gpr_idx_off
	v_add_f32_e32 v15, v15, v25
	global_store_dword v[22:23], v20, off offset:12
	s_branch .LBB234_18
.LBB234_21:
	s_and_b32 s16, s33, 3
	s_cmp_eq_u32 s16, 0
	s_mov_b32 s9, 0
	s_cbranch_scc1 .LBB234_28
; %bb.22:
	s_mov_b32 s17, s9
	s_branch .LBB234_24
.LBB234_23:                             ;   in Loop: Header=BB234_24 Depth=1
	s_or_b64 exec, exec, s[10:11]
	s_add_i32 s8, s8, 1
	s_add_i32 s17, s17, 1
	s_cmp_lg_u32 s17, s16
	s_cbranch_scc0 .LBB234_28
.LBB234_24:                             ; =>This Loop Header: Depth=1
                                        ;     Child Loop BB234_26 Depth 2
	v_lshl_add_u64 v[20:21], s[8:9], 2, v[18:19]
	global_load_dword v17, v[20:21], off
	v_add_u32_e32 v20, s8, v16
	v_ashrrev_i32_e32 v21, 31, v20
	s_waitcnt lgkmcnt(0)
	v_lshl_add_u64 v[20:21], v[20:21], 2, s[6:7]
	s_mov_b64 s[10:11], 0
	v_mov_b32_e32 v22, v24
	s_mov_b64 s[12:13], 0
	s_waitcnt vmcnt(0)
	s_branch .LBB234_26
.LBB234_25:                             ;   in Loop: Header=BB234_26 Depth=2
	s_or_b64 exec, exec, s[14:15]
	s_cmp_gt_u32 s12, 12
	s_cselect_b64 s[2:3], -1, 0
	s_xor_b64 s[14:15], vcc, -1
	s_or_b64 s[2:3], s[14:15], s[2:3]
	s_add_u32 s12, s12, 1
	s_addc_u32 s13, s13, 0
	s_and_b64 s[2:3], exec, s[2:3]
	s_or_b64 s[10:11], s[2:3], s[10:11]
	v_add_u32_e32 v22, 32, v22
	s_andn2_b64 exec, exec, s[10:11]
	s_cbranch_execz .LBB234_23
.LBB234_26:                             ;   Parent Loop BB234_24 Depth=1
                                        ; =>  This Inner Loop Header: Depth=2
	v_cmp_ne_u32_e32 vcc, v17, v22
	v_cmp_eq_u32_e64 s[2:3], v17, v22
	s_and_saveexec_b64 s[14:15], s[2:3]
	s_cbranch_execz .LBB234_25
; %bb.27:                               ;   in Loop: Header=BB234_26 Depth=2
	s_set_gpr_idx_on s12, gpr_idx(SRC0)
	v_mov_b32_e32 v23, v0
	s_set_gpr_idx_off
	v_add_f32_e32 v15, v15, v23
	global_store_dword v[20:21], v17, off
	s_branch .LBB234_25
.LBB234_28:
	s_waitcnt lgkmcnt(0)
	s_load_dword s6, s[0:1], 0x3c
	s_waitcnt lgkmcnt(0)
	s_bitcmp1_b32 s6, 0
	s_cselect_b64 s[2:3], -1, 0
	s_bitcmp0_b32 s6, 0
	s_cbranch_scc0 .LBB234_31
; %bb.29:
	s_load_dwordx2 s[6:7], s[0:1], 0x40
	s_andn2_b64 vcc, exec, s[2:3]
	s_waitcnt lgkmcnt(0)
	v_cvt_f32_f64_e32 v20, s[6:7]
	s_cbranch_vccz .LBB234_32
.LBB234_30:
	s_andn2_b64 vcc, exec, s[4:5]
	s_cbranch_vccz .LBB234_33
	s_branch .LBB234_63
.LBB234_31:
	v_mbcnt_lo_u32_b32 v16, -1, 0
	v_mbcnt_hi_u32_b32 v16, -1, v16
	v_and_b32_e32 v17, 0x60, v16
	v_add_u32_e32 v17, 32, v17
	v_xor_b32_e32 v20, 16, v16
	v_cmp_lt_i32_e32 vcc, v20, v17
	v_xor_b32_e32 v21, 8, v16
	s_nop 0
	v_cndmask_b32_e32 v20, v16, v20, vcc
	v_lshlrev_b32_e32 v20, 2, v20
	ds_bpermute_b32 v20, v20, v15
	v_cmp_lt_i32_e32 vcc, v21, v17
	s_waitcnt lgkmcnt(0)
	v_add_f32_e32 v15, v15, v20
	v_cndmask_b32_e32 v20, v16, v21, vcc
	v_lshlrev_b32_e32 v20, 2, v20
	ds_bpermute_b32 v20, v20, v15
	v_xor_b32_e32 v21, 4, v16
	v_cmp_lt_i32_e32 vcc, v21, v17
	s_waitcnt lgkmcnt(0)
	v_add_f32_e32 v15, v15, v20
	v_cndmask_b32_e32 v20, v16, v21, vcc
	v_lshlrev_b32_e32 v20, 2, v20
	ds_bpermute_b32 v20, v20, v15
	v_xor_b32_e32 v21, 2, v16
	;; [unrolled: 7-line block ×3, first 2 shown]
	v_cmp_lt_i32_e32 vcc, v21, v17
	s_waitcnt lgkmcnt(0)
	v_add_f32_e32 v15, v15, v20
	v_cndmask_b32_e32 v16, v16, v21, vcc
	v_lshlrev_b32_e32 v16, 2, v16
	ds_bpermute_b32 v16, v16, v15
	s_waitcnt lgkmcnt(0)
	v_add_f32_e32 v15, v15, v16
	s_load_dwordx2 s[6:7], s[0:1], 0x40
	s_andn2_b64 vcc, exec, s[2:3]
	s_waitcnt lgkmcnt(0)
	v_cvt_f32_f64_e32 v20, s[6:7]
	s_cbranch_vccnz .LBB234_30
.LBB234_32:
	v_cmp_lt_f32_e32 vcc, 0, v15
	s_nop 1
	v_cndmask_b32_e32 v15, 1.0, v15, vcc
	v_div_scale_f32 v16, s[2:3], v15, v15, v20
	v_rcp_f32_e32 v17, v16
	s_nop 0
	v_fma_f32 v21, -v16, v17, 1.0
	v_fmac_f32_e32 v17, v21, v17
	v_div_scale_f32 v21, vcc, v20, v15, v20
	v_mul_f32_e32 v22, v21, v17
	v_fma_f32 v23, -v16, v22, v21
	v_fmac_f32_e32 v22, v23, v17
	v_fma_f32 v16, -v16, v22, v21
	v_div_fmas_f32 v16, v16, v17, v22
	v_div_fixup_f32 v20, v16, v15, v20
	s_andn2_b64 vcc, exec, s[4:5]
	s_cbranch_vccnz .LBB234_63
.LBB234_33:
	s_load_dwordx2 s[24:25], s[0:1], 0x10
	v_or_b32_e32 v21, 32, v24
	v_or_b32_e32 v22, 64, v24
	;; [unrolled: 1-line block ×13, first 2 shown]
	s_branch .LBB234_35
.LBB234_34:                             ;   in Loop: Header=BB234_35 Depth=1
	s_or_b64 exec, exec, s[0:1]
	s_add_i32 s33, s33, -1
	v_add_u32_e32 v14, 1, v14
	s_cmp_lg_u32 s33, 0
	v_lshl_add_u64 v[18:19], v[18:19], 0, 4
	s_cbranch_scc0 .LBB234_63
.LBB234_35:                             ; =>This Inner Loop Header: Depth=1
	global_load_dword v15, v[18:19], off
	v_mov_b64_e32 v[16:17], 0
	s_waitcnt vmcnt(0)
	v_cmp_eq_u32_e32 vcc, v15, v24
	v_cmp_ne_u32_e64 s[0:1], v15, v24
	s_and_saveexec_b64 s[26:27], s[0:1]
	s_cbranch_execz .LBB234_61
; %bb.36:                               ;   in Loop: Header=BB234_35 Depth=1
	v_cmp_eq_u32_e64 s[0:1], v15, v21
	v_cmp_ne_u32_e64 s[2:3], v15, v21
	v_mov_b64_e32 v[16:17], 1
	s_and_saveexec_b64 s[28:29], s[2:3]
	s_cbranch_execz .LBB234_60
; %bb.37:                               ;   in Loop: Header=BB234_35 Depth=1
	v_cmp_eq_u32_e64 s[2:3], v15, v22
	v_cmp_ne_u32_e64 s[4:5], v15, v22
	v_mov_b64_e32 v[16:17], 2
	s_and_saveexec_b64 s[30:31], s[4:5]
	s_cbranch_execz .LBB234_59
; %bb.38:                               ;   in Loop: Header=BB234_35 Depth=1
	v_cmp_eq_u32_e64 s[4:5], v15, v23
	v_cmp_ne_u32_e64 s[6:7], v15, v23
	v_mov_b64_e32 v[16:17], 3
	s_and_saveexec_b64 s[34:35], s[6:7]
	s_cbranch_execz .LBB234_58
; %bb.39:                               ;   in Loop: Header=BB234_35 Depth=1
	v_cmp_eq_u32_e64 s[6:7], v15, v25
	v_cmp_ne_u32_e64 s[8:9], v15, v25
	v_mov_b64_e32 v[16:17], 4
	s_and_saveexec_b64 s[36:37], s[8:9]
	s_cbranch_execz .LBB234_57
; %bb.40:                               ;   in Loop: Header=BB234_35 Depth=1
	v_cmp_eq_u32_e64 s[8:9], v15, v26
	v_cmp_ne_u32_e64 s[10:11], v15, v26
	v_mov_b64_e32 v[16:17], 5
	s_and_saveexec_b64 s[38:39], s[10:11]
	s_cbranch_execz .LBB234_56
; %bb.41:                               ;   in Loop: Header=BB234_35 Depth=1
	v_cmp_eq_u32_e64 s[10:11], v15, v27
	v_cmp_ne_u32_e64 s[12:13], v15, v27
	v_mov_b64_e32 v[16:17], 6
	s_and_saveexec_b64 s[40:41], s[12:13]
	s_cbranch_execz .LBB234_55
; %bb.42:                               ;   in Loop: Header=BB234_35 Depth=1
	v_cmp_eq_u32_e64 s[12:13], v15, v28
	v_cmp_ne_u32_e64 s[14:15], v15, v28
	v_mov_b64_e32 v[16:17], 7
	s_and_saveexec_b64 s[42:43], s[14:15]
	s_cbranch_execz .LBB234_54
; %bb.43:                               ;   in Loop: Header=BB234_35 Depth=1
	v_cmp_eq_u32_e64 s[14:15], v15, v29
	v_cmp_ne_u32_e64 s[16:17], v15, v29
	v_mov_b64_e32 v[16:17], 8
	s_and_saveexec_b64 s[44:45], s[16:17]
	s_cbranch_execz .LBB234_53
; %bb.44:                               ;   in Loop: Header=BB234_35 Depth=1
	v_cmp_eq_u32_e64 s[16:17], v15, v30
	v_cmp_ne_u32_e64 s[18:19], v15, v30
	v_mov_b64_e32 v[16:17], 9
	s_and_saveexec_b64 s[46:47], s[18:19]
	s_cbranch_execz .LBB234_52
; %bb.45:                               ;   in Loop: Header=BB234_35 Depth=1
	v_cmp_eq_u32_e64 s[18:19], v15, v31
	v_cmp_ne_u32_e64 s[20:21], v15, v31
	v_mov_b64_e32 v[16:17], 10
	s_and_saveexec_b64 s[48:49], s[20:21]
	s_cbranch_execz .LBB234_51
; %bb.46:                               ;   in Loop: Header=BB234_35 Depth=1
	v_cmp_eq_u32_e64 s[20:21], v15, v32
	v_cmp_ne_u32_e64 s[22:23], v15, v32
	v_mov_b64_e32 v[16:17], 11
	s_and_saveexec_b64 s[50:51], s[22:23]
	s_cbranch_execz .LBB234_50
; %bb.47:                               ;   in Loop: Header=BB234_35 Depth=1
	v_cmp_eq_u32_e64 s[52:53], v15, v33
	v_cmp_ne_u32_e64 s[22:23], v15, v33
	v_mov_b64_e32 v[16:17], 12
	s_and_saveexec_b64 s[54:55], s[22:23]
	s_xor_b64 s[54:55], exec, s[54:55]
; %bb.48:                               ;   in Loop: Header=BB234_35 Depth=1
	v_cmp_eq_u32_e64 s[22:23], v15, v34
	s_andn2_b64 s[52:53], s[52:53], exec
	s_and_b64 s[22:23], s[22:23], exec
	v_mov_b64_e32 v[16:17], 13
	s_or_b64 s[52:53], s[52:53], s[22:23]
; %bb.49:                               ;   in Loop: Header=BB234_35 Depth=1
	s_or_b64 exec, exec, s[54:55]
	s_andn2_b64 s[20:21], s[20:21], exec
	s_and_b64 s[22:23], s[52:53], exec
	s_or_b64 s[20:21], s[20:21], s[22:23]
.LBB234_50:                             ;   in Loop: Header=BB234_35 Depth=1
	s_or_b64 exec, exec, s[50:51]
	s_andn2_b64 s[18:19], s[18:19], exec
	s_and_b64 s[20:21], s[20:21], exec
	s_or_b64 s[18:19], s[18:19], s[20:21]
.LBB234_51:                             ;   in Loop: Header=BB234_35 Depth=1
	s_or_b64 exec, exec, s[48:49]
	s_andn2_b64 s[16:17], s[16:17], exec
	s_and_b64 s[18:19], s[18:19], exec
	s_or_b64 s[16:17], s[16:17], s[18:19]
.LBB234_52:                             ;   in Loop: Header=BB234_35 Depth=1
	s_or_b64 exec, exec, s[46:47]
	s_andn2_b64 s[14:15], s[14:15], exec
	s_and_b64 s[16:17], s[16:17], exec
	s_or_b64 s[14:15], s[14:15], s[16:17]
.LBB234_53:                             ;   in Loop: Header=BB234_35 Depth=1
	s_or_b64 exec, exec, s[44:45]
	s_andn2_b64 s[12:13], s[12:13], exec
	s_and_b64 s[14:15], s[14:15], exec
	s_or_b64 s[12:13], s[12:13], s[14:15]
.LBB234_54:                             ;   in Loop: Header=BB234_35 Depth=1
	s_or_b64 exec, exec, s[42:43]
	s_andn2_b64 s[10:11], s[10:11], exec
	s_and_b64 s[12:13], s[12:13], exec
	s_or_b64 s[10:11], s[10:11], s[12:13]
.LBB234_55:                             ;   in Loop: Header=BB234_35 Depth=1
	s_or_b64 exec, exec, s[40:41]
	s_andn2_b64 s[8:9], s[8:9], exec
	s_and_b64 s[10:11], s[10:11], exec
	s_or_b64 s[8:9], s[8:9], s[10:11]
.LBB234_56:                             ;   in Loop: Header=BB234_35 Depth=1
	s_or_b64 exec, exec, s[38:39]
	s_andn2_b64 s[6:7], s[6:7], exec
	s_and_b64 s[8:9], s[8:9], exec
	s_or_b64 s[6:7], s[6:7], s[8:9]
.LBB234_57:                             ;   in Loop: Header=BB234_35 Depth=1
	s_or_b64 exec, exec, s[36:37]
	s_andn2_b64 s[4:5], s[4:5], exec
	s_and_b64 s[6:7], s[6:7], exec
	s_or_b64 s[4:5], s[4:5], s[6:7]
.LBB234_58:                             ;   in Loop: Header=BB234_35 Depth=1
	s_or_b64 exec, exec, s[34:35]
	s_andn2_b64 s[2:3], s[2:3], exec
	s_and_b64 s[4:5], s[4:5], exec
	s_or_b64 s[2:3], s[2:3], s[4:5]
.LBB234_59:                             ;   in Loop: Header=BB234_35 Depth=1
	s_or_b64 exec, exec, s[30:31]
	s_andn2_b64 s[0:1], s[0:1], exec
	s_and_b64 s[2:3], s[2:3], exec
	s_or_b64 s[0:1], s[0:1], s[2:3]
.LBB234_60:                             ;   in Loop: Header=BB234_35 Depth=1
	s_or_b64 exec, exec, s[28:29]
	s_andn2_b64 s[2:3], vcc, exec
	s_and_b64 s[0:1], s[0:1], exec
	s_or_b64 vcc, s[2:3], s[0:1]
.LBB234_61:                             ;   in Loop: Header=BB234_35 Depth=1
	s_or_b64 exec, exec, s[26:27]
	s_and_saveexec_b64 s[0:1], vcc
	s_cbranch_execz .LBB234_34
; %bb.62:                               ;   in Loop: Header=BB234_35 Depth=1
	v_cmp_eq_u32_e32 vcc, 1, v16
	s_nop 1
	v_cndmask_b32_e32 v15, v0, v1, vcc
	v_cmp_eq_u32_e32 vcc, 2, v16
	s_nop 1
	v_cndmask_b32_e32 v15, v15, v2, vcc
	;; [unrolled: 3-line block ×13, first 2 shown]
	v_mul_f32_e32 v35, v20, v15
	v_ashrrev_i32_e32 v15, 31, v14
	s_waitcnt lgkmcnt(0)
	v_lshl_add_u64 v[16:17], v[14:15], 2, s[24:25]
	global_store_dword v[16:17], v35, off
	s_branch .LBB234_34
.LBB234_63:
	s_endpgm
	.section	.rodata,"a",@progbits
	.p2align	6, 0x0
	.amdhsa_kernel _ZN4vllm3moe22topkGatingSoftplusSqrtILi14ELi448ELi4ELi2ELi32ELb1Ei6__halfEEvPKT6_PKbPfiPT5_PiiiibdPKfPKS9_SF_
		.amdhsa_group_segment_fixed_size 0
		.amdhsa_private_segment_fixed_size 0
		.amdhsa_kernarg_size 96
		.amdhsa_user_sgpr_count 2
		.amdhsa_user_sgpr_dispatch_ptr 0
		.amdhsa_user_sgpr_queue_ptr 0
		.amdhsa_user_sgpr_kernarg_segment_ptr 1
		.amdhsa_user_sgpr_dispatch_id 0
		.amdhsa_user_sgpr_kernarg_preload_length 0
		.amdhsa_user_sgpr_kernarg_preload_offset 0
		.amdhsa_user_sgpr_private_segment_size 0
		.amdhsa_uses_dynamic_stack 0
		.amdhsa_enable_private_segment 0
		.amdhsa_system_sgpr_workgroup_id_x 1
		.amdhsa_system_sgpr_workgroup_id_y 0
		.amdhsa_system_sgpr_workgroup_id_z 0
		.amdhsa_system_sgpr_workgroup_info 0
		.amdhsa_system_vgpr_workitem_id 1
		.amdhsa_next_free_vgpr 47
		.amdhsa_next_free_sgpr 56
		.amdhsa_accum_offset 48
		.amdhsa_reserve_vcc 1
		.amdhsa_float_round_mode_32 0
		.amdhsa_float_round_mode_16_64 0
		.amdhsa_float_denorm_mode_32 3
		.amdhsa_float_denorm_mode_16_64 3
		.amdhsa_dx10_clamp 1
		.amdhsa_ieee_mode 1
		.amdhsa_fp16_overflow 0
		.amdhsa_tg_split 0
		.amdhsa_exception_fp_ieee_invalid_op 0
		.amdhsa_exception_fp_denorm_src 0
		.amdhsa_exception_fp_ieee_div_zero 0
		.amdhsa_exception_fp_ieee_overflow 0
		.amdhsa_exception_fp_ieee_underflow 0
		.amdhsa_exception_fp_ieee_inexact 0
		.amdhsa_exception_int_div_zero 0
	.end_amdhsa_kernel
	.section	.text._ZN4vllm3moe22topkGatingSoftplusSqrtILi14ELi448ELi4ELi2ELi32ELb1Ei6__halfEEvPKT6_PKbPfiPT5_PiiiibdPKfPKS9_SF_,"axG",@progbits,_ZN4vllm3moe22topkGatingSoftplusSqrtILi14ELi448ELi4ELi2ELi32ELb1Ei6__halfEEvPKT6_PKbPfiPT5_PiiiibdPKfPKS9_SF_,comdat
.Lfunc_end234:
	.size	_ZN4vllm3moe22topkGatingSoftplusSqrtILi14ELi448ELi4ELi2ELi32ELb1Ei6__halfEEvPKT6_PKbPfiPT5_PiiiibdPKfPKS9_SF_, .Lfunc_end234-_ZN4vllm3moe22topkGatingSoftplusSqrtILi14ELi448ELi4ELi2ELi32ELb1Ei6__halfEEvPKT6_PKbPfiPT5_PiiiibdPKfPKS9_SF_
                                        ; -- End function
	.section	.AMDGPU.csdata,"",@progbits
; Kernel info:
; codeLenInByte = 5652
; NumSgprs: 62
; NumVgprs: 47
; NumAgprs: 0
; TotalNumVgprs: 47
; ScratchSize: 0
; MemoryBound: 0
; FloatMode: 240
; IeeeMode: 1
; LDSByteSize: 0 bytes/workgroup (compile time only)
; SGPRBlocks: 7
; VGPRBlocks: 5
; NumSGPRsForWavesPerEU: 62
; NumVGPRsForWavesPerEU: 47
; AccumOffset: 48
; Occupancy: 8
; WaveLimiterHint : 1
; COMPUTE_PGM_RSRC2:SCRATCH_EN: 0
; COMPUTE_PGM_RSRC2:USER_SGPR: 2
; COMPUTE_PGM_RSRC2:TRAP_HANDLER: 0
; COMPUTE_PGM_RSRC2:TGID_X_EN: 1
; COMPUTE_PGM_RSRC2:TGID_Y_EN: 0
; COMPUTE_PGM_RSRC2:TGID_Z_EN: 0
; COMPUTE_PGM_RSRC2:TIDIG_COMP_CNT: 1
; COMPUTE_PGM_RSRC3_GFX90A:ACCUM_OFFSET: 11
; COMPUTE_PGM_RSRC3_GFX90A:TG_SPLIT: 0
	.section	.text._ZN4vllm3moe22topkGatingSoftplusSqrtILi14ELi448ELi4ELi2ELi32ELb0Ei6__halfEEvPKT6_PKbPfiPT5_PiiiibdPKfPKS9_SF_,"axG",@progbits,_ZN4vllm3moe22topkGatingSoftplusSqrtILi14ELi448ELi4ELi2ELi32ELb0Ei6__halfEEvPKT6_PKbPfiPT5_PiiiibdPKfPKS9_SF_,comdat
	.protected	_ZN4vllm3moe22topkGatingSoftplusSqrtILi14ELi448ELi4ELi2ELi32ELb0Ei6__halfEEvPKT6_PKbPfiPT5_PiiiibdPKfPKS9_SF_ ; -- Begin function _ZN4vllm3moe22topkGatingSoftplusSqrtILi14ELi448ELi4ELi2ELi32ELb0Ei6__halfEEvPKT6_PKbPfiPT5_PiiiibdPKfPKS9_SF_
	.globl	_ZN4vllm3moe22topkGatingSoftplusSqrtILi14ELi448ELi4ELi2ELi32ELb0Ei6__halfEEvPKT6_PKbPfiPT5_PiiiibdPKfPKS9_SF_
	.p2align	8
	.type	_ZN4vllm3moe22topkGatingSoftplusSqrtILi14ELi448ELi4ELi2ELi32ELb0Ei6__halfEEvPKT6_PKbPfiPT5_PiiiibdPKfPKS9_SF_,@function
_ZN4vllm3moe22topkGatingSoftplusSqrtILi14ELi448ELi4ELi2ELi32ELb0Ei6__halfEEvPKT6_PKbPfiPT5_PiiiibdPKfPKS9_SF_: ; @_ZN4vllm3moe22topkGatingSoftplusSqrtILi14ELi448ELi4ELi2ELi32ELb0Ei6__halfEEvPKT6_PKbPfiPT5_PiiiibdPKfPKS9_SF_
; %bb.0:
	s_load_dword s30, s[0:1], 0x18
	v_and_b32_e32 v1, 0x3ff, v0
	s_lshl_b32 s2, s2, 2
	v_lshrrev_b32_e32 v2, 5, v1
	v_bfe_u32 v0, v0, 10, 10
	v_add3_u32 v14, s2, v0, v2
	s_waitcnt lgkmcnt(0)
	v_cmp_gt_i32_e32 vcc, s30, v14
	s_and_saveexec_b64 s[2:3], vcc
	s_cbranch_execz .LBB235_73
; %bb.1:
	s_load_dwordx4 s[4:7], s[0:1], 0x0
	s_load_dwordx2 s[20:21], s[0:1], 0x10
	s_waitcnt lgkmcnt(0)
	s_cmp_eq_u64 s[6:7], 0
	s_cbranch_scc1 .LBB235_3
; %bb.2:
	v_ashrrev_i32_e32 v15, 31, v14
	v_lshl_add_u64 v[2:3], s[6:7], 0, v[14:15]
	global_load_ubyte v0, v[2:3], off
	s_waitcnt vmcnt(0)
	v_and_b32_e32 v0, 1, v0
	v_cmp_eq_u32_e32 vcc, 1, v0
	s_xor_b64 s[2:3], vcc, -1
	s_orn2_b64 s[22:23], s[2:3], exec
	s_branch .LBB235_4
.LBB235_3:
	s_mov_b64 s[22:23], -1
.LBB235_4:
	s_movk_i32 s2, 0x1c0
	v_mul_lo_u32 v4, v14, s2
	v_mov_b32_e32 v2, s4
	v_mov_b32_e32 v3, s5
	v_ashrrev_i32_e32 v5, 31, v4
	v_and_b32_e32 v16, 31, v1
	v_lshl_add_u64 v[2:3], v[4:5], 1, v[2:3]
	v_mov_b32_e32 v1, 0
	v_lshlrev_b32_e32 v0, 1, v16
	v_lshl_add_u64 v[18:19], v[2:3], 0, v[0:1]
	global_load_ushort v0, v[18:19], off
	global_load_ushort v1, v[18:19], off offset:64
	global_load_ushort v2, v[18:19], off offset:128
	;; [unrolled: 1-line block ×13, first 2 shown]
	s_mov_b32 s16, 0x800000
	v_mov_b32_e32 v18, 0x4f800000
	s_mov_b32 s13, 0x3f317217
	s_mov_b32 s14, 0x7f800000
	v_mov_b32_e32 v19, 0x41b17218
	s_movk_i32 s12, 0x4d00
	s_mov_b32 s15, 0xf800000
	s_load_dwordx4 s[8:11], s[0:1], 0x40
	s_waitcnt lgkmcnt(0)
	s_cmp_lg_u64 s[10:11], 0
	s_cselect_b64 s[6:7], -1, 0
	s_and_b64 s[2:3], exec, s[6:7]
	s_waitcnt vmcnt(13)
	v_cvt_f32_f16_e32 v20, v0
	v_mul_f32_e32 v15, 0x3fb8aa3b, v20
	v_exp_f32_e32 v15, v15
	s_nop 0
	v_add_f32_e32 v15, 1.0, v15
	v_cmp_gt_f32_e32 vcc, s16, v15
	s_nop 1
	v_cndmask_b32_e32 v17, 1.0, v18, vcc
	v_mul_f32_e32 v15, v15, v17
	v_log_f32_e32 v21, v15
	v_cndmask_b32_e32 v22, 0, v19, vcc
	v_mov_b32_e32 v17, 0x260
	v_lshlrev_b32_e32 v15, 2, v16
	v_mul_f32_e32 v23, 0x3f317217, v21
	v_fma_f32 v23, v21, s13, -v23
	v_fmac_f32_e32 v23, 0x3377d1cf, v21
	v_fmac_f32_e32 v23, 0x3f317217, v21
	v_cmp_lt_f32_e64 vcc, |v21|, s14
	s_nop 1
	v_cndmask_b32_e32 v21, v21, v23, vcc
	v_sub_f32_e32 v21, v21, v22
	v_cmp_lt_f16_e32 vcc, s12, v0
	s_nop 1
	v_cndmask_b32_e32 v0, v21, v20, vcc
	v_mul_f32_e32 v20, 0x4f800000, v0
	v_cmp_gt_f32_e32 vcc, s15, v0
	s_nop 1
	v_cndmask_b32_e32 v0, v0, v20, vcc
	v_sqrt_f32_e32 v20, v0
	s_nop 0
	v_add_u32_e32 v21, -1, v20
	v_add_u32_e32 v22, 1, v20
	v_fma_f32 v23, -v21, v20, v0
	v_fma_f32 v24, -v22, v20, v0
	v_cmp_ge_f32_e64 s[4:5], 0, v23
	s_nop 1
	v_cndmask_b32_e64 v20, v20, v21, s[4:5]
	v_cmp_lt_f32_e64 s[4:5], 0, v24
	s_nop 1
	v_cndmask_b32_e64 v20, v20, v22, s[4:5]
	v_mul_f32_e32 v21, 0x37800000, v20
	v_cndmask_b32_e32 v20, v20, v21, vcc
	v_cmp_class_f32_e32 vcc, v0, v17
	s_nop 1
	v_cndmask_b32_e32 v0, v20, v0, vcc
	s_mov_b64 vcc, s[2:3]
	s_cbranch_vccz .LBB235_6
; %bb.5:
	global_load_dword v20, v15, s[10:11]
	s_waitcnt vmcnt(0)
	v_add_f32_e32 v0, v0, v20
.LBB235_6:
	s_waitcnt vmcnt(12)
	v_cvt_f32_f16_e32 v20, v1
	v_mul_f32_e32 v21, 0x3fb8aa3b, v20
	v_exp_f32_e32 v21, v21
	s_nop 0
	v_add_f32_e32 v21, 1.0, v21
	v_cmp_gt_f32_e32 vcc, s16, v21
	s_nop 1
	v_cndmask_b32_e32 v18, 1.0, v18, vcc
	v_mul_f32_e32 v18, v21, v18
	v_log_f32_e32 v18, v18
	v_cndmask_b32_e32 v19, 0, v19, vcc
	v_mul_f32_e32 v21, 0x3f317217, v18
	v_fma_f32 v21, v18, s13, -v21
	v_fmac_f32_e32 v21, 0x3377d1cf, v18
	v_fmac_f32_e32 v21, 0x3f317217, v18
	v_cmp_lt_f32_e64 vcc, |v18|, s14
	s_nop 1
	v_cndmask_b32_e32 v18, v18, v21, vcc
	v_sub_f32_e32 v18, v18, v19
	v_cmp_lt_f16_e32 vcc, s12, v1
	v_cndmask_b32_e64 v19, 0, 1, s[6:7]
	v_cmp_ne_u32_e64 s[2:3], 1, v19
	v_cndmask_b32_e32 v1, v18, v20, vcc
	v_mul_f32_e32 v18, 0x4f800000, v1
	v_cmp_gt_f32_e64 s[4:5], s15, v1
	s_andn2_b64 vcc, exec, s[6:7]
	s_nop 0
	v_cndmask_b32_e64 v1, v1, v18, s[4:5]
	v_sqrt_f32_e32 v18, v1
	s_nop 0
	v_add_u32_e32 v19, -1, v18
	v_add_u32_e32 v20, 1, v18
	v_fma_f32 v21, -v19, v18, v1
	v_fma_f32 v22, -v20, v18, v1
	v_cmp_ge_f32_e64 s[6:7], 0, v21
	s_nop 1
	v_cndmask_b32_e64 v18, v18, v19, s[6:7]
	v_cmp_lt_f32_e64 s[6:7], 0, v22
	s_nop 1
	v_cndmask_b32_e64 v18, v18, v20, s[6:7]
	v_mul_f32_e32 v19, 0x37800000, v18
	v_cndmask_b32_e64 v18, v18, v19, s[4:5]
	v_cmp_class_f32_e64 s[4:5], v1, v17
	s_nop 1
	v_cndmask_b32_e64 v1, v18, v1, s[4:5]
	s_cbranch_vccnz .LBB235_8
; %bb.7:
	global_load_dword v17, v15, s[10:11] offset:128
	s_waitcnt vmcnt(0)
	v_add_f32_e32 v1, v1, v17
.LBB235_8:
	s_waitcnt vmcnt(11)
	v_cvt_f32_f16_e32 v17, v2
	s_mov_b32 s12, 0x800000
	s_mov_b32 s7, 0x3f317217
	;; [unrolled: 1-line block ×3, first 2 shown]
	v_mul_f32_e32 v18, 0x3fb8aa3b, v17
	v_exp_f32_e32 v19, v18
	v_mov_b32_e32 v18, 0x4f800000
	s_movk_i32 s6, 0x4d00
	s_mov_b32 s14, 0xf800000
	v_add_f32_e32 v19, 1.0, v19
	v_cmp_gt_f32_e32 vcc, s12, v19
	s_nop 1
	v_cndmask_b32_e32 v20, 1.0, v18, vcc
	v_mul_f32_e32 v19, v19, v20
	v_log_f32_e32 v20, v19
	v_mov_b32_e32 v19, 0x41b17218
	v_cndmask_b32_e32 v21, 0, v19, vcc
	v_mul_f32_e32 v22, 0x3f317217, v20
	v_fma_f32 v22, v20, s7, -v22
	v_fmac_f32_e32 v22, 0x3377d1cf, v20
	v_fmac_f32_e32 v22, 0x3f317217, v20
	v_cmp_lt_f32_e64 vcc, |v20|, s13
	s_nop 1
	v_cndmask_b32_e32 v20, v20, v22, vcc
	v_sub_f32_e32 v20, v20, v21
	v_cmp_lt_f16_e32 vcc, s6, v2
	s_nop 1
	v_cndmask_b32_e32 v2, v20, v17, vcc
	v_mul_f32_e32 v17, 0x4f800000, v2
	v_cmp_gt_f32_e32 vcc, s14, v2
	s_nop 1
	v_cndmask_b32_e32 v2, v2, v17, vcc
	v_sqrt_f32_e32 v17, v2
	s_nop 0
	v_add_u32_e32 v20, -1, v17
	v_fma_f32 v21, -v20, v17, v2
	v_cmp_ge_f32_e64 s[4:5], 0, v21
	v_add_u32_e32 v21, 1, v17
	s_nop 0
	v_cndmask_b32_e64 v20, v17, v20, s[4:5]
	v_fma_f32 v17, -v21, v17, v2
	v_cmp_lt_f32_e64 s[4:5], 0, v17
	s_nop 1
	v_cndmask_b32_e64 v17, v20, v21, s[4:5]
	v_mul_f32_e32 v20, 0x37800000, v17
	v_cndmask_b32_e32 v20, v17, v20, vcc
	v_mov_b32_e32 v17, 0x260
	v_cmp_class_f32_e64 s[4:5], v2, v17
	s_and_b64 vcc, exec, s[2:3]
	s_nop 0
	v_cndmask_b32_e64 v2, v20, v2, s[4:5]
	s_cbranch_vccnz .LBB235_10
; %bb.9:
	global_load_dword v20, v15, s[10:11] offset:256
	s_waitcnt vmcnt(0)
	v_add_f32_e32 v2, v2, v20
.LBB235_10:
	s_waitcnt vmcnt(10)
	v_cvt_f32_f16_e32 v20, v3
	v_mul_f32_e32 v21, 0x3fb8aa3b, v20
	v_exp_f32_e32 v21, v21
	s_nop 0
	v_add_f32_e32 v21, 1.0, v21
	v_cmp_gt_f32_e32 vcc, s12, v21
	s_nop 1
	v_cndmask_b32_e32 v18, 1.0, v18, vcc
	v_mul_f32_e32 v18, v21, v18
	v_log_f32_e32 v18, v18
	v_cndmask_b32_e32 v19, 0, v19, vcc
	v_mul_f32_e32 v21, 0x3f317217, v18
	v_fma_f32 v21, v18, s7, -v21
	v_fmac_f32_e32 v21, 0x3377d1cf, v18
	v_fmac_f32_e32 v21, 0x3f317217, v18
	v_cmp_lt_f32_e64 vcc, |v18|, s13
	s_nop 1
	v_cndmask_b32_e32 v18, v18, v21, vcc
	v_sub_f32_e32 v18, v18, v19
	v_cmp_lt_f16_e32 vcc, s6, v3
	s_nop 1
	v_cndmask_b32_e32 v3, v18, v20, vcc
	v_mul_f32_e32 v18, 0x4f800000, v3
	v_cmp_gt_f32_e64 s[4:5], s14, v3
	s_and_b64 vcc, exec, s[2:3]
	s_nop 0
	v_cndmask_b32_e64 v3, v3, v18, s[4:5]
	v_sqrt_f32_e32 v18, v3
	s_nop 0
	v_add_u32_e32 v19, -1, v18
	v_add_u32_e32 v20, 1, v18
	v_fma_f32 v21, -v19, v18, v3
	v_fma_f32 v22, -v20, v18, v3
	v_cmp_ge_f32_e64 s[6:7], 0, v21
	s_nop 1
	v_cndmask_b32_e64 v18, v18, v19, s[6:7]
	v_cmp_lt_f32_e64 s[6:7], 0, v22
	s_nop 1
	v_cndmask_b32_e64 v18, v18, v20, s[6:7]
	v_mul_f32_e32 v19, 0x37800000, v18
	v_cndmask_b32_e64 v18, v18, v19, s[4:5]
	v_cmp_class_f32_e64 s[4:5], v3, v17
	s_nop 1
	v_cndmask_b32_e64 v3, v18, v3, s[4:5]
	s_cbranch_vccnz .LBB235_12
; %bb.11:
	global_load_dword v17, v15, s[10:11] offset:384
	s_waitcnt vmcnt(0)
	v_add_f32_e32 v3, v3, v17
.LBB235_12:
	s_waitcnt vmcnt(9)
	v_cvt_f32_f16_e32 v17, v4
	s_mov_b32 s7, 0x3f317217
	s_movk_i32 s6, 0x4d00
	v_mul_f32_e32 v18, 0x3fb8aa3b, v17
	v_exp_f32_e32 v19, v18
	v_mov_b32_e32 v18, 0x4f800000
	v_add_f32_e32 v19, 1.0, v19
	v_cmp_gt_f32_e32 vcc, s12, v19
	s_nop 1
	v_cndmask_b32_e32 v20, 1.0, v18, vcc
	v_mul_f32_e32 v19, v19, v20
	v_log_f32_e32 v20, v19
	v_mov_b32_e32 v19, 0x41b17218
	v_cndmask_b32_e32 v21, 0, v19, vcc
	v_mul_f32_e32 v22, 0x3f317217, v20
	v_fma_f32 v22, v20, s7, -v22
	v_fmac_f32_e32 v22, 0x3377d1cf, v20
	v_fmac_f32_e32 v22, 0x3f317217, v20
	v_cmp_lt_f32_e64 vcc, |v20|, s13
	s_nop 1
	v_cndmask_b32_e32 v20, v20, v22, vcc
	v_sub_f32_e32 v20, v20, v21
	v_cmp_lt_f16_e32 vcc, s6, v4
	s_nop 1
	v_cndmask_b32_e32 v4, v20, v17, vcc
	v_mul_f32_e32 v17, 0x4f800000, v4
	v_cmp_gt_f32_e32 vcc, s14, v4
	s_nop 1
	v_cndmask_b32_e32 v4, v4, v17, vcc
	v_sqrt_f32_e32 v17, v4
	s_nop 0
	v_add_u32_e32 v20, -1, v17
	v_fma_f32 v21, -v20, v17, v4
	v_cmp_ge_f32_e64 s[4:5], 0, v21
	v_add_u32_e32 v21, 1, v17
	s_nop 0
	v_cndmask_b32_e64 v20, v17, v20, s[4:5]
	v_fma_f32 v17, -v21, v17, v4
	v_cmp_lt_f32_e64 s[4:5], 0, v17
	s_nop 1
	v_cndmask_b32_e64 v17, v20, v21, s[4:5]
	v_mul_f32_e32 v20, 0x37800000, v17
	v_cndmask_b32_e32 v20, v17, v20, vcc
	v_mov_b32_e32 v17, 0x260
	v_cmp_class_f32_e64 s[4:5], v4, v17
	s_and_b64 vcc, exec, s[2:3]
	s_nop 0
	v_cndmask_b32_e64 v4, v20, v4, s[4:5]
	s_cbranch_vccnz .LBB235_14
; %bb.13:
	global_load_dword v20, v15, s[10:11] offset:512
	s_waitcnt vmcnt(0)
	v_add_f32_e32 v4, v4, v20
.LBB235_14:
	s_waitcnt vmcnt(8)
	v_cvt_f32_f16_e32 v20, v5
	v_mul_f32_e32 v21, 0x3fb8aa3b, v20
	v_exp_f32_e32 v21, v21
	s_nop 0
	v_add_f32_e32 v21, 1.0, v21
	v_cmp_gt_f32_e32 vcc, s12, v21
	s_nop 1
	v_cndmask_b32_e32 v18, 1.0, v18, vcc
	v_mul_f32_e32 v18, v21, v18
	v_log_f32_e32 v18, v18
	v_cndmask_b32_e32 v19, 0, v19, vcc
	v_mul_f32_e32 v21, 0x3f317217, v18
	v_fma_f32 v21, v18, s7, -v21
	v_fmac_f32_e32 v21, 0x3377d1cf, v18
	v_fmac_f32_e32 v21, 0x3f317217, v18
	v_cmp_lt_f32_e64 vcc, |v18|, s13
	s_nop 1
	v_cndmask_b32_e32 v18, v18, v21, vcc
	v_sub_f32_e32 v18, v18, v19
	v_cmp_lt_f16_e32 vcc, s6, v5
	s_nop 1
	v_cndmask_b32_e32 v5, v18, v20, vcc
	v_mul_f32_e32 v18, 0x4f800000, v5
	v_cmp_gt_f32_e64 s[4:5], s14, v5
	s_and_b64 vcc, exec, s[2:3]
	s_nop 0
	v_cndmask_b32_e64 v5, v5, v18, s[4:5]
	v_sqrt_f32_e32 v18, v5
	s_nop 0
	v_add_u32_e32 v19, -1, v18
	v_add_u32_e32 v20, 1, v18
	v_fma_f32 v21, -v19, v18, v5
	v_fma_f32 v22, -v20, v18, v5
	v_cmp_ge_f32_e64 s[6:7], 0, v21
	s_nop 1
	v_cndmask_b32_e64 v18, v18, v19, s[6:7]
	v_cmp_lt_f32_e64 s[6:7], 0, v22
	s_nop 1
	v_cndmask_b32_e64 v18, v18, v20, s[6:7]
	v_mul_f32_e32 v19, 0x37800000, v18
	v_cndmask_b32_e64 v18, v18, v19, s[4:5]
	v_cmp_class_f32_e64 s[4:5], v5, v17
	s_nop 1
	v_cndmask_b32_e64 v5, v18, v5, s[4:5]
	s_cbranch_vccnz .LBB235_16
; %bb.15:
	global_load_dword v17, v15, s[10:11] offset:640
	s_waitcnt vmcnt(0)
	v_add_f32_e32 v5, v5, v17
.LBB235_16:
	s_waitcnt vmcnt(7)
	v_cvt_f32_f16_e32 v17, v6
	s_mov_b32 s7, 0x3f317217
	s_movk_i32 s6, 0x4d00
	v_mul_f32_e32 v18, 0x3fb8aa3b, v17
	v_exp_f32_e32 v19, v18
	v_mov_b32_e32 v18, 0x4f800000
	v_add_f32_e32 v19, 1.0, v19
	v_cmp_gt_f32_e32 vcc, s12, v19
	s_nop 1
	v_cndmask_b32_e32 v20, 1.0, v18, vcc
	v_mul_f32_e32 v19, v19, v20
	v_log_f32_e32 v20, v19
	v_mov_b32_e32 v19, 0x41b17218
	v_cndmask_b32_e32 v21, 0, v19, vcc
	v_mul_f32_e32 v22, 0x3f317217, v20
	v_fma_f32 v22, v20, s7, -v22
	v_fmac_f32_e32 v22, 0x3377d1cf, v20
	v_fmac_f32_e32 v22, 0x3f317217, v20
	v_cmp_lt_f32_e64 vcc, |v20|, s13
	s_nop 1
	v_cndmask_b32_e32 v20, v20, v22, vcc
	v_sub_f32_e32 v20, v20, v21
	v_cmp_lt_f16_e32 vcc, s6, v6
	s_nop 1
	v_cndmask_b32_e32 v6, v20, v17, vcc
	v_mul_f32_e32 v17, 0x4f800000, v6
	v_cmp_gt_f32_e32 vcc, s14, v6
	s_nop 1
	v_cndmask_b32_e32 v6, v6, v17, vcc
	v_sqrt_f32_e32 v17, v6
	s_nop 0
	v_add_u32_e32 v20, -1, v17
	v_fma_f32 v21, -v20, v17, v6
	v_cmp_ge_f32_e64 s[4:5], 0, v21
	v_add_u32_e32 v21, 1, v17
	s_nop 0
	v_cndmask_b32_e64 v20, v17, v20, s[4:5]
	v_fma_f32 v17, -v21, v17, v6
	v_cmp_lt_f32_e64 s[4:5], 0, v17
	s_nop 1
	v_cndmask_b32_e64 v17, v20, v21, s[4:5]
	v_mul_f32_e32 v20, 0x37800000, v17
	v_cndmask_b32_e32 v20, v17, v20, vcc
	v_mov_b32_e32 v17, 0x260
	v_cmp_class_f32_e64 s[4:5], v6, v17
	s_and_b64 vcc, exec, s[2:3]
	s_nop 0
	v_cndmask_b32_e64 v6, v20, v6, s[4:5]
	s_cbranch_vccnz .LBB235_18
; %bb.17:
	global_load_dword v20, v15, s[10:11] offset:768
	s_waitcnt vmcnt(0)
	v_add_f32_e32 v6, v6, v20
.LBB235_18:
	s_waitcnt vmcnt(6)
	v_cvt_f32_f16_e32 v20, v7
	v_mul_f32_e32 v21, 0x3fb8aa3b, v20
	v_exp_f32_e32 v21, v21
	s_nop 0
	v_add_f32_e32 v21, 1.0, v21
	v_cmp_gt_f32_e32 vcc, s12, v21
	s_nop 1
	v_cndmask_b32_e32 v18, 1.0, v18, vcc
	v_mul_f32_e32 v18, v21, v18
	v_log_f32_e32 v18, v18
	v_cndmask_b32_e32 v19, 0, v19, vcc
	v_mul_f32_e32 v21, 0x3f317217, v18
	v_fma_f32 v21, v18, s7, -v21
	v_fmac_f32_e32 v21, 0x3377d1cf, v18
	v_fmac_f32_e32 v21, 0x3f317217, v18
	v_cmp_lt_f32_e64 vcc, |v18|, s13
	s_nop 1
	v_cndmask_b32_e32 v18, v18, v21, vcc
	v_sub_f32_e32 v18, v18, v19
	v_cmp_lt_f16_e32 vcc, s6, v7
	s_nop 1
	v_cndmask_b32_e32 v7, v18, v20, vcc
	v_mul_f32_e32 v18, 0x4f800000, v7
	v_cmp_gt_f32_e64 s[4:5], s14, v7
	s_and_b64 vcc, exec, s[2:3]
	s_nop 0
	v_cndmask_b32_e64 v7, v7, v18, s[4:5]
	v_sqrt_f32_e32 v18, v7
	s_nop 0
	v_add_u32_e32 v19, -1, v18
	v_add_u32_e32 v20, 1, v18
	v_fma_f32 v21, -v19, v18, v7
	v_fma_f32 v22, -v20, v18, v7
	v_cmp_ge_f32_e64 s[6:7], 0, v21
	s_nop 1
	v_cndmask_b32_e64 v18, v18, v19, s[6:7]
	v_cmp_lt_f32_e64 s[6:7], 0, v22
	s_nop 1
	v_cndmask_b32_e64 v18, v18, v20, s[6:7]
	v_mul_f32_e32 v19, 0x37800000, v18
	v_cndmask_b32_e64 v18, v18, v19, s[4:5]
	v_cmp_class_f32_e64 s[4:5], v7, v17
	s_nop 1
	v_cndmask_b32_e64 v7, v18, v7, s[4:5]
	s_cbranch_vccnz .LBB235_20
; %bb.19:
	global_load_dword v17, v15, s[10:11] offset:896
	s_waitcnt vmcnt(0)
	v_add_f32_e32 v7, v7, v17
.LBB235_20:
	s_waitcnt vmcnt(5)
	v_cvt_f32_f16_e32 v17, v8
	s_mov_b32 s7, 0x3f317217
	s_movk_i32 s6, 0x4d00
	v_mul_f32_e32 v18, 0x3fb8aa3b, v17
	v_exp_f32_e32 v19, v18
	v_mov_b32_e32 v18, 0x4f800000
	v_add_f32_e32 v19, 1.0, v19
	v_cmp_gt_f32_e32 vcc, s12, v19
	s_nop 1
	v_cndmask_b32_e32 v20, 1.0, v18, vcc
	v_mul_f32_e32 v19, v19, v20
	v_log_f32_e32 v20, v19
	v_mov_b32_e32 v19, 0x41b17218
	v_cndmask_b32_e32 v21, 0, v19, vcc
	v_mul_f32_e32 v22, 0x3f317217, v20
	v_fma_f32 v22, v20, s7, -v22
	v_fmac_f32_e32 v22, 0x3377d1cf, v20
	v_fmac_f32_e32 v22, 0x3f317217, v20
	v_cmp_lt_f32_e64 vcc, |v20|, s13
	s_nop 1
	v_cndmask_b32_e32 v20, v20, v22, vcc
	v_sub_f32_e32 v20, v20, v21
	v_cmp_lt_f16_e32 vcc, s6, v8
	s_nop 1
	v_cndmask_b32_e32 v8, v20, v17, vcc
	v_mul_f32_e32 v17, 0x4f800000, v8
	v_cmp_gt_f32_e32 vcc, s14, v8
	s_nop 1
	v_cndmask_b32_e32 v8, v8, v17, vcc
	v_sqrt_f32_e32 v17, v8
	s_nop 0
	v_add_u32_e32 v20, -1, v17
	v_fma_f32 v21, -v20, v17, v8
	v_cmp_ge_f32_e64 s[4:5], 0, v21
	v_add_u32_e32 v21, 1, v17
	s_nop 0
	v_cndmask_b32_e64 v20, v17, v20, s[4:5]
	v_fma_f32 v17, -v21, v17, v8
	v_cmp_lt_f32_e64 s[4:5], 0, v17
	s_nop 1
	v_cndmask_b32_e64 v17, v20, v21, s[4:5]
	v_mul_f32_e32 v20, 0x37800000, v17
	v_cndmask_b32_e32 v20, v17, v20, vcc
	v_mov_b32_e32 v17, 0x260
	v_cmp_class_f32_e64 s[4:5], v8, v17
	s_and_b64 vcc, exec, s[2:3]
	s_nop 0
	v_cndmask_b32_e64 v8, v20, v8, s[4:5]
	s_cbranch_vccnz .LBB235_22
; %bb.21:
	global_load_dword v20, v15, s[10:11] offset:1024
	s_waitcnt vmcnt(0)
	v_add_f32_e32 v8, v8, v20
.LBB235_22:
	s_waitcnt vmcnt(4)
	v_cvt_f32_f16_e32 v20, v9
	v_mul_f32_e32 v21, 0x3fb8aa3b, v20
	v_exp_f32_e32 v21, v21
	s_nop 0
	v_add_f32_e32 v21, 1.0, v21
	v_cmp_gt_f32_e32 vcc, s12, v21
	s_nop 1
	v_cndmask_b32_e32 v18, 1.0, v18, vcc
	v_mul_f32_e32 v18, v21, v18
	v_log_f32_e32 v18, v18
	v_cndmask_b32_e32 v19, 0, v19, vcc
	v_mul_f32_e32 v21, 0x3f317217, v18
	v_fma_f32 v21, v18, s7, -v21
	v_fmac_f32_e32 v21, 0x3377d1cf, v18
	v_fmac_f32_e32 v21, 0x3f317217, v18
	v_cmp_lt_f32_e64 vcc, |v18|, s13
	s_nop 1
	v_cndmask_b32_e32 v18, v18, v21, vcc
	v_sub_f32_e32 v18, v18, v19
	v_cmp_lt_f16_e32 vcc, s6, v9
	s_nop 1
	v_cndmask_b32_e32 v9, v18, v20, vcc
	v_mul_f32_e32 v18, 0x4f800000, v9
	v_cmp_gt_f32_e64 s[4:5], s14, v9
	s_and_b64 vcc, exec, s[2:3]
	s_nop 0
	v_cndmask_b32_e64 v9, v9, v18, s[4:5]
	v_sqrt_f32_e32 v18, v9
	s_nop 0
	v_add_u32_e32 v19, -1, v18
	v_add_u32_e32 v20, 1, v18
	v_fma_f32 v21, -v19, v18, v9
	v_fma_f32 v22, -v20, v18, v9
	v_cmp_ge_f32_e64 s[6:7], 0, v21
	s_nop 1
	v_cndmask_b32_e64 v18, v18, v19, s[6:7]
	v_cmp_lt_f32_e64 s[6:7], 0, v22
	s_nop 1
	v_cndmask_b32_e64 v18, v18, v20, s[6:7]
	v_mul_f32_e32 v19, 0x37800000, v18
	v_cndmask_b32_e64 v18, v18, v19, s[4:5]
	v_cmp_class_f32_e64 s[4:5], v9, v17
	s_nop 1
	v_cndmask_b32_e64 v9, v18, v9, s[4:5]
	s_cbranch_vccnz .LBB235_24
; %bb.23:
	global_load_dword v17, v15, s[10:11] offset:1152
	s_waitcnt vmcnt(0)
	v_add_f32_e32 v9, v9, v17
.LBB235_24:
	s_waitcnt vmcnt(3)
	v_cvt_f32_f16_e32 v17, v10
	s_mov_b32 s7, 0x3f317217
	s_movk_i32 s6, 0x4d00
	v_mul_f32_e32 v18, 0x3fb8aa3b, v17
	v_exp_f32_e32 v19, v18
	v_mov_b32_e32 v18, 0x4f800000
	v_add_f32_e32 v19, 1.0, v19
	v_cmp_gt_f32_e32 vcc, s12, v19
	s_nop 1
	v_cndmask_b32_e32 v20, 1.0, v18, vcc
	v_mul_f32_e32 v19, v19, v20
	v_log_f32_e32 v20, v19
	v_mov_b32_e32 v19, 0x41b17218
	v_cndmask_b32_e32 v21, 0, v19, vcc
	v_mul_f32_e32 v22, 0x3f317217, v20
	v_fma_f32 v22, v20, s7, -v22
	v_fmac_f32_e32 v22, 0x3377d1cf, v20
	v_fmac_f32_e32 v22, 0x3f317217, v20
	v_cmp_lt_f32_e64 vcc, |v20|, s13
	s_nop 1
	v_cndmask_b32_e32 v20, v20, v22, vcc
	v_sub_f32_e32 v20, v20, v21
	v_cmp_lt_f16_e32 vcc, s6, v10
	s_nop 1
	v_cndmask_b32_e32 v10, v20, v17, vcc
	v_mul_f32_e32 v17, 0x4f800000, v10
	v_cmp_gt_f32_e32 vcc, s14, v10
	s_nop 1
	v_cndmask_b32_e32 v10, v10, v17, vcc
	v_sqrt_f32_e32 v17, v10
	s_nop 0
	v_add_u32_e32 v20, -1, v17
	v_fma_f32 v21, -v20, v17, v10
	v_cmp_ge_f32_e64 s[4:5], 0, v21
	v_add_u32_e32 v21, 1, v17
	s_nop 0
	v_cndmask_b32_e64 v20, v17, v20, s[4:5]
	v_fma_f32 v17, -v21, v17, v10
	v_cmp_lt_f32_e64 s[4:5], 0, v17
	s_nop 1
	v_cndmask_b32_e64 v17, v20, v21, s[4:5]
	v_mul_f32_e32 v20, 0x37800000, v17
	v_cndmask_b32_e32 v20, v17, v20, vcc
	v_mov_b32_e32 v17, 0x260
	v_cmp_class_f32_e64 s[4:5], v10, v17
	s_and_b64 vcc, exec, s[2:3]
	s_nop 0
	v_cndmask_b32_e64 v10, v20, v10, s[4:5]
	s_cbranch_vccnz .LBB235_26
; %bb.25:
	global_load_dword v20, v15, s[10:11] offset:1280
	s_waitcnt vmcnt(0)
	v_add_f32_e32 v10, v10, v20
.LBB235_26:
	s_waitcnt vmcnt(2)
	v_cvt_f32_f16_e32 v20, v11
	v_mul_f32_e32 v21, 0x3fb8aa3b, v20
	v_exp_f32_e32 v21, v21
	s_nop 0
	v_add_f32_e32 v21, 1.0, v21
	v_cmp_gt_f32_e32 vcc, s12, v21
	s_nop 1
	v_cndmask_b32_e32 v18, 1.0, v18, vcc
	v_mul_f32_e32 v18, v21, v18
	v_log_f32_e32 v18, v18
	v_cndmask_b32_e32 v19, 0, v19, vcc
	v_mul_f32_e32 v21, 0x3f317217, v18
	v_fma_f32 v21, v18, s7, -v21
	v_fmac_f32_e32 v21, 0x3377d1cf, v18
	v_fmac_f32_e32 v21, 0x3f317217, v18
	v_cmp_lt_f32_e64 vcc, |v18|, s13
	s_nop 1
	v_cndmask_b32_e32 v18, v18, v21, vcc
	v_sub_f32_e32 v18, v18, v19
	v_cmp_lt_f16_e32 vcc, s6, v11
	s_nop 1
	v_cndmask_b32_e32 v11, v18, v20, vcc
	v_mul_f32_e32 v18, 0x4f800000, v11
	v_cmp_gt_f32_e64 s[4:5], s14, v11
	s_and_b64 vcc, exec, s[2:3]
	s_nop 0
	v_cndmask_b32_e64 v11, v11, v18, s[4:5]
	v_sqrt_f32_e32 v18, v11
	s_nop 0
	v_add_u32_e32 v19, -1, v18
	v_add_u32_e32 v20, 1, v18
	v_fma_f32 v21, -v19, v18, v11
	v_fma_f32 v22, -v20, v18, v11
	v_cmp_ge_f32_e64 s[6:7], 0, v21
	s_nop 1
	v_cndmask_b32_e64 v18, v18, v19, s[6:7]
	v_cmp_lt_f32_e64 s[6:7], 0, v22
	s_nop 1
	v_cndmask_b32_e64 v18, v18, v20, s[6:7]
	v_mul_f32_e32 v19, 0x37800000, v18
	v_cndmask_b32_e64 v18, v18, v19, s[4:5]
	v_cmp_class_f32_e64 s[4:5], v11, v17
	s_nop 1
	v_cndmask_b32_e64 v11, v18, v11, s[4:5]
	s_cbranch_vccnz .LBB235_28
; %bb.27:
	global_load_dword v17, v15, s[10:11] offset:1408
	s_waitcnt vmcnt(0)
	v_add_f32_e32 v11, v11, v17
.LBB235_28:
	s_waitcnt vmcnt(1)
	v_cvt_f32_f16_e32 v17, v12
	s_mov_b32 s7, 0x3f317217
	s_movk_i32 s6, 0x4d00
	v_mul_f32_e32 v18, 0x3fb8aa3b, v17
	v_exp_f32_e32 v19, v18
	v_mov_b32_e32 v18, 0x4f800000
	v_add_f32_e32 v19, 1.0, v19
	v_cmp_gt_f32_e32 vcc, s12, v19
	s_nop 1
	v_cndmask_b32_e32 v20, 1.0, v18, vcc
	v_mul_f32_e32 v19, v19, v20
	v_log_f32_e32 v20, v19
	v_mov_b32_e32 v19, 0x41b17218
	v_cndmask_b32_e32 v21, 0, v19, vcc
	v_mul_f32_e32 v22, 0x3f317217, v20
	v_fma_f32 v22, v20, s7, -v22
	v_fmac_f32_e32 v22, 0x3377d1cf, v20
	v_fmac_f32_e32 v22, 0x3f317217, v20
	v_cmp_lt_f32_e64 vcc, |v20|, s13
	s_nop 1
	v_cndmask_b32_e32 v20, v20, v22, vcc
	v_sub_f32_e32 v20, v20, v21
	v_cmp_lt_f16_e32 vcc, s6, v12
	s_nop 1
	v_cndmask_b32_e32 v12, v20, v17, vcc
	v_mul_f32_e32 v17, 0x4f800000, v12
	v_cmp_gt_f32_e32 vcc, s14, v12
	s_nop 1
	v_cndmask_b32_e32 v12, v12, v17, vcc
	v_sqrt_f32_e32 v17, v12
	s_nop 0
	v_add_u32_e32 v20, -1, v17
	v_fma_f32 v21, -v20, v17, v12
	v_cmp_ge_f32_e64 s[4:5], 0, v21
	v_add_u32_e32 v21, 1, v17
	s_nop 0
	v_cndmask_b32_e64 v20, v17, v20, s[4:5]
	v_fma_f32 v17, -v21, v17, v12
	v_cmp_lt_f32_e64 s[4:5], 0, v17
	s_nop 1
	v_cndmask_b32_e64 v17, v20, v21, s[4:5]
	v_mul_f32_e32 v20, 0x37800000, v17
	v_cndmask_b32_e32 v20, v17, v20, vcc
	v_mov_b32_e32 v17, 0x260
	v_cmp_class_f32_e64 s[4:5], v12, v17
	s_and_b64 vcc, exec, s[2:3]
	s_nop 0
	v_cndmask_b32_e64 v12, v20, v12, s[4:5]
	s_cbranch_vccnz .LBB235_30
; %bb.29:
	global_load_dword v20, v15, s[10:11] offset:1536
	s_waitcnt vmcnt(0)
	v_add_f32_e32 v12, v12, v20
.LBB235_30:
	s_waitcnt vmcnt(0)
	v_cvt_f32_f16_e32 v20, v13
	v_mul_f32_e32 v21, 0x3fb8aa3b, v20
	v_exp_f32_e32 v21, v21
	s_nop 0
	v_add_f32_e32 v21, 1.0, v21
	v_cmp_gt_f32_e32 vcc, s12, v21
	s_nop 1
	v_cndmask_b32_e32 v18, 1.0, v18, vcc
	v_mul_f32_e32 v18, v21, v18
	v_log_f32_e32 v18, v18
	v_cndmask_b32_e32 v19, 0, v19, vcc
	v_mul_f32_e32 v21, 0x3f317217, v18
	v_fma_f32 v21, v18, s7, -v21
	v_fmac_f32_e32 v21, 0x3377d1cf, v18
	v_fmac_f32_e32 v21, 0x3f317217, v18
	v_cmp_lt_f32_e64 vcc, |v18|, s13
	s_nop 1
	v_cndmask_b32_e32 v18, v18, v21, vcc
	v_sub_f32_e32 v18, v18, v19
	v_cmp_lt_f16_e32 vcc, s6, v13
	s_nop 1
	v_cndmask_b32_e32 v13, v18, v20, vcc
	v_mul_f32_e32 v18, 0x4f800000, v13
	v_cmp_gt_f32_e64 s[4:5], s14, v13
	s_and_b64 vcc, exec, s[2:3]
	s_nop 0
	v_cndmask_b32_e64 v13, v13, v18, s[4:5]
	v_sqrt_f32_e32 v18, v13
	s_nop 0
	v_add_u32_e32 v19, -1, v18
	v_add_u32_e32 v20, 1, v18
	v_fma_f32 v21, -v19, v18, v13
	v_fma_f32 v22, -v20, v18, v13
	v_cmp_ge_f32_e64 s[6:7], 0, v21
	s_nop 1
	v_cndmask_b32_e64 v18, v18, v19, s[6:7]
	v_cmp_lt_f32_e64 s[6:7], 0, v22
	s_nop 1
	v_cndmask_b32_e64 v18, v18, v20, s[6:7]
	v_mul_f32_e32 v19, 0x37800000, v18
	v_cndmask_b32_e64 v18, v18, v19, s[4:5]
	v_cmp_class_f32_e64 s[4:5], v13, v17
	s_nop 1
	v_cndmask_b32_e64 v13, v18, v13, s[4:5]
	s_cbranch_vccnz .LBB235_32
; %bb.31:
	global_load_dword v15, v15, s[10:11] offset:1664
	s_waitcnt vmcnt(0)
	v_add_f32_e32 v13, v13, v15
.LBB235_32:
	s_load_dwordx4 s[12:15], s[0:1], 0x30
	s_mov_b32 s31, 0
	v_cmp_eq_u32_e64 s[6:7], 0, v16
	s_waitcnt lgkmcnt(0)
	s_bitcmp1_b32 s15, 0
	s_cselect_b64 s[4:5], -1, 0
	s_cmp_gt_i32 s12, 0
	s_cselect_b64 s[24:25], -1, 0
	s_and_b64 vcc, exec, s[24:25]
	s_cbranch_vccz .LBB235_59
; %bb.33:
	v_mbcnt_lo_u32_b32 v15, -1, 0
	v_mbcnt_hi_u32_b32 v18, -1, v15
	v_and_b32_e32 v15, 0x60, v18
	v_add_u32_e32 v19, 32, v15
	v_xor_b32_e32 v24, 16, v18
	v_cmp_lt_i32_e32 vcc, v24, v19
	s_load_dwordx4 s[16:19], s[0:1], 0x20
	v_mul_lo_u32 v15, v14, s12
	v_cndmask_b32_e32 v24, v18, v24, vcc
	v_lshlrev_b32_e32 v33, 2, v24
	v_xor_b32_e32 v24, 8, v18
	v_cmp_lt_i32_e32 vcc, v24, v19
	v_or_b32_e32 v17, 32, v16
	v_or_b32_e32 v20, 64, v16
	v_cndmask_b32_e32 v24, v18, v24, vcc
	v_lshlrev_b32_e32 v34, 2, v24
	v_xor_b32_e32 v24, 4, v18
	v_cmp_lt_i32_e32 vcc, v24, v19
	v_or_b32_e32 v21, 0x60, v16
	v_or_b32_e32 v22, 0x80, v16
	;; [unrolled: 6-line block ×4, first 2 shown]
	v_cndmask_b32_e32 v18, v18, v24, vcc
	v_or_b32_e32 v28, 0x120, v16
	v_or_b32_e32 v29, 0x140, v16
	;; [unrolled: 1-line block ×5, first 2 shown]
	v_lshlrev_b32_e32 v37, 2, v18
	v_mov_b32_e32 v24, 0
	v_mov_b32_e32 v38, 0x1c0
	v_mov_b32_e32 v39, 0xc61c4000
	v_mov_b32_e32 v40, v14
	s_branch .LBB235_36
.LBB235_34:                             ;   in Loop: Header=BB235_36 Depth=1
	s_waitcnt lgkmcnt(0)
	v_add_u32_e32 v42, s31, v15
	v_cmp_le_i32_e32 vcc, s13, v18
	v_cmp_gt_i32_e64 s[0:1], s14, v18
	v_ashrrev_i32_e32 v43, 31, v42
	s_and_b64 s[0:1], vcc, s[0:1]
	v_lshlrev_b64 v[42:43], 2, v[42:43]
	v_lshl_add_u64 v[44:45], s[20:21], 0, v[42:43]
	v_subrev_u32_e32 v19, s13, v18
	s_and_b64 vcc, s[22:23], s[0:1]
	global_store_dword v[44:45], v41, off
	v_cndmask_b32_e32 v19, v38, v19, vcc
	v_lshl_add_u64 v[44:45], s[16:17], 0, v[42:43]
	global_store_dword v[44:45], v19, off
	v_add_f32_e32 v19, v24, v41
	v_lshl_add_u64 v[42:43], s[18:19], 0, v[42:43]
	v_cndmask_b32_e64 v24, v24, v19, s[4:5]
	global_store_dword v[42:43], v40, off
.LBB235_35:                             ;   in Loop: Header=BB235_36 Depth=1
	s_or_b64 exec, exec, s[26:27]
	v_ashrrev_i32_e32 v19, 31, v18
	v_lshrrev_b32_e32 v19, 27, v19
	v_add_u32_e32 v19, v18, v19
	v_and_b32_e32 v41, 0xffffffe0, v19
	v_sub_u32_e32 v18, v18, v41
	s_add_i32 s31, s31, 1
	v_cmp_eq_u32_e32 vcc, v16, v18
	s_cmp_lt_i32 s31, s12
	v_ashrrev_i32_e32 v18, 5, v19
	s_cselect_b64 s[26:27], -1, 0
	v_cmp_ne_u32_e64 s[0:1], 13, v18
	s_and_b64 vcc, s[26:27], vcc
	s_cmp_eq_u32 s12, s31
	v_cndmask_b32_e64 v19, v39, v13, s[0:1]
	v_cmp_ne_u32_e64 s[0:1], 12, v18
	v_cndmask_b32_e32 v13, v13, v19, vcc
	v_add_u32_e32 v40, s30, v40
	v_cndmask_b32_e64 v19, v39, v12, s[0:1]
	v_cmp_ne_u32_e64 s[0:1], 11, v18
	v_cndmask_b32_e32 v12, v12, v19, vcc
	s_nop 0
	v_cndmask_b32_e64 v19, v39, v11, s[0:1]
	v_cmp_ne_u32_e64 s[0:1], 10, v18
	v_cndmask_b32_e32 v11, v11, v19, vcc
	s_nop 0
	;; [unrolled: 4-line block ×12, first 2 shown]
	v_cndmask_b32_e64 v18, v39, v0, s[0:1]
	v_cndmask_b32_e32 v0, v0, v18, vcc
	s_cbranch_scc1 .LBB235_60
.LBB235_36:                             ; =>This Inner Loop Header: Depth=1
	v_cmp_gt_f32_e32 vcc, v1, v0
	s_nop 1
	v_cndmask_b32_e32 v19, v0, v1, vcc
	v_cndmask_b32_e32 v18, v16, v17, vcc
	v_cmp_gt_f32_e32 vcc, v2, v19
	s_nop 1
	v_cndmask_b32_e32 v19, v19, v2, vcc
	v_cndmask_b32_e32 v18, v18, v20, vcc
	;; [unrolled: 4-line block ×13, first 2 shown]
	ds_bpermute_b32 v19, v33, v41
	s_waitcnt lgkmcnt(0)
	ds_bpermute_b32 v42, v33, v18
	s_waitcnt lgkmcnt(0)
	v_cmp_lt_f32_e64 s[26:27], v41, v19
	v_cmp_nlt_f32_e32 vcc, v41, v19
	s_and_saveexec_b64 s[28:29], vcc
; %bb.37:                               ;   in Loop: Header=BB235_36 Depth=1
	v_cmp_eq_f32_e32 vcc, v41, v19
	v_cmp_lt_i32_e64 s[0:1], v42, v18
	s_and_b64 s[0:1], vcc, s[0:1]
	s_andn2_b64 s[26:27], s[26:27], exec
	s_and_b64 s[0:1], s[0:1], exec
	s_or_b64 s[26:27], s[26:27], s[0:1]
; %bb.38:                               ;   in Loop: Header=BB235_36 Depth=1
	s_or_b64 exec, exec, s[28:29]
	s_and_saveexec_b64 s[0:1], s[26:27]
; %bb.39:                               ;   in Loop: Header=BB235_36 Depth=1
	v_mov_b32_e32 v41, v19
	v_mov_b32_e32 v18, v42
; %bb.40:                               ;   in Loop: Header=BB235_36 Depth=1
	s_or_b64 exec, exec, s[0:1]
	ds_bpermute_b32 v19, v34, v41
	ds_bpermute_b32 v42, v34, v18
	s_waitcnt lgkmcnt(1)
	v_cmp_lt_f32_e64 s[26:27], v41, v19
	v_cmp_nlt_f32_e32 vcc, v41, v19
	s_and_saveexec_b64 s[28:29], vcc
	s_cbranch_execz .LBB235_42
; %bb.41:                               ;   in Loop: Header=BB235_36 Depth=1
	v_cmp_eq_f32_e32 vcc, v41, v19
	s_waitcnt lgkmcnt(0)
	v_cmp_lt_i32_e64 s[0:1], v42, v18
	s_and_b64 s[0:1], vcc, s[0:1]
	s_andn2_b64 s[26:27], s[26:27], exec
	s_and_b64 s[0:1], s[0:1], exec
	s_or_b64 s[26:27], s[26:27], s[0:1]
.LBB235_42:                             ;   in Loop: Header=BB235_36 Depth=1
	s_or_b64 exec, exec, s[28:29]
	s_and_saveexec_b64 s[0:1], s[26:27]
	s_cbranch_execz .LBB235_44
; %bb.43:                               ;   in Loop: Header=BB235_36 Depth=1
	v_mov_b32_e32 v41, v19
	s_waitcnt lgkmcnt(0)
	v_mov_b32_e32 v18, v42
.LBB235_44:                             ;   in Loop: Header=BB235_36 Depth=1
	s_or_b64 exec, exec, s[0:1]
	ds_bpermute_b32 v19, v35, v41
	s_waitcnt lgkmcnt(1)
	ds_bpermute_b32 v42, v35, v18
	s_waitcnt lgkmcnt(1)
	v_cmp_lt_f32_e64 s[26:27], v41, v19
	v_cmp_nlt_f32_e32 vcc, v41, v19
	s_and_saveexec_b64 s[28:29], vcc
	s_cbranch_execz .LBB235_46
; %bb.45:                               ;   in Loop: Header=BB235_36 Depth=1
	v_cmp_eq_f32_e32 vcc, v41, v19
	s_waitcnt lgkmcnt(0)
	v_cmp_lt_i32_e64 s[0:1], v42, v18
	s_and_b64 s[0:1], vcc, s[0:1]
	s_andn2_b64 s[26:27], s[26:27], exec
	s_and_b64 s[0:1], s[0:1], exec
	s_or_b64 s[26:27], s[26:27], s[0:1]
.LBB235_46:                             ;   in Loop: Header=BB235_36 Depth=1
	s_or_b64 exec, exec, s[28:29]
	s_and_saveexec_b64 s[0:1], s[26:27]
	s_cbranch_execz .LBB235_48
; %bb.47:                               ;   in Loop: Header=BB235_36 Depth=1
	v_mov_b32_e32 v41, v19
	s_waitcnt lgkmcnt(0)
	v_mov_b32_e32 v18, v42
.LBB235_48:                             ;   in Loop: Header=BB235_36 Depth=1
	s_or_b64 exec, exec, s[0:1]
	ds_bpermute_b32 v19, v36, v41
	s_waitcnt lgkmcnt(1)
	;; [unrolled: 26-line block ×3, first 2 shown]
	ds_bpermute_b32 v42, v37, v18
	s_waitcnt lgkmcnt(1)
	v_cmp_lt_f32_e64 s[26:27], v41, v19
	v_cmp_nlt_f32_e32 vcc, v41, v19
	s_and_saveexec_b64 s[28:29], vcc
	s_cbranch_execnz .LBB235_55
; %bb.53:                               ;   in Loop: Header=BB235_36 Depth=1
	s_or_b64 exec, exec, s[28:29]
	s_and_saveexec_b64 s[0:1], s[26:27]
	s_cbranch_execnz .LBB235_56
.LBB235_54:                             ;   in Loop: Header=BB235_36 Depth=1
	s_or_b64 exec, exec, s[0:1]
	s_and_saveexec_b64 s[26:27], s[6:7]
	s_cbranch_execz .LBB235_35
	s_branch .LBB235_57
.LBB235_55:                             ;   in Loop: Header=BB235_36 Depth=1
	v_cmp_eq_f32_e32 vcc, v41, v19
	s_waitcnt lgkmcnt(0)
	v_cmp_lt_i32_e64 s[0:1], v42, v18
	s_and_b64 s[0:1], vcc, s[0:1]
	s_andn2_b64 s[26:27], s[26:27], exec
	s_and_b64 s[0:1], s[0:1], exec
	s_or_b64 s[26:27], s[26:27], s[0:1]
	s_or_b64 exec, exec, s[28:29]
	s_and_saveexec_b64 s[0:1], s[26:27]
	s_cbranch_execz .LBB235_54
.LBB235_56:                             ;   in Loop: Header=BB235_36 Depth=1
	s_waitcnt lgkmcnt(0)
	v_mov_b32_e32 v18, v42
	v_mov_b32_e32 v41, v19
	s_or_b64 exec, exec, s[0:1]
	s_and_saveexec_b64 s[26:27], s[6:7]
	s_cbranch_execz .LBB235_35
.LBB235_57:                             ;   in Loop: Header=BB235_36 Depth=1
	s_and_b64 vcc, exec, s[2:3]
	s_cbranch_vccnz .LBB235_34
; %bb.58:                               ;   in Loop: Header=BB235_36 Depth=1
	v_ashrrev_i32_e32 v19, 31, v18
	s_waitcnt lgkmcnt(0)
	v_lshl_add_u64 v[42:43], v[18:19], 2, s[10:11]
	global_load_dword v19, v[42:43], off
	s_waitcnt vmcnt(0)
	v_sub_f32_e32 v41, v41, v19
	s_branch .LBB235_34
.LBB235_59:
	v_mov_b32_e32 v24, 0
.LBB235_60:
	v_cmp_eq_u32_e32 vcc, 0, v16
	s_and_b64 exec, exec, vcc
	s_cbranch_execz .LBB235_73
; %bb.61:
	s_andn2_b64 vcc, exec, s[4:5]
	v_cvt_f32_f64_e32 v0, s[8:9]
	s_cbranch_vccnz .LBB235_63
; %bb.62:
	v_cmp_lt_f32_e32 vcc, 0, v24
	s_nop 1
	v_cndmask_b32_e32 v1, 1.0, v24, vcc
	v_div_scale_f32 v2, s[0:1], v1, v1, v0
	v_rcp_f32_e32 v3, v2
	s_nop 0
	v_fma_f32 v4, -v2, v3, 1.0
	v_fmac_f32_e32 v3, v4, v3
	v_div_scale_f32 v4, vcc, v0, v1, v0
	v_mul_f32_e32 v5, v4, v3
	v_fma_f32 v6, -v2, v5, v4
	v_fmac_f32_e32 v5, v6, v3
	v_fma_f32 v2, -v2, v5, v4
	v_div_fmas_f32 v2, v2, v3, v5
	v_div_fixup_f32 v0, v2, v1, v0
.LBB235_63:
	s_andn2_b64 vcc, exec, s[24:25]
	s_cbranch_vccnz .LBB235_73
; %bb.64:
	v_mul_lo_u32 v2, v14, s12
	s_cmp_gt_u32 s12, 3
	v_ashrrev_i32_e32 v3, 31, v2
	s_cbranch_scc0 .LBB235_68
; %bb.65:
	s_and_b32 s0, s12, 0x7ffffffc
	v_lshl_add_u64 v[4:5], v[2:3], 2, s[20:21]
	v_mov_b32_e32 v1, v0
	v_lshl_add_u64 v[4:5], v[4:5], 0, 8
	s_mov_b32 s1, s0
.LBB235_66:                             ; =>This Inner Loop Header: Depth=1
	global_load_dwordx4 v[6:9], v[4:5], off offset:-8
	s_add_i32 s1, s1, -4
	s_cmp_lg_u32 s1, 0
	s_waitcnt vmcnt(0)
	v_pk_mul_f32 v[6:7], v[0:1], v[6:7]
	v_pk_mul_f32 v[8:9], v[0:1], v[8:9]
	global_store_dwordx4 v[4:5], v[6:9], off offset:-8
	v_lshl_add_u64 v[4:5], v[4:5], 0, 16
	s_cbranch_scc1 .LBB235_66
; %bb.67:
	s_cmp_lg_u32 s0, s12
	s_cselect_b64 s[2:3], -1, 0
	s_branch .LBB235_70
.LBB235_68:
	s_mov_b64 s[2:3], 0
                                        ; implicit-def: $sgpr0
	s_cbranch_execz .LBB235_70
; %bb.69:
	s_mov_b64 s[2:3], -1
	s_mov_b32 s0, 0
.LBB235_70:
	s_andn2_b64 vcc, exec, s[2:3]
	s_cbranch_vccnz .LBB235_73
; %bb.71:
	s_mov_b32 s1, 0
	v_lshl_add_u64 v[2:3], v[2:3], 0, s[0:1]
	s_sub_i32 s2, s12, s0
	v_lshl_add_u64 v[2:3], v[2:3], 2, s[20:21]
.LBB235_72:                             ; =>This Inner Loop Header: Depth=1
	global_load_dword v1, v[2:3], off
	s_add_i32 s2, s2, -1
	s_cmp_lg_u32 s2, 0
	s_waitcnt vmcnt(0)
	v_mul_f32_e32 v1, v0, v1
	global_store_dword v[2:3], v1, off
	v_lshl_add_u64 v[2:3], v[2:3], 0, 4
	s_cbranch_scc1 .LBB235_72
.LBB235_73:
	s_endpgm
	.section	.rodata,"a",@progbits
	.p2align	6, 0x0
	.amdhsa_kernel _ZN4vllm3moe22topkGatingSoftplusSqrtILi14ELi448ELi4ELi2ELi32ELb0Ei6__halfEEvPKT6_PKbPfiPT5_PiiiibdPKfPKS9_SF_
		.amdhsa_group_segment_fixed_size 0
		.amdhsa_private_segment_fixed_size 0
		.amdhsa_kernarg_size 96
		.amdhsa_user_sgpr_count 2
		.amdhsa_user_sgpr_dispatch_ptr 0
		.amdhsa_user_sgpr_queue_ptr 0
		.amdhsa_user_sgpr_kernarg_segment_ptr 1
		.amdhsa_user_sgpr_dispatch_id 0
		.amdhsa_user_sgpr_kernarg_preload_length 0
		.amdhsa_user_sgpr_kernarg_preload_offset 0
		.amdhsa_user_sgpr_private_segment_size 0
		.amdhsa_uses_dynamic_stack 0
		.amdhsa_enable_private_segment 0
		.amdhsa_system_sgpr_workgroup_id_x 1
		.amdhsa_system_sgpr_workgroup_id_y 0
		.amdhsa_system_sgpr_workgroup_id_z 0
		.amdhsa_system_sgpr_workgroup_info 0
		.amdhsa_system_vgpr_workitem_id 1
		.amdhsa_next_free_vgpr 46
		.amdhsa_next_free_sgpr 32
		.amdhsa_accum_offset 48
		.amdhsa_reserve_vcc 1
		.amdhsa_float_round_mode_32 0
		.amdhsa_float_round_mode_16_64 0
		.amdhsa_float_denorm_mode_32 3
		.amdhsa_float_denorm_mode_16_64 3
		.amdhsa_dx10_clamp 1
		.amdhsa_ieee_mode 1
		.amdhsa_fp16_overflow 0
		.amdhsa_tg_split 0
		.amdhsa_exception_fp_ieee_invalid_op 0
		.amdhsa_exception_fp_denorm_src 0
		.amdhsa_exception_fp_ieee_div_zero 0
		.amdhsa_exception_fp_ieee_overflow 0
		.amdhsa_exception_fp_ieee_underflow 0
		.amdhsa_exception_fp_ieee_inexact 0
		.amdhsa_exception_int_div_zero 0
	.end_amdhsa_kernel
	.section	.text._ZN4vllm3moe22topkGatingSoftplusSqrtILi14ELi448ELi4ELi2ELi32ELb0Ei6__halfEEvPKT6_PKbPfiPT5_PiiiibdPKfPKS9_SF_,"axG",@progbits,_ZN4vllm3moe22topkGatingSoftplusSqrtILi14ELi448ELi4ELi2ELi32ELb0Ei6__halfEEvPKT6_PKbPfiPT5_PiiiibdPKfPKS9_SF_,comdat
.Lfunc_end235:
	.size	_ZN4vllm3moe22topkGatingSoftplusSqrtILi14ELi448ELi4ELi2ELi32ELb0Ei6__halfEEvPKT6_PKbPfiPT5_PiiiibdPKfPKS9_SF_, .Lfunc_end235-_ZN4vllm3moe22topkGatingSoftplusSqrtILi14ELi448ELi4ELi2ELi32ELb0Ei6__halfEEvPKT6_PKbPfiPT5_PiiiibdPKfPKS9_SF_
                                        ; -- End function
	.section	.AMDGPU.csdata,"",@progbits
; Kernel info:
; codeLenInByte = 6308
; NumSgprs: 38
; NumVgprs: 46
; NumAgprs: 0
; TotalNumVgprs: 46
; ScratchSize: 0
; MemoryBound: 0
; FloatMode: 240
; IeeeMode: 1
; LDSByteSize: 0 bytes/workgroup (compile time only)
; SGPRBlocks: 4
; VGPRBlocks: 5
; NumSGPRsForWavesPerEU: 38
; NumVGPRsForWavesPerEU: 46
; AccumOffset: 48
; Occupancy: 8
; WaveLimiterHint : 0
; COMPUTE_PGM_RSRC2:SCRATCH_EN: 0
; COMPUTE_PGM_RSRC2:USER_SGPR: 2
; COMPUTE_PGM_RSRC2:TRAP_HANDLER: 0
; COMPUTE_PGM_RSRC2:TGID_X_EN: 1
; COMPUTE_PGM_RSRC2:TGID_Y_EN: 0
; COMPUTE_PGM_RSRC2:TGID_Z_EN: 0
; COMPUTE_PGM_RSRC2:TIDIG_COMP_CNT: 1
; COMPUTE_PGM_RSRC3_GFX90A:ACCUM_OFFSET: 11
; COMPUTE_PGM_RSRC3_GFX90A:TG_SPLIT: 0
	.section	.text._ZN4vllm3moe22topkGatingSoftplusSqrtILi9ELi576ELi4ELi2ELi64ELb1Ei6__halfEEvPKT6_PKbPfiPT5_PiiiibdPKfPKS9_SF_,"axG",@progbits,_ZN4vllm3moe22topkGatingSoftplusSqrtILi9ELi576ELi4ELi2ELi64ELb1Ei6__halfEEvPKT6_PKbPfiPT5_PiiiibdPKfPKS9_SF_,comdat
	.protected	_ZN4vllm3moe22topkGatingSoftplusSqrtILi9ELi576ELi4ELi2ELi64ELb1Ei6__halfEEvPKT6_PKbPfiPT5_PiiiibdPKfPKS9_SF_ ; -- Begin function _ZN4vllm3moe22topkGatingSoftplusSqrtILi9ELi576ELi4ELi2ELi64ELb1Ei6__halfEEvPKT6_PKbPfiPT5_PiiiibdPKfPKS9_SF_
	.globl	_ZN4vllm3moe22topkGatingSoftplusSqrtILi9ELi576ELi4ELi2ELi64ELb1Ei6__halfEEvPKT6_PKbPfiPT5_PiiiibdPKfPKS9_SF_
	.p2align	8
	.type	_ZN4vllm3moe22topkGatingSoftplusSqrtILi9ELi576ELi4ELi2ELi64ELb1Ei6__halfEEvPKT6_PKbPfiPT5_PiiiibdPKfPKS9_SF_,@function
_ZN4vllm3moe22topkGatingSoftplusSqrtILi9ELi576ELi4ELi2ELi64ELb1Ei6__halfEEvPKT6_PKbPfiPT5_PiiiibdPKfPKS9_SF_: ; @_ZN4vllm3moe22topkGatingSoftplusSqrtILi9ELi576ELi4ELi2ELi64ELb1Ei6__halfEEvPKT6_PKbPfiPT5_PiiiibdPKfPKS9_SF_
; %bb.0:
	s_load_dword s3, s[0:1], 0x18
	v_and_b32_e32 v1, 0x3ff, v0
	s_lshl_b32 s2, s2, 2
	v_lshrrev_b32_e32 v2, 6, v1
	v_bfe_u32 v0, v0, 10, 10
	v_add3_u32 v10, s2, v0, v2
	s_waitcnt lgkmcnt(0)
	v_cmp_gt_i32_e32 vcc, s3, v10
	s_and_saveexec_b64 s[2:3], vcc
	s_cbranch_execz .LBB236_31
; %bb.1:
	s_load_dwordx4 s[4:7], s[0:1], 0x50
	s_load_dwordx2 s[2:3], s[0:1], 0x0
	s_load_dword s33, s[0:1], 0x30
	s_movk_i32 s8, 0x240
	v_mul_lo_u32 v4, v10, s8
	v_ashrrev_i32_e32 v5, 31, v4
	v_and_b32_e32 v20, 63, v1
	s_waitcnt lgkmcnt(0)
	v_lshl_add_u64 v[4:5], v[4:5], 1, s[2:3]
	v_lshlrev_b32_e32 v8, 1, v20
	v_mov_b32_e32 v9, 0
	v_mov_b32_e32 v2, s4
	;; [unrolled: 1-line block ×3, first 2 shown]
	v_lshl_add_u64 v[0:1], v[4:5], 0, v[8:9]
	v_ashrrev_i32_e32 v11, 31, v10
	global_load_ushort v4, v[0:1], off
	global_load_ushort v5, v[0:1], off offset:128
	global_load_ushort v6, v[0:1], off offset:256
	;; [unrolled: 1-line block ×8, first 2 shown]
	v_lshl_add_u64 v[0:1], v[10:11], 2, v[2:3]
	global_load_dword v0, v[0:1], off
	s_mov_b32 s11, 0x800000
	v_mov_b32_e32 v11, 0x4f800000
	s_mov_b32 s10, 0x3f317217
	s_mov_b32 s12, 0x7f800000
	v_mov_b32_e32 v18, 0x41b17218
	s_movk_i32 s9, 0x4d00
	s_mov_b32 s13, 0xf800000
	v_mov_b32_e32 v19, 0x260
	s_cmp_gt_i32 s33, 0
	s_mov_b32 s8, 0
	v_mul_lo_u32 v10, v10, s33
	s_waitcnt vmcnt(9)
	v_cvt_f32_f16_e32 v1, v4
	s_waitcnt vmcnt(8)
	v_cvt_f32_f16_e32 v2, v5
	s_waitcnt vmcnt(7)
	v_cvt_f32_f16_e32 v3, v6
	s_waitcnt vmcnt(6)
	v_cvt_f32_f16_e32 v21, v7
	s_waitcnt vmcnt(5)
	v_cvt_f32_f16_e32 v22, v8
	v_mul_f32_e32 v13, 0x3fb8aa3b, v2
	v_mul_f32_e32 v27, 0x3fb8aa3b, v3
	v_exp_f32_e32 v28, v13
	v_exp_f32_e32 v27, v27
	s_waitcnt vmcnt(4)
	v_cvt_f32_f16_e32 v23, v14
	s_waitcnt vmcnt(0)
	v_mul_lo_u32 v12, v0, s33
	v_mul_f32_e32 v0, 0x3fb8aa3b, v1
	v_exp_f32_e32 v0, v0
	v_add_f32_e32 v28, 1.0, v28
	v_add_f32_e32 v27, 1.0, v27
	v_cmp_gt_f32_e64 s[2:3], s11, v28
	v_add_f32_e32 v0, 1.0, v0
	v_cmp_gt_f32_e32 vcc, s11, v0
	v_cndmask_b32_e64 v30, 1.0, v11, s[2:3]
	v_cmp_gt_f32_e64 s[4:5], s11, v27
	v_cndmask_b32_e32 v29, 1.0, v11, vcc
	v_mul_f32_e32 v0, v0, v29
	v_cndmask_b32_e64 v31, 1.0, v11, s[4:5]
	v_mul_f32_e32 v28, v28, v30
	v_log_f32_e32 v0, v0
	v_mul_f32_e32 v27, v27, v31
	v_log_f32_e32 v28, v28
	v_log_f32_e32 v27, v27
	v_mul_f32_e32 v32, 0x3f317217, v0
	v_fma_f32 v32, v0, s10, -v32
	v_mul_f32_e32 v33, 0x3f317217, v28
	v_mul_f32_e32 v34, 0x3f317217, v27
	v_fma_f32 v33, v28, s10, -v33
	v_fmac_f32_e32 v32, 0x3377d1cf, v0
	v_cndmask_b32_e32 v29, 0, v18, vcc
	v_fma_f32 v34, v27, s10, -v34
	v_fmac_f32_e32 v33, 0x3377d1cf, v28
	v_fmac_f32_e32 v32, 0x3f317217, v0
	v_cmp_lt_f32_e64 vcc, |v0|, s12
	v_fmac_f32_e32 v34, 0x3377d1cf, v27
	v_fmac_f32_e32 v33, 0x3f317217, v28
	v_cndmask_b32_e32 v0, v0, v32, vcc
	v_cmp_lt_f32_e64 vcc, |v28|, s12
	v_fmac_f32_e32 v34, 0x3f317217, v27
	v_cndmask_b32_e64 v30, 0, v18, s[2:3]
	v_cndmask_b32_e32 v28, v28, v33, vcc
	v_cmp_lt_f32_e64 vcc, |v27|, s12
	v_sub_f32_e32 v0, v0, v29
	v_sub_f32_e32 v28, v28, v30
	v_cndmask_b32_e32 v27, v27, v34, vcc
	v_cmp_lt_f16_e32 vcc, s9, v4
	v_cndmask_b32_e64 v31, 0, v18, s[4:5]
	v_cvt_f32_f16_e32 v24, v15
	v_cndmask_b32_e32 v0, v0, v1, vcc
	v_cmp_lt_f16_e32 vcc, s9, v5
	v_sub_f32_e32 v5, v27, v31
	v_cvt_f32_f16_e32 v25, v16
	v_cndmask_b32_e32 v1, v28, v2, vcc
	v_mul_f32_e32 v2, 0x4f800000, v0
	v_cmp_gt_f32_e32 vcc, s13, v0
	v_mul_f32_e32 v4, 0x4f800000, v1
	v_cmp_gt_f32_e64 s[2:3], s13, v1
	v_cndmask_b32_e32 v0, v0, v2, vcc
	v_sqrt_f32_e32 v2, v0
	v_cndmask_b32_e64 v1, v1, v4, s[2:3]
	v_sqrt_f32_e32 v4, v1
	v_cvt_f32_f16_e32 v26, v17
	v_add_u32_e32 v27, -1, v2
	v_fma_f32 v31, -v27, v2, v0
	v_add_u32_e32 v29, -1, v4
	v_add_u32_e32 v28, 1, v2
	v_fma_f32 v33, -v29, v4, v1
	v_cmp_ge_f32_e64 s[4:5], 0, v31
	v_add_u32_e32 v30, 1, v4
	v_fma_f32 v32, -v28, v2, v0
	v_cndmask_b32_e64 v2, v2, v27, s[4:5]
	v_cmp_ge_f32_e64 s[4:5], 0, v33
	v_fma_f32 v34, -v30, v4, v1
	v_ashrrev_i32_e32 v13, 31, v12
	v_cndmask_b32_e64 v4, v4, v29, s[4:5]
	v_cmp_lt_f32_e64 s[4:5], 0, v32
	v_lshl_add_u64 v[12:13], v[12:13], 2, s[6:7]
	s_nop 0
	v_cndmask_b32_e64 v2, v2, v28, s[4:5]
	v_mul_f32_e32 v27, 0x37800000, v2
	v_cndmask_b32_e32 v2, v2, v27, vcc
	v_cmp_class_f32_e32 vcc, v0, v19
	v_cmp_lt_f32_e64 s[4:5], 0, v34
	s_nop 0
	v_cndmask_b32_e32 v0, v2, v0, vcc
	v_cmp_lt_f16_e32 vcc, s9, v6
	v_cndmask_b32_e64 v4, v4, v30, s[4:5]
	v_mul_f32_e32 v6, 0x3fb8aa3b, v21
	v_cndmask_b32_e32 v2, v5, v3, vcc
	v_mul_f32_e32 v3, 0x4f800000, v2
	v_cmp_gt_f32_e32 vcc, s13, v2
	v_mul_f32_e32 v28, 0x37800000, v4
	v_exp_f32_e32 v6, v6
	v_cndmask_b32_e32 v2, v2, v3, vcc
	v_sqrt_f32_e32 v3, v2
	v_cndmask_b32_e64 v4, v4, v28, s[2:3]
	v_cmp_class_f32_e64 s[2:3], v1, v19
	v_add_f32_e32 v6, 1.0, v6
	s_nop 0
	v_cndmask_b32_e64 v1, v4, v1, s[2:3]
	v_add_u32_e32 v4, -1, v3
	v_fma_f32 v5, -v4, v3, v2
	v_cmp_ge_f32_e64 s[2:3], 0, v5
	v_add_u32_e32 v5, 1, v3
	s_nop 0
	v_cndmask_b32_e64 v4, v3, v4, s[2:3]
	v_cmp_gt_f32_e64 s[2:3], s11, v6
	v_fma_f32 v3, -v5, v3, v2
	v_cmp_lt_f32_e64 s[4:5], 0, v3
	v_cndmask_b32_e64 v27, 1.0, v11, s[2:3]
	v_mul_f32_e32 v6, v6, v27
	v_log_f32_e32 v6, v6
	v_cndmask_b32_e64 v3, v4, v5, s[4:5]
	v_mul_f32_e32 v4, 0x37800000, v3
	v_cndmask_b32_e32 v3, v3, v4, vcc
	v_mul_f32_e32 v5, 0x3f317217, v6
	v_fma_f32 v5, v6, s10, -v5
	v_fmac_f32_e32 v5, 0x3377d1cf, v6
	v_fmac_f32_e32 v5, 0x3f317217, v6
	v_cmp_lt_f32_e64 s[4:5], |v6|, s12
	v_cmp_class_f32_e32 vcc, v2, v19
	s_nop 0
	v_cndmask_b32_e64 v5, v6, v5, s[4:5]
	v_cndmask_b32_e64 v6, 0, v18, s[2:3]
	v_sub_f32_e32 v5, v5, v6
	v_cmp_lt_f16_e64 s[2:3], s9, v7
	v_mul_f32_e32 v7, 0x3fb8aa3b, v22
	v_exp_f32_e32 v7, v7
	v_cndmask_b32_e64 v5, v5, v21, s[2:3]
	v_mul_f32_e32 v6, 0x4f800000, v5
	v_cmp_gt_f32_e64 s[2:3], s13, v5
	v_cndmask_b32_e32 v2, v3, v2, vcc
	v_add_f32_e32 v7, 1.0, v7
	v_cndmask_b32_e64 v5, v5, v6, s[2:3]
	v_sqrt_f32_e32 v6, v5
	s_nop 0
	v_add_u32_e32 v3, -1, v6
	v_fma_f32 v4, -v3, v6, v5
	v_cmp_ge_f32_e32 vcc, 0, v4
	v_add_u32_e32 v4, 1, v6
	s_nop 0
	v_cndmask_b32_e32 v3, v6, v3, vcc
	v_cmp_gt_f32_e32 vcc, s11, v7
	v_fma_f32 v6, -v4, v6, v5
	v_cmp_lt_f32_e64 s[4:5], 0, v6
	v_cndmask_b32_e32 v21, 1.0, v11, vcc
	v_mul_f32_e32 v7, v7, v21
	v_log_f32_e32 v7, v7
	v_cndmask_b32_e64 v3, v3, v4, s[4:5]
	v_mul_f32_e32 v4, 0x37800000, v3
	v_cndmask_b32_e64 v3, v3, v4, s[2:3]
	v_mul_f32_e32 v6, 0x3f317217, v7
	v_fma_f32 v6, v7, s10, -v6
	v_fmac_f32_e32 v6, 0x3377d1cf, v7
	v_fmac_f32_e32 v6, 0x3f317217, v7
	v_cmp_lt_f32_e64 s[4:5], |v7|, s12
	v_cmp_class_f32_e64 s[2:3], v5, v19
	s_nop 0
	v_cndmask_b32_e64 v6, v7, v6, s[4:5]
	v_cndmask_b32_e32 v7, 0, v18, vcc
	v_sub_f32_e32 v6, v6, v7
	v_cmp_lt_f16_e32 vcc, s9, v8
	v_mul_f32_e32 v8, 0x3fb8aa3b, v23
	v_exp_f32_e32 v8, v8
	v_cndmask_b32_e32 v6, v6, v22, vcc
	v_mul_f32_e32 v7, 0x4f800000, v6
	v_cmp_gt_f32_e32 vcc, s13, v6
	v_cndmask_b32_e64 v3, v3, v5, s[2:3]
	v_add_f32_e32 v8, 1.0, v8
	v_cndmask_b32_e32 v6, v6, v7, vcc
	v_sqrt_f32_e32 v7, v6
	s_nop 0
	v_add_u32_e32 v4, -1, v7
	v_fma_f32 v5, -v4, v7, v6
	v_cmp_ge_f32_e64 s[2:3], 0, v5
	v_add_u32_e32 v5, 1, v7
	s_nop 0
	v_cndmask_b32_e64 v4, v7, v4, s[2:3]
	v_cmp_gt_f32_e64 s[2:3], s11, v8
	v_fma_f32 v7, -v5, v7, v6
	v_cmp_lt_f32_e64 s[4:5], 0, v7
	v_cndmask_b32_e64 v21, 1.0, v11, s[2:3]
	v_mul_f32_e32 v8, v8, v21
	v_log_f32_e32 v8, v8
	v_cndmask_b32_e64 v4, v4, v5, s[4:5]
	v_mul_f32_e32 v5, 0x37800000, v4
	v_cndmask_b32_e32 v4, v4, v5, vcc
	v_mul_f32_e32 v7, 0x3f317217, v8
	v_fma_f32 v7, v8, s10, -v7
	v_fmac_f32_e32 v7, 0x3377d1cf, v8
	v_fmac_f32_e32 v7, 0x3f317217, v8
	v_cmp_lt_f32_e64 s[4:5], |v8|, s12
	v_cmp_class_f32_e32 vcc, v6, v19
	s_nop 0
	v_cndmask_b32_e64 v7, v8, v7, s[4:5]
	v_cndmask_b32_e64 v8, 0, v18, s[2:3]
	v_sub_f32_e32 v7, v7, v8
	v_cmp_lt_f16_e64 s[2:3], s9, v14
	v_mul_f32_e32 v14, 0x3fb8aa3b, v24
	v_exp_f32_e32 v14, v14
	v_cndmask_b32_e64 v7, v7, v23, s[2:3]
	v_mul_f32_e32 v8, 0x4f800000, v7
	v_cmp_gt_f32_e64 s[2:3], s13, v7
	v_cndmask_b32_e32 v4, v4, v6, vcc
	v_add_f32_e32 v14, 1.0, v14
	v_cndmask_b32_e64 v7, v7, v8, s[2:3]
	v_sqrt_f32_e32 v8, v7
	s_nop 0
	v_add_u32_e32 v5, -1, v8
	v_fma_f32 v6, -v5, v8, v7
	v_cmp_ge_f32_e32 vcc, 0, v6
	v_add_u32_e32 v6, 1, v8
	s_nop 0
	v_cndmask_b32_e32 v5, v8, v5, vcc
	v_cmp_gt_f32_e32 vcc, s11, v14
	v_fma_f32 v8, -v6, v8, v7
	v_cmp_lt_f32_e64 s[4:5], 0, v8
	v_cndmask_b32_e32 v21, 1.0, v11, vcc
	v_mul_f32_e32 v14, v14, v21
	v_log_f32_e32 v14, v14
	v_cndmask_b32_e64 v5, v5, v6, s[4:5]
	v_mul_f32_e32 v6, 0x37800000, v5
	v_cndmask_b32_e64 v5, v5, v6, s[2:3]
	v_mul_f32_e32 v8, 0x3f317217, v14
	v_fma_f32 v8, v14, s10, -v8
	v_fmac_f32_e32 v8, 0x3377d1cf, v14
	v_fmac_f32_e32 v8, 0x3f317217, v14
	v_cmp_lt_f32_e64 s[4:5], |v14|, s12
	v_cmp_class_f32_e64 s[2:3], v7, v19
	s_nop 0
	v_cndmask_b32_e64 v8, v14, v8, s[4:5]
	v_cndmask_b32_e32 v14, 0, v18, vcc
	v_sub_f32_e32 v8, v8, v14
	v_cmp_lt_f16_e32 vcc, s9, v15
	v_mul_f32_e32 v15, 0x3fb8aa3b, v25
	v_exp_f32_e32 v15, v15
	v_cndmask_b32_e32 v8, v8, v24, vcc
	v_mul_f32_e32 v14, 0x4f800000, v8
	v_cmp_gt_f32_e32 vcc, s13, v8
	v_cndmask_b32_e64 v5, v5, v7, s[2:3]
	v_add_f32_e32 v15, 1.0, v15
	v_cndmask_b32_e32 v8, v8, v14, vcc
	v_sqrt_f32_e32 v14, v8
	s_nop 0
	v_add_u32_e32 v6, -1, v14
	v_fma_f32 v7, -v6, v14, v8
	v_cmp_ge_f32_e64 s[2:3], 0, v7
	v_add_u32_e32 v7, 1, v14
	s_nop 0
	v_cndmask_b32_e64 v6, v14, v6, s[2:3]
	v_cmp_gt_f32_e64 s[2:3], s11, v15
	v_fma_f32 v14, -v7, v14, v8
	v_cmp_lt_f32_e64 s[4:5], 0, v14
	v_cndmask_b32_e64 v21, 1.0, v11, s[2:3]
	v_mul_f32_e32 v15, v15, v21
	v_log_f32_e32 v15, v15
	v_cndmask_b32_e64 v6, v6, v7, s[4:5]
	v_mul_f32_e32 v7, 0x37800000, v6
	v_cndmask_b32_e32 v6, v6, v7, vcc
	v_mul_f32_e32 v14, 0x3f317217, v15
	v_fma_f32 v14, v15, s10, -v14
	v_fmac_f32_e32 v14, 0x3377d1cf, v15
	v_fmac_f32_e32 v14, 0x3f317217, v15
	v_cmp_lt_f32_e64 s[4:5], |v15|, s12
	v_cmp_class_f32_e32 vcc, v8, v19
	s_nop 0
	v_cndmask_b32_e64 v14, v15, v14, s[4:5]
	v_cndmask_b32_e64 v15, 0, v18, s[2:3]
	v_sub_f32_e32 v14, v14, v15
	v_cmp_lt_f16_e64 s[2:3], s9, v16
	v_mul_f32_e32 v16, 0x3fb8aa3b, v26
	v_exp_f32_e32 v16, v16
	v_cndmask_b32_e64 v14, v14, v25, s[2:3]
	v_mul_f32_e32 v15, 0x4f800000, v14
	v_cmp_gt_f32_e64 s[2:3], s13, v14
	v_cndmask_b32_e32 v6, v6, v8, vcc
	v_add_f32_e32 v16, 1.0, v16
	v_cndmask_b32_e64 v14, v14, v15, s[2:3]
	v_sqrt_f32_e32 v15, v14
	s_nop 0
	v_add_u32_e32 v7, -1, v15
	v_fma_f32 v8, -v7, v15, v14
	v_cmp_ge_f32_e32 vcc, 0, v8
	v_add_u32_e32 v8, 1, v15
	s_nop 0
	v_cndmask_b32_e32 v7, v15, v7, vcc
	v_cmp_gt_f32_e32 vcc, s11, v16
	v_fma_f32 v15, -v8, v15, v14
	v_cmp_lt_f32_e64 s[4:5], 0, v15
	v_cndmask_b32_e32 v11, 1.0, v11, vcc
	v_mul_f32_e32 v11, v16, v11
	v_log_f32_e32 v11, v11
	v_cndmask_b32_e64 v7, v7, v8, s[4:5]
	v_mul_f32_e32 v8, 0x37800000, v7
	v_cndmask_b32_e64 v7, v7, v8, s[2:3]
	v_mul_f32_e32 v15, 0x3f317217, v11
	v_fma_f32 v15, v11, s10, -v15
	v_fmac_f32_e32 v15, 0x3377d1cf, v11
	v_fmac_f32_e32 v15, 0x3f317217, v11
	v_cmp_lt_f32_e64 s[4:5], |v11|, s12
	v_cmp_class_f32_e64 s[2:3], v14, v19
	s_nop 0
	v_cndmask_b32_e64 v11, v11, v15, s[4:5]
	v_cndmask_b32_e32 v15, 0, v18, vcc
	v_sub_f32_e32 v11, v11, v15
	v_cmp_lt_f16_e32 vcc, s9, v17
	v_cndmask_b32_e64 v7, v7, v14, s[2:3]
	s_cselect_b64 s[4:5], -1, 0
	v_cndmask_b32_e32 v11, v11, v26, vcc
	v_mul_f32_e32 v15, 0x4f800000, v11
	v_cmp_gt_f32_e32 vcc, s13, v11
	s_cmp_lt_i32 s33, 1
	s_nop 0
	v_cndmask_b32_e32 v11, v11, v15, vcc
	v_sqrt_f32_e32 v15, v11
	s_nop 0
	v_add_u32_e32 v8, -1, v15
	v_fma_f32 v14, -v8, v15, v11
	v_cmp_ge_f32_e64 s[2:3], 0, v14
	v_add_u32_e32 v14, 1, v15
	s_nop 0
	v_cndmask_b32_e64 v8, v15, v8, s[2:3]
	v_fma_f32 v15, -v14, v15, v11
	v_cmp_lt_f32_e64 s[2:3], 0, v15
	s_nop 1
	v_cndmask_b32_e64 v8, v8, v14, s[2:3]
	v_mul_f32_e32 v14, 0x37800000, v8
	v_cndmask_b32_e32 v8, v8, v14, vcc
	v_cmp_class_f32_e32 vcc, v11, v19
	s_nop 1
	v_cndmask_b32_e32 v8, v8, v11, vcc
	s_cbranch_scc1 .LBB236_28
; %bb.2:
	s_load_dwordx2 s[6:7], s[0:1], 0x20
	s_cmp_lt_u32 s33, 4
	s_cbranch_scc1 .LBB236_21
; %bb.3:
	s_mov_b32 s11, 0
	s_and_b32 s8, s33, 0x7ffffffc
	v_ashrrev_i32_e32 v11, 31, v10
	v_mov_b32_e32 v9, 0
	s_mov_b32 s10, s11
	s_branch .LBB236_5
.LBB236_4:                              ;   in Loop: Header=BB236_5 Depth=1
	s_or_b64 exec, exec, s[12:13]
	s_add_i32 s10, s10, 4
	s_cmp_eq_u32 s10, s8
	s_cbranch_scc1 .LBB236_21
.LBB236_5:                              ; =>This Loop Header: Depth=1
                                        ;     Child Loop BB236_7 Depth 2
                                        ;     Child Loop BB236_11 Depth 2
	;; [unrolled: 1-line block ×4, first 2 shown]
	v_lshl_add_u64 v[14:15], s[10:11], 2, v[12:13]
	global_load_dword v18, v[14:15], off
	v_add_u32_e32 v16, s10, v10
	v_ashrrev_i32_e32 v17, 31, v16
	s_waitcnt lgkmcnt(0)
	v_lshl_add_u64 v[16:17], v[16:17], 2, s[6:7]
	s_mov_b64 s[12:13], 0
	v_mov_b32_e32 v19, v20
	s_mov_b64 s[14:15], 0
	s_waitcnt vmcnt(0)
	s_branch .LBB236_7
.LBB236_6:                              ;   in Loop: Header=BB236_7 Depth=2
	s_or_b64 exec, exec, s[16:17]
	s_cmp_gt_u32 s14, 7
	s_cselect_b64 s[2:3], -1, 0
	s_xor_b64 s[16:17], vcc, -1
	s_or_b64 s[2:3], s[16:17], s[2:3]
	s_add_u32 s14, s14, 1
	s_addc_u32 s15, s15, 0
	s_and_b64 s[2:3], exec, s[2:3]
	s_or_b64 s[12:13], s[2:3], s[12:13]
	v_add_u32_e32 v19, 64, v19
	s_andn2_b64 exec, exec, s[12:13]
	s_cbranch_execz .LBB236_9
.LBB236_7:                              ;   Parent Loop BB236_5 Depth=1
                                        ; =>  This Inner Loop Header: Depth=2
	v_cmp_ne_u32_e32 vcc, v18, v19
	v_cmp_eq_u32_e64 s[2:3], v18, v19
	s_and_saveexec_b64 s[16:17], s[2:3]
	s_cbranch_execz .LBB236_6
; %bb.8:                                ;   in Loop: Header=BB236_7 Depth=2
	s_set_gpr_idx_on s14, gpr_idx(SRC0)
	v_mov_b32_e32 v21, v0
	s_set_gpr_idx_off
	v_add_f32_e32 v9, v9, v21
	global_store_dword v[16:17], v18, off
	s_branch .LBB236_6
.LBB236_9:                              ;   in Loop: Header=BB236_5 Depth=1
	s_or_b64 exec, exec, s[12:13]
	global_load_dword v18, v[14:15], off offset:4
	s_ashr_i32 s3, s10, 31
	s_mov_b32 s2, s10
	v_lshl_add_u64 v[16:17], s[2:3], 0, v[10:11]
	v_lshl_add_u64 v[16:17], v[16:17], 2, s[6:7]
	s_mov_b64 s[12:13], 0
	v_mov_b32_e32 v19, v20
	s_mov_b64 s[14:15], 0
	s_waitcnt vmcnt(0)
	s_branch .LBB236_11
.LBB236_10:                             ;   in Loop: Header=BB236_11 Depth=2
	s_or_b64 exec, exec, s[16:17]
	s_cmp_gt_u32 s14, 7
	s_cselect_b64 s[2:3], -1, 0
	s_xor_b64 s[16:17], vcc, -1
	s_or_b64 s[2:3], s[16:17], s[2:3]
	s_add_u32 s14, s14, 1
	s_addc_u32 s15, s15, 0
	s_and_b64 s[2:3], exec, s[2:3]
	s_or_b64 s[12:13], s[2:3], s[12:13]
	v_add_u32_e32 v19, 64, v19
	s_andn2_b64 exec, exec, s[12:13]
	s_cbranch_execz .LBB236_13
.LBB236_11:                             ;   Parent Loop BB236_5 Depth=1
                                        ; =>  This Inner Loop Header: Depth=2
	v_cmp_ne_u32_e32 vcc, v18, v19
	v_cmp_eq_u32_e64 s[2:3], v18, v19
	s_and_saveexec_b64 s[16:17], s[2:3]
	s_cbranch_execz .LBB236_10
; %bb.12:                               ;   in Loop: Header=BB236_11 Depth=2
	s_set_gpr_idx_on s14, gpr_idx(SRC0)
	v_mov_b32_e32 v21, v0
	s_set_gpr_idx_off
	v_add_f32_e32 v9, v9, v21
	global_store_dword v[16:17], v18, off offset:4
	s_branch .LBB236_10
.LBB236_13:                             ;   in Loop: Header=BB236_5 Depth=1
	s_or_b64 exec, exec, s[12:13]
	global_load_dword v18, v[14:15], off offset:8
	s_mov_b64 s[12:13], 0
	v_mov_b32_e32 v19, v20
	s_mov_b64 s[14:15], 0
	s_waitcnt vmcnt(0)
	s_branch .LBB236_15
.LBB236_14:                             ;   in Loop: Header=BB236_15 Depth=2
	s_or_b64 exec, exec, s[16:17]
	s_cmp_gt_u32 s14, 7
	s_cselect_b64 s[2:3], -1, 0
	s_xor_b64 s[16:17], vcc, -1
	s_or_b64 s[2:3], s[16:17], s[2:3]
	s_add_u32 s14, s14, 1
	s_addc_u32 s15, s15, 0
	s_and_b64 s[2:3], exec, s[2:3]
	s_or_b64 s[12:13], s[2:3], s[12:13]
	v_add_u32_e32 v19, 64, v19
	s_andn2_b64 exec, exec, s[12:13]
	s_cbranch_execz .LBB236_17
.LBB236_15:                             ;   Parent Loop BB236_5 Depth=1
                                        ; =>  This Inner Loop Header: Depth=2
	v_cmp_ne_u32_e32 vcc, v18, v19
	v_cmp_eq_u32_e64 s[2:3], v18, v19
	s_and_saveexec_b64 s[16:17], s[2:3]
	s_cbranch_execz .LBB236_14
; %bb.16:                               ;   in Loop: Header=BB236_15 Depth=2
	s_set_gpr_idx_on s14, gpr_idx(SRC0)
	v_mov_b32_e32 v21, v0
	s_set_gpr_idx_off
	v_add_f32_e32 v9, v9, v21
	global_store_dword v[16:17], v18, off offset:8
	s_branch .LBB236_14
.LBB236_17:                             ;   in Loop: Header=BB236_5 Depth=1
	s_or_b64 exec, exec, s[12:13]
	global_load_dword v14, v[14:15], off offset:12
	s_mov_b64 s[12:13], 0
	v_mov_b32_e32 v15, v20
	s_mov_b64 s[14:15], 0
	s_waitcnt vmcnt(0)
	s_branch .LBB236_19
.LBB236_18:                             ;   in Loop: Header=BB236_19 Depth=2
	s_or_b64 exec, exec, s[16:17]
	s_cmp_gt_u32 s14, 7
	s_cselect_b64 s[2:3], -1, 0
	s_xor_b64 s[16:17], vcc, -1
	s_or_b64 s[2:3], s[16:17], s[2:3]
	s_add_u32 s14, s14, 1
	s_addc_u32 s15, s15, 0
	s_and_b64 s[2:3], exec, s[2:3]
	s_or_b64 s[12:13], s[2:3], s[12:13]
	v_add_u32_e32 v15, 64, v15
	s_andn2_b64 exec, exec, s[12:13]
	s_cbranch_execz .LBB236_4
.LBB236_19:                             ;   Parent Loop BB236_5 Depth=1
                                        ; =>  This Inner Loop Header: Depth=2
	v_cmp_ne_u32_e32 vcc, v14, v15
	v_cmp_eq_u32_e64 s[2:3], v14, v15
	s_and_saveexec_b64 s[16:17], s[2:3]
	s_cbranch_execz .LBB236_18
; %bb.20:                               ;   in Loop: Header=BB236_19 Depth=2
	s_set_gpr_idx_on s14, gpr_idx(SRC0)
	v_mov_b32_e32 v18, v0
	s_set_gpr_idx_off
	v_add_f32_e32 v9, v9, v18
	global_store_dword v[16:17], v14, off offset:12
	s_branch .LBB236_18
.LBB236_21:
	s_and_b32 s16, s33, 3
	s_cmp_eq_u32 s16, 0
	s_mov_b32 s9, 0
	s_cbranch_scc1 .LBB236_28
; %bb.22:
	s_mov_b32 s17, s9
	s_branch .LBB236_24
.LBB236_23:                             ;   in Loop: Header=BB236_24 Depth=1
	s_or_b64 exec, exec, s[10:11]
	s_add_i32 s8, s8, 1
	s_add_i32 s17, s17, 1
	s_cmp_lg_u32 s17, s16
	s_cbranch_scc0 .LBB236_28
.LBB236_24:                             ; =>This Loop Header: Depth=1
                                        ;     Child Loop BB236_26 Depth 2
	v_lshl_add_u64 v[14:15], s[8:9], 2, v[12:13]
	global_load_dword v11, v[14:15], off
	v_add_u32_e32 v14, s8, v10
	v_ashrrev_i32_e32 v15, 31, v14
	s_waitcnt lgkmcnt(0)
	v_lshl_add_u64 v[14:15], v[14:15], 2, s[6:7]
	s_mov_b64 s[10:11], 0
	v_mov_b32_e32 v16, v20
	s_mov_b64 s[12:13], 0
	s_waitcnt vmcnt(0)
	s_branch .LBB236_26
.LBB236_25:                             ;   in Loop: Header=BB236_26 Depth=2
	s_or_b64 exec, exec, s[14:15]
	s_cmp_gt_u32 s12, 7
	s_cselect_b64 s[2:3], -1, 0
	s_xor_b64 s[14:15], vcc, -1
	s_or_b64 s[2:3], s[14:15], s[2:3]
	s_add_u32 s12, s12, 1
	s_addc_u32 s13, s13, 0
	s_and_b64 s[2:3], exec, s[2:3]
	s_or_b64 s[10:11], s[2:3], s[10:11]
	v_add_u32_e32 v16, 64, v16
	s_andn2_b64 exec, exec, s[10:11]
	s_cbranch_execz .LBB236_23
.LBB236_26:                             ;   Parent Loop BB236_24 Depth=1
                                        ; =>  This Inner Loop Header: Depth=2
	v_cmp_ne_u32_e32 vcc, v11, v16
	v_cmp_eq_u32_e64 s[2:3], v11, v16
	s_and_saveexec_b64 s[14:15], s[2:3]
	s_cbranch_execz .LBB236_25
; %bb.27:                               ;   in Loop: Header=BB236_26 Depth=2
	s_set_gpr_idx_on s12, gpr_idx(SRC0)
	v_mov_b32_e32 v17, v0
	s_set_gpr_idx_off
	v_add_f32_e32 v9, v9, v17
	global_store_dword v[14:15], v11, off
	s_branch .LBB236_25
.LBB236_28:
	s_waitcnt lgkmcnt(0)
	s_load_dword s6, s[0:1], 0x3c
	s_waitcnt lgkmcnt(0)
	s_bitcmp1_b32 s6, 0
	s_cselect_b64 s[2:3], -1, 0
	s_bitcmp0_b32 s6, 0
	s_cbranch_scc0 .LBB236_32
; %bb.29:
	s_load_dwordx2 s[6:7], s[0:1], 0x40
	s_andn2_b64 vcc, exec, s[2:3]
	s_waitcnt lgkmcnt(0)
	v_cvt_f32_f64_e32 v21, s[6:7]
	s_cbranch_vccz .LBB236_33
.LBB236_30:
	s_andn2_b64 vcc, exec, s[4:5]
	s_cbranch_vccz .LBB236_34
.LBB236_31:
	s_endpgm
.LBB236_32:
	v_mbcnt_lo_u32_b32 v11, -1, 0
	v_mbcnt_hi_u32_b32 v11, -1, v11
	v_and_b32_e32 v14, 64, v11
	v_add_u32_e32 v14, 64, v14
	v_xor_b32_e32 v15, 32, v11
	v_cmp_lt_i32_e32 vcc, v15, v14
	v_xor_b32_e32 v16, 16, v11
	s_nop 0
	v_cndmask_b32_e32 v15, v11, v15, vcc
	v_lshlrev_b32_e32 v15, 2, v15
	ds_bpermute_b32 v15, v15, v9
	v_cmp_lt_i32_e32 vcc, v16, v14
	s_waitcnt lgkmcnt(0)
	v_add_f32_e32 v9, v9, v15
	v_cndmask_b32_e32 v15, v11, v16, vcc
	v_lshlrev_b32_e32 v15, 2, v15
	ds_bpermute_b32 v15, v15, v9
	v_xor_b32_e32 v16, 8, v11
	v_cmp_lt_i32_e32 vcc, v16, v14
	s_waitcnt lgkmcnt(0)
	v_add_f32_e32 v9, v9, v15
	v_cndmask_b32_e32 v15, v11, v16, vcc
	v_lshlrev_b32_e32 v15, 2, v15
	ds_bpermute_b32 v15, v15, v9
	v_xor_b32_e32 v16, 4, v11
	;; [unrolled: 7-line block ×4, first 2 shown]
	v_cmp_lt_i32_e32 vcc, v16, v14
	s_waitcnt lgkmcnt(0)
	v_add_f32_e32 v9, v9, v15
	v_cndmask_b32_e32 v11, v11, v16, vcc
	v_lshlrev_b32_e32 v11, 2, v11
	ds_bpermute_b32 v11, v11, v9
	s_waitcnt lgkmcnt(0)
	v_add_f32_e32 v9, v9, v11
	s_load_dwordx2 s[6:7], s[0:1], 0x40
	s_andn2_b64 vcc, exec, s[2:3]
	s_waitcnt lgkmcnt(0)
	v_cvt_f32_f64_e32 v21, s[6:7]
	s_cbranch_vccnz .LBB236_30
.LBB236_33:
	v_cmp_lt_f32_e32 vcc, 0, v9
	s_nop 1
	v_cndmask_b32_e32 v9, 1.0, v9, vcc
	v_div_scale_f32 v11, s[2:3], v9, v9, v21
	v_rcp_f32_e32 v14, v11
	s_nop 0
	v_fma_f32 v15, -v11, v14, 1.0
	v_fmac_f32_e32 v14, v15, v14
	v_div_scale_f32 v15, vcc, v21, v9, v21
	v_mul_f32_e32 v16, v15, v14
	v_fma_f32 v17, -v11, v16, v15
	v_fmac_f32_e32 v16, v17, v14
	v_fma_f32 v11, -v11, v16, v15
	v_div_fmas_f32 v11, v11, v14, v16
	v_div_fixup_f32 v21, v11, v9, v21
	s_andn2_b64 vcc, exec, s[4:5]
	s_cbranch_vccnz .LBB236_31
.LBB236_34:
	s_load_dwordx2 s[14:15], s[0:1], 0x10
	v_or_b32_e32 v28, 64, v20
	v_or_b32_e32 v27, 0x80, v20
	;; [unrolled: 1-line block ×8, first 2 shown]
	s_cmp_eq_u32 s33, 1
	s_mov_b32 s16, 0
	s_cbranch_scc1 .LBB236_73
; %bb.35:
	v_ashrrev_i32_e32 v11, 31, v10
	s_waitcnt lgkmcnt(0)
	v_lshl_add_u64 v[14:15], v[10:11], 2, s[14:15]
	s_and_b32 s16, s33, 0x7ffffffe
	v_lshl_add_u64 v[14:15], v[14:15], 0, 4
	v_lshl_add_u64 v[16:17], v[12:13], 0, 4
	s_mov_b32 s17, 0
	s_branch .LBB236_37
.LBB236_36:                             ;   in Loop: Header=BB236_37 Depth=1
	s_or_b64 exec, exec, s[0:1]
	s_add_i32 s17, s17, 2
	v_lshl_add_u64 v[14:15], v[14:15], 0, 8
	s_cmp_lg_u32 s16, s17
	v_lshl_add_u64 v[16:17], v[16:17], 0, 8
	s_cbranch_scc0 .LBB236_73
.LBB236_37:                             ; =>This Inner Loop Header: Depth=1
	global_load_dword v11, v[16:17], off offset:-4
	v_mov_b64_e32 v[18:19], 0
	s_waitcnt vmcnt(0)
	v_cmp_eq_u32_e32 vcc, v11, v20
	v_cmp_ne_u32_e64 s[0:1], v11, v20
	s_and_saveexec_b64 s[18:19], s[0:1]
	s_cbranch_execz .LBB236_53
; %bb.38:                               ;   in Loop: Header=BB236_37 Depth=1
	v_cmp_eq_u32_e64 s[0:1], v11, v28
	v_cmp_ne_u32_e64 s[2:3], v11, v28
	v_mov_b64_e32 v[18:19], 1
	s_and_saveexec_b64 s[20:21], s[2:3]
	s_cbranch_execz .LBB236_52
; %bb.39:                               ;   in Loop: Header=BB236_37 Depth=1
	v_cmp_eq_u32_e64 s[2:3], v11, v27
	v_cmp_ne_u32_e64 s[4:5], v11, v27
	v_mov_b64_e32 v[18:19], 2
	;; [unrolled: 6-line block ×7, first 2 shown]
	s_and_saveexec_b64 s[36:37], s[12:13]
	s_xor_b64 s[36:37], exec, s[36:37]
; %bb.45:                               ;   in Loop: Header=BB236_37 Depth=1
	v_cmp_eq_u32_e64 s[12:13], v11, v9
	s_andn2_b64 s[34:35], s[34:35], exec
	s_and_b64 s[12:13], s[12:13], exec
	v_mov_b64_e32 v[18:19], 8
	s_or_b64 s[34:35], s[34:35], s[12:13]
; %bb.46:                               ;   in Loop: Header=BB236_37 Depth=1
	s_or_b64 exec, exec, s[36:37]
	s_andn2_b64 s[10:11], s[10:11], exec
	s_and_b64 s[12:13], s[34:35], exec
	s_or_b64 s[10:11], s[10:11], s[12:13]
.LBB236_47:                             ;   in Loop: Header=BB236_37 Depth=1
	s_or_b64 exec, exec, s[30:31]
	s_andn2_b64 s[8:9], s[8:9], exec
	s_and_b64 s[10:11], s[10:11], exec
	s_or_b64 s[8:9], s[8:9], s[10:11]
.LBB236_48:                             ;   in Loop: Header=BB236_37 Depth=1
	s_or_b64 exec, exec, s[28:29]
	s_andn2_b64 s[6:7], s[6:7], exec
	s_and_b64 s[8:9], s[8:9], exec
	s_or_b64 s[6:7], s[6:7], s[8:9]
.LBB236_49:                             ;   in Loop: Header=BB236_37 Depth=1
	s_or_b64 exec, exec, s[26:27]
	s_andn2_b64 s[4:5], s[4:5], exec
	s_and_b64 s[6:7], s[6:7], exec
	s_or_b64 s[4:5], s[4:5], s[6:7]
.LBB236_50:                             ;   in Loop: Header=BB236_37 Depth=1
	s_or_b64 exec, exec, s[24:25]
	s_andn2_b64 s[2:3], s[2:3], exec
	s_and_b64 s[4:5], s[4:5], exec
	s_or_b64 s[2:3], s[2:3], s[4:5]
.LBB236_51:                             ;   in Loop: Header=BB236_37 Depth=1
	s_or_b64 exec, exec, s[22:23]
	s_andn2_b64 s[0:1], s[0:1], exec
	s_and_b64 s[2:3], s[2:3], exec
	s_or_b64 s[0:1], s[0:1], s[2:3]
.LBB236_52:                             ;   in Loop: Header=BB236_37 Depth=1
	s_or_b64 exec, exec, s[20:21]
	s_andn2_b64 s[2:3], vcc, exec
	s_and_b64 s[0:1], s[0:1], exec
	s_or_b64 vcc, s[2:3], s[0:1]
.LBB236_53:                             ;   in Loop: Header=BB236_37 Depth=1
	s_or_b64 exec, exec, s[18:19]
	s_and_saveexec_b64 s[0:1], vcc
	s_cbranch_execz .LBB236_55
; %bb.54:                               ;   in Loop: Header=BB236_37 Depth=1
	v_cmp_eq_u32_e32 vcc, 1, v18
	v_add_u32_e32 v30, s17, v10
	v_ashrrev_i32_e32 v31, 31, v30
	v_cndmask_b32_e32 v11, v0, v1, vcc
	v_cmp_eq_u32_e32 vcc, 2, v18
	s_nop 1
	v_cndmask_b32_e32 v11, v11, v2, vcc
	v_cmp_eq_u32_e32 vcc, 3, v18
	s_nop 1
	;; [unrolled: 3-line block ×6, first 2 shown]
	v_cndmask_b32_e32 v11, v11, v7, vcc
	v_cmp_eq_u32_e32 vcc, 8, v18
	v_lshl_add_u64 v[18:19], v[30:31], 2, s[14:15]
	s_nop 0
	v_cndmask_b32_e32 v11, v11, v8, vcc
	v_mul_f32_e32 v11, v21, v11
	global_store_dword v[18:19], v11, off
.LBB236_55:                             ;   in Loop: Header=BB236_37 Depth=1
	s_or_b64 exec, exec, s[0:1]
	global_load_dword v11, v[16:17], off
	v_mov_b64_e32 v[18:19], 0
	s_waitcnt vmcnt(0)
	v_cmp_eq_u32_e64 s[10:11], v11, v20
	v_cmp_ne_u32_e32 vcc, v11, v20
	s_and_saveexec_b64 s[12:13], vcc
	s_cbranch_execz .LBB236_71
; %bb.56:                               ;   in Loop: Header=BB236_37 Depth=1
	v_cmp_eq_u32_e32 vcc, v11, v28
	v_cmp_ne_u32_e64 s[0:1], v11, v28
	v_mov_b64_e32 v[18:19], 1
	s_and_saveexec_b64 s[18:19], s[0:1]
	s_cbranch_execz .LBB236_70
; %bb.57:                               ;   in Loop: Header=BB236_37 Depth=1
	v_cmp_eq_u32_e64 s[0:1], v11, v27
	v_cmp_ne_u32_e64 s[2:3], v11, v27
	v_mov_b64_e32 v[18:19], 2
	s_and_saveexec_b64 s[20:21], s[2:3]
	s_cbranch_execz .LBB236_69
; %bb.58:                               ;   in Loop: Header=BB236_37 Depth=1
	v_cmp_eq_u32_e64 s[2:3], v11, v26
	;; [unrolled: 6-line block ×6, first 2 shown]
	v_cmp_ne_u32_e64 s[8:9], v11, v22
	v_mov_b64_e32 v[18:19], 7
	s_and_saveexec_b64 s[36:37], s[8:9]
; %bb.63:                               ;   in Loop: Header=BB236_37 Depth=1
	v_cmp_eq_u32_e64 s[8:9], v11, v9
	s_andn2_b64 s[34:35], s[34:35], exec
	s_and_b64 s[8:9], s[8:9], exec
	v_mov_b64_e32 v[18:19], 8
	s_or_b64 s[34:35], s[34:35], s[8:9]
; %bb.64:                               ;   in Loop: Header=BB236_37 Depth=1
	s_or_b64 exec, exec, s[36:37]
	s_andn2_b64 s[8:9], s[28:29], exec
	s_and_b64 s[28:29], s[34:35], exec
	s_or_b64 s[28:29], s[8:9], s[28:29]
.LBB236_65:                             ;   in Loop: Header=BB236_37 Depth=1
	s_or_b64 exec, exec, s[30:31]
	s_andn2_b64 s[6:7], s[6:7], exec
	s_and_b64 s[8:9], s[28:29], exec
	s_or_b64 s[6:7], s[6:7], s[8:9]
.LBB236_66:                             ;   in Loop: Header=BB236_37 Depth=1
	s_or_b64 exec, exec, s[26:27]
	s_andn2_b64 s[4:5], s[4:5], exec
	s_and_b64 s[6:7], s[6:7], exec
	s_or_b64 s[4:5], s[4:5], s[6:7]
.LBB236_67:                             ;   in Loop: Header=BB236_37 Depth=1
	s_or_b64 exec, exec, s[24:25]
	s_andn2_b64 s[2:3], s[2:3], exec
	s_and_b64 s[4:5], s[4:5], exec
	s_or_b64 s[2:3], s[2:3], s[4:5]
.LBB236_68:                             ;   in Loop: Header=BB236_37 Depth=1
	s_or_b64 exec, exec, s[22:23]
	s_andn2_b64 s[0:1], s[0:1], exec
	s_and_b64 s[2:3], s[2:3], exec
	s_or_b64 s[0:1], s[0:1], s[2:3]
.LBB236_69:                             ;   in Loop: Header=BB236_37 Depth=1
	s_or_b64 exec, exec, s[20:21]
	s_andn2_b64 s[2:3], vcc, exec
	s_and_b64 s[0:1], s[0:1], exec
	s_or_b64 vcc, s[2:3], s[0:1]
.LBB236_70:                             ;   in Loop: Header=BB236_37 Depth=1
	s_or_b64 exec, exec, s[18:19]
	s_andn2_b64 s[0:1], s[10:11], exec
	s_and_b64 s[2:3], vcc, exec
	s_or_b64 s[10:11], s[0:1], s[2:3]
.LBB236_71:                             ;   in Loop: Header=BB236_37 Depth=1
	s_or_b64 exec, exec, s[12:13]
	s_and_saveexec_b64 s[0:1], s[10:11]
	s_cbranch_execz .LBB236_36
; %bb.72:                               ;   in Loop: Header=BB236_37 Depth=1
	v_cmp_eq_u32_e32 vcc, 1, v18
	s_nop 1
	v_cndmask_b32_e32 v11, v0, v1, vcc
	v_cmp_eq_u32_e32 vcc, 2, v18
	s_nop 1
	v_cndmask_b32_e32 v11, v11, v2, vcc
	;; [unrolled: 3-line block ×8, first 2 shown]
	v_mul_f32_e32 v11, v21, v11
	global_store_dword v[14:15], v11, off
	s_branch .LBB236_36
.LBB236_73:
	s_bitcmp0_b32 s33, 0
	s_mov_b32 s17, 0
	s_cbranch_scc1 .LBB236_31
; %bb.74:
	v_lshl_add_u64 v[12:13], s[16:17], 2, v[12:13]
	global_load_dword v11, v[12:13], off
	v_mov_b64_e32 v[12:13], 0
	s_waitcnt vmcnt(0)
	v_cmp_eq_u32_e64 s[10:11], v11, v20
	v_cmp_ne_u32_e32 vcc, v11, v20
	s_and_saveexec_b64 s[12:13], vcc
	s_cbranch_execz .LBB236_90
; %bb.75:
	v_cmp_eq_u32_e32 vcc, v11, v28
	v_cmp_ne_u32_e64 s[0:1], v11, v28
	v_mov_b64_e32 v[12:13], 1
	s_and_saveexec_b64 s[18:19], s[0:1]
	s_cbranch_execz .LBB236_89
; %bb.76:
	v_cmp_eq_u32_e64 s[0:1], v11, v27
	v_cmp_ne_u32_e64 s[2:3], v11, v27
	v_mov_b64_e32 v[12:13], 2
	s_and_saveexec_b64 s[20:21], s[2:3]
	s_cbranch_execz .LBB236_88
; %bb.77:
	v_cmp_eq_u32_e64 s[2:3], v11, v26
	;; [unrolled: 6-line block ×6, first 2 shown]
	v_cmp_ne_u32_e64 s[8:9], v11, v22
	v_mov_b64_e32 v[12:13], 7
	s_and_saveexec_b64 s[36:37], s[8:9]
; %bb.82:
	v_cmp_eq_u32_e64 s[8:9], v11, v9
	s_andn2_b64 s[34:35], s[34:35], exec
	s_and_b64 s[8:9], s[8:9], exec
	v_mov_b64_e32 v[12:13], 8
	s_or_b64 s[34:35], s[34:35], s[8:9]
; %bb.83:
	s_or_b64 exec, exec, s[36:37]
	s_andn2_b64 s[8:9], s[28:29], exec
	s_and_b64 s[28:29], s[34:35], exec
	s_or_b64 s[28:29], s[8:9], s[28:29]
.LBB236_84:
	s_or_b64 exec, exec, s[30:31]
	s_andn2_b64 s[6:7], s[6:7], exec
	s_and_b64 s[8:9], s[28:29], exec
	s_or_b64 s[6:7], s[6:7], s[8:9]
.LBB236_85:
	s_or_b64 exec, exec, s[26:27]
	s_andn2_b64 s[4:5], s[4:5], exec
	s_and_b64 s[6:7], s[6:7], exec
	s_or_b64 s[4:5], s[4:5], s[6:7]
.LBB236_86:
	s_or_b64 exec, exec, s[24:25]
	s_andn2_b64 s[2:3], s[2:3], exec
	s_and_b64 s[4:5], s[4:5], exec
	s_or_b64 s[2:3], s[2:3], s[4:5]
.LBB236_87:
	s_or_b64 exec, exec, s[22:23]
	s_andn2_b64 s[0:1], s[0:1], exec
	s_and_b64 s[2:3], s[2:3], exec
	s_or_b64 s[0:1], s[0:1], s[2:3]
.LBB236_88:
	s_or_b64 exec, exec, s[20:21]
	s_andn2_b64 s[2:3], vcc, exec
	s_and_b64 s[0:1], s[0:1], exec
	s_or_b64 vcc, s[2:3], s[0:1]
.LBB236_89:
	s_or_b64 exec, exec, s[18:19]
	s_andn2_b64 s[0:1], s[10:11], exec
	s_and_b64 s[2:3], vcc, exec
	s_or_b64 s[10:11], s[0:1], s[2:3]
.LBB236_90:
	s_or_b64 exec, exec, s[12:13]
	s_and_b64 exec, exec, s[10:11]
	s_cbranch_execz .LBB236_31
; %bb.91:
	v_cmp_eq_u32_e32 vcc, 1, v12
	v_add_u32_e32 v10, s16, v10
	v_ashrrev_i32_e32 v11, 31, v10
	v_cndmask_b32_e32 v0, v0, v1, vcc
	v_cmp_eq_u32_e32 vcc, 2, v12
	s_nop 1
	v_cndmask_b32_e32 v0, v0, v2, vcc
	v_cmp_eq_u32_e32 vcc, 3, v12
	s_nop 1
	;; [unrolled: 3-line block ×7, first 2 shown]
	v_cndmask_b32_e32 v0, v0, v8, vcc
	v_mul_f32_e32 v2, v21, v0
	s_waitcnt lgkmcnt(0)
	v_lshl_add_u64 v[0:1], v[10:11], 2, s[14:15]
	global_store_dword v[0:1], v2, off
	s_endpgm
	.section	.rodata,"a",@progbits
	.p2align	6, 0x0
	.amdhsa_kernel _ZN4vllm3moe22topkGatingSoftplusSqrtILi9ELi576ELi4ELi2ELi64ELb1Ei6__halfEEvPKT6_PKbPfiPT5_PiiiibdPKfPKS9_SF_
		.amdhsa_group_segment_fixed_size 0
		.amdhsa_private_segment_fixed_size 0
		.amdhsa_kernarg_size 96
		.amdhsa_user_sgpr_count 2
		.amdhsa_user_sgpr_dispatch_ptr 0
		.amdhsa_user_sgpr_queue_ptr 0
		.amdhsa_user_sgpr_kernarg_segment_ptr 1
		.amdhsa_user_sgpr_dispatch_id 0
		.amdhsa_user_sgpr_kernarg_preload_length 0
		.amdhsa_user_sgpr_kernarg_preload_offset 0
		.amdhsa_user_sgpr_private_segment_size 0
		.amdhsa_uses_dynamic_stack 0
		.amdhsa_enable_private_segment 0
		.amdhsa_system_sgpr_workgroup_id_x 1
		.amdhsa_system_sgpr_workgroup_id_y 0
		.amdhsa_system_sgpr_workgroup_id_z 0
		.amdhsa_system_sgpr_workgroup_info 0
		.amdhsa_system_vgpr_workitem_id 1
		.amdhsa_next_free_vgpr 35
		.amdhsa_next_free_sgpr 38
		.amdhsa_accum_offset 36
		.amdhsa_reserve_vcc 1
		.amdhsa_float_round_mode_32 0
		.amdhsa_float_round_mode_16_64 0
		.amdhsa_float_denorm_mode_32 3
		.amdhsa_float_denorm_mode_16_64 3
		.amdhsa_dx10_clamp 1
		.amdhsa_ieee_mode 1
		.amdhsa_fp16_overflow 0
		.amdhsa_tg_split 0
		.amdhsa_exception_fp_ieee_invalid_op 0
		.amdhsa_exception_fp_denorm_src 0
		.amdhsa_exception_fp_ieee_div_zero 0
		.amdhsa_exception_fp_ieee_overflow 0
		.amdhsa_exception_fp_ieee_underflow 0
		.amdhsa_exception_fp_ieee_inexact 0
		.amdhsa_exception_int_div_zero 0
	.end_amdhsa_kernel
	.section	.text._ZN4vllm3moe22topkGatingSoftplusSqrtILi9ELi576ELi4ELi2ELi64ELb1Ei6__halfEEvPKT6_PKbPfiPT5_PiiiibdPKfPKS9_SF_,"axG",@progbits,_ZN4vllm3moe22topkGatingSoftplusSqrtILi9ELi576ELi4ELi2ELi64ELb1Ei6__halfEEvPKT6_PKbPfiPT5_PiiiibdPKfPKS9_SF_,comdat
.Lfunc_end236:
	.size	_ZN4vllm3moe22topkGatingSoftplusSqrtILi9ELi576ELi4ELi2ELi64ELb1Ei6__halfEEvPKT6_PKbPfiPT5_PiiiibdPKfPKS9_SF_, .Lfunc_end236-_ZN4vllm3moe22topkGatingSoftplusSqrtILi9ELi576ELi4ELi2ELi64ELb1Ei6__halfEEvPKT6_PKbPfiPT5_PiiiibdPKfPKS9_SF_
                                        ; -- End function
	.section	.AMDGPU.csdata,"",@progbits
; Kernel info:
; codeLenInByte = 5248
; NumSgprs: 44
; NumVgprs: 35
; NumAgprs: 0
; TotalNumVgprs: 35
; ScratchSize: 0
; MemoryBound: 0
; FloatMode: 240
; IeeeMode: 1
; LDSByteSize: 0 bytes/workgroup (compile time only)
; SGPRBlocks: 5
; VGPRBlocks: 4
; NumSGPRsForWavesPerEU: 44
; NumVGPRsForWavesPerEU: 35
; AccumOffset: 36
; Occupancy: 8
; WaveLimiterHint : 1
; COMPUTE_PGM_RSRC2:SCRATCH_EN: 0
; COMPUTE_PGM_RSRC2:USER_SGPR: 2
; COMPUTE_PGM_RSRC2:TRAP_HANDLER: 0
; COMPUTE_PGM_RSRC2:TGID_X_EN: 1
; COMPUTE_PGM_RSRC2:TGID_Y_EN: 0
; COMPUTE_PGM_RSRC2:TGID_Z_EN: 0
; COMPUTE_PGM_RSRC2:TIDIG_COMP_CNT: 1
; COMPUTE_PGM_RSRC3_GFX90A:ACCUM_OFFSET: 8
; COMPUTE_PGM_RSRC3_GFX90A:TG_SPLIT: 0
	.section	.text._ZN4vllm3moe22topkGatingSoftplusSqrtILi9ELi576ELi4ELi2ELi64ELb0Ei6__halfEEvPKT6_PKbPfiPT5_PiiiibdPKfPKS9_SF_,"axG",@progbits,_ZN4vllm3moe22topkGatingSoftplusSqrtILi9ELi576ELi4ELi2ELi64ELb0Ei6__halfEEvPKT6_PKbPfiPT5_PiiiibdPKfPKS9_SF_,comdat
	.protected	_ZN4vllm3moe22topkGatingSoftplusSqrtILi9ELi576ELi4ELi2ELi64ELb0Ei6__halfEEvPKT6_PKbPfiPT5_PiiiibdPKfPKS9_SF_ ; -- Begin function _ZN4vllm3moe22topkGatingSoftplusSqrtILi9ELi576ELi4ELi2ELi64ELb0Ei6__halfEEvPKT6_PKbPfiPT5_PiiiibdPKfPKS9_SF_
	.globl	_ZN4vllm3moe22topkGatingSoftplusSqrtILi9ELi576ELi4ELi2ELi64ELb0Ei6__halfEEvPKT6_PKbPfiPT5_PiiiibdPKfPKS9_SF_
	.p2align	8
	.type	_ZN4vllm3moe22topkGatingSoftplusSqrtILi9ELi576ELi4ELi2ELi64ELb0Ei6__halfEEvPKT6_PKbPfiPT5_PiiiibdPKfPKS9_SF_,@function
_ZN4vllm3moe22topkGatingSoftplusSqrtILi9ELi576ELi4ELi2ELi64ELb0Ei6__halfEEvPKT6_PKbPfiPT5_PiiiibdPKfPKS9_SF_: ; @_ZN4vllm3moe22topkGatingSoftplusSqrtILi9ELi576ELi4ELi2ELi64ELb0Ei6__halfEEvPKT6_PKbPfiPT5_PiiiibdPKfPKS9_SF_
; %bb.0:
	s_load_dword s30, s[0:1], 0x18
	v_and_b32_e32 v1, 0x3ff, v0
	s_lshl_b32 s2, s2, 2
	v_lshrrev_b32_e32 v2, 6, v1
	v_bfe_u32 v0, v0, 10, 10
	v_add3_u32 v10, s2, v0, v2
	s_waitcnt lgkmcnt(0)
	v_cmp_gt_i32_e32 vcc, s30, v10
	s_and_saveexec_b64 s[2:3], vcc
	s_cbranch_execz .LBB237_67
; %bb.1:
	s_load_dwordx4 s[4:7], s[0:1], 0x0
	s_load_dwordx2 s[20:21], s[0:1], 0x10
	s_waitcnt lgkmcnt(0)
	s_cmp_eq_u64 s[6:7], 0
	s_cbranch_scc1 .LBB237_3
; %bb.2:
	v_ashrrev_i32_e32 v11, 31, v10
	v_lshl_add_u64 v[2:3], s[6:7], 0, v[10:11]
	global_load_ubyte v0, v[2:3], off
	s_waitcnt vmcnt(0)
	v_and_b32_e32 v0, 1, v0
	v_cmp_eq_u32_e32 vcc, 1, v0
	s_xor_b64 s[2:3], vcc, -1
	s_orn2_b64 s[22:23], s[2:3], exec
	s_branch .LBB237_4
.LBB237_3:
	s_mov_b64 s[22:23], -1
.LBB237_4:
	s_movk_i32 s2, 0x240
	v_mul_lo_u32 v4, v10, s2
	v_mov_b32_e32 v2, s4
	v_mov_b32_e32 v3, s5
	v_ashrrev_i32_e32 v5, 31, v4
	v_and_b32_e32 v12, 63, v1
	v_lshl_add_u64 v[2:3], v[4:5], 1, v[2:3]
	v_mov_b32_e32 v1, 0
	v_lshlrev_b32_e32 v0, 1, v12
	v_lshl_add_u64 v[14:15], v[2:3], 0, v[0:1]
	global_load_ushort v0, v[14:15], off
	global_load_ushort v1, v[14:15], off offset:128
	global_load_ushort v2, v[14:15], off offset:256
	;; [unrolled: 1-line block ×8, first 2 shown]
	s_mov_b32 s16, 0x800000
	v_mov_b32_e32 v13, 0x4f800000
	s_mov_b32 s13, 0x3f317217
	s_mov_b32 s14, 0x7f800000
	v_mov_b32_e32 v14, 0x41b17218
	s_movk_i32 s12, 0x4d00
	s_mov_b32 s15, 0xf800000
	s_load_dwordx4 s[8:11], s[0:1], 0x40
	s_waitcnt lgkmcnt(0)
	s_cmp_lg_u64 s[10:11], 0
	s_cselect_b64 s[6:7], -1, 0
	s_and_b64 s[2:3], exec, s[6:7]
	s_waitcnt vmcnt(8)
	v_cvt_f32_f16_e32 v15, v0
	v_mul_f32_e32 v9, 0x3fb8aa3b, v15
	v_exp_f32_e32 v9, v9
	s_nop 0
	v_add_f32_e32 v9, 1.0, v9
	v_cmp_gt_f32_e32 vcc, s16, v9
	s_nop 1
	v_cndmask_b32_e32 v11, 1.0, v13, vcc
	v_mul_f32_e32 v9, v9, v11
	v_log_f32_e32 v16, v9
	v_cndmask_b32_e32 v17, 0, v14, vcc
	v_mov_b32_e32 v11, 0x260
	v_lshlrev_b32_e32 v9, 2, v12
	v_mul_f32_e32 v18, 0x3f317217, v16
	v_fma_f32 v18, v16, s13, -v18
	v_fmac_f32_e32 v18, 0x3377d1cf, v16
	v_fmac_f32_e32 v18, 0x3f317217, v16
	v_cmp_lt_f32_e64 vcc, |v16|, s14
	s_nop 1
	v_cndmask_b32_e32 v16, v16, v18, vcc
	v_sub_f32_e32 v16, v16, v17
	v_cmp_lt_f16_e32 vcc, s12, v0
	s_nop 1
	v_cndmask_b32_e32 v0, v16, v15, vcc
	v_mul_f32_e32 v15, 0x4f800000, v0
	v_cmp_gt_f32_e32 vcc, s15, v0
	s_nop 1
	v_cndmask_b32_e32 v0, v0, v15, vcc
	v_sqrt_f32_e32 v15, v0
	s_nop 0
	v_add_u32_e32 v16, -1, v15
	v_add_u32_e32 v17, 1, v15
	v_fma_f32 v18, -v16, v15, v0
	v_fma_f32 v19, -v17, v15, v0
	v_cmp_ge_f32_e64 s[4:5], 0, v18
	s_nop 1
	v_cndmask_b32_e64 v15, v15, v16, s[4:5]
	v_cmp_lt_f32_e64 s[4:5], 0, v19
	s_nop 1
	v_cndmask_b32_e64 v15, v15, v17, s[4:5]
	v_mul_f32_e32 v16, 0x37800000, v15
	v_cndmask_b32_e32 v15, v15, v16, vcc
	v_cmp_class_f32_e32 vcc, v0, v11
	s_nop 1
	v_cndmask_b32_e32 v0, v15, v0, vcc
	s_mov_b64 vcc, s[2:3]
	s_cbranch_vccz .LBB237_6
; %bb.5:
	global_load_dword v15, v9, s[10:11]
	s_waitcnt vmcnt(0)
	v_add_f32_e32 v0, v0, v15
.LBB237_6:
	s_waitcnt vmcnt(7)
	v_cvt_f32_f16_e32 v15, v1
	v_mul_f32_e32 v16, 0x3fb8aa3b, v15
	v_exp_f32_e32 v16, v16
	s_nop 0
	v_add_f32_e32 v16, 1.0, v16
	v_cmp_gt_f32_e32 vcc, s16, v16
	s_nop 1
	v_cndmask_b32_e32 v13, 1.0, v13, vcc
	v_mul_f32_e32 v13, v16, v13
	v_log_f32_e32 v13, v13
	v_cndmask_b32_e32 v14, 0, v14, vcc
	v_mul_f32_e32 v16, 0x3f317217, v13
	v_fma_f32 v16, v13, s13, -v16
	v_fmac_f32_e32 v16, 0x3377d1cf, v13
	v_fmac_f32_e32 v16, 0x3f317217, v13
	v_cmp_lt_f32_e64 vcc, |v13|, s14
	s_nop 1
	v_cndmask_b32_e32 v13, v13, v16, vcc
	v_sub_f32_e32 v13, v13, v14
	v_cmp_lt_f16_e32 vcc, s12, v1
	v_cndmask_b32_e64 v14, 0, 1, s[6:7]
	v_cmp_ne_u32_e64 s[2:3], 1, v14
	v_cndmask_b32_e32 v1, v13, v15, vcc
	v_mul_f32_e32 v13, 0x4f800000, v1
	v_cmp_gt_f32_e64 s[4:5], s15, v1
	s_andn2_b64 vcc, exec, s[6:7]
	s_nop 0
	v_cndmask_b32_e64 v1, v1, v13, s[4:5]
	v_sqrt_f32_e32 v13, v1
	s_nop 0
	v_add_u32_e32 v14, -1, v13
	v_add_u32_e32 v15, 1, v13
	v_fma_f32 v16, -v14, v13, v1
	v_fma_f32 v17, -v15, v13, v1
	v_cmp_ge_f32_e64 s[6:7], 0, v16
	s_nop 1
	v_cndmask_b32_e64 v13, v13, v14, s[6:7]
	v_cmp_lt_f32_e64 s[6:7], 0, v17
	s_nop 1
	v_cndmask_b32_e64 v13, v13, v15, s[6:7]
	v_mul_f32_e32 v14, 0x37800000, v13
	v_cndmask_b32_e64 v13, v13, v14, s[4:5]
	v_cmp_class_f32_e64 s[4:5], v1, v11
	s_nop 1
	v_cndmask_b32_e64 v1, v13, v1, s[4:5]
	s_cbranch_vccnz .LBB237_8
; %bb.7:
	global_load_dword v11, v9, s[10:11] offset:256
	s_waitcnt vmcnt(0)
	v_add_f32_e32 v1, v1, v11
.LBB237_8:
	s_waitcnt vmcnt(6)
	v_cvt_f32_f16_e32 v11, v2
	s_mov_b32 s12, 0x800000
	s_mov_b32 s7, 0x3f317217
	;; [unrolled: 1-line block ×3, first 2 shown]
	v_mul_f32_e32 v13, 0x3fb8aa3b, v11
	v_exp_f32_e32 v14, v13
	v_mov_b32_e32 v13, 0x4f800000
	s_movk_i32 s6, 0x4d00
	s_mov_b32 s14, 0xf800000
	v_add_f32_e32 v14, 1.0, v14
	v_cmp_gt_f32_e32 vcc, s12, v14
	s_nop 1
	v_cndmask_b32_e32 v15, 1.0, v13, vcc
	v_mul_f32_e32 v14, v14, v15
	v_log_f32_e32 v15, v14
	v_mov_b32_e32 v14, 0x41b17218
	v_cndmask_b32_e32 v16, 0, v14, vcc
	v_mul_f32_e32 v17, 0x3f317217, v15
	v_fma_f32 v17, v15, s7, -v17
	v_fmac_f32_e32 v17, 0x3377d1cf, v15
	v_fmac_f32_e32 v17, 0x3f317217, v15
	v_cmp_lt_f32_e64 vcc, |v15|, s13
	s_nop 1
	v_cndmask_b32_e32 v15, v15, v17, vcc
	v_sub_f32_e32 v15, v15, v16
	v_cmp_lt_f16_e32 vcc, s6, v2
	s_nop 1
	v_cndmask_b32_e32 v2, v15, v11, vcc
	v_mul_f32_e32 v11, 0x4f800000, v2
	v_cmp_gt_f32_e32 vcc, s14, v2
	s_nop 1
	v_cndmask_b32_e32 v2, v2, v11, vcc
	v_sqrt_f32_e32 v11, v2
	s_nop 0
	v_add_u32_e32 v15, -1, v11
	v_fma_f32 v16, -v15, v11, v2
	v_cmp_ge_f32_e64 s[4:5], 0, v16
	v_add_u32_e32 v16, 1, v11
	s_nop 0
	v_cndmask_b32_e64 v15, v11, v15, s[4:5]
	v_fma_f32 v11, -v16, v11, v2
	v_cmp_lt_f32_e64 s[4:5], 0, v11
	s_nop 1
	v_cndmask_b32_e64 v11, v15, v16, s[4:5]
	v_mul_f32_e32 v15, 0x37800000, v11
	v_cndmask_b32_e32 v15, v11, v15, vcc
	v_mov_b32_e32 v11, 0x260
	v_cmp_class_f32_e64 s[4:5], v2, v11
	s_and_b64 vcc, exec, s[2:3]
	s_nop 0
	v_cndmask_b32_e64 v2, v15, v2, s[4:5]
	s_cbranch_vccnz .LBB237_10
; %bb.9:
	global_load_dword v15, v9, s[10:11] offset:512
	s_waitcnt vmcnt(0)
	v_add_f32_e32 v2, v2, v15
.LBB237_10:
	s_waitcnt vmcnt(5)
	v_cvt_f32_f16_e32 v15, v3
	v_mul_f32_e32 v16, 0x3fb8aa3b, v15
	v_exp_f32_e32 v16, v16
	s_nop 0
	v_add_f32_e32 v16, 1.0, v16
	v_cmp_gt_f32_e32 vcc, s12, v16
	s_nop 1
	v_cndmask_b32_e32 v13, 1.0, v13, vcc
	v_mul_f32_e32 v13, v16, v13
	v_log_f32_e32 v13, v13
	v_cndmask_b32_e32 v14, 0, v14, vcc
	v_mul_f32_e32 v16, 0x3f317217, v13
	v_fma_f32 v16, v13, s7, -v16
	v_fmac_f32_e32 v16, 0x3377d1cf, v13
	v_fmac_f32_e32 v16, 0x3f317217, v13
	v_cmp_lt_f32_e64 vcc, |v13|, s13
	s_nop 1
	v_cndmask_b32_e32 v13, v13, v16, vcc
	v_sub_f32_e32 v13, v13, v14
	v_cmp_lt_f16_e32 vcc, s6, v3
	s_nop 1
	v_cndmask_b32_e32 v3, v13, v15, vcc
	v_mul_f32_e32 v13, 0x4f800000, v3
	v_cmp_gt_f32_e64 s[4:5], s14, v3
	s_and_b64 vcc, exec, s[2:3]
	s_nop 0
	v_cndmask_b32_e64 v3, v3, v13, s[4:5]
	v_sqrt_f32_e32 v13, v3
	s_nop 0
	v_add_u32_e32 v14, -1, v13
	v_add_u32_e32 v15, 1, v13
	v_fma_f32 v16, -v14, v13, v3
	v_fma_f32 v17, -v15, v13, v3
	v_cmp_ge_f32_e64 s[6:7], 0, v16
	s_nop 1
	v_cndmask_b32_e64 v13, v13, v14, s[6:7]
	v_cmp_lt_f32_e64 s[6:7], 0, v17
	s_nop 1
	v_cndmask_b32_e64 v13, v13, v15, s[6:7]
	v_mul_f32_e32 v14, 0x37800000, v13
	v_cndmask_b32_e64 v13, v13, v14, s[4:5]
	v_cmp_class_f32_e64 s[4:5], v3, v11
	s_nop 1
	v_cndmask_b32_e64 v3, v13, v3, s[4:5]
	s_cbranch_vccnz .LBB237_12
; %bb.11:
	global_load_dword v11, v9, s[10:11] offset:768
	s_waitcnt vmcnt(0)
	v_add_f32_e32 v3, v3, v11
.LBB237_12:
	s_waitcnt vmcnt(4)
	v_cvt_f32_f16_e32 v11, v4
	s_mov_b32 s7, 0x3f317217
	s_movk_i32 s6, 0x4d00
	v_mul_f32_e32 v13, 0x3fb8aa3b, v11
	v_exp_f32_e32 v14, v13
	v_mov_b32_e32 v13, 0x4f800000
	v_add_f32_e32 v14, 1.0, v14
	v_cmp_gt_f32_e32 vcc, s12, v14
	s_nop 1
	v_cndmask_b32_e32 v15, 1.0, v13, vcc
	v_mul_f32_e32 v14, v14, v15
	v_log_f32_e32 v15, v14
	v_mov_b32_e32 v14, 0x41b17218
	v_cndmask_b32_e32 v16, 0, v14, vcc
	v_mul_f32_e32 v17, 0x3f317217, v15
	v_fma_f32 v17, v15, s7, -v17
	v_fmac_f32_e32 v17, 0x3377d1cf, v15
	v_fmac_f32_e32 v17, 0x3f317217, v15
	v_cmp_lt_f32_e64 vcc, |v15|, s13
	s_nop 1
	v_cndmask_b32_e32 v15, v15, v17, vcc
	v_sub_f32_e32 v15, v15, v16
	v_cmp_lt_f16_e32 vcc, s6, v4
	s_nop 1
	v_cndmask_b32_e32 v4, v15, v11, vcc
	v_mul_f32_e32 v11, 0x4f800000, v4
	v_cmp_gt_f32_e32 vcc, s14, v4
	s_nop 1
	v_cndmask_b32_e32 v4, v4, v11, vcc
	v_sqrt_f32_e32 v11, v4
	s_nop 0
	v_add_u32_e32 v15, -1, v11
	v_fma_f32 v16, -v15, v11, v4
	v_cmp_ge_f32_e64 s[4:5], 0, v16
	v_add_u32_e32 v16, 1, v11
	s_nop 0
	v_cndmask_b32_e64 v15, v11, v15, s[4:5]
	v_fma_f32 v11, -v16, v11, v4
	v_cmp_lt_f32_e64 s[4:5], 0, v11
	s_nop 1
	v_cndmask_b32_e64 v11, v15, v16, s[4:5]
	v_mul_f32_e32 v15, 0x37800000, v11
	v_cndmask_b32_e32 v15, v11, v15, vcc
	v_mov_b32_e32 v11, 0x260
	v_cmp_class_f32_e64 s[4:5], v4, v11
	s_and_b64 vcc, exec, s[2:3]
	s_nop 0
	v_cndmask_b32_e64 v4, v15, v4, s[4:5]
	s_cbranch_vccnz .LBB237_14
; %bb.13:
	global_load_dword v15, v9, s[10:11] offset:1024
	s_waitcnt vmcnt(0)
	v_add_f32_e32 v4, v4, v15
.LBB237_14:
	s_waitcnt vmcnt(3)
	v_cvt_f32_f16_e32 v15, v5
	v_mul_f32_e32 v16, 0x3fb8aa3b, v15
	v_exp_f32_e32 v16, v16
	s_nop 0
	v_add_f32_e32 v16, 1.0, v16
	v_cmp_gt_f32_e32 vcc, s12, v16
	s_nop 1
	v_cndmask_b32_e32 v13, 1.0, v13, vcc
	v_mul_f32_e32 v13, v16, v13
	v_log_f32_e32 v13, v13
	v_cndmask_b32_e32 v14, 0, v14, vcc
	v_mul_f32_e32 v16, 0x3f317217, v13
	v_fma_f32 v16, v13, s7, -v16
	v_fmac_f32_e32 v16, 0x3377d1cf, v13
	v_fmac_f32_e32 v16, 0x3f317217, v13
	v_cmp_lt_f32_e64 vcc, |v13|, s13
	s_nop 1
	v_cndmask_b32_e32 v13, v13, v16, vcc
	v_sub_f32_e32 v13, v13, v14
	v_cmp_lt_f16_e32 vcc, s6, v5
	s_nop 1
	v_cndmask_b32_e32 v5, v13, v15, vcc
	v_mul_f32_e32 v13, 0x4f800000, v5
	v_cmp_gt_f32_e64 s[4:5], s14, v5
	s_and_b64 vcc, exec, s[2:3]
	s_nop 0
	v_cndmask_b32_e64 v5, v5, v13, s[4:5]
	v_sqrt_f32_e32 v13, v5
	s_nop 0
	v_add_u32_e32 v14, -1, v13
	v_add_u32_e32 v15, 1, v13
	v_fma_f32 v16, -v14, v13, v5
	v_fma_f32 v17, -v15, v13, v5
	v_cmp_ge_f32_e64 s[6:7], 0, v16
	s_nop 1
	v_cndmask_b32_e64 v13, v13, v14, s[6:7]
	v_cmp_lt_f32_e64 s[6:7], 0, v17
	s_nop 1
	v_cndmask_b32_e64 v13, v13, v15, s[6:7]
	v_mul_f32_e32 v14, 0x37800000, v13
	v_cndmask_b32_e64 v13, v13, v14, s[4:5]
	v_cmp_class_f32_e64 s[4:5], v5, v11
	s_nop 1
	v_cndmask_b32_e64 v5, v13, v5, s[4:5]
	s_cbranch_vccnz .LBB237_16
; %bb.15:
	global_load_dword v11, v9, s[10:11] offset:1280
	s_waitcnt vmcnt(0)
	v_add_f32_e32 v5, v5, v11
.LBB237_16:
	s_waitcnt vmcnt(2)
	v_cvt_f32_f16_e32 v11, v6
	s_mov_b32 s7, 0x3f317217
	s_movk_i32 s6, 0x4d00
	v_mul_f32_e32 v13, 0x3fb8aa3b, v11
	v_exp_f32_e32 v14, v13
	v_mov_b32_e32 v13, 0x4f800000
	v_add_f32_e32 v14, 1.0, v14
	v_cmp_gt_f32_e32 vcc, s12, v14
	s_nop 1
	v_cndmask_b32_e32 v15, 1.0, v13, vcc
	v_mul_f32_e32 v14, v14, v15
	v_log_f32_e32 v15, v14
	v_mov_b32_e32 v14, 0x41b17218
	v_cndmask_b32_e32 v16, 0, v14, vcc
	v_mul_f32_e32 v17, 0x3f317217, v15
	v_fma_f32 v17, v15, s7, -v17
	v_fmac_f32_e32 v17, 0x3377d1cf, v15
	v_fmac_f32_e32 v17, 0x3f317217, v15
	v_cmp_lt_f32_e64 vcc, |v15|, s13
	s_nop 1
	v_cndmask_b32_e32 v15, v15, v17, vcc
	v_sub_f32_e32 v15, v15, v16
	v_cmp_lt_f16_e32 vcc, s6, v6
	s_nop 1
	v_cndmask_b32_e32 v6, v15, v11, vcc
	v_mul_f32_e32 v11, 0x4f800000, v6
	v_cmp_gt_f32_e32 vcc, s14, v6
	s_nop 1
	v_cndmask_b32_e32 v6, v6, v11, vcc
	v_sqrt_f32_e32 v11, v6
	s_nop 0
	v_add_u32_e32 v15, -1, v11
	v_fma_f32 v16, -v15, v11, v6
	v_cmp_ge_f32_e64 s[4:5], 0, v16
	v_add_u32_e32 v16, 1, v11
	s_nop 0
	v_cndmask_b32_e64 v15, v11, v15, s[4:5]
	v_fma_f32 v11, -v16, v11, v6
	v_cmp_lt_f32_e64 s[4:5], 0, v11
	s_nop 1
	v_cndmask_b32_e64 v11, v15, v16, s[4:5]
	v_mul_f32_e32 v15, 0x37800000, v11
	v_cndmask_b32_e32 v15, v11, v15, vcc
	v_mov_b32_e32 v11, 0x260
	v_cmp_class_f32_e64 s[4:5], v6, v11
	s_and_b64 vcc, exec, s[2:3]
	s_nop 0
	v_cndmask_b32_e64 v6, v15, v6, s[4:5]
	s_cbranch_vccnz .LBB237_18
; %bb.17:
	global_load_dword v15, v9, s[10:11] offset:1536
	s_waitcnt vmcnt(0)
	v_add_f32_e32 v6, v6, v15
.LBB237_18:
	s_waitcnt vmcnt(1)
	v_cvt_f32_f16_e32 v15, v7
	v_mul_f32_e32 v16, 0x3fb8aa3b, v15
	v_exp_f32_e32 v16, v16
	s_nop 0
	v_add_f32_e32 v16, 1.0, v16
	v_cmp_gt_f32_e32 vcc, s12, v16
	s_nop 1
	v_cndmask_b32_e32 v13, 1.0, v13, vcc
	v_mul_f32_e32 v13, v16, v13
	v_log_f32_e32 v13, v13
	v_cndmask_b32_e32 v14, 0, v14, vcc
	v_mul_f32_e32 v16, 0x3f317217, v13
	v_fma_f32 v16, v13, s7, -v16
	v_fmac_f32_e32 v16, 0x3377d1cf, v13
	v_fmac_f32_e32 v16, 0x3f317217, v13
	v_cmp_lt_f32_e64 vcc, |v13|, s13
	s_nop 1
	v_cndmask_b32_e32 v13, v13, v16, vcc
	v_sub_f32_e32 v13, v13, v14
	v_cmp_lt_f16_e32 vcc, s6, v7
	s_nop 1
	v_cndmask_b32_e32 v7, v13, v15, vcc
	v_mul_f32_e32 v13, 0x4f800000, v7
	v_cmp_gt_f32_e64 s[4:5], s14, v7
	s_and_b64 vcc, exec, s[2:3]
	s_nop 0
	v_cndmask_b32_e64 v7, v7, v13, s[4:5]
	v_sqrt_f32_e32 v13, v7
	s_nop 0
	v_add_u32_e32 v14, -1, v13
	v_add_u32_e32 v15, 1, v13
	v_fma_f32 v16, -v14, v13, v7
	v_fma_f32 v17, -v15, v13, v7
	v_cmp_ge_f32_e64 s[6:7], 0, v16
	s_nop 1
	v_cndmask_b32_e64 v13, v13, v14, s[6:7]
	v_cmp_lt_f32_e64 s[6:7], 0, v17
	s_nop 1
	v_cndmask_b32_e64 v13, v13, v15, s[6:7]
	v_mul_f32_e32 v14, 0x37800000, v13
	v_cndmask_b32_e64 v13, v13, v14, s[4:5]
	v_cmp_class_f32_e64 s[4:5], v7, v11
	s_nop 1
	v_cndmask_b32_e64 v7, v13, v7, s[4:5]
	s_cbranch_vccnz .LBB237_20
; %bb.19:
	global_load_dword v11, v9, s[10:11] offset:1792
	s_waitcnt vmcnt(0)
	v_add_f32_e32 v7, v7, v11
.LBB237_20:
	s_waitcnt vmcnt(0)
	v_cvt_f32_f16_e32 v11, v8
	s_mov_b32 s5, 0x800000
	v_mov_b32_e32 v14, 0x4f800000
	s_mov_b32 s6, 0x3f317217
	v_mul_f32_e32 v13, 0x3fb8aa3b, v11
	v_exp_f32_e32 v13, v13
	s_movk_i32 s4, 0x4d00
	v_add_f32_e32 v13, 1.0, v13
	v_cmp_gt_f32_e32 vcc, s5, v13
	s_mov_b32 s5, 0x7f800000
	s_nop 0
	v_cndmask_b32_e32 v14, 1.0, v14, vcc
	v_mul_f32_e32 v13, v13, v14
	v_log_f32_e32 v13, v13
	v_mov_b32_e32 v14, 0x41b17218
	v_cndmask_b32_e32 v14, 0, v14, vcc
	v_mul_f32_e32 v15, 0x3f317217, v13
	v_fma_f32 v15, v13, s6, -v15
	v_fmamk_f32 v15, v13, 0x3377d1cf, v15
	v_fmac_f32_e32 v15, 0x3f317217, v13
	v_cmp_lt_f32_e64 vcc, |v13|, s5
	s_nop 1
	v_cndmask_b32_e32 v13, v13, v15, vcc
	v_sub_f32_e32 v13, v13, v14
	v_cmp_lt_f16_e32 vcc, s4, v8
	s_mov_b32 s4, 0xf800000
	s_nop 0
	v_cndmask_b32_e32 v8, v13, v11, vcc
	v_mul_f32_e32 v11, 0x4f800000, v8
	v_cmp_gt_f32_e32 vcc, s4, v8
	s_nop 1
	v_cndmask_b32_e32 v8, v8, v11, vcc
	v_sqrt_f32_e32 v11, v8
	s_nop 0
	v_add_u32_e32 v13, -1, v11
	v_fma_f32 v14, -v13, v11, v8
	v_cmp_ge_f32_e64 s[4:5], 0, v14
	v_add_u32_e32 v14, 1, v11
	s_nop 0
	v_cndmask_b32_e64 v13, v11, v13, s[4:5]
	v_fma_f32 v11, -v14, v11, v8
	v_cmp_lt_f32_e64 s[4:5], 0, v11
	s_nop 1
	v_cndmask_b32_e64 v11, v13, v14, s[4:5]
	v_mul_f32_e32 v13, 0x37800000, v11
	v_cndmask_b32_e32 v11, v11, v13, vcc
	v_mov_b32_e32 v13, 0x260
	v_cmp_class_f32_e64 s[4:5], v8, v13
	s_and_b64 vcc, exec, s[2:3]
	s_nop 0
	v_cndmask_b32_e64 v8, v11, v8, s[4:5]
	s_cbranch_vccnz .LBB237_22
; %bb.21:
	global_load_dword v9, v9, s[10:11] offset:2048
	s_waitcnt vmcnt(0)
	v_add_f32_e32 v8, v8, v9
.LBB237_22:
	s_load_dwordx4 s[12:15], s[0:1], 0x30
	v_cmp_eq_u32_e64 s[6:7], 0, v12
	s_waitcnt lgkmcnt(0)
	s_bitcmp1_b32 s15, 0
	s_cselect_b64 s[4:5], -1, 0
	s_cmp_gt_i32 s12, 0
	s_cselect_b64 s[24:25], -1, 0
	s_and_b64 vcc, exec, s[24:25]
	s_cbranch_vccz .LBB237_53
; %bb.23:
	v_mbcnt_lo_u32_b32 v9, -1, 0
	v_mbcnt_hi_u32_b32 v14, -1, v9
	v_and_b32_e32 v9, 64, v14
	v_add_u32_e32 v15, 64, v9
	v_xor_b32_e32 v18, 32, v14
	v_cmp_lt_i32_e32 vcc, v18, v15
	s_load_dwordx4 s[16:19], s[0:1], 0x20
	s_mov_b32 s15, 0
	v_cndmask_b32_e32 v18, v14, v18, vcc
	v_lshlrev_b32_e32 v23, 2, v18
	v_xor_b32_e32 v18, 16, v14
	v_cmp_lt_i32_e32 vcc, v18, v15
	v_mul_lo_u32 v9, v10, s12
	v_or_b32_e32 v11, 64, v12
	v_cndmask_b32_e32 v18, v14, v18, vcc
	v_lshlrev_b32_e32 v24, 2, v18
	v_xor_b32_e32 v18, 8, v14
	v_cmp_lt_i32_e32 vcc, v18, v15
	v_or_b32_e32 v13, 0x80, v12
	v_or_b32_e32 v16, 0xc0, v12
	v_cndmask_b32_e32 v18, v14, v18, vcc
	v_lshlrev_b32_e32 v25, 2, v18
	v_xor_b32_e32 v18, 4, v14
	v_cmp_lt_i32_e32 vcc, v18, v15
	v_or_b32_e32 v17, 0x100, v12
	;; [unrolled: 6-line block ×4, first 2 shown]
	v_mov_b32_e32 v29, 0x240
	v_cndmask_b32_e32 v14, v14, v18, vcc
	v_lshlrev_b32_e32 v28, 2, v14
	v_mov_b32_e32 v18, 0
	v_mov_b32_e32 v30, 0xc61c4000
	;; [unrolled: 1-line block ×3, first 2 shown]
	s_branch .LBB237_26
.LBB237_24:                             ;   in Loop: Header=BB237_26 Depth=1
	v_add_u32_e32 v34, s15, v9
	v_cmp_le_i32_e32 vcc, s13, v14
	v_cmp_gt_i32_e64 s[0:1], s14, v14
	v_ashrrev_i32_e32 v35, 31, v34
	s_and_b64 s[0:1], vcc, s[0:1]
	v_lshlrev_b64 v[34:35], 2, v[34:35]
	v_lshl_add_u64 v[36:37], s[20:21], 0, v[34:35]
	v_subrev_u32_e32 v15, s13, v14
	s_and_b64 vcc, s[22:23], s[0:1]
	global_store_dword v[36:37], v32, off
	v_cndmask_b32_e32 v15, v29, v15, vcc
	v_lshl_add_u64 v[36:37], s[16:17], 0, v[34:35]
	global_store_dword v[36:37], v15, off
	v_add_f32_e32 v15, v18, v32
	v_lshl_add_u64 v[34:35], s[18:19], 0, v[34:35]
	v_cndmask_b32_e64 v18, v18, v15, s[4:5]
	global_store_dword v[34:35], v31, off
.LBB237_25:                             ;   in Loop: Header=BB237_26 Depth=1
	s_or_b64 exec, exec, s[26:27]
	v_ashrrev_i32_e32 v15, 31, v14
	v_lshrrev_b32_e32 v15, 26, v15
	v_add_u32_e32 v15, v14, v15
	v_and_b32_e32 v32, 0xffffffc0, v15
	v_sub_u32_e32 v14, v14, v32
	s_add_i32 s15, s15, 1
	v_cmp_eq_u32_e32 vcc, v12, v14
	s_cmp_lt_i32 s15, s12
	v_ashrrev_i32_e32 v14, 6, v15
	s_cselect_b64 s[26:27], -1, 0
	v_cmp_ne_u32_e64 s[0:1], 8, v14
	s_and_b64 vcc, s[26:27], vcc
	s_cmp_eq_u32 s12, s15
	v_cndmask_b32_e64 v15, v30, v8, s[0:1]
	v_cmp_ne_u32_e64 s[0:1], 7, v14
	v_cndmask_b32_e32 v8, v8, v15, vcc
	v_add_u32_e32 v31, s30, v31
	v_cndmask_b32_e64 v15, v30, v7, s[0:1]
	v_cmp_ne_u32_e64 s[0:1], 6, v14
	v_cndmask_b32_e32 v7, v7, v15, vcc
	s_nop 0
	v_cndmask_b32_e64 v15, v30, v6, s[0:1]
	v_cmp_ne_u32_e64 s[0:1], 5, v14
	v_cndmask_b32_e32 v6, v6, v15, vcc
	s_nop 0
	;; [unrolled: 4-line block ×7, first 2 shown]
	v_cndmask_b32_e64 v14, v30, v0, s[0:1]
	v_cndmask_b32_e32 v0, v0, v14, vcc
	s_cbranch_scc1 .LBB237_54
.LBB237_26:                             ; =>This Inner Loop Header: Depth=1
	v_cmp_gt_f32_e32 vcc, v1, v0
	s_nop 1
	v_cndmask_b32_e32 v15, v0, v1, vcc
	v_cndmask_b32_e32 v14, v12, v11, vcc
	v_cmp_gt_f32_e32 vcc, v2, v15
	s_nop 1
	v_cndmask_b32_e32 v15, v15, v2, vcc
	v_cndmask_b32_e32 v14, v14, v13, vcc
	;; [unrolled: 4-line block ×8, first 2 shown]
	ds_bpermute_b32 v15, v23, v32
	s_waitcnt lgkmcnt(0)
	ds_bpermute_b32 v33, v23, v14
	s_waitcnt lgkmcnt(0)
	v_cmp_lt_f32_e64 s[26:27], v32, v15
	v_cmp_nlt_f32_e32 vcc, v32, v15
	s_and_saveexec_b64 s[28:29], vcc
; %bb.27:                               ;   in Loop: Header=BB237_26 Depth=1
	v_cmp_eq_f32_e32 vcc, v32, v15
	v_cmp_lt_i32_e64 s[0:1], v33, v14
	s_and_b64 s[0:1], vcc, s[0:1]
	s_andn2_b64 s[26:27], s[26:27], exec
	s_and_b64 s[0:1], s[0:1], exec
	s_or_b64 s[26:27], s[26:27], s[0:1]
; %bb.28:                               ;   in Loop: Header=BB237_26 Depth=1
	s_or_b64 exec, exec, s[28:29]
	s_and_saveexec_b64 s[0:1], s[26:27]
; %bb.29:                               ;   in Loop: Header=BB237_26 Depth=1
	v_mov_b32_e32 v32, v15
	v_mov_b32_e32 v14, v33
; %bb.30:                               ;   in Loop: Header=BB237_26 Depth=1
	s_or_b64 exec, exec, s[0:1]
	ds_bpermute_b32 v15, v24, v32
	ds_bpermute_b32 v33, v24, v14
	s_waitcnt lgkmcnt(1)
	v_cmp_lt_f32_e64 s[26:27], v32, v15
	v_cmp_nlt_f32_e32 vcc, v32, v15
	s_and_saveexec_b64 s[28:29], vcc
	s_cbranch_execz .LBB237_32
; %bb.31:                               ;   in Loop: Header=BB237_26 Depth=1
	v_cmp_eq_f32_e32 vcc, v32, v15
	s_waitcnt lgkmcnt(0)
	v_cmp_lt_i32_e64 s[0:1], v33, v14
	s_and_b64 s[0:1], vcc, s[0:1]
	s_andn2_b64 s[26:27], s[26:27], exec
	s_and_b64 s[0:1], s[0:1], exec
	s_or_b64 s[26:27], s[26:27], s[0:1]
.LBB237_32:                             ;   in Loop: Header=BB237_26 Depth=1
	s_or_b64 exec, exec, s[28:29]
	s_and_saveexec_b64 s[0:1], s[26:27]
	s_cbranch_execz .LBB237_34
; %bb.33:                               ;   in Loop: Header=BB237_26 Depth=1
	v_mov_b32_e32 v32, v15
	s_waitcnt lgkmcnt(0)
	v_mov_b32_e32 v14, v33
.LBB237_34:                             ;   in Loop: Header=BB237_26 Depth=1
	s_or_b64 exec, exec, s[0:1]
	ds_bpermute_b32 v15, v25, v32
	s_waitcnt lgkmcnt(1)
	ds_bpermute_b32 v33, v25, v14
	s_waitcnt lgkmcnt(1)
	v_cmp_lt_f32_e64 s[26:27], v32, v15
	v_cmp_nlt_f32_e32 vcc, v32, v15
	s_and_saveexec_b64 s[28:29], vcc
	s_cbranch_execz .LBB237_36
; %bb.35:                               ;   in Loop: Header=BB237_26 Depth=1
	v_cmp_eq_f32_e32 vcc, v32, v15
	s_waitcnt lgkmcnt(0)
	v_cmp_lt_i32_e64 s[0:1], v33, v14
	s_and_b64 s[0:1], vcc, s[0:1]
	s_andn2_b64 s[26:27], s[26:27], exec
	s_and_b64 s[0:1], s[0:1], exec
	s_or_b64 s[26:27], s[26:27], s[0:1]
.LBB237_36:                             ;   in Loop: Header=BB237_26 Depth=1
	s_or_b64 exec, exec, s[28:29]
	s_and_saveexec_b64 s[0:1], s[26:27]
	s_cbranch_execz .LBB237_38
; %bb.37:                               ;   in Loop: Header=BB237_26 Depth=1
	v_mov_b32_e32 v32, v15
	s_waitcnt lgkmcnt(0)
	v_mov_b32_e32 v14, v33
.LBB237_38:                             ;   in Loop: Header=BB237_26 Depth=1
	s_or_b64 exec, exec, s[0:1]
	ds_bpermute_b32 v15, v26, v32
	s_waitcnt lgkmcnt(1)
	;; [unrolled: 26-line block ×4, first 2 shown]
	ds_bpermute_b32 v33, v28, v14
	s_waitcnt lgkmcnt(1)
	v_cmp_lt_f32_e64 s[26:27], v32, v15
	v_cmp_nlt_f32_e32 vcc, v32, v15
	s_and_saveexec_b64 s[28:29], vcc
	s_cbranch_execnz .LBB237_49
; %bb.47:                               ;   in Loop: Header=BB237_26 Depth=1
	s_or_b64 exec, exec, s[28:29]
	s_and_saveexec_b64 s[0:1], s[26:27]
	s_cbranch_execnz .LBB237_50
.LBB237_48:                             ;   in Loop: Header=BB237_26 Depth=1
	s_or_b64 exec, exec, s[0:1]
	s_and_saveexec_b64 s[26:27], s[6:7]
	s_cbranch_execz .LBB237_25
	s_branch .LBB237_51
.LBB237_49:                             ;   in Loop: Header=BB237_26 Depth=1
	v_cmp_eq_f32_e32 vcc, v32, v15
	s_waitcnt lgkmcnt(0)
	v_cmp_lt_i32_e64 s[0:1], v33, v14
	s_and_b64 s[0:1], vcc, s[0:1]
	s_andn2_b64 s[26:27], s[26:27], exec
	s_and_b64 s[0:1], s[0:1], exec
	s_or_b64 s[26:27], s[26:27], s[0:1]
	s_or_b64 exec, exec, s[28:29]
	s_and_saveexec_b64 s[0:1], s[26:27]
	s_cbranch_execz .LBB237_48
.LBB237_50:                             ;   in Loop: Header=BB237_26 Depth=1
	s_waitcnt lgkmcnt(0)
	v_mov_b32_e32 v14, v33
	v_mov_b32_e32 v32, v15
	s_or_b64 exec, exec, s[0:1]
	s_and_saveexec_b64 s[26:27], s[6:7]
	s_cbranch_execz .LBB237_25
.LBB237_51:                             ;   in Loop: Header=BB237_26 Depth=1
	s_and_b64 vcc, exec, s[2:3]
	s_cbranch_vccnz .LBB237_24
; %bb.52:                               ;   in Loop: Header=BB237_26 Depth=1
	v_ashrrev_i32_e32 v15, 31, v14
	v_lshl_add_u64 v[34:35], v[14:15], 2, s[10:11]
	global_load_dword v15, v[34:35], off
	s_waitcnt vmcnt(0)
	v_sub_f32_e32 v32, v32, v15
	s_branch .LBB237_24
.LBB237_53:
	v_mov_b32_e32 v18, 0
.LBB237_54:
	v_cmp_eq_u32_e32 vcc, 0, v12
	s_and_b64 exec, exec, vcc
	s_cbranch_execz .LBB237_67
; %bb.55:
	s_andn2_b64 vcc, exec, s[4:5]
	v_cvt_f32_f64_e32 v0, s[8:9]
	s_cbranch_vccnz .LBB237_57
; %bb.56:
	v_cmp_lt_f32_e32 vcc, 0, v18
	s_nop 1
	v_cndmask_b32_e32 v1, 1.0, v18, vcc
	v_div_scale_f32 v2, s[0:1], v1, v1, v0
	v_rcp_f32_e32 v3, v2
	s_nop 0
	v_fma_f32 v4, -v2, v3, 1.0
	v_fmac_f32_e32 v3, v4, v3
	v_div_scale_f32 v4, vcc, v0, v1, v0
	v_mul_f32_e32 v5, v4, v3
	v_fma_f32 v6, -v2, v5, v4
	v_fmac_f32_e32 v5, v6, v3
	v_fma_f32 v2, -v2, v5, v4
	v_div_fmas_f32 v2, v2, v3, v5
	v_div_fixup_f32 v0, v2, v1, v0
.LBB237_57:
	s_andn2_b64 vcc, exec, s[24:25]
	s_cbranch_vccnz .LBB237_67
; %bb.58:
	v_mul_lo_u32 v2, v10, s12
	s_cmp_gt_u32 s12, 3
	v_ashrrev_i32_e32 v3, 31, v2
	s_cbranch_scc0 .LBB237_62
; %bb.59:
	s_and_b32 s0, s12, 0x7ffffffc
	v_lshl_add_u64 v[4:5], v[2:3], 2, s[20:21]
	v_mov_b32_e32 v1, v0
	v_lshl_add_u64 v[4:5], v[4:5], 0, 8
	s_mov_b32 s1, s0
.LBB237_60:                             ; =>This Inner Loop Header: Depth=1
	global_load_dwordx4 v[6:9], v[4:5], off offset:-8
	s_add_i32 s1, s1, -4
	s_cmp_lg_u32 s1, 0
	s_waitcnt vmcnt(0)
	v_pk_mul_f32 v[6:7], v[0:1], v[6:7]
	v_pk_mul_f32 v[8:9], v[0:1], v[8:9]
	global_store_dwordx4 v[4:5], v[6:9], off offset:-8
	v_lshl_add_u64 v[4:5], v[4:5], 0, 16
	s_cbranch_scc1 .LBB237_60
; %bb.61:
	s_cmp_lg_u32 s0, s12
	s_cselect_b64 s[2:3], -1, 0
	s_branch .LBB237_64
.LBB237_62:
	s_mov_b64 s[2:3], 0
                                        ; implicit-def: $sgpr0
	s_cbranch_execz .LBB237_64
; %bb.63:
	s_mov_b64 s[2:3], -1
	s_mov_b32 s0, 0
.LBB237_64:
	s_andn2_b64 vcc, exec, s[2:3]
	s_cbranch_vccnz .LBB237_67
; %bb.65:
	s_mov_b32 s1, 0
	v_lshl_add_u64 v[2:3], v[2:3], 0, s[0:1]
	s_sub_i32 s2, s12, s0
	v_lshl_add_u64 v[2:3], v[2:3], 2, s[20:21]
.LBB237_66:                             ; =>This Inner Loop Header: Depth=1
	global_load_dword v1, v[2:3], off
	s_add_i32 s2, s2, -1
	s_cmp_lg_u32 s2, 0
	s_waitcnt vmcnt(0)
	v_mul_f32_e32 v1, v0, v1
	global_store_dword v[2:3], v1, off
	v_lshl_add_u64 v[2:3], v[2:3], 0, 4
	s_cbranch_scc1 .LBB237_66
.LBB237_67:
	s_endpgm
	.section	.rodata,"a",@progbits
	.p2align	6, 0x0
	.amdhsa_kernel _ZN4vllm3moe22topkGatingSoftplusSqrtILi9ELi576ELi4ELi2ELi64ELb0Ei6__halfEEvPKT6_PKbPfiPT5_PiiiibdPKfPKS9_SF_
		.amdhsa_group_segment_fixed_size 0
		.amdhsa_private_segment_fixed_size 0
		.amdhsa_kernarg_size 96
		.amdhsa_user_sgpr_count 2
		.amdhsa_user_sgpr_dispatch_ptr 0
		.amdhsa_user_sgpr_queue_ptr 0
		.amdhsa_user_sgpr_kernarg_segment_ptr 1
		.amdhsa_user_sgpr_dispatch_id 0
		.amdhsa_user_sgpr_kernarg_preload_length 0
		.amdhsa_user_sgpr_kernarg_preload_offset 0
		.amdhsa_user_sgpr_private_segment_size 0
		.amdhsa_uses_dynamic_stack 0
		.amdhsa_enable_private_segment 0
		.amdhsa_system_sgpr_workgroup_id_x 1
		.amdhsa_system_sgpr_workgroup_id_y 0
		.amdhsa_system_sgpr_workgroup_id_z 0
		.amdhsa_system_sgpr_workgroup_info 0
		.amdhsa_system_vgpr_workitem_id 1
		.amdhsa_next_free_vgpr 38
		.amdhsa_next_free_sgpr 31
		.amdhsa_accum_offset 40
		.amdhsa_reserve_vcc 1
		.amdhsa_float_round_mode_32 0
		.amdhsa_float_round_mode_16_64 0
		.amdhsa_float_denorm_mode_32 3
		.amdhsa_float_denorm_mode_16_64 3
		.amdhsa_dx10_clamp 1
		.amdhsa_ieee_mode 1
		.amdhsa_fp16_overflow 0
		.amdhsa_tg_split 0
		.amdhsa_exception_fp_ieee_invalid_op 0
		.amdhsa_exception_fp_denorm_src 0
		.amdhsa_exception_fp_ieee_div_zero 0
		.amdhsa_exception_fp_ieee_overflow 0
		.amdhsa_exception_fp_ieee_underflow 0
		.amdhsa_exception_fp_ieee_inexact 0
		.amdhsa_exception_int_div_zero 0
	.end_amdhsa_kernel
	.section	.text._ZN4vllm3moe22topkGatingSoftplusSqrtILi9ELi576ELi4ELi2ELi64ELb0Ei6__halfEEvPKT6_PKbPfiPT5_PiiiibdPKfPKS9_SF_,"axG",@progbits,_ZN4vllm3moe22topkGatingSoftplusSqrtILi9ELi576ELi4ELi2ELi64ELb0Ei6__halfEEvPKT6_PKbPfiPT5_PiiiibdPKfPKS9_SF_,comdat
.Lfunc_end237:
	.size	_ZN4vllm3moe22topkGatingSoftplusSqrtILi9ELi576ELi4ELi2ELi64ELb0Ei6__halfEEvPKT6_PKbPfiPT5_PiiiibdPKfPKS9_SF_, .Lfunc_end237-_ZN4vllm3moe22topkGatingSoftplusSqrtILi9ELi576ELi4ELi2ELi64ELb0Ei6__halfEEvPKT6_PKbPfiPT5_PiiiibdPKfPKS9_SF_
                                        ; -- End function
	.section	.AMDGPU.csdata,"",@progbits
; Kernel info:
; codeLenInByte = 4744
; NumSgprs: 37
; NumVgprs: 38
; NumAgprs: 0
; TotalNumVgprs: 38
; ScratchSize: 0
; MemoryBound: 0
; FloatMode: 240
; IeeeMode: 1
; LDSByteSize: 0 bytes/workgroup (compile time only)
; SGPRBlocks: 4
; VGPRBlocks: 4
; NumSGPRsForWavesPerEU: 37
; NumVGPRsForWavesPerEU: 38
; AccumOffset: 40
; Occupancy: 8
; WaveLimiterHint : 1
; COMPUTE_PGM_RSRC2:SCRATCH_EN: 0
; COMPUTE_PGM_RSRC2:USER_SGPR: 2
; COMPUTE_PGM_RSRC2:TRAP_HANDLER: 0
; COMPUTE_PGM_RSRC2:TGID_X_EN: 1
; COMPUTE_PGM_RSRC2:TGID_Y_EN: 0
; COMPUTE_PGM_RSRC2:TGID_Z_EN: 0
; COMPUTE_PGM_RSRC2:TIDIG_COMP_CNT: 1
; COMPUTE_PGM_RSRC3_GFX90A:ACCUM_OFFSET: 9
; COMPUTE_PGM_RSRC3_GFX90A:TG_SPLIT: 0
	.section	.text._ZN4vllm3moe22topkGatingSoftplusSqrtILi18ELi576ELi4ELi2ELi32ELb1Ei6__halfEEvPKT6_PKbPfiPT5_PiiiibdPKfPKS9_SF_,"axG",@progbits,_ZN4vllm3moe22topkGatingSoftplusSqrtILi18ELi576ELi4ELi2ELi32ELb1Ei6__halfEEvPKT6_PKbPfiPT5_PiiiibdPKfPKS9_SF_,comdat
	.protected	_ZN4vllm3moe22topkGatingSoftplusSqrtILi18ELi576ELi4ELi2ELi32ELb1Ei6__halfEEvPKT6_PKbPfiPT5_PiiiibdPKfPKS9_SF_ ; -- Begin function _ZN4vllm3moe22topkGatingSoftplusSqrtILi18ELi576ELi4ELi2ELi32ELb1Ei6__halfEEvPKT6_PKbPfiPT5_PiiiibdPKfPKS9_SF_
	.globl	_ZN4vllm3moe22topkGatingSoftplusSqrtILi18ELi576ELi4ELi2ELi32ELb1Ei6__halfEEvPKT6_PKbPfiPT5_PiiiibdPKfPKS9_SF_
	.p2align	8
	.type	_ZN4vllm3moe22topkGatingSoftplusSqrtILi18ELi576ELi4ELi2ELi32ELb1Ei6__halfEEvPKT6_PKbPfiPT5_PiiiibdPKfPKS9_SF_,@function
_ZN4vllm3moe22topkGatingSoftplusSqrtILi18ELi576ELi4ELi2ELi32ELb1Ei6__halfEEvPKT6_PKbPfiPT5_PiiiibdPKfPKS9_SF_: ; @_ZN4vllm3moe22topkGatingSoftplusSqrtILi18ELi576ELi4ELi2ELi32ELb1Ei6__halfEEvPKT6_PKbPfiPT5_PiiiibdPKfPKS9_SF_
; %bb.0:
	s_load_dword s3, s[0:1], 0x18
	v_and_b32_e32 v1, 0x3ff, v0
	s_lshl_b32 s2, s2, 2
	v_lshrrev_b32_e32 v2, 5, v1
	v_bfe_u32 v0, v0, 10, 10
	v_add3_u32 v10, s2, v0, v2
	s_waitcnt lgkmcnt(0)
	v_cmp_gt_i32_e32 vcc, s3, v10
	s_and_saveexec_b64 s[2:3], vcc
	s_cbranch_execz .LBB238_71
; %bb.1:
	s_load_dwordx4 s[4:7], s[0:1], 0x50
	s_load_dwordx2 s[2:3], s[0:1], 0x0
	s_load_dword s33, s[0:1], 0x30
	s_movk_i32 s8, 0x240
	v_mul_lo_u32 v4, v10, s8
	v_ashrrev_i32_e32 v5, 31, v4
	v_and_b32_e32 v16, 31, v1
	s_waitcnt lgkmcnt(0)
	v_lshl_add_u64 v[4:5], v[4:5], 1, s[2:3]
	v_lshlrev_b32_e32 v8, 1, v16
	v_mov_b32_e32 v9, 0
	v_lshl_add_u64 v[0:1], v[4:5], 0, v[8:9]
	global_load_ushort v21, v[0:1], off
	global_load_ushort v22, v[0:1], off offset:64
	global_load_ushort v23, v[0:1], off offset:128
	;; [unrolled: 1-line block ×17, first 2 shown]
	v_mov_b32_e32 v2, s4
	v_mov_b32_e32 v3, s5
	v_ashrrev_i32_e32 v11, 31, v10
	v_lshl_add_u64 v[0:1], v[10:11], 2, v[2:3]
	global_load_dword v30, v[0:1], off
	s_mov_b32 s10, 0x800000
	v_mov_b32_e32 v11, 0x4f800000
	s_mov_b32 s9, 0x3f317217
	s_mov_b32 s11, 0x7f800000
	v_mov_b32_e32 v17, 0x41b17218
	s_movk_i32 s13, 0x4d00
	s_mov_b32 s12, 0xf800000
	v_mov_b32_e32 v8, 0x260
	v_mov_b32_e32 v12, s6
	s_mov_b32 s6, 0x41a00000
	v_mov_b32_e32 v13, s7
	s_cmp_gt_i32 s33, 0
	s_mov_b32 s8, 0
	s_waitcnt vmcnt(18)
	v_cvt_f32_f16_e32 v31, v21
	s_waitcnt vmcnt(17)
	v_cvt_f32_f16_e32 v32, v22
	;; [unrolled: 2-line block ×13, first 2 shown]
	v_mul_f32_e32 v15, 0x3fb8aa3b, v31
	s_waitcnt vmcnt(5)
	v_cvt_f32_f16_e32 v2, v18
	s_waitcnt vmcnt(4)
	v_cvt_f32_f16_e32 v3, v19
	;; [unrolled: 2-line block ×5, first 2 shown]
	v_mul_f32_e32 v28, 0x3fb8aa3b, v32
	v_exp_f32_e32 v29, v15
	v_exp_f32_e32 v28, v28
	s_waitcnt vmcnt(0)
	v_mul_lo_u32 v14, v30, s33
	scratch_store_dwordx4 off, v[4:7], off offset:28
	v_add_f32_e32 v29, 1.0, v29
	v_add_f32_e32 v28, 1.0, v28
	v_cmp_gt_f32_e32 vcc, s10, v29
	v_cmp_gt_f32_e64 s[2:3], s10, v28
	scratch_store_dwordx4 off, v[0:3], off offset:44
	v_cndmask_b32_e32 v30, 1.0, v11, vcc
	v_cndmask_b32_e64 v38, 1.0, v11, s[2:3]
	v_mul_f32_e32 v29, v29, v30
	v_mul_f32_e32 v28, v28, v38
	v_log_f32_e32 v29, v29
	v_log_f32_e32 v28, v28
	v_cndmask_b32_e32 v30, 0, v17, vcc
	v_cndmask_b32_e64 v38, 0, v17, s[2:3]
	v_mul_f32_e32 v39, 0x3f317217, v29
	v_mul_f32_e32 v40, 0x3f317217, v28
	v_fma_f32 v39, v29, s9, -v39
	v_fma_f32 v40, v28, s9, -v40
	v_fmac_f32_e32 v39, 0x3377d1cf, v29
	v_fmac_f32_e32 v40, 0x3377d1cf, v28
	;; [unrolled: 1-line block ×3, first 2 shown]
	v_cmp_lt_f32_e64 vcc, |v29|, s11
	v_fmac_f32_e32 v40, 0x3f317217, v28
	v_ashrrev_i32_e32 v15, 31, v14
	v_cndmask_b32_e32 v29, v29, v39, vcc
	v_cmp_lt_f32_e64 vcc, |v28|, s11
	v_sub_f32_e32 v29, v29, v30
	s_nop 0
	v_cndmask_b32_e32 v28, v28, v40, vcc
	v_cmp_lt_f16_e32 vcc, s13, v21
	v_sub_f32_e32 v28, v28, v38
	s_nop 0
	v_cndmask_b32_e32 v21, v29, v31, vcc
	v_cmp_lt_f16_e32 vcc, s13, v22
	s_nop 1
	v_cndmask_b32_e32 v22, v28, v32, vcc
	v_mul_f32_e32 v28, 0x4f800000, v21
	v_cmp_gt_f32_e32 vcc, s12, v21
	v_mul_f32_e32 v29, 0x4f800000, v22
	v_cmp_gt_f32_e64 s[2:3], s12, v22
	v_cndmask_b32_e32 v21, v21, v28, vcc
	v_sqrt_f32_e32 v28, v21
	v_cndmask_b32_e64 v29, v22, v29, s[2:3]
	v_sqrt_f32_e32 v30, v29
	v_add_u32_e32 v22, -1, v28
	v_add_u32_e32 v31, 1, v28
	v_fma_f32 v38, -v22, v28, v21
	v_fma_f32 v39, -v31, v28, v21
	v_cmp_ge_f32_e64 s[4:5], 0, v38
	v_add_u32_e32 v32, -1, v30
	v_fma_f32 v40, -v32, v30, v29
	v_cndmask_b32_e64 v22, v28, v22, s[4:5]
	v_cmp_lt_f32_e64 s[4:5], 0, v39
	s_nop 1
	v_cndmask_b32_e64 v22, v22, v31, s[4:5]
	v_mul_f32_e32 v28, 0x37800000, v22
	v_cndmask_b32_e32 v22, v22, v28, vcc
	v_cmp_class_f32_e32 vcc, v21, v8
	v_add_u32_e32 v31, 1, v30
	s_nop 0
	v_cndmask_b32_e32 v22, v22, v21, vcc
	v_mul_f32_e32 v21, 0x3fb8aa3b, v33
	v_exp_f32_e32 v21, v21
	v_cmp_ge_f32_e32 vcc, 0, v40
	v_add_f32_e32 v21, 1.0, v21
	s_nop 0
	v_cndmask_b32_e32 v28, v30, v32, vcc
	v_cmp_gt_f32_e32 vcc, s10, v21
	v_fma_f32 v30, -v31, v30, v29
	v_cmp_lt_f32_e64 s[4:5], 0, v30
	v_cndmask_b32_e32 v32, 1.0, v11, vcc
	v_mul_f32_e32 v21, v21, v32
	v_log_f32_e32 v21, v21
	v_cndmask_b32_e64 v28, v28, v31, s[4:5]
	v_mul_f32_e32 v30, 0x37800000, v28
	v_mul_f32_e32 v31, 0x3f317217, v21
	v_fma_f32 v31, v21, s9, -v31
	v_fmac_f32_e32 v31, 0x3377d1cf, v21
	v_fmac_f32_e32 v31, 0x3f317217, v21
	v_cmp_lt_f32_e64 s[4:5], |v21|, s11
	s_nop 1
	v_cndmask_b32_e64 v21, v21, v31, s[4:5]
	v_cndmask_b32_e32 v31, 0, v17, vcc
	v_sub_f32_e32 v21, v21, v31
	v_cmp_lt_f16_e32 vcc, s13, v23
	s_nop 1
	v_cndmask_b32_e32 v21, v21, v33, vcc
	v_mul_f32_e32 v23, 0x4f800000, v21
	v_cmp_gt_f32_e32 vcc, s12, v21
	s_nop 1
	v_cndmask_b32_e32 v21, v21, v23, vcc
	v_sqrt_f32_e32 v31, v21
	v_cndmask_b32_e64 v23, v28, v30, s[2:3]
	v_mul_f32_e32 v30, 0x3fb8aa3b, v34
	v_exp_f32_e32 v30, v30
	v_cmp_class_f32_e64 s[2:3], v29, v8
	v_add_u32_e32 v28, -1, v31
	v_add_f32_e32 v30, 1.0, v30
	v_cndmask_b32_e64 v23, v23, v29, s[2:3]
	v_fma_f32 v29, -v28, v31, v21
	v_cmp_ge_f32_e64 s[2:3], 0, v29
	v_add_u32_e32 v29, 1, v31
	s_nop 0
	v_cndmask_b32_e64 v28, v31, v28, s[2:3]
	v_cmp_gt_f32_e64 s[2:3], s10, v30
	v_fma_f32 v31, -v29, v31, v21
	v_cmp_lt_f32_e64 s[4:5], 0, v31
	v_cndmask_b32_e64 v32, 1.0, v11, s[2:3]
	v_mul_f32_e32 v30, v30, v32
	v_log_f32_e32 v30, v30
	v_cndmask_b32_e64 v28, v28, v29, s[4:5]
	v_mul_f32_e32 v29, 0x37800000, v28
	v_mul_f32_e32 v31, 0x3f317217, v30
	v_fma_f32 v31, v30, s9, -v31
	v_fmac_f32_e32 v31, 0x3377d1cf, v30
	v_fmac_f32_e32 v31, 0x3f317217, v30
	v_cmp_lt_f32_e64 s[4:5], |v30|, s11
	s_nop 1
	v_cndmask_b32_e64 v30, v30, v31, s[4:5]
	v_cndmask_b32_e64 v31, 0, v17, s[2:3]
	v_sub_f32_e32 v30, v30, v31
	v_cmp_lt_f16_e64 s[2:3], s13, v24
	s_nop 1
	v_cndmask_b32_e64 v24, v30, v34, s[2:3]
	v_mul_f32_e32 v30, 0x4f800000, v24
	v_cmp_gt_f32_e64 s[2:3], s12, v24
	s_nop 1
	v_cndmask_b32_e64 v30, v24, v30, s[2:3]
	v_sqrt_f32_e32 v31, v30
	v_cndmask_b32_e32 v24, v28, v29, vcc
	v_mul_f32_e32 v29, 0x3fb8aa3b, v35
	v_exp_f32_e32 v29, v29
	v_cmp_class_f32_e32 vcc, v21, v8
	v_add_f32_e32 v29, 1.0, v29
	s_nop 0
	v_cndmask_b32_e32 v24, v24, v21, vcc
	v_add_u32_e32 v21, -1, v31
	v_fma_f32 v28, -v21, v31, v30
	v_cmp_ge_f32_e32 vcc, 0, v28
	v_add_u32_e32 v28, 1, v31
	s_nop 0
	v_cndmask_b32_e32 v21, v31, v21, vcc
	v_cmp_gt_f32_e32 vcc, s10, v29
	v_fma_f32 v31, -v28, v31, v30
	v_cmp_lt_f32_e64 s[4:5], 0, v31
	v_cndmask_b32_e32 v32, 1.0, v11, vcc
	v_mul_f32_e32 v29, v29, v32
	v_log_f32_e32 v29, v29
	v_cndmask_b32_e64 v21, v21, v28, s[4:5]
	v_mul_f32_e32 v28, 0x37800000, v21
	v_cndmask_b32_e64 v21, v21, v28, s[2:3]
	v_mul_f32_e32 v28, 0x3f317217, v29
	v_fma_f32 v28, v29, s9, -v28
	v_fmac_f32_e32 v28, 0x3377d1cf, v29
	v_fmac_f32_e32 v28, 0x3f317217, v29
	v_cmp_lt_f32_e64 s[2:3], |v29|, s11
	s_nop 1
	v_cndmask_b32_e64 v28, v29, v28, s[2:3]
	v_cndmask_b32_e32 v29, 0, v17, vcc
	v_sub_f32_e32 v28, v28, v29
	v_cmp_lt_f16_e32 vcc, s13, v25
	v_cmp_class_f32_e64 s[2:3], v30, v8
	s_nop 0
	v_cndmask_b32_e32 v25, v28, v35, vcc
	v_mul_f32_e32 v28, 0x4f800000, v25
	v_cmp_gt_f32_e32 vcc, s12, v25
	s_nop 1
	v_cndmask_b32_e32 v28, v25, v28, vcc
	v_sqrt_f32_e32 v29, v28
	v_cndmask_b32_e64 v25, v21, v30, s[2:3]
	scratch_store_dwordx4 off, v[22:25], off
	v_add_u32_e32 v21, -1, v29
	s_nop 0
	v_mul_f32_e32 v23, 0x3fb8aa3b, v36
	v_exp_f32_e32 v23, v23
	v_fma_f32 v22, -v21, v29, v28
	v_cmp_ge_f32_e64 s[2:3], 0, v22
	v_add_u32_e32 v22, 1, v29
	v_add_f32_e32 v23, 1.0, v23
	v_cndmask_b32_e64 v21, v29, v21, s[2:3]
	v_cmp_gt_f32_e64 s[2:3], s10, v23
	v_fma_f32 v24, -v22, v29, v28
	v_cmp_lt_f32_e64 s[4:5], 0, v24
	v_cndmask_b32_e64 v25, 1.0, v11, s[2:3]
	v_mul_f32_e32 v23, v23, v25
	v_log_f32_e32 v23, v23
	v_cndmask_b32_e64 v21, v21, v22, s[4:5]
	v_mul_f32_e32 v22, 0x37800000, v21
	v_cndmask_b32_e32 v21, v21, v22, vcc
	v_mul_f32_e32 v24, 0x3f317217, v23
	v_fma_f32 v24, v23, s9, -v24
	v_fmac_f32_e32 v24, 0x3377d1cf, v23
	v_fmac_f32_e32 v24, 0x3f317217, v23
	v_cmp_lt_f32_e64 s[4:5], |v23|, s11
	v_cmp_class_f32_e32 vcc, v28, v8
	s_nop 0
	v_cndmask_b32_e64 v23, v23, v24, s[4:5]
	v_cndmask_b32_e64 v24, 0, v17, s[2:3]
	v_sub_f32_e32 v23, v23, v24
	v_cmp_lt_f16_e64 s[2:3], s13, v26
	v_mul_f32_e32 v26, 0x3fb8aa3b, v37
	v_exp_f32_e32 v26, v26
	v_cndmask_b32_e64 v23, v23, v36, s[2:3]
	v_mul_f32_e32 v24, 0x4f800000, v23
	v_cmp_gt_f32_e64 s[2:3], s12, v23
	v_cndmask_b32_e32 v22, v21, v28, vcc
	v_add_f32_e32 v26, 1.0, v26
	v_cndmask_b32_e64 v23, v23, v24, s[2:3]
	v_sqrt_f32_e32 v24, v23
	s_nop 0
	v_add_u32_e32 v21, -1, v24
	v_fma_f32 v25, -v21, v24, v23
	v_cmp_ge_f32_e32 vcc, 0, v25
	v_add_u32_e32 v25, 1, v24
	s_nop 0
	v_cndmask_b32_e32 v21, v24, v21, vcc
	v_cmp_gt_f32_e32 vcc, s10, v26
	v_fma_f32 v24, -v25, v24, v23
	v_cmp_lt_f32_e64 s[4:5], 0, v24
	v_cndmask_b32_e32 v28, 1.0, v11, vcc
	v_mul_f32_e32 v26, v26, v28
	v_log_f32_e32 v26, v26
	v_cndmask_b32_e64 v21, v21, v25, s[4:5]
	v_mul_f32_e32 v24, 0x37800000, v21
	v_cndmask_b32_e64 v21, v21, v24, s[2:3]
	v_mul_f32_e32 v25, 0x3f317217, v26
	v_fma_f32 v25, v26, s9, -v25
	v_fmac_f32_e32 v25, 0x3377d1cf, v26
	v_fmac_f32_e32 v25, 0x3f317217, v26
	v_cmp_lt_f32_e64 s[4:5], |v26|, s11
	v_cmp_class_f32_e64 s[2:3], v23, v8
	s_nop 0
	v_cndmask_b32_e64 v25, v26, v25, s[4:5]
	v_cndmask_b32_e32 v26, 0, v17, vcc
	v_sub_f32_e32 v25, v25, v26
	v_cmp_lt_f16_e32 vcc, s13, v27
	v_cndmask_b32_e64 v23, v21, v23, s[2:3]
	s_nop 0
	v_cndmask_b32_e32 v25, v25, v37, vcc
	v_mul_f32_e32 v26, 0x4f800000, v25
	v_cmp_gt_f32_e32 vcc, s12, v25
	s_nop 1
	v_cndmask_b32_e32 v28, v25, v26, vcc
	v_sqrt_f32_e32 v25, v28
	s_nop 0
	v_add_u32_e32 v21, -1, v25
	v_fma_f32 v24, -v21, v25, v28
	v_cmp_ge_f32_e64 s[2:3], 0, v24
	v_add_u32_e32 v26, 1, v25
	v_fma_f32 v27, -v26, v25, v28
	v_cndmask_b32_e64 v21, v25, v21, s[2:3]
	v_mul_f32_e32 v24, 0x3fb8aa3b, v4
	v_mul_f32_e32 v25, 0x3fb8aa3b, v5
	v_exp_f32_e32 v24, v24
	v_exp_f32_e32 v25, v25
	v_cmp_lt_f32_e64 s[2:3], 0, v27
	s_nop 1
	v_cndmask_b32_e64 v21, v21, v26, s[2:3]
	v_mul_f32_e32 v26, 0x37800000, v21
	v_cndmask_b32_e32 v21, v21, v26, vcc
	v_pk_add_f32 v[26:27], v[24:25], 1.0 op_sel_hi:[1,0]
	v_cmp_class_f32_e64 s[2:3], v28, v8
	v_cmp_gt_f32_e32 vcc, s10, v27
	s_nop 1
	v_cndmask_b32_e32 v24, 1.0, v11, vcc
	v_mul_f32_e32 v24, v27, v24
	v_log_f32_e32 v25, v24
	v_cndmask_b32_e64 v24, v21, v28, s[2:3]
	v_cmp_gt_f32_e64 s[2:3], s10, v26
	scratch_store_dwordx3 off, v[22:24], off offset:16
	v_mul_f32_e32 v21, 0x3f317217, v25
	v_fma_f32 v21, v25, s9, -v21
	v_cndmask_b32_e64 v22, 1.0, v11, s[2:3]
	v_mul_f32_e32 v22, v26, v22
	v_log_f32_e32 v22, v22
	v_fmac_f32_e32 v21, 0x3377d1cf, v25
	v_fmac_f32_e32 v21, 0x3f317217, v25
	v_cmp_lt_f32_e64 s[4:5], |v25|, s11
	v_cndmask_b32_e32 v23, 0, v17, vcc
	v_cmp_lt_f32_e64 vcc, |v22|, s11
	v_cndmask_b32_e64 v21, v25, v21, s[4:5]
	v_sub_f32_e32 v21, v21, v23
	v_mul_f32_e32 v23, 0x3f317217, v22
	v_fma_f32 v23, v22, s9, -v23
	v_fmac_f32_e32 v23, 0x3377d1cf, v22
	v_fmac_f32_e32 v23, 0x3f317217, v22
	v_cndmask_b32_e32 v22, v22, v23, vcc
	v_cmp_lt_f32_e32 vcc, s6, v5
	v_cndmask_b32_e64 v23, 0, v17, s[2:3]
	v_sub_f32_e32 v22, v22, v23
	v_cndmask_b32_e32 v5, v21, v5, vcc
	v_mul_f32_e32 v21, 0x4f800000, v5
	v_cmp_gt_f32_e32 vcc, s12, v5
	v_cmp_lt_f32_e64 s[2:3], s6, v4
	s_nop 0
	v_cndmask_b32_e32 v5, v5, v21, vcc
	v_sqrt_f32_e32 v21, v5
	v_cndmask_b32_e64 v4, v22, v4, s[2:3]
	v_add_u32_e32 v22, -1, v21
	v_fma_f32 v23, -v22, v21, v5
	v_cmp_ge_f32_e64 s[2:3], 0, v23
	v_add_u32_e32 v23, 1, v21
	s_nop 0
	v_cndmask_b32_e64 v22, v21, v22, s[2:3]
	v_fma_f32 v21, -v23, v21, v5
	v_cmp_lt_f32_e64 s[2:3], 0, v21
	s_nop 1
	v_cndmask_b32_e64 v21, v22, v23, s[2:3]
	v_mul_f32_e32 v23, 0x4f800000, v4
	v_cmp_gt_f32_e64 s[2:3], s12, v4
	v_mul_f32_e32 v22, 0x37800000, v21
	v_cndmask_b32_e32 v21, v21, v22, vcc
	v_cndmask_b32_e64 v4, v4, v23, s[2:3]
	v_sqrt_f32_e32 v23, v4
	v_cmp_class_f32_e32 vcc, v5, v8
	v_add_u32_e32 v24, 1, v23
	s_nop 0
	v_cndmask_b32_e32 v5, v21, v5, vcc
	v_add_u32_e32 v21, -1, v23
	v_fma_f32 v22, -v21, v23, v4
	v_cmp_ge_f32_e32 vcc, 0, v22
	v_fma_f32 v25, -v24, v23, v4
	v_mul_f32_e32 v22, 0x3fb8aa3b, v6
	v_cndmask_b32_e32 v21, v23, v21, vcc
	v_mul_f32_e32 v23, 0x3fb8aa3b, v7
	v_exp_f32_e32 v22, v22
	v_exp_f32_e32 v23, v23
	v_cmp_lt_f32_e32 vcc, 0, v25
	v_pk_add_f32 v[22:23], v[22:23], 1.0 op_sel_hi:[1,0]
	s_nop 0
	v_cndmask_b32_e32 v21, v21, v24, vcc
	v_cmp_gt_f32_e32 vcc, s10, v23
	v_mul_f32_e32 v24, 0x37800000, v21
	v_cndmask_b32_e64 v21, v21, v24, s[2:3]
	v_cndmask_b32_e32 v25, 1.0, v11, vcc
	v_mul_f32_e32 v23, v23, v25
	v_log_f32_e32 v23, v23
	v_cmp_class_f32_e64 s[2:3], v4, v8
	v_cmp_lt_f32_e64 s[4:5], |v23|, s11
	s_nop 0
	v_cndmask_b32_e64 v4, v21, v4, s[2:3]
	v_cmp_gt_f32_e64 s[2:3], s10, v22
	v_mul_f32_e32 v21, 0x3f317217, v23
	v_fma_f32 v21, v23, s9, -v21
	v_cndmask_b32_e64 v24, 1.0, v11, s[2:3]
	v_mul_f32_e32 v22, v22, v24
	v_log_f32_e32 v22, v22
	v_fmac_f32_e32 v21, 0x3377d1cf, v23
	v_fmac_f32_e32 v21, 0x3f317217, v23
	v_cndmask_b32_e64 v21, v23, v21, s[4:5]
	v_cndmask_b32_e32 v23, 0, v17, vcc
	v_sub_f32_e32 v21, v21, v23
	v_mul_f32_e32 v23, 0x3f317217, v22
	v_fma_f32 v23, v22, s9, -v23
	v_fmac_f32_e32 v23, 0x3377d1cf, v22
	v_fmac_f32_e32 v23, 0x3f317217, v22
	v_cmp_lt_f32_e64 vcc, |v22|, s11
	s_nop 1
	v_cndmask_b32_e32 v22, v22, v23, vcc
	v_cmp_lt_f32_e32 vcc, s6, v7
	v_cndmask_b32_e64 v23, 0, v17, s[2:3]
	v_sub_f32_e32 v22, v22, v23
	v_cndmask_b32_e32 v7, v21, v7, vcc
	v_mul_f32_e32 v21, 0x4f800000, v7
	v_cmp_gt_f32_e32 vcc, s12, v7
	v_cmp_lt_f32_e64 s[2:3], s6, v6
	s_nop 0
	v_cndmask_b32_e32 v7, v7, v21, vcc
	v_sqrt_f32_e32 v21, v7
	v_cndmask_b32_e64 v6, v22, v6, s[2:3]
	v_add_u32_e32 v22, -1, v21
	v_fma_f32 v23, -v22, v21, v7
	v_cmp_ge_f32_e64 s[2:3], 0, v23
	v_add_u32_e32 v23, 1, v21
	s_nop 0
	v_cndmask_b32_e64 v22, v21, v22, s[2:3]
	v_fma_f32 v21, -v23, v21, v7
	v_cmp_lt_f32_e64 s[2:3], 0, v21
	s_nop 1
	v_cndmask_b32_e64 v21, v22, v23, s[2:3]
	v_mul_f32_e32 v23, 0x4f800000, v6
	v_cmp_gt_f32_e64 s[2:3], s12, v6
	v_mul_f32_e32 v22, 0x37800000, v21
	v_cndmask_b32_e32 v21, v21, v22, vcc
	v_cndmask_b32_e64 v6, v6, v23, s[2:3]
	v_sqrt_f32_e32 v23, v6
	v_cmp_class_f32_e32 vcc, v7, v8
	v_add_u32_e32 v24, 1, v23
	s_nop 0
	v_cndmask_b32_e32 v7, v21, v7, vcc
	v_add_u32_e32 v21, -1, v23
	v_fma_f32 v22, -v21, v23, v6
	v_cmp_ge_f32_e32 vcc, 0, v22
	v_fma_f32 v25, -v24, v23, v6
	v_mul_f32_e32 v22, 0x3fb8aa3b, v0
	v_cndmask_b32_e32 v21, v23, v21, vcc
	v_mul_f32_e32 v23, 0x3fb8aa3b, v1
	v_exp_f32_e32 v22, v22
	v_exp_f32_e32 v23, v23
	v_cmp_lt_f32_e32 vcc, 0, v25
	v_pk_add_f32 v[22:23], v[22:23], 1.0 op_sel_hi:[1,0]
	s_nop 0
	v_cndmask_b32_e32 v21, v21, v24, vcc
	v_mul_f32_e32 v24, 0x37800000, v21
	v_cmp_gt_f32_e32 vcc, s10, v23
	v_cndmask_b32_e64 v21, v21, v24, s[2:3]
	v_cmp_class_f32_e64 s[2:3], v6, v8
	v_cndmask_b32_e32 v24, 1.0, v11, vcc
	v_mul_f32_e32 v23, v23, v24
	v_log_f32_e32 v23, v23
	v_cndmask_b32_e64 v6, v21, v6, s[2:3]
	v_cmp_gt_f32_e64 s[2:3], s10, v22
	scratch_store_dwordx4 off, v[4:7], off offset:28
	v_cmp_lt_f32_e64 s[4:5], |v23|, s11
	s_nop 0
	v_cndmask_b32_e64 v5, 1.0, v11, s[2:3]
	v_mul_f32_e32 v4, 0x3f317217, v23
	v_mul_f32_e32 v5, v22, v5
	v_fma_f32 v4, v23, s9, -v4
	v_log_f32_e32 v5, v5
	v_fmac_f32_e32 v4, 0x3377d1cf, v23
	v_fmac_f32_e32 v4, 0x3f317217, v23
	v_cndmask_b32_e64 v4, v23, v4, s[4:5]
	v_cndmask_b32_e32 v6, 0, v17, vcc
	v_sub_f32_e32 v4, v4, v6
	v_mul_f32_e32 v6, 0x3f317217, v5
	v_fma_f32 v6, v5, s9, -v6
	v_fmac_f32_e32 v6, 0x3377d1cf, v5
	v_fmac_f32_e32 v6, 0x3f317217, v5
	v_cmp_lt_f32_e64 vcc, |v5|, s11
	s_nop 1
	v_cndmask_b32_e32 v5, v5, v6, vcc
	v_cmp_lt_f32_e32 vcc, s6, v1
	v_cndmask_b32_e64 v6, 0, v17, s[2:3]
	v_sub_f32_e32 v5, v5, v6
	v_cndmask_b32_e32 v1, v4, v1, vcc
	v_mul_f32_e32 v4, 0x4f800000, v1
	v_cmp_gt_f32_e32 vcc, s12, v1
	v_cmp_lt_f32_e64 s[2:3], s6, v0
	s_nop 0
	v_cndmask_b32_e32 v1, v1, v4, vcc
	v_sqrt_f32_e32 v4, v1
	v_cndmask_b32_e64 v0, v5, v0, s[2:3]
	v_add_u32_e32 v5, -1, v4
	v_fma_f32 v6, -v5, v4, v1
	v_cmp_ge_f32_e64 s[2:3], 0, v6
	v_add_u32_e32 v6, 1, v4
	s_nop 0
	v_cndmask_b32_e64 v5, v4, v5, s[2:3]
	v_fma_f32 v4, -v6, v4, v1
	v_cmp_lt_f32_e64 s[2:3], 0, v4
	s_nop 1
	v_cndmask_b32_e64 v4, v5, v6, s[2:3]
	v_mul_f32_e32 v6, 0x4f800000, v0
	v_cmp_gt_f32_e64 s[2:3], s12, v0
	v_mul_f32_e32 v5, 0x37800000, v4
	v_cndmask_b32_e32 v4, v4, v5, vcc
	v_cndmask_b32_e64 v0, v0, v6, s[2:3]
	v_sqrt_f32_e32 v6, v0
	v_cmp_class_f32_e32 vcc, v1, v8
	v_add_u32_e32 v21, 1, v6
	s_nop 0
	v_cndmask_b32_e32 v1, v4, v1, vcc
	v_add_u32_e32 v4, -1, v6
	v_fma_f32 v5, -v4, v6, v0
	v_cmp_ge_f32_e32 vcc, 0, v5
	v_mul_f32_e32 v5, 0x3fb8aa3b, v3
	v_exp_f32_e32 v5, v5
	v_cndmask_b32_e32 v7, v6, v4, vcc
	v_mul_f32_e32 v4, 0x3fb8aa3b, v2
	v_exp_f32_e32 v4, v4
	v_fma_f32 v6, -v21, v6, v0
	v_cmp_lt_f32_e32 vcc, 0, v6
	v_pk_add_f32 v[4:5], v[4:5], 1.0 op_sel_hi:[1,0]
	s_nop 0
	v_cndmask_b32_e32 v6, v7, v21, vcc
	v_cmp_gt_f32_e32 vcc, s10, v5
	v_mul_f32_e32 v7, 0x37800000, v6
	v_cndmask_b32_e64 v6, v6, v7, s[2:3]
	v_cndmask_b32_e32 v21, 1.0, v11, vcc
	v_mul_f32_e32 v5, v5, v21
	v_log_f32_e32 v5, v5
	v_cmp_class_f32_e64 s[2:3], v0, v8
	v_cmp_lt_f32_e64 s[4:5], |v5|, s11
	s_nop 0
	v_cndmask_b32_e64 v0, v6, v0, s[2:3]
	v_cmp_gt_f32_e64 s[2:3], s10, v4
	v_mul_f32_e32 v6, 0x3f317217, v5
	v_fma_f32 v6, v5, s9, -v6
	v_cndmask_b32_e64 v7, 1.0, v11, s[2:3]
	v_mul_f32_e32 v4, v4, v7
	v_log_f32_e32 v4, v4
	v_fmac_f32_e32 v6, 0x3377d1cf, v5
	v_fmac_f32_e32 v6, 0x3f317217, v5
	v_cndmask_b32_e64 v5, v5, v6, s[4:5]
	v_cndmask_b32_e32 v6, 0, v17, vcc
	v_sub_f32_e32 v5, v5, v6
	v_mul_f32_e32 v6, 0x3f317217, v4
	v_fma_f32 v6, v4, s9, -v6
	v_fmac_f32_e32 v6, 0x3377d1cf, v4
	v_fmac_f32_e32 v6, 0x3f317217, v4
	v_cmp_lt_f32_e64 vcc, |v4|, s11
	s_nop 1
	v_cndmask_b32_e32 v4, v4, v6, vcc
	v_cmp_lt_f32_e32 vcc, s6, v3
	v_cndmask_b32_e64 v6, 0, v17, s[2:3]
	v_sub_f32_e32 v4, v4, v6
	v_cndmask_b32_e32 v3, v5, v3, vcc
	v_mul_f32_e32 v5, 0x4f800000, v3
	v_cmp_gt_f32_e32 vcc, s12, v3
	v_cmp_lt_f32_e64 s[2:3], s6, v2
	s_nop 0
	v_cndmask_b32_e32 v3, v3, v5, vcc
	v_sqrt_f32_e32 v5, v3
	v_cndmask_b32_e64 v2, v4, v2, s[2:3]
	v_add_u32_e32 v4, -1, v5
	v_fma_f32 v6, -v4, v5, v3
	v_cmp_ge_f32_e64 s[2:3], 0, v6
	v_add_u32_e32 v6, 1, v5
	s_nop 0
	v_cndmask_b32_e64 v4, v5, v4, s[2:3]
	v_fma_f32 v5, -v6, v5, v3
	v_cmp_lt_f32_e64 s[2:3], 0, v5
	s_nop 1
	v_cndmask_b32_e64 v4, v4, v6, s[2:3]
	v_mul_f32_e32 v6, 0x4f800000, v2
	v_cmp_gt_f32_e64 s[2:3], s12, v2
	v_mul_f32_e32 v5, 0x37800000, v4
	v_cndmask_b32_e32 v4, v4, v5, vcc
	v_cndmask_b32_e64 v2, v2, v6, s[2:3]
	v_sqrt_f32_e32 v6, v2
	v_cmp_class_f32_e32 vcc, v3, v8
	v_add_u32_e32 v21, 1, v6
	s_nop 0
	v_cndmask_b32_e32 v3, v4, v3, vcc
	v_add_u32_e32 v4, -1, v6
	v_fma_f32 v5, -v4, v6, v2
	v_cmp_ge_f32_e32 vcc, 0, v5
	v_mul_f32_e32 v5, 0x3fb8aa3b, v20
	v_exp_f32_e32 v5, v5
	v_cndmask_b32_e32 v7, v6, v4, vcc
	v_mul_f32_e32 v4, 0x3fb8aa3b, v19
	v_exp_f32_e32 v4, v4
	v_fma_f32 v6, -v21, v6, v2
	v_cmp_lt_f32_e32 vcc, 0, v6
	v_pk_add_f32 v[4:5], v[4:5], 1.0 op_sel_hi:[1,0]
	s_nop 0
	v_cndmask_b32_e32 v6, v7, v21, vcc
	v_mul_f32_e32 v7, 0x37800000, v6
	v_cmp_gt_f32_e32 vcc, s10, v5
	v_cndmask_b32_e64 v6, v6, v7, s[2:3]
	v_cmp_class_f32_e64 s[2:3], v2, v8
	v_cndmask_b32_e32 v7, 1.0, v11, vcc
	v_mul_f32_e32 v5, v5, v7
	v_log_f32_e32 v5, v5
	v_cndmask_b32_e64 v2, v6, v2, s[2:3]
	v_cmp_gt_f32_e64 s[2:3], s10, v4
	scratch_store_dwordx4 off, v[0:3], off offset:44
	v_cmp_lt_f32_e64 s[4:5], |v5|, s11
	s_nop 0
	v_cndmask_b32_e64 v1, 1.0, v11, s[2:3]
	v_mul_f32_e32 v0, 0x3f317217, v5
	v_mul_f32_e32 v1, v4, v1
	v_fma_f32 v0, v5, s9, -v0
	v_log_f32_e32 v1, v1
	v_fmac_f32_e32 v0, 0x3377d1cf, v5
	v_fmac_f32_e32 v0, 0x3f317217, v5
	v_cndmask_b32_e64 v0, v5, v0, s[4:5]
	v_cndmask_b32_e32 v2, 0, v17, vcc
	v_sub_f32_e32 v0, v0, v2
	v_mul_f32_e32 v2, 0x3f317217, v1
	v_fma_f32 v2, v1, s9, -v2
	v_fmac_f32_e32 v2, 0x3377d1cf, v1
	v_fmac_f32_e32 v2, 0x3f317217, v1
	v_cmp_lt_f32_e64 vcc, |v1|, s11
	s_nop 1
	v_cndmask_b32_e32 v1, v1, v2, vcc
	v_cmp_lt_f32_e32 vcc, s6, v20
	v_cndmask_b32_e64 v2, 0, v17, s[2:3]
	v_sub_f32_e32 v1, v1, v2
	v_cndmask_b32_e32 v0, v0, v20, vcc
	v_mul_f32_e32 v3, 0x4f800000, v0
	v_cmp_gt_f32_e32 vcc, s12, v0
	v_cmp_lt_f32_e64 s[2:3], s6, v19
	s_nop 0
	v_cndmask_b32_e32 v0, v0, v3, vcc
	v_sqrt_f32_e32 v3, v0
	v_cndmask_b32_e64 v1, v1, v19, s[2:3]
	v_add_u32_e32 v2, -1, v3
	v_fma_f32 v4, -v2, v3, v0
	v_cmp_ge_f32_e64 s[2:3], 0, v4
	v_add_u32_e32 v4, 1, v3
	s_nop 0
	v_cndmask_b32_e64 v2, v3, v2, s[2:3]
	v_fma_f32 v3, -v4, v3, v0
	v_cmp_lt_f32_e64 s[2:3], 0, v3
	s_nop 1
	v_cndmask_b32_e64 v2, v2, v4, s[2:3]
	v_mul_f32_e32 v4, 0x4f800000, v1
	v_cmp_gt_f32_e64 s[2:3], s12, v1
	v_mul_f32_e32 v3, 0x37800000, v2
	s_nop 0
	v_cndmask_b32_e64 v4, v1, v4, s[2:3]
	v_sqrt_f32_e32 v5, v4
	v_cndmask_b32_e32 v1, v2, v3, vcc
	v_mul_f32_e32 v3, 0x3fb8aa3b, v18
	v_exp_f32_e32 v3, v3
	v_cmp_class_f32_e32 vcc, v0, v8
	v_add_f32_e32 v3, 1.0, v3
	s_nop 0
	v_cndmask_b32_e32 v1, v1, v0, vcc
	v_add_u32_e32 v0, -1, v5
	v_fma_f32 v2, -v0, v5, v4
	v_cmp_ge_f32_e32 vcc, 0, v2
	v_add_u32_e32 v2, 1, v5
	s_nop 0
	v_cndmask_b32_e32 v0, v5, v0, vcc
	v_cmp_gt_f32_e32 vcc, s10, v3
	v_fma_f32 v5, -v2, v5, v4
	v_cmp_lt_f32_e64 s[4:5], 0, v5
	v_cndmask_b32_e32 v6, 1.0, v11, vcc
	v_mul_f32_e32 v3, v3, v6
	v_log_f32_e32 v3, v3
	v_cndmask_b32_e64 v0, v0, v2, s[4:5]
	v_mul_f32_e32 v2, 0x37800000, v0
	v_cndmask_b32_e64 v0, v0, v2, s[2:3]
	v_mul_f32_e32 v5, 0x3f317217, v3
	v_fma_f32 v5, v3, s9, -v5
	v_fmac_f32_e32 v5, 0x3377d1cf, v3
	v_fmac_f32_e32 v5, 0x3f317217, v3
	v_cmp_lt_f32_e64 s[4:5], |v3|, s11
	v_cmp_class_f32_e64 s[2:3], v4, v8
	s_nop 0
	v_cndmask_b32_e64 v3, v3, v5, s[4:5]
	v_cndmask_b32_e32 v5, 0, v17, vcc
	v_sub_f32_e32 v3, v3, v5
	v_cmp_lt_f32_e32 vcc, s6, v18
	v_cndmask_b32_e64 v0, v0, v4, s[2:3]
	s_cselect_b64 s[4:5], -1, 0
	v_cndmask_b32_e32 v3, v3, v18, vcc
	v_mul_f32_e32 v5, 0x4f800000, v3
	v_cmp_gt_f32_e32 vcc, s12, v3
	s_cmp_lt_i32 s33, 1
	s_nop 0
	v_cndmask_b32_e32 v3, v3, v5, vcc
	v_sqrt_f32_e32 v5, v3
	s_nop 0
	v_add_u32_e32 v2, -1, v5
	v_fma_f32 v4, -v2, v5, v3
	v_cmp_ge_f32_e64 s[2:3], 0, v4
	v_add_u32_e32 v4, 1, v5
	s_nop 0
	v_cndmask_b32_e64 v2, v5, v2, s[2:3]
	v_fma_f32 v5, -v4, v5, v3
	v_cmp_lt_f32_e64 s[2:3], 0, v5
	s_nop 1
	v_cndmask_b32_e64 v2, v2, v4, s[2:3]
	v_mul_f32_e32 v4, 0x37800000, v2
	v_cndmask_b32_e32 v2, v2, v4, vcc
	v_cmp_class_f32_e32 vcc, v3, v8
	s_nop 1
	v_cndmask_b32_e32 v2, v2, v3, vcc
	scratch_store_dwordx3 off, v[0:2], off offset:60
	s_nop 1
	v_lshl_add_u64 v[0:1], v[14:15], 2, v[12:13]
	v_mul_lo_u32 v2, v10, s33
	s_cbranch_scc1 .LBB238_28
; %bb.2:
	s_load_dwordx2 s[6:7], s[0:1], 0x20
	s_cmp_lt_u32 s33, 4
	v_mul_lo_u32 v4, v10, s33
	s_cbranch_scc1 .LBB238_21
; %bb.3:
	s_mov_b32 s11, 0
	s_and_b32 s8, s33, 0x7ffffffc
	v_ashrrev_i32_e32 v5, 31, v4
	v_mov_b32_e32 v9, 0
	s_mov_b32 s10, s11
	s_branch .LBB238_5
.LBB238_4:                              ;   in Loop: Header=BB238_5 Depth=1
	s_or_b64 exec, exec, s[12:13]
	s_add_i32 s10, s10, 4
	s_cmp_eq_u32 s10, s8
	s_cbranch_scc1 .LBB238_21
.LBB238_5:                              ; =>This Loop Header: Depth=1
                                        ;     Child Loop BB238_7 Depth 2
                                        ;     Child Loop BB238_11 Depth 2
	;; [unrolled: 1-line block ×4, first 2 shown]
	v_lshl_add_u64 v[6:7], s[10:11], 2, v[0:1]
	global_load_dword v3, v[6:7], off
	v_add_u32_e32 v10, s10, v4
	v_ashrrev_i32_e32 v11, 31, v10
	s_waitcnt lgkmcnt(0)
	v_lshl_add_u64 v[10:11], v[10:11], 2, s[6:7]
	v_mov_b32_e32 v8, 0
	s_mov_b64 s[12:13], 0
	v_mov_b32_e32 v12, v16
	s_mov_b32 s9, 0
	s_branch .LBB238_7
.LBB238_6:                              ;   in Loop: Header=BB238_7 Depth=2
	s_or_b64 exec, exec, s[14:15]
	s_add_i32 s16, s9, 1
	s_cmp_gt_u32 s9, 16
	s_cselect_b64 s[2:3], -1, 0
	s_xor_b64 s[14:15], vcc, -1
	s_or_b64 s[2:3], s[14:15], s[2:3]
	s_and_b64 s[2:3], exec, s[2:3]
	v_add_u32_e32 v12, 32, v12
	v_add_u32_e32 v8, 4, v8
	s_or_b64 s[12:13], s[2:3], s[12:13]
	s_mov_b32 s9, s16
	s_andn2_b64 exec, exec, s[12:13]
	s_cbranch_execz .LBB238_9
.LBB238_7:                              ;   Parent Loop BB238_5 Depth=1
                                        ; =>  This Inner Loop Header: Depth=2
	s_waitcnt vmcnt(0)
	v_cmp_ne_u32_e32 vcc, v3, v12
	v_cmp_eq_u32_e64 s[2:3], v3, v12
	s_and_saveexec_b64 s[14:15], s[2:3]
	s_cbranch_execz .LBB238_6
; %bb.8:                                ;   in Loop: Header=BB238_7 Depth=2
	scratch_load_dword v13, v8, off
	s_waitcnt vmcnt(0)
	v_add_f32_e32 v9, v9, v13
	global_store_dword v[10:11], v3, off
	s_branch .LBB238_6
.LBB238_9:                              ;   in Loop: Header=BB238_5 Depth=1
	s_or_b64 exec, exec, s[12:13]
	global_load_dword v3, v[6:7], off offset:4
	s_ashr_i32 s3, s10, 31
	s_mov_b32 s2, s10
	v_lshl_add_u64 v[10:11], s[2:3], 0, v[4:5]
	v_lshl_add_u64 v[10:11], v[10:11], 2, s[6:7]
	v_mov_b32_e32 v8, 0
	s_mov_b32 s9, 0
	s_mov_b64 s[12:13], 0
	v_mov_b32_e32 v12, v16
	s_branch .LBB238_11
.LBB238_10:                             ;   in Loop: Header=BB238_11 Depth=2
	s_or_b64 exec, exec, s[14:15]
	s_add_i32 s16, s9, 1
	s_cmp_gt_u32 s9, 16
	s_cselect_b64 s[2:3], -1, 0
	s_xor_b64 s[14:15], vcc, -1
	s_or_b64 s[2:3], s[14:15], s[2:3]
	s_and_b64 s[2:3], exec, s[2:3]
	v_add_u32_e32 v8, 4, v8
	v_add_u32_e32 v12, 32, v12
	s_or_b64 s[12:13], s[2:3], s[12:13]
	s_mov_b32 s9, s16
	s_andn2_b64 exec, exec, s[12:13]
	s_cbranch_execz .LBB238_13
.LBB238_11:                             ;   Parent Loop BB238_5 Depth=1
                                        ; =>  This Inner Loop Header: Depth=2
	s_waitcnt vmcnt(0)
	v_cmp_ne_u32_e32 vcc, v3, v12
	v_cmp_eq_u32_e64 s[2:3], v3, v12
	s_and_saveexec_b64 s[14:15], s[2:3]
	s_cbranch_execz .LBB238_10
; %bb.12:                               ;   in Loop: Header=BB238_11 Depth=2
	scratch_load_dword v13, v8, off
	s_waitcnt vmcnt(0)
	v_add_f32_e32 v9, v9, v13
	global_store_dword v[10:11], v3, off offset:4
	s_branch .LBB238_10
.LBB238_13:                             ;   in Loop: Header=BB238_5 Depth=1
	s_or_b64 exec, exec, s[12:13]
	global_load_dword v3, v[6:7], off offset:8
	v_mov_b32_e32 v8, 0
	s_mov_b32 s9, 0
	s_mov_b64 s[12:13], 0
	v_mov_b32_e32 v12, v16
	s_branch .LBB238_15
.LBB238_14:                             ;   in Loop: Header=BB238_15 Depth=2
	s_or_b64 exec, exec, s[14:15]
	s_add_i32 s16, s9, 1
	s_cmp_gt_u32 s9, 16
	s_cselect_b64 s[2:3], -1, 0
	s_xor_b64 s[14:15], vcc, -1
	s_or_b64 s[2:3], s[14:15], s[2:3]
	s_and_b64 s[2:3], exec, s[2:3]
	v_add_u32_e32 v8, 4, v8
	v_add_u32_e32 v12, 32, v12
	s_or_b64 s[12:13], s[2:3], s[12:13]
	s_mov_b32 s9, s16
	s_andn2_b64 exec, exec, s[12:13]
	s_cbranch_execz .LBB238_17
.LBB238_15:                             ;   Parent Loop BB238_5 Depth=1
                                        ; =>  This Inner Loop Header: Depth=2
	s_waitcnt vmcnt(0)
	v_cmp_ne_u32_e32 vcc, v3, v12
	v_cmp_eq_u32_e64 s[2:3], v3, v12
	s_and_saveexec_b64 s[14:15], s[2:3]
	s_cbranch_execz .LBB238_14
; %bb.16:                               ;   in Loop: Header=BB238_15 Depth=2
	scratch_load_dword v13, v8, off
	s_waitcnt vmcnt(0)
	v_add_f32_e32 v9, v9, v13
	global_store_dword v[10:11], v3, off offset:8
	s_branch .LBB238_14
.LBB238_17:                             ;   in Loop: Header=BB238_5 Depth=1
	s_or_b64 exec, exec, s[12:13]
	global_load_dword v3, v[6:7], off offset:12
	v_mov_b32_e32 v6, 0
	s_mov_b32 s9, 0
	s_mov_b64 s[12:13], 0
	v_mov_b32_e32 v7, v16
	s_branch .LBB238_19
.LBB238_18:                             ;   in Loop: Header=BB238_19 Depth=2
	s_or_b64 exec, exec, s[14:15]
	s_add_i32 s16, s9, 1
	s_cmp_gt_u32 s9, 16
	s_cselect_b64 s[2:3], -1, 0
	s_xor_b64 s[14:15], vcc, -1
	s_or_b64 s[2:3], s[14:15], s[2:3]
	s_and_b64 s[2:3], exec, s[2:3]
	v_add_u32_e32 v6, 4, v6
	v_add_u32_e32 v7, 32, v7
	s_or_b64 s[12:13], s[2:3], s[12:13]
	s_mov_b32 s9, s16
	s_andn2_b64 exec, exec, s[12:13]
	s_cbranch_execz .LBB238_4
.LBB238_19:                             ;   Parent Loop BB238_5 Depth=1
                                        ; =>  This Inner Loop Header: Depth=2
	s_waitcnt vmcnt(0)
	v_cmp_ne_u32_e32 vcc, v3, v7
	v_cmp_eq_u32_e64 s[2:3], v3, v7
	s_and_saveexec_b64 s[14:15], s[2:3]
	s_cbranch_execz .LBB238_18
; %bb.20:                               ;   in Loop: Header=BB238_19 Depth=2
	scratch_load_dword v8, v6, off
	s_waitcnt vmcnt(0)
	v_add_f32_e32 v9, v9, v8
	global_store_dword v[10:11], v3, off offset:12
	s_branch .LBB238_18
.LBB238_21:
	s_and_b32 s14, s33, 3
	s_cmp_eq_u32 s14, 0
	s_mov_b32 s9, 0
	s_cbranch_scc1 .LBB238_28
; %bb.22:
	s_mov_b32 s15, s9
	s_branch .LBB238_24
.LBB238_23:                             ;   in Loop: Header=BB238_24 Depth=1
	s_or_b64 exec, exec, s[10:11]
	s_add_i32 s8, s8, 1
	s_add_i32 s15, s15, 1
	s_cmp_lg_u32 s15, s14
	s_cbranch_scc0 .LBB238_28
.LBB238_24:                             ; =>This Loop Header: Depth=1
                                        ;     Child Loop BB238_26 Depth 2
	v_lshl_add_u64 v[6:7], s[8:9], 2, v[0:1]
	global_load_dword v3, v[6:7], off
	v_add_u32_e32 v6, s8, v4
	v_ashrrev_i32_e32 v7, 31, v6
	s_waitcnt lgkmcnt(0)
	v_lshl_add_u64 v[6:7], v[6:7], 2, s[6:7]
	v_mov_b32_e32 v5, 0
	s_mov_b32 s16, 0
	s_mov_b64 s[10:11], 0
	v_mov_b32_e32 v8, v16
	s_branch .LBB238_26
.LBB238_25:                             ;   in Loop: Header=BB238_26 Depth=2
	s_or_b64 exec, exec, s[12:13]
	s_add_i32 s17, s16, 1
	s_cmp_gt_u32 s16, 16
	s_cselect_b64 s[2:3], -1, 0
	s_xor_b64 s[12:13], vcc, -1
	s_or_b64 s[2:3], s[12:13], s[2:3]
	s_and_b64 s[2:3], exec, s[2:3]
	v_add_u32_e32 v5, 4, v5
	v_add_u32_e32 v8, 32, v8
	s_or_b64 s[10:11], s[2:3], s[10:11]
	s_mov_b32 s16, s17
	s_andn2_b64 exec, exec, s[10:11]
	s_cbranch_execz .LBB238_23
.LBB238_26:                             ;   Parent Loop BB238_24 Depth=1
                                        ; =>  This Inner Loop Header: Depth=2
	s_waitcnt vmcnt(0)
	v_cmp_ne_u32_e32 vcc, v3, v8
	v_cmp_eq_u32_e64 s[2:3], v3, v8
	s_and_saveexec_b64 s[12:13], s[2:3]
	s_cbranch_execz .LBB238_25
; %bb.27:                               ;   in Loop: Header=BB238_26 Depth=2
	scratch_load_dword v10, v5, off
	s_waitcnt vmcnt(0)
	v_add_f32_e32 v9, v9, v10
	global_store_dword v[6:7], v3, off
	s_branch .LBB238_25
.LBB238_28:
	s_waitcnt lgkmcnt(0)
	s_load_dword s6, s[0:1], 0x3c
	s_waitcnt lgkmcnt(0)
	s_bitcmp1_b32 s6, 0
	s_cselect_b64 s[2:3], -1, 0
	s_bitcmp0_b32 s6, 0
	s_cbranch_scc0 .LBB238_31
; %bb.29:
	s_load_dwordx2 s[6:7], s[0:1], 0x40
	s_andn2_b64 vcc, exec, s[2:3]
	s_waitcnt lgkmcnt(0)
	v_cvt_f32_f64_e32 v4, s[6:7]
	s_cbranch_vccz .LBB238_32
.LBB238_30:
	s_andn2_b64 vcc, exec, s[4:5]
	s_cbranch_vccz .LBB238_33
	s_branch .LBB238_71
.LBB238_31:
	v_mbcnt_lo_u32_b32 v3, -1, 0
	v_mbcnt_hi_u32_b32 v3, -1, v3
	v_and_b32_e32 v4, 0x60, v3
	v_add_u32_e32 v4, 32, v4
	v_xor_b32_e32 v5, 16, v3
	v_cmp_lt_i32_e32 vcc, v5, v4
	v_xor_b32_e32 v6, 8, v3
	v_xor_b32_e32 v7, 4, v3
	v_cndmask_b32_e32 v5, v3, v5, vcc
	v_lshlrev_b32_e32 v5, 2, v5
	ds_bpermute_b32 v5, v5, v9
	v_cmp_lt_i32_e32 vcc, v6, v4
	s_waitcnt lgkmcnt(0)
	v_add_f32_e32 v5, v9, v5
	v_cndmask_b32_e32 v6, v3, v6, vcc
	v_lshlrev_b32_e32 v6, 2, v6
	ds_bpermute_b32 v6, v6, v5
	v_cmp_lt_i32_e32 vcc, v7, v4
	s_waitcnt lgkmcnt(0)
	v_add_f32_e32 v5, v5, v6
	v_cndmask_b32_e32 v6, v3, v7, vcc
	v_lshlrev_b32_e32 v6, 2, v6
	ds_bpermute_b32 v6, v6, v5
	v_xor_b32_e32 v7, 2, v3
	v_cmp_lt_i32_e32 vcc, v7, v4
	s_waitcnt lgkmcnt(0)
	v_add_f32_e32 v5, v5, v6
	v_cndmask_b32_e32 v6, v3, v7, vcc
	v_lshlrev_b32_e32 v6, 2, v6
	ds_bpermute_b32 v6, v6, v5
	v_xor_b32_e32 v7, 1, v3
	v_cmp_lt_i32_e32 vcc, v7, v4
	s_waitcnt lgkmcnt(0)
	v_add_f32_e32 v5, v5, v6
	v_cndmask_b32_e32 v3, v3, v7, vcc
	v_lshlrev_b32_e32 v3, 2, v3
	ds_bpermute_b32 v3, v3, v5
	s_waitcnt lgkmcnt(0)
	v_add_f32_e32 v9, v5, v3
	s_load_dwordx2 s[6:7], s[0:1], 0x40
	s_andn2_b64 vcc, exec, s[2:3]
	s_waitcnt lgkmcnt(0)
	v_cvt_f32_f64_e32 v4, s[6:7]
	s_cbranch_vccnz .LBB238_30
.LBB238_32:
	v_cmp_lt_f32_e32 vcc, 0, v9
	s_nop 1
	v_cndmask_b32_e32 v3, 1.0, v9, vcc
	v_div_scale_f32 v5, s[2:3], v3, v3, v4
	v_rcp_f32_e32 v6, v5
	s_nop 0
	v_fma_f32 v7, -v5, v6, 1.0
	v_fmac_f32_e32 v6, v7, v6
	v_div_scale_f32 v7, vcc, v4, v3, v4
	v_mul_f32_e32 v8, v7, v6
	v_fma_f32 v9, -v5, v8, v7
	v_fmac_f32_e32 v8, v9, v6
	v_fma_f32 v5, -v5, v8, v7
	v_div_fmas_f32 v5, v5, v6, v8
	v_div_fixup_f32 v4, v5, v3, v4
	s_andn2_b64 vcc, exec, s[4:5]
	s_cbranch_vccnz .LBB238_71
.LBB238_33:
	s_load_dwordx2 s[34:35], s[0:1], 0x10
	v_mov_b32_e32 v3, 0
	v_or_b32_e32 v5, 4, v3
	v_or_b32_e32 v6, 8, v3
	;; [unrolled: 1-line block ×3, first 2 shown]
	v_add_u32_e32 v8, 16, v3
	v_add_u32_e32 v9, 20, v3
	;; [unrolled: 1-line block ×14, first 2 shown]
	v_or_b32_e32 v23, 32, v16
	v_or_b32_e32 v24, 64, v16
	;; [unrolled: 1-line block ×17, first 2 shown]
	s_branch .LBB238_35
.LBB238_34:                             ;   in Loop: Header=BB238_35 Depth=1
	s_or_b64 exec, exec, s[0:1]
	s_add_i32 s33, s33, -1
	v_add_u32_e32 v2, 1, v2
	s_cmp_eq_u32 s33, 0
	v_lshl_add_u64 v[0:1], v[0:1], 0, 4
	s_cbranch_scc1 .LBB238_71
.LBB238_35:                             ; =>This Inner Loop Header: Depth=1
	global_load_dword v40, v[0:1], off
	v_mov_b32_e32 v3, 0
	s_waitcnt vmcnt(0)
	v_cmp_eq_u32_e32 vcc, v40, v16
	v_cmp_ne_u32_e64 s[0:1], v40, v16
	s_and_saveexec_b64 s[36:37], s[0:1]
	s_cbranch_execz .LBB238_69
; %bb.36:                               ;   in Loop: Header=BB238_35 Depth=1
	v_cmp_eq_u32_e64 s[0:1], v40, v23
	v_cmp_ne_u32_e64 s[2:3], v40, v23
	v_mov_b32_e32 v3, v5
	s_and_saveexec_b64 s[38:39], s[2:3]
	s_cbranch_execz .LBB238_68
; %bb.37:                               ;   in Loop: Header=BB238_35 Depth=1
	v_cmp_eq_u32_e64 s[2:3], v40, v24
	v_cmp_ne_u32_e64 s[4:5], v40, v24
	v_mov_b32_e32 v3, v6
	;; [unrolled: 6-line block ×16, first 2 shown]
	s_and_saveexec_b64 s[70:71], s[30:31]
	s_xor_b64 s[70:71], exec, s[70:71]
; %bb.52:                               ;   in Loop: Header=BB238_35 Depth=1
	v_cmp_eq_u32_e64 s[30:31], v40, v39
	s_andn2_b64 s[68:69], s[68:69], exec
	s_and_b64 s[30:31], s[30:31], exec
	s_or_b64 s[68:69], s[68:69], s[30:31]
	v_mov_b32_e32 v3, v22
; %bb.53:                               ;   in Loop: Header=BB238_35 Depth=1
	s_or_b64 exec, exec, s[70:71]
	s_andn2_b64 s[28:29], s[28:29], exec
	s_and_b64 s[30:31], s[68:69], exec
	s_or_b64 s[28:29], s[28:29], s[30:31]
.LBB238_54:                             ;   in Loop: Header=BB238_35 Depth=1
	s_or_b64 exec, exec, s[66:67]
	s_andn2_b64 s[26:27], s[26:27], exec
	s_and_b64 s[28:29], s[28:29], exec
	s_or_b64 s[26:27], s[26:27], s[28:29]
.LBB238_55:                             ;   in Loop: Header=BB238_35 Depth=1
	s_or_b64 exec, exec, s[64:65]
	s_andn2_b64 s[24:25], s[24:25], exec
	s_and_b64 s[26:27], s[26:27], exec
	s_or_b64 s[24:25], s[24:25], s[26:27]
.LBB238_56:                             ;   in Loop: Header=BB238_35 Depth=1
	s_or_b64 exec, exec, s[62:63]
	s_andn2_b64 s[22:23], s[22:23], exec
	s_and_b64 s[24:25], s[24:25], exec
	s_or_b64 s[22:23], s[22:23], s[24:25]
.LBB238_57:                             ;   in Loop: Header=BB238_35 Depth=1
	s_or_b64 exec, exec, s[60:61]
	s_andn2_b64 s[20:21], s[20:21], exec
	s_and_b64 s[22:23], s[22:23], exec
	s_or_b64 s[20:21], s[20:21], s[22:23]
.LBB238_58:                             ;   in Loop: Header=BB238_35 Depth=1
	s_or_b64 exec, exec, s[58:59]
	s_andn2_b64 s[18:19], s[18:19], exec
	s_and_b64 s[20:21], s[20:21], exec
	s_or_b64 s[18:19], s[18:19], s[20:21]
.LBB238_59:                             ;   in Loop: Header=BB238_35 Depth=1
	s_or_b64 exec, exec, s[56:57]
	s_andn2_b64 s[16:17], s[16:17], exec
	s_and_b64 s[18:19], s[18:19], exec
	s_or_b64 s[16:17], s[16:17], s[18:19]
.LBB238_60:                             ;   in Loop: Header=BB238_35 Depth=1
	s_or_b64 exec, exec, s[54:55]
	s_andn2_b64 s[14:15], s[14:15], exec
	s_and_b64 s[16:17], s[16:17], exec
	s_or_b64 s[14:15], s[14:15], s[16:17]
.LBB238_61:                             ;   in Loop: Header=BB238_35 Depth=1
	s_or_b64 exec, exec, s[52:53]
	s_andn2_b64 s[12:13], s[12:13], exec
	s_and_b64 s[14:15], s[14:15], exec
	s_or_b64 s[12:13], s[12:13], s[14:15]
.LBB238_62:                             ;   in Loop: Header=BB238_35 Depth=1
	s_or_b64 exec, exec, s[50:51]
	s_andn2_b64 s[10:11], s[10:11], exec
	s_and_b64 s[12:13], s[12:13], exec
	s_or_b64 s[10:11], s[10:11], s[12:13]
.LBB238_63:                             ;   in Loop: Header=BB238_35 Depth=1
	s_or_b64 exec, exec, s[48:49]
	s_andn2_b64 s[8:9], s[8:9], exec
	s_and_b64 s[10:11], s[10:11], exec
	s_or_b64 s[8:9], s[8:9], s[10:11]
.LBB238_64:                             ;   in Loop: Header=BB238_35 Depth=1
	s_or_b64 exec, exec, s[46:47]
	s_andn2_b64 s[6:7], s[6:7], exec
	s_and_b64 s[8:9], s[8:9], exec
	s_or_b64 s[6:7], s[6:7], s[8:9]
.LBB238_65:                             ;   in Loop: Header=BB238_35 Depth=1
	s_or_b64 exec, exec, s[44:45]
	s_andn2_b64 s[4:5], s[4:5], exec
	s_and_b64 s[6:7], s[6:7], exec
	s_or_b64 s[4:5], s[4:5], s[6:7]
.LBB238_66:                             ;   in Loop: Header=BB238_35 Depth=1
	s_or_b64 exec, exec, s[42:43]
	s_andn2_b64 s[2:3], s[2:3], exec
	s_and_b64 s[4:5], s[4:5], exec
	s_or_b64 s[2:3], s[2:3], s[4:5]
.LBB238_67:                             ;   in Loop: Header=BB238_35 Depth=1
	s_or_b64 exec, exec, s[40:41]
	s_andn2_b64 s[0:1], s[0:1], exec
	s_and_b64 s[2:3], s[2:3], exec
	s_or_b64 s[0:1], s[0:1], s[2:3]
.LBB238_68:                             ;   in Loop: Header=BB238_35 Depth=1
	s_or_b64 exec, exec, s[38:39]
	s_andn2_b64 s[2:3], vcc, exec
	s_and_b64 s[0:1], s[0:1], exec
	s_or_b64 vcc, s[2:3], s[0:1]
.LBB238_69:                             ;   in Loop: Header=BB238_35 Depth=1
	s_or_b64 exec, exec, s[36:37]
	s_and_saveexec_b64 s[0:1], vcc
	s_cbranch_execz .LBB238_34
; %bb.70:                               ;   in Loop: Header=BB238_35 Depth=1
	scratch_load_dword v40, v3, off
	v_ashrrev_i32_e32 v3, 31, v2
	s_waitcnt vmcnt(0)
	v_mul_f32_e32 v42, v4, v40
	s_waitcnt lgkmcnt(0)
	v_lshl_add_u64 v[40:41], v[2:3], 2, s[34:35]
	global_store_dword v[40:41], v42, off
	s_branch .LBB238_34
.LBB238_71:
	s_endpgm
	.section	.rodata,"a",@progbits
	.p2align	6, 0x0
	.amdhsa_kernel _ZN4vllm3moe22topkGatingSoftplusSqrtILi18ELi576ELi4ELi2ELi32ELb1Ei6__halfEEvPKT6_PKbPfiPT5_PiiiibdPKfPKS9_SF_
		.amdhsa_group_segment_fixed_size 0
		.amdhsa_private_segment_fixed_size 80
		.amdhsa_kernarg_size 96
		.amdhsa_user_sgpr_count 2
		.amdhsa_user_sgpr_dispatch_ptr 0
		.amdhsa_user_sgpr_queue_ptr 0
		.amdhsa_user_sgpr_kernarg_segment_ptr 1
		.amdhsa_user_sgpr_dispatch_id 0
		.amdhsa_user_sgpr_kernarg_preload_length 0
		.amdhsa_user_sgpr_kernarg_preload_offset 0
		.amdhsa_user_sgpr_private_segment_size 0
		.amdhsa_uses_dynamic_stack 0
		.amdhsa_enable_private_segment 1
		.amdhsa_system_sgpr_workgroup_id_x 1
		.amdhsa_system_sgpr_workgroup_id_y 0
		.amdhsa_system_sgpr_workgroup_id_z 0
		.amdhsa_system_sgpr_workgroup_info 0
		.amdhsa_system_vgpr_workitem_id 1
		.amdhsa_next_free_vgpr 43
		.amdhsa_next_free_sgpr 72
		.amdhsa_accum_offset 44
		.amdhsa_reserve_vcc 1
		.amdhsa_float_round_mode_32 0
		.amdhsa_float_round_mode_16_64 0
		.amdhsa_float_denorm_mode_32 3
		.amdhsa_float_denorm_mode_16_64 3
		.amdhsa_dx10_clamp 1
		.amdhsa_ieee_mode 1
		.amdhsa_fp16_overflow 0
		.amdhsa_tg_split 0
		.amdhsa_exception_fp_ieee_invalid_op 0
		.amdhsa_exception_fp_denorm_src 0
		.amdhsa_exception_fp_ieee_div_zero 0
		.amdhsa_exception_fp_ieee_overflow 0
		.amdhsa_exception_fp_ieee_underflow 0
		.amdhsa_exception_fp_ieee_inexact 0
		.amdhsa_exception_int_div_zero 0
	.end_amdhsa_kernel
	.section	.text._ZN4vllm3moe22topkGatingSoftplusSqrtILi18ELi576ELi4ELi2ELi32ELb1Ei6__halfEEvPKT6_PKbPfiPT5_PiiiibdPKfPKS9_SF_,"axG",@progbits,_ZN4vllm3moe22topkGatingSoftplusSqrtILi18ELi576ELi4ELi2ELi32ELb1Ei6__halfEEvPKT6_PKbPfiPT5_PiiiibdPKfPKS9_SF_,comdat
.Lfunc_end238:
	.size	_ZN4vllm3moe22topkGatingSoftplusSqrtILi18ELi576ELi4ELi2ELi32ELb1Ei6__halfEEvPKT6_PKbPfiPT5_PiiiibdPKfPKS9_SF_, .Lfunc_end238-_ZN4vllm3moe22topkGatingSoftplusSqrtILi18ELi576ELi4ELi2ELi32ELb1Ei6__halfEEvPKT6_PKbPfiPT5_PiiiibdPKfPKS9_SF_
                                        ; -- End function
	.section	.AMDGPU.csdata,"",@progbits
; Kernel info:
; codeLenInByte = 6864
; NumSgprs: 78
; NumVgprs: 43
; NumAgprs: 0
; TotalNumVgprs: 43
; ScratchSize: 80
; MemoryBound: 0
; FloatMode: 240
; IeeeMode: 1
; LDSByteSize: 0 bytes/workgroup (compile time only)
; SGPRBlocks: 9
; VGPRBlocks: 5
; NumSGPRsForWavesPerEU: 78
; NumVGPRsForWavesPerEU: 43
; AccumOffset: 44
; Occupancy: 8
; WaveLimiterHint : 1
; COMPUTE_PGM_RSRC2:SCRATCH_EN: 1
; COMPUTE_PGM_RSRC2:USER_SGPR: 2
; COMPUTE_PGM_RSRC2:TRAP_HANDLER: 0
; COMPUTE_PGM_RSRC2:TGID_X_EN: 1
; COMPUTE_PGM_RSRC2:TGID_Y_EN: 0
; COMPUTE_PGM_RSRC2:TGID_Z_EN: 0
; COMPUTE_PGM_RSRC2:TIDIG_COMP_CNT: 1
; COMPUTE_PGM_RSRC3_GFX90A:ACCUM_OFFSET: 10
; COMPUTE_PGM_RSRC3_GFX90A:TG_SPLIT: 0
	.section	.text._ZN4vllm3moe22topkGatingSoftplusSqrtILi18ELi576ELi4ELi2ELi32ELb0Ei6__halfEEvPKT6_PKbPfiPT5_PiiiibdPKfPKS9_SF_,"axG",@progbits,_ZN4vllm3moe22topkGatingSoftplusSqrtILi18ELi576ELi4ELi2ELi32ELb0Ei6__halfEEvPKT6_PKbPfiPT5_PiiiibdPKfPKS9_SF_,comdat
	.protected	_ZN4vllm3moe22topkGatingSoftplusSqrtILi18ELi576ELi4ELi2ELi32ELb0Ei6__halfEEvPKT6_PKbPfiPT5_PiiiibdPKfPKS9_SF_ ; -- Begin function _ZN4vllm3moe22topkGatingSoftplusSqrtILi18ELi576ELi4ELi2ELi32ELb0Ei6__halfEEvPKT6_PKbPfiPT5_PiiiibdPKfPKS9_SF_
	.globl	_ZN4vllm3moe22topkGatingSoftplusSqrtILi18ELi576ELi4ELi2ELi32ELb0Ei6__halfEEvPKT6_PKbPfiPT5_PiiiibdPKfPKS9_SF_
	.p2align	8
	.type	_ZN4vllm3moe22topkGatingSoftplusSqrtILi18ELi576ELi4ELi2ELi32ELb0Ei6__halfEEvPKT6_PKbPfiPT5_PiiiibdPKfPKS9_SF_,@function
_ZN4vllm3moe22topkGatingSoftplusSqrtILi18ELi576ELi4ELi2ELi32ELb0Ei6__halfEEvPKT6_PKbPfiPT5_PiiiibdPKfPKS9_SF_: ; @_ZN4vllm3moe22topkGatingSoftplusSqrtILi18ELi576ELi4ELi2ELi32ELb0Ei6__halfEEvPKT6_PKbPfiPT5_PiiiibdPKfPKS9_SF_
; %bb.0:
	s_load_dword s30, s[0:1], 0x18
	v_and_b32_e32 v1, 0x3ff, v0
	s_lshl_b32 s2, s2, 2
	v_lshrrev_b32_e32 v2, 5, v1
	v_bfe_u32 v0, v0, 10, 10
	v_add3_u32 v16, s2, v0, v2
	s_waitcnt lgkmcnt(0)
	v_cmp_gt_i32_e32 vcc, s30, v16
	s_and_saveexec_b64 s[2:3], vcc
	s_cbranch_execz .LBB239_83
; %bb.1:
	s_load_dwordx4 s[4:7], s[0:1], 0x0
	s_load_dwordx2 s[20:21], s[0:1], 0x10
	s_waitcnt lgkmcnt(0)
	s_cmp_eq_u64 s[6:7], 0
	s_cbranch_scc1 .LBB239_3
; %bb.2:
	v_ashrrev_i32_e32 v17, 31, v16
	v_lshl_add_u64 v[2:3], s[6:7], 0, v[16:17]
	global_load_ubyte v0, v[2:3], off
	s_waitcnt vmcnt(0)
	v_and_b32_e32 v0, 1, v0
	v_cmp_eq_u32_e32 vcc, 1, v0
	s_xor_b64 s[2:3], vcc, -1
	s_orn2_b64 s[22:23], s[2:3], exec
	s_branch .LBB239_4
.LBB239_3:
	s_mov_b64 s[22:23], -1
.LBB239_4:
	s_movk_i32 s2, 0x240
	v_mul_lo_u32 v4, v16, s2
	v_mov_b32_e32 v2, s4
	v_mov_b32_e32 v3, s5
	v_ashrrev_i32_e32 v5, 31, v4
	v_and_b32_e32 v18, 31, v1
	v_lshl_add_u64 v[2:3], v[4:5], 1, v[2:3]
	v_mov_b32_e32 v1, 0
	v_lshlrev_b32_e32 v0, 1, v18
	v_lshl_add_u64 v[0:1], v[2:3], 0, v[0:1]
	global_load_ushort v41, v[0:1], off
	global_load_ushort v37, v[0:1], off offset:64
	global_load_ushort v36, v[0:1], off offset:128
	;; [unrolled: 1-line block ×17, first 2 shown]
	s_mov_b32 s16, 0x800000
	v_mov_b32_e32 v39, 0x4f800000
	s_mov_b32 s13, 0x3f317217
	s_mov_b32 s14, 0x7f800000
	v_mov_b32_e32 v40, 0x41b17218
	s_movk_i32 s12, 0x4d00
	s_mov_b32 s15, 0xf800000
	s_load_dwordx4 s[8:11], s[0:1], 0x40
	v_mov_b32_e32 v38, 0x260
	v_lshlrev_b32_e32 v19, 2, v18
	s_waitcnt lgkmcnt(0)
	s_cmp_lg_u64 s[10:11], 0
	s_cselect_b64 s[6:7], -1, 0
	s_and_b64 vcc, exec, s[6:7]
	s_waitcnt vmcnt(17)
	v_cvt_f32_f16_e32 v12, v41
	s_waitcnt vmcnt(16)
	v_cvt_f32_f16_e32 v13, v37
	;; [unrolled: 2-line block ×4, first 2 shown]
	v_mul_f32_e32 v3, 0x3fb8aa3b, v12
	v_exp_f32_e32 v42, v3
	s_waitcnt vmcnt(13)
	v_cvt_f32_f16_e32 v8, v34
	s_waitcnt vmcnt(12)
	v_cvt_f32_f16_e32 v9, v33
	;; [unrolled: 2-line block ×3, first 2 shown]
	v_add_f32_e32 v42, 1.0, v42
	v_cmp_gt_f32_e64 s[2:3], s16, v42
	s_waitcnt vmcnt(10)
	v_cvt_f32_f16_e32 v11, v31
	scratch_store_dwordx4 off, v[12:15], off
	scratch_store_dwordx4 off, v[8:11], off offset:16
	v_cndmask_b32_e64 v43, 1.0, v39, s[2:3]
	v_mul_f32_e32 v42, v42, v43
	v_log_f32_e32 v42, v42
	v_cndmask_b32_e64 v43, 0, v40, s[2:3]
	s_waitcnt vmcnt(11)
	v_cvt_f32_f16_e32 v4, v30
	s_waitcnt vmcnt(10)
	v_cvt_f32_f16_e32 v5, v29
	v_mul_f32_e32 v44, 0x3f317217, v42
	v_fma_f32 v44, v42, s13, -v44
	v_fmac_f32_e32 v44, 0x3377d1cf, v42
	v_fmac_f32_e32 v44, 0x3f317217, v42
	v_cmp_lt_f32_e64 s[2:3], |v42|, s14
	s_waitcnt vmcnt(9)
	v_cvt_f32_f16_e32 v6, v28
	s_waitcnt vmcnt(8)
	v_cvt_f32_f16_e32 v7, v27
	v_cndmask_b32_e64 v42, v42, v44, s[2:3]
	v_sub_f32_e32 v42, v42, v43
	v_cmp_lt_f16_e64 s[2:3], s12, v41
	s_waitcnt vmcnt(7)
	v_cvt_f32_f16_e32 v0, v26
	s_waitcnt vmcnt(6)
	v_cvt_f32_f16_e32 v1, v25
	v_cndmask_b32_e64 v12, v42, v12, s[2:3]
	v_mul_f32_e32 v41, 0x4f800000, v12
	v_cmp_gt_f32_e64 s[2:3], s15, v12
	s_waitcnt vmcnt(5)
	v_cvt_f32_f16_e32 v2, v24
	s_waitcnt vmcnt(4)
	v_cvt_f32_f16_e32 v3, v23
	v_cndmask_b32_e64 v12, v12, v41, s[2:3]
	v_sqrt_f32_e32 v41, v12
	s_waitcnt vmcnt(3)
	v_cvt_f32_f16_e32 v20, v22
	s_waitcnt vmcnt(2)
	v_cvt_f32_f16_e32 v21, v17
	scratch_store_dwordx4 off, v[4:7], off offset:32
	scratch_store_dwordx4 off, v[0:3], off offset:48
	scratch_store_dwordx2 off, v[20:21], off offset:64
	v_add_u32_e32 v42, -1, v41
	v_add_u32_e32 v43, 1, v41
	v_fma_f32 v44, -v42, v41, v12
	v_fma_f32 v45, -v43, v41, v12
	v_cmp_ge_f32_e64 s[4:5], 0, v44
	s_nop 1
	v_cndmask_b32_e64 v41, v41, v42, s[4:5]
	v_cmp_lt_f32_e64 s[4:5], 0, v45
	s_nop 1
	v_cndmask_b32_e64 v41, v41, v43, s[4:5]
	v_mul_f32_e32 v42, 0x37800000, v41
	v_cndmask_b32_e64 v41, v41, v42, s[2:3]
	v_cmp_class_f32_e64 s[2:3], v12, v38
	s_nop 1
	v_cndmask_b32_e64 v12, v41, v12, s[2:3]
	s_cbranch_vccz .LBB239_6
; %bb.5:
	global_load_dword v41, v19, s[10:11]
	s_waitcnt vmcnt(0)
	v_add_f32_e32 v12, v12, v41
.LBB239_6:
	v_mul_f32_e32 v41, 0x3fb8aa3b, v13
	v_exp_f32_e32 v41, v41
	scratch_store_dword off, v12, off
	v_add_f32_e32 v41, 1.0, v41
	v_cmp_gt_f32_e32 vcc, s16, v41
	s_nop 1
	v_cndmask_b32_e32 v39, 1.0, v39, vcc
	v_mul_f32_e32 v39, v41, v39
	v_log_f32_e32 v39, v39
	v_cndmask_b32_e32 v40, 0, v40, vcc
	v_mul_f32_e32 v41, 0x3f317217, v39
	v_fma_f32 v41, v39, s13, -v41
	v_fmac_f32_e32 v41, 0x3377d1cf, v39
	v_fmac_f32_e32 v41, 0x3f317217, v39
	v_cmp_lt_f32_e64 vcc, |v39|, s14
	s_nop 1
	v_cndmask_b32_e32 v39, v39, v41, vcc
	v_sub_f32_e32 v39, v39, v40
	v_cmp_lt_f16_e32 vcc, s12, v37
	s_nop 1
	v_cndmask_b32_e32 v13, v39, v13, vcc
	v_mul_f32_e32 v37, 0x4f800000, v13
	v_cmp_gt_f32_e32 vcc, s15, v13
	s_nop 1
	v_cndmask_b32_e32 v13, v13, v37, vcc
	v_sqrt_f32_e32 v37, v13
	v_cmp_class_f32_e64 s[4:5], v13, v38
	v_add_u32_e32 v12, -1, v37
	v_add_u32_e32 v39, 1, v37
	v_fma_f32 v40, -v12, v37, v13
	v_fma_f32 v41, -v39, v37, v13
	v_cmp_ge_f32_e64 s[2:3], 0, v40
	s_nop 1
	v_cndmask_b32_e64 v12, v37, v12, s[2:3]
	v_cmp_lt_f32_e64 s[2:3], 0, v41
	s_nop 1
	v_cndmask_b32_e64 v12, v12, v39, s[2:3]
	v_mul_f32_e32 v37, 0x37800000, v12
	v_cndmask_b32_e32 v12, v12, v37, vcc
	v_cndmask_b32_e64 v37, 0, 1, s[6:7]
	v_cmp_ne_u32_e64 s[2:3], 1, v37
	s_andn2_b64 vcc, exec, s[6:7]
	v_cndmask_b32_e64 v13, v12, v13, s[4:5]
	s_cbranch_vccnz .LBB239_8
; %bb.7:
	global_load_dword v12, v19, s[10:11] offset:128
	s_waitcnt vmcnt(0)
	v_add_f32_e32 v13, v13, v12
.LBB239_8:
	v_mul_f32_e32 v12, 0x3fb8aa3b, v14
	v_exp_f32_e32 v37, v12
	s_mov_b32 s13, 0x800000
	v_mov_b32_e32 v12, 0x4f800000
	s_mov_b32 s7, 0x3f317217
	v_add_f32_e32 v37, 1.0, v37
	v_cmp_gt_f32_e32 vcc, s13, v37
	s_mov_b32 s12, 0x7f800000
	s_movk_i32 s6, 0x4d00
	v_cndmask_b32_e32 v38, 1.0, v12, vcc
	v_mul_f32_e32 v37, v37, v38
	v_log_f32_e32 v37, v37
	s_mov_b32 s14, 0xf800000
	scratch_store_dword off, v13, off offset:4
	v_mul_f32_e32 v38, 0x3f317217, v37
	v_fma_f32 v38, v37, s7, -v38
	v_fmac_f32_e32 v38, 0x3377d1cf, v37
	v_fmac_f32_e32 v38, 0x3f317217, v37
	v_cmp_lt_f32_e64 s[4:5], |v37|, s12
	s_nop 1
	v_cndmask_b32_e64 v38, v37, v38, s[4:5]
	v_mov_b32_e32 v37, 0x41b17218
	v_cndmask_b32_e32 v39, 0, v37, vcc
	v_sub_f32_e32 v38, v38, v39
	v_cmp_lt_f16_e32 vcc, s6, v36
	s_nop 1
	v_cndmask_b32_e32 v14, v38, v14, vcc
	v_mul_f32_e32 v36, 0x4f800000, v14
	v_cmp_gt_f32_e32 vcc, s14, v14
	s_nop 1
	v_cndmask_b32_e32 v14, v14, v36, vcc
	v_sqrt_f32_e32 v36, v14
	s_nop 0
	v_add_u32_e32 v13, -1, v36
	v_fma_f32 v38, -v13, v36, v14
	v_cmp_ge_f32_e64 s[4:5], 0, v38
	v_add_u32_e32 v38, 1, v36
	s_nop 0
	v_cndmask_b32_e64 v13, v36, v13, s[4:5]
	v_fma_f32 v36, -v38, v36, v14
	v_cmp_lt_f32_e64 s[4:5], 0, v36
	s_nop 1
	v_cndmask_b32_e64 v13, v13, v38, s[4:5]
	v_mul_f32_e32 v36, 0x37800000, v13
	v_cndmask_b32_e32 v36, v13, v36, vcc
	v_mov_b32_e32 v13, 0x260
	v_cmp_class_f32_e64 s[4:5], v14, v13
	s_and_b64 vcc, exec, s[2:3]
	s_nop 0
	v_cndmask_b32_e64 v14, v36, v14, s[4:5]
	s_cbranch_vccnz .LBB239_10
; %bb.9:
	global_load_dword v36, v19, s[10:11] offset:256
	s_waitcnt vmcnt(0)
	v_add_f32_e32 v14, v14, v36
.LBB239_10:
	v_mul_f32_e32 v36, 0x3fb8aa3b, v15
	v_exp_f32_e32 v36, v36
	scratch_store_dword off, v14, off offset:8
	v_add_f32_e32 v36, 1.0, v36
	v_cmp_gt_f32_e32 vcc, s13, v36
	s_nop 1
	v_cndmask_b32_e32 v12, 1.0, v12, vcc
	v_mul_f32_e32 v12, v36, v12
	v_log_f32_e32 v12, v12
	v_cndmask_b32_e32 v36, 0, v37, vcc
	v_mul_f32_e32 v37, 0x3f317217, v12
	v_fma_f32 v37, v12, s7, -v37
	v_fmac_f32_e32 v37, 0x3377d1cf, v12
	v_fmac_f32_e32 v37, 0x3f317217, v12
	v_cmp_lt_f32_e64 vcc, |v12|, s12
	s_nop 1
	v_cndmask_b32_e32 v12, v12, v37, vcc
	v_sub_f32_e32 v12, v12, v36
	v_cmp_lt_f16_e32 vcc, s6, v35
	s_nop 1
	v_cndmask_b32_e32 v12, v12, v15, vcc
	v_mul_f32_e32 v15, 0x4f800000, v12
	v_cmp_gt_f32_e32 vcc, s14, v12
	s_nop 1
	v_cndmask_b32_e32 v12, v12, v15, vcc
	v_sqrt_f32_e32 v15, v12
	s_nop 0
	v_add_u32_e32 v14, -1, v15
	v_add_u32_e32 v35, 1, v15
	v_fma_f32 v36, -v14, v15, v12
	v_fma_f32 v37, -v35, v15, v12
	v_cmp_ge_f32_e64 s[4:5], 0, v36
	s_nop 1
	v_cndmask_b32_e64 v14, v15, v14, s[4:5]
	v_cmp_lt_f32_e64 s[4:5], 0, v37
	s_nop 1
	v_cndmask_b32_e64 v14, v14, v35, s[4:5]
	v_mul_f32_e32 v15, 0x37800000, v14
	v_cndmask_b32_e32 v14, v14, v15, vcc
	v_cmp_class_f32_e64 s[4:5], v12, v13
	s_and_b64 vcc, exec, s[2:3]
	s_nop 0
	v_cndmask_b32_e64 v14, v14, v12, s[4:5]
	s_cbranch_vccnz .LBB239_12
; %bb.11:
	global_load_dword v12, v19, s[10:11] offset:384
	s_waitcnt vmcnt(0)
	v_add_f32_e32 v14, v14, v12
.LBB239_12:
	v_mul_f32_e32 v12, 0x3fb8aa3b, v8
	v_exp_f32_e32 v13, v12
	v_mov_b32_e32 v12, 0x4f800000
	scratch_store_dword off, v14, off offset:12
	v_add_f32_e32 v13, 1.0, v13
	v_cmp_gt_f32_e32 vcc, s13, v13
	s_nop 1
	v_cndmask_b32_e32 v15, 1.0, v12, vcc
	v_mul_f32_e32 v13, v13, v15
	v_log_f32_e32 v13, v13
	s_nop 0
	v_mul_f32_e32 v15, 0x3f317217, v13
	v_fma_f32 v15, v13, s7, -v15
	v_fmac_f32_e32 v15, 0x3377d1cf, v13
	v_fmac_f32_e32 v15, 0x3f317217, v13
	v_cmp_lt_f32_e64 s[4:5], |v13|, s12
	s_nop 1
	v_cndmask_b32_e64 v15, v13, v15, s[4:5]
	v_mov_b32_e32 v13, 0x41b17218
	v_cndmask_b32_e32 v35, 0, v13, vcc
	v_sub_f32_e32 v15, v15, v35
	v_cmp_lt_f16_e32 vcc, s6, v34
	s_nop 1
	v_cndmask_b32_e32 v8, v15, v8, vcc
	v_mul_f32_e32 v15, 0x4f800000, v8
	v_cmp_gt_f32_e32 vcc, s14, v8
	s_nop 1
	v_cndmask_b32_e32 v15, v8, v15, vcc
	v_sqrt_f32_e32 v8, v15
	s_nop 0
	v_add_u32_e32 v14, -1, v8
	v_fma_f32 v34, -v14, v8, v15
	v_cmp_ge_f32_e64 s[4:5], 0, v34
	v_add_u32_e32 v34, 1, v8
	s_nop 0
	v_cndmask_b32_e64 v14, v8, v14, s[4:5]
	v_fma_f32 v8, -v34, v8, v15
	v_cmp_lt_f32_e64 s[4:5], 0, v8
	s_nop 1
	v_cndmask_b32_e64 v8, v14, v34, s[4:5]
	v_mul_f32_e32 v14, 0x37800000, v8
	v_cndmask_b32_e32 v14, v8, v14, vcc
	v_mov_b32_e32 v8, 0x260
	v_cmp_class_f32_e64 s[4:5], v15, v8
	s_and_b64 vcc, exec, s[2:3]
	s_nop 0
	v_cndmask_b32_e64 v14, v14, v15, s[4:5]
	s_cbranch_vccnz .LBB239_14
; %bb.13:
	global_load_dword v15, v19, s[10:11] offset:512
	s_waitcnt vmcnt(0)
	v_add_f32_e32 v14, v14, v15
.LBB239_14:
	v_mul_f32_e32 v15, 0x3fb8aa3b, v9
	v_exp_f32_e32 v15, v15
	scratch_store_dword off, v14, off offset:16
	v_add_f32_e32 v15, 1.0, v15
	v_cmp_gt_f32_e32 vcc, s13, v15
	s_nop 1
	v_cndmask_b32_e32 v12, 1.0, v12, vcc
	v_mul_f32_e32 v12, v15, v12
	v_log_f32_e32 v12, v12
	v_cndmask_b32_e32 v13, 0, v13, vcc
	v_mul_f32_e32 v15, 0x3f317217, v12
	v_fma_f32 v15, v12, s7, -v15
	v_fmac_f32_e32 v15, 0x3377d1cf, v12
	v_fmac_f32_e32 v15, 0x3f317217, v12
	v_cmp_lt_f32_e64 vcc, |v12|, s12
	s_nop 1
	v_cndmask_b32_e32 v12, v12, v15, vcc
	v_sub_f32_e32 v12, v12, v13
	v_cmp_lt_f16_e32 vcc, s6, v33
	s_nop 1
	v_cndmask_b32_e32 v9, v12, v9, vcc
	v_mul_f32_e32 v12, 0x4f800000, v9
	v_cmp_gt_f32_e32 vcc, s14, v9
	s_nop 1
	v_cndmask_b32_e32 v9, v9, v12, vcc
	v_sqrt_f32_e32 v12, v9
	s_nop 0
	v_add_u32_e32 v13, -1, v12
	v_add_u32_e32 v14, 1, v12
	v_fma_f32 v15, -v13, v12, v9
	v_fma_f32 v33, -v14, v12, v9
	v_cmp_ge_f32_e64 s[4:5], 0, v15
	s_nop 1
	v_cndmask_b32_e64 v12, v12, v13, s[4:5]
	v_cmp_lt_f32_e64 s[4:5], 0, v33
	s_nop 1
	v_cndmask_b32_e64 v12, v12, v14, s[4:5]
	v_mul_f32_e32 v13, 0x37800000, v12
	v_cndmask_b32_e32 v12, v12, v13, vcc
	v_cmp_class_f32_e64 s[4:5], v9, v8
	s_and_b64 vcc, exec, s[2:3]
	s_nop 0
	v_cndmask_b32_e64 v9, v12, v9, s[4:5]
	s_cbranch_vccnz .LBB239_16
; %bb.15:
	global_load_dword v8, v19, s[10:11] offset:640
	s_waitcnt vmcnt(0)
	v_add_f32_e32 v9, v9, v8
.LBB239_16:
	v_mul_f32_e32 v8, 0x3fb8aa3b, v10
	v_exp_f32_e32 v12, v8
	v_mov_b32_e32 v8, 0x4f800000
	scratch_store_dword off, v9, off offset:20
	v_add_f32_e32 v12, 1.0, v12
	v_cmp_gt_f32_e32 vcc, s13, v12
	s_nop 1
	v_cndmask_b32_e32 v13, 1.0, v8, vcc
	v_mul_f32_e32 v12, v12, v13
	v_log_f32_e32 v12, v12
	s_nop 0
	v_mul_f32_e32 v13, 0x3f317217, v12
	v_fma_f32 v13, v12, s7, -v13
	v_fmac_f32_e32 v13, 0x3377d1cf, v12
	v_fmac_f32_e32 v13, 0x3f317217, v12
	v_cmp_lt_f32_e64 s[4:5], |v12|, s12
	s_nop 1
	v_cndmask_b32_e64 v13, v12, v13, s[4:5]
	v_mov_b32_e32 v12, 0x41b17218
	v_cndmask_b32_e32 v14, 0, v12, vcc
	v_sub_f32_e32 v13, v13, v14
	v_cmp_lt_f16_e32 vcc, s6, v32
	s_nop 1
	v_cndmask_b32_e32 v10, v13, v10, vcc
	v_mul_f32_e32 v13, 0x4f800000, v10
	v_cmp_gt_f32_e32 vcc, s14, v10
	s_nop 1
	v_cndmask_b32_e32 v10, v10, v13, vcc
	v_sqrt_f32_e32 v13, v10
	s_nop 0
	v_add_u32_e32 v9, -1, v13
	v_fma_f32 v14, -v9, v13, v10
	v_cmp_ge_f32_e64 s[4:5], 0, v14
	v_add_u32_e32 v14, 1, v13
	s_nop 0
	v_cndmask_b32_e64 v9, v13, v9, s[4:5]
	v_fma_f32 v13, -v14, v13, v10
	v_cmp_lt_f32_e64 s[4:5], 0, v13
	s_nop 1
	v_cndmask_b32_e64 v9, v9, v14, s[4:5]
	v_mul_f32_e32 v13, 0x37800000, v9
	v_cndmask_b32_e32 v13, v9, v13, vcc
	v_mov_b32_e32 v9, 0x260
	v_cmp_class_f32_e64 s[4:5], v10, v9
	s_and_b64 vcc, exec, s[2:3]
	s_nop 0
	v_cndmask_b32_e64 v10, v13, v10, s[4:5]
	s_cbranch_vccnz .LBB239_18
; %bb.17:
	global_load_dword v13, v19, s[10:11] offset:768
	s_waitcnt vmcnt(0)
	v_add_f32_e32 v10, v10, v13
.LBB239_18:
	v_mul_f32_e32 v13, 0x3fb8aa3b, v11
	v_exp_f32_e32 v13, v13
	scratch_store_dword off, v10, off offset:24
	v_add_f32_e32 v13, 1.0, v13
	v_cmp_gt_f32_e32 vcc, s13, v13
	s_nop 1
	v_cndmask_b32_e32 v8, 1.0, v8, vcc
	v_mul_f32_e32 v8, v13, v8
	v_log_f32_e32 v8, v8
	v_cndmask_b32_e32 v12, 0, v12, vcc
	v_mul_f32_e32 v13, 0x3f317217, v8
	v_fma_f32 v13, v8, s7, -v13
	v_fmac_f32_e32 v13, 0x3377d1cf, v8
	v_fmac_f32_e32 v13, 0x3f317217, v8
	v_cmp_lt_f32_e64 vcc, |v8|, s12
	s_nop 1
	v_cndmask_b32_e32 v8, v8, v13, vcc
	v_sub_f32_e32 v8, v8, v12
	v_cmp_lt_f16_e32 vcc, s6, v31
	s_nop 1
	v_cndmask_b32_e32 v8, v8, v11, vcc
	v_mul_f32_e32 v11, 0x4f800000, v8
	v_cmp_gt_f32_e32 vcc, s14, v8
	s_nop 1
	v_cndmask_b32_e32 v8, v8, v11, vcc
	v_sqrt_f32_e32 v11, v8
	s_nop 0
	v_add_u32_e32 v10, -1, v11
	v_add_u32_e32 v12, 1, v11
	v_fma_f32 v13, -v10, v11, v8
	v_fma_f32 v14, -v12, v11, v8
	v_cmp_ge_f32_e64 s[4:5], 0, v13
	s_nop 1
	v_cndmask_b32_e64 v10, v11, v10, s[4:5]
	v_cmp_lt_f32_e64 s[4:5], 0, v14
	s_nop 1
	v_cndmask_b32_e64 v10, v10, v12, s[4:5]
	v_mul_f32_e32 v11, 0x37800000, v10
	v_cndmask_b32_e32 v10, v10, v11, vcc
	v_cmp_class_f32_e64 s[4:5], v8, v9
	s_and_b64 vcc, exec, s[2:3]
	s_nop 0
	v_cndmask_b32_e64 v10, v10, v8, s[4:5]
	s_cbranch_vccnz .LBB239_20
; %bb.19:
	global_load_dword v8, v19, s[10:11] offset:896
	s_waitcnt vmcnt(0)
	v_add_f32_e32 v10, v10, v8
.LBB239_20:
	v_mul_f32_e32 v8, 0x3fb8aa3b, v4
	v_exp_f32_e32 v9, v8
	v_mov_b32_e32 v8, 0x4f800000
	scratch_store_dword off, v10, off offset:28
	v_add_f32_e32 v9, 1.0, v9
	v_cmp_gt_f32_e32 vcc, s13, v9
	s_nop 1
	v_cndmask_b32_e32 v11, 1.0, v8, vcc
	v_mul_f32_e32 v9, v9, v11
	v_log_f32_e32 v9, v9
	s_nop 0
	v_mul_f32_e32 v11, 0x3f317217, v9
	v_fma_f32 v11, v9, s7, -v11
	v_fmac_f32_e32 v11, 0x3377d1cf, v9
	v_fmac_f32_e32 v11, 0x3f317217, v9
	v_cmp_lt_f32_e64 s[4:5], |v9|, s12
	s_nop 1
	v_cndmask_b32_e64 v11, v9, v11, s[4:5]
	v_mov_b32_e32 v9, 0x41b17218
	v_cndmask_b32_e32 v12, 0, v9, vcc
	v_sub_f32_e32 v11, v11, v12
	v_cmp_lt_f16_e32 vcc, s6, v30
	s_nop 1
	v_cndmask_b32_e32 v4, v11, v4, vcc
	v_mul_f32_e32 v11, 0x4f800000, v4
	v_cmp_gt_f32_e32 vcc, s14, v4
	s_nop 1
	v_cndmask_b32_e32 v11, v4, v11, vcc
	v_sqrt_f32_e32 v4, v11
	s_nop 0
	v_add_u32_e32 v10, -1, v4
	v_fma_f32 v12, -v10, v4, v11
	v_cmp_ge_f32_e64 s[4:5], 0, v12
	v_add_u32_e32 v12, 1, v4
	s_nop 0
	v_cndmask_b32_e64 v10, v4, v10, s[4:5]
	v_fma_f32 v4, -v12, v4, v11
	v_cmp_lt_f32_e64 s[4:5], 0, v4
	s_nop 1
	v_cndmask_b32_e64 v4, v10, v12, s[4:5]
	v_mul_f32_e32 v10, 0x37800000, v4
	v_cndmask_b32_e32 v10, v4, v10, vcc
	v_mov_b32_e32 v4, 0x260
	v_cmp_class_f32_e64 s[4:5], v11, v4
	s_and_b64 vcc, exec, s[2:3]
	s_nop 0
	v_cndmask_b32_e64 v10, v10, v11, s[4:5]
	s_cbranch_vccnz .LBB239_22
; %bb.21:
	global_load_dword v11, v19, s[10:11] offset:1024
	s_waitcnt vmcnt(0)
	v_add_f32_e32 v10, v10, v11
.LBB239_22:
	v_mul_f32_e32 v11, 0x3fb8aa3b, v5
	v_exp_f32_e32 v11, v11
	scratch_store_dword off, v10, off offset:32
	v_add_f32_e32 v11, 1.0, v11
	v_cmp_gt_f32_e32 vcc, s13, v11
	s_nop 1
	v_cndmask_b32_e32 v8, 1.0, v8, vcc
	v_mul_f32_e32 v8, v11, v8
	v_log_f32_e32 v8, v8
	v_cndmask_b32_e32 v9, 0, v9, vcc
	v_mul_f32_e32 v11, 0x3f317217, v8
	v_fma_f32 v11, v8, s7, -v11
	v_fmac_f32_e32 v11, 0x3377d1cf, v8
	v_fmac_f32_e32 v11, 0x3f317217, v8
	v_cmp_lt_f32_e64 vcc, |v8|, s12
	s_nop 1
	v_cndmask_b32_e32 v8, v8, v11, vcc
	v_sub_f32_e32 v8, v8, v9
	v_cmp_lt_f16_e32 vcc, s6, v29
	s_nop 1
	v_cndmask_b32_e32 v5, v8, v5, vcc
	v_mul_f32_e32 v8, 0x4f800000, v5
	v_cmp_gt_f32_e32 vcc, s14, v5
	s_nop 1
	v_cndmask_b32_e32 v5, v5, v8, vcc
	v_sqrt_f32_e32 v8, v5
	s_nop 0
	v_add_u32_e32 v9, -1, v8
	v_add_u32_e32 v10, 1, v8
	v_fma_f32 v11, -v9, v8, v5
	v_fma_f32 v12, -v10, v8, v5
	v_cmp_ge_f32_e64 s[4:5], 0, v11
	s_nop 1
	v_cndmask_b32_e64 v8, v8, v9, s[4:5]
	v_cmp_lt_f32_e64 s[4:5], 0, v12
	s_nop 1
	v_cndmask_b32_e64 v8, v8, v10, s[4:5]
	v_mul_f32_e32 v9, 0x37800000, v8
	v_cndmask_b32_e32 v8, v8, v9, vcc
	v_cmp_class_f32_e64 s[4:5], v5, v4
	s_and_b64 vcc, exec, s[2:3]
	s_nop 0
	v_cndmask_b32_e64 v5, v8, v5, s[4:5]
	s_cbranch_vccnz .LBB239_24
; %bb.23:
	global_load_dword v4, v19, s[10:11] offset:1152
	s_waitcnt vmcnt(0)
	v_add_f32_e32 v5, v5, v4
.LBB239_24:
	v_mul_f32_e32 v4, 0x3fb8aa3b, v6
	v_exp_f32_e32 v8, v4
	v_mov_b32_e32 v4, 0x4f800000
	scratch_store_dword off, v5, off offset:36
	v_add_f32_e32 v8, 1.0, v8
	v_cmp_gt_f32_e32 vcc, s13, v8
	s_nop 1
	v_cndmask_b32_e32 v9, 1.0, v4, vcc
	v_mul_f32_e32 v8, v8, v9
	v_log_f32_e32 v8, v8
	s_nop 0
	v_mul_f32_e32 v9, 0x3f317217, v8
	v_fma_f32 v9, v8, s7, -v9
	v_fmac_f32_e32 v9, 0x3377d1cf, v8
	v_fmac_f32_e32 v9, 0x3f317217, v8
	v_cmp_lt_f32_e64 s[4:5], |v8|, s12
	s_nop 1
	v_cndmask_b32_e64 v9, v8, v9, s[4:5]
	v_mov_b32_e32 v8, 0x41b17218
	v_cndmask_b32_e32 v10, 0, v8, vcc
	v_sub_f32_e32 v9, v9, v10
	v_cmp_lt_f16_e32 vcc, s6, v28
	s_nop 1
	v_cndmask_b32_e32 v6, v9, v6, vcc
	v_mul_f32_e32 v9, 0x4f800000, v6
	v_cmp_gt_f32_e32 vcc, s14, v6
	s_nop 1
	v_cndmask_b32_e32 v6, v6, v9, vcc
	v_sqrt_f32_e32 v9, v6
	s_nop 0
	v_add_u32_e32 v5, -1, v9
	v_fma_f32 v10, -v5, v9, v6
	v_cmp_ge_f32_e64 s[4:5], 0, v10
	v_add_u32_e32 v10, 1, v9
	s_nop 0
	v_cndmask_b32_e64 v5, v9, v5, s[4:5]
	v_fma_f32 v9, -v10, v9, v6
	v_cmp_lt_f32_e64 s[4:5], 0, v9
	s_nop 1
	v_cndmask_b32_e64 v5, v5, v10, s[4:5]
	v_mul_f32_e32 v9, 0x37800000, v5
	v_cndmask_b32_e32 v9, v5, v9, vcc
	v_mov_b32_e32 v5, 0x260
	v_cmp_class_f32_e64 s[4:5], v6, v5
	s_and_b64 vcc, exec, s[2:3]
	s_nop 0
	v_cndmask_b32_e64 v6, v9, v6, s[4:5]
	s_cbranch_vccnz .LBB239_26
; %bb.25:
	global_load_dword v9, v19, s[10:11] offset:1280
	s_waitcnt vmcnt(0)
	v_add_f32_e32 v6, v6, v9
.LBB239_26:
	v_mul_f32_e32 v9, 0x3fb8aa3b, v7
	v_exp_f32_e32 v9, v9
	scratch_store_dword off, v6, off offset:40
	v_add_f32_e32 v9, 1.0, v9
	v_cmp_gt_f32_e32 vcc, s13, v9
	s_nop 1
	v_cndmask_b32_e32 v4, 1.0, v4, vcc
	v_mul_f32_e32 v4, v9, v4
	v_log_f32_e32 v4, v4
	v_cndmask_b32_e32 v8, 0, v8, vcc
	v_mul_f32_e32 v9, 0x3f317217, v4
	v_fma_f32 v9, v4, s7, -v9
	v_fmac_f32_e32 v9, 0x3377d1cf, v4
	v_fmac_f32_e32 v9, 0x3f317217, v4
	v_cmp_lt_f32_e64 vcc, |v4|, s12
	s_nop 1
	v_cndmask_b32_e32 v4, v4, v9, vcc
	v_sub_f32_e32 v4, v4, v8
	v_cmp_lt_f16_e32 vcc, s6, v27
	s_nop 1
	v_cndmask_b32_e32 v4, v4, v7, vcc
	v_mul_f32_e32 v7, 0x4f800000, v4
	v_cmp_gt_f32_e32 vcc, s14, v4
	s_nop 1
	v_cndmask_b32_e32 v4, v4, v7, vcc
	v_sqrt_f32_e32 v7, v4
	s_nop 0
	v_add_u32_e32 v6, -1, v7
	v_add_u32_e32 v8, 1, v7
	v_fma_f32 v9, -v6, v7, v4
	v_fma_f32 v10, -v8, v7, v4
	v_cmp_ge_f32_e64 s[4:5], 0, v9
	s_nop 1
	v_cndmask_b32_e64 v6, v7, v6, s[4:5]
	v_cmp_lt_f32_e64 s[4:5], 0, v10
	s_nop 1
	v_cndmask_b32_e64 v6, v6, v8, s[4:5]
	v_mul_f32_e32 v7, 0x37800000, v6
	v_cndmask_b32_e32 v6, v6, v7, vcc
	v_cmp_class_f32_e64 s[4:5], v4, v5
	s_and_b64 vcc, exec, s[2:3]
	s_nop 0
	v_cndmask_b32_e64 v6, v6, v4, s[4:5]
	s_cbranch_vccnz .LBB239_28
; %bb.27:
	global_load_dword v4, v19, s[10:11] offset:1408
	s_waitcnt vmcnt(0)
	v_add_f32_e32 v6, v6, v4
.LBB239_28:
	v_mul_f32_e32 v4, 0x3fb8aa3b, v0
	v_exp_f32_e32 v5, v4
	v_mov_b32_e32 v4, 0x4f800000
	scratch_store_dword off, v6, off offset:44
	v_add_f32_e32 v5, 1.0, v5
	v_cmp_gt_f32_e32 vcc, s13, v5
	s_nop 1
	v_cndmask_b32_e32 v7, 1.0, v4, vcc
	v_mul_f32_e32 v5, v5, v7
	v_log_f32_e32 v5, v5
	s_nop 0
	v_mul_f32_e32 v7, 0x3f317217, v5
	v_fma_f32 v7, v5, s7, -v7
	v_fmac_f32_e32 v7, 0x3377d1cf, v5
	v_fmac_f32_e32 v7, 0x3f317217, v5
	v_cmp_lt_f32_e64 s[4:5], |v5|, s12
	s_nop 1
	v_cndmask_b32_e64 v7, v5, v7, s[4:5]
	v_mov_b32_e32 v5, 0x41b17218
	v_cndmask_b32_e32 v8, 0, v5, vcc
	v_sub_f32_e32 v7, v7, v8
	v_cmp_lt_f16_e32 vcc, s6, v26
	s_nop 1
	v_cndmask_b32_e32 v0, v7, v0, vcc
	v_mul_f32_e32 v7, 0x4f800000, v0
	v_cmp_gt_f32_e32 vcc, s14, v0
	s_nop 1
	v_cndmask_b32_e32 v7, v0, v7, vcc
	v_sqrt_f32_e32 v0, v7
	s_nop 0
	v_add_u32_e32 v6, -1, v0
	v_fma_f32 v8, -v6, v0, v7
	v_cmp_ge_f32_e64 s[4:5], 0, v8
	v_add_u32_e32 v8, 1, v0
	s_nop 0
	v_cndmask_b32_e64 v6, v0, v6, s[4:5]
	v_fma_f32 v0, -v8, v0, v7
	v_cmp_lt_f32_e64 s[4:5], 0, v0
	s_nop 1
	v_cndmask_b32_e64 v0, v6, v8, s[4:5]
	v_mul_f32_e32 v6, 0x37800000, v0
	v_cndmask_b32_e32 v6, v0, v6, vcc
	v_mov_b32_e32 v0, 0x260
	v_cmp_class_f32_e64 s[4:5], v7, v0
	s_and_b64 vcc, exec, s[2:3]
	s_nop 0
	v_cndmask_b32_e64 v6, v6, v7, s[4:5]
	s_cbranch_vccnz .LBB239_30
; %bb.29:
	global_load_dword v7, v19, s[10:11] offset:1536
	s_waitcnt vmcnt(0)
	v_add_f32_e32 v6, v6, v7
.LBB239_30:
	v_mul_f32_e32 v7, 0x3fb8aa3b, v1
	v_exp_f32_e32 v7, v7
	scratch_store_dword off, v6, off offset:48
	v_add_f32_e32 v7, 1.0, v7
	v_cmp_gt_f32_e32 vcc, s13, v7
	s_nop 1
	v_cndmask_b32_e32 v4, 1.0, v4, vcc
	v_mul_f32_e32 v4, v7, v4
	v_log_f32_e32 v4, v4
	v_cndmask_b32_e32 v5, 0, v5, vcc
	v_mul_f32_e32 v7, 0x3f317217, v4
	v_fma_f32 v7, v4, s7, -v7
	v_fmac_f32_e32 v7, 0x3377d1cf, v4
	v_fmac_f32_e32 v7, 0x3f317217, v4
	v_cmp_lt_f32_e64 vcc, |v4|, s12
	s_nop 1
	v_cndmask_b32_e32 v4, v4, v7, vcc
	v_sub_f32_e32 v4, v4, v5
	v_cmp_lt_f16_e32 vcc, s6, v25
	s_nop 1
	v_cndmask_b32_e32 v1, v4, v1, vcc
	v_mul_f32_e32 v4, 0x4f800000, v1
	v_cmp_gt_f32_e32 vcc, s14, v1
	s_nop 1
	v_cndmask_b32_e32 v1, v1, v4, vcc
	v_sqrt_f32_e32 v4, v1
	s_nop 0
	v_add_u32_e32 v5, -1, v4
	v_add_u32_e32 v6, 1, v4
	v_fma_f32 v7, -v5, v4, v1
	v_fma_f32 v8, -v6, v4, v1
	v_cmp_ge_f32_e64 s[4:5], 0, v7
	s_nop 1
	v_cndmask_b32_e64 v4, v4, v5, s[4:5]
	v_cmp_lt_f32_e64 s[4:5], 0, v8
	s_nop 1
	v_cndmask_b32_e64 v4, v4, v6, s[4:5]
	v_mul_f32_e32 v5, 0x37800000, v4
	v_cndmask_b32_e32 v4, v4, v5, vcc
	v_cmp_class_f32_e64 s[4:5], v1, v0
	s_and_b64 vcc, exec, s[2:3]
	s_nop 0
	v_cndmask_b32_e64 v1, v4, v1, s[4:5]
	s_cbranch_vccnz .LBB239_32
; %bb.31:
	global_load_dword v0, v19, s[10:11] offset:1664
	s_waitcnt vmcnt(0)
	v_add_f32_e32 v1, v1, v0
.LBB239_32:
	v_mul_f32_e32 v0, 0x3fb8aa3b, v2
	v_exp_f32_e32 v4, v0
	v_mov_b32_e32 v0, 0x4f800000
	scratch_store_dword off, v1, off offset:52
	v_add_f32_e32 v4, 1.0, v4
	v_cmp_gt_f32_e32 vcc, s13, v4
	s_nop 1
	v_cndmask_b32_e32 v5, 1.0, v0, vcc
	v_mul_f32_e32 v4, v4, v5
	v_log_f32_e32 v4, v4
	s_nop 0
	v_mul_f32_e32 v5, 0x3f317217, v4
	v_fma_f32 v5, v4, s7, -v5
	v_fmac_f32_e32 v5, 0x3377d1cf, v4
	v_fmac_f32_e32 v5, 0x3f317217, v4
	v_cmp_lt_f32_e64 s[4:5], |v4|, s12
	s_nop 1
	v_cndmask_b32_e64 v5, v4, v5, s[4:5]
	v_mov_b32_e32 v4, 0x41b17218
	v_cndmask_b32_e32 v6, 0, v4, vcc
	v_sub_f32_e32 v5, v5, v6
	v_cmp_lt_f16_e32 vcc, s6, v24
	s_nop 1
	v_cndmask_b32_e32 v2, v5, v2, vcc
	v_mul_f32_e32 v5, 0x4f800000, v2
	v_cmp_gt_f32_e32 vcc, s14, v2
	s_nop 1
	v_cndmask_b32_e32 v2, v2, v5, vcc
	v_sqrt_f32_e32 v5, v2
	s_nop 0
	v_add_u32_e32 v1, -1, v5
	v_fma_f32 v6, -v1, v5, v2
	v_cmp_ge_f32_e64 s[4:5], 0, v6
	v_add_u32_e32 v6, 1, v5
	s_nop 0
	v_cndmask_b32_e64 v1, v5, v1, s[4:5]
	v_fma_f32 v5, -v6, v5, v2
	v_cmp_lt_f32_e64 s[4:5], 0, v5
	s_nop 1
	v_cndmask_b32_e64 v1, v1, v6, s[4:5]
	v_mul_f32_e32 v5, 0x37800000, v1
	v_cndmask_b32_e32 v5, v1, v5, vcc
	v_mov_b32_e32 v1, 0x260
	v_cmp_class_f32_e64 s[4:5], v2, v1
	s_and_b64 vcc, exec, s[2:3]
	s_nop 0
	v_cndmask_b32_e64 v2, v5, v2, s[4:5]
	s_cbranch_vccnz .LBB239_34
; %bb.33:
	global_load_dword v5, v19, s[10:11] offset:1792
	s_waitcnt vmcnt(0)
	v_add_f32_e32 v2, v2, v5
.LBB239_34:
	v_mul_f32_e32 v5, 0x3fb8aa3b, v3
	v_exp_f32_e32 v5, v5
	scratch_store_dword off, v2, off offset:56
	v_add_f32_e32 v5, 1.0, v5
	v_cmp_gt_f32_e32 vcc, s13, v5
	s_nop 1
	v_cndmask_b32_e32 v0, 1.0, v0, vcc
	v_mul_f32_e32 v0, v5, v0
	v_log_f32_e32 v0, v0
	v_cndmask_b32_e32 v4, 0, v4, vcc
	v_mul_f32_e32 v5, 0x3f317217, v0
	v_fma_f32 v5, v0, s7, -v5
	v_fmac_f32_e32 v5, 0x3377d1cf, v0
	v_fmac_f32_e32 v5, 0x3f317217, v0
	v_cmp_lt_f32_e64 vcc, |v0|, s12
	s_nop 1
	v_cndmask_b32_e32 v0, v0, v5, vcc
	v_sub_f32_e32 v0, v0, v4
	v_cmp_lt_f16_e32 vcc, s6, v23
	s_nop 1
	v_cndmask_b32_e32 v0, v0, v3, vcc
	v_mul_f32_e32 v3, 0x4f800000, v0
	v_cmp_gt_f32_e32 vcc, s14, v0
	s_nop 1
	v_cndmask_b32_e32 v0, v0, v3, vcc
	v_sqrt_f32_e32 v3, v0
	s_nop 0
	v_add_u32_e32 v2, -1, v3
	v_add_u32_e32 v4, 1, v3
	v_fma_f32 v5, -v2, v3, v0
	v_fma_f32 v6, -v4, v3, v0
	v_cmp_ge_f32_e64 s[4:5], 0, v5
	s_nop 1
	v_cndmask_b32_e64 v2, v3, v2, s[4:5]
	v_cmp_lt_f32_e64 s[4:5], 0, v6
	s_nop 1
	v_cndmask_b32_e64 v2, v2, v4, s[4:5]
	v_mul_f32_e32 v3, 0x37800000, v2
	v_cndmask_b32_e32 v2, v2, v3, vcc
	v_cmp_class_f32_e64 s[4:5], v0, v1
	s_and_b64 vcc, exec, s[2:3]
	s_nop 0
	v_cndmask_b32_e64 v1, v2, v0, s[4:5]
	s_cbranch_vccnz .LBB239_36
; %bb.35:
	global_load_dword v0, v19, s[10:11] offset:1920
	s_waitcnt vmcnt(0)
	v_add_f32_e32 v1, v1, v0
.LBB239_36:
	v_mul_f32_e32 v0, 0x3fb8aa3b, v20
	v_exp_f32_e32 v2, v0
	v_mov_b32_e32 v0, 0x4f800000
	scratch_store_dword off, v1, off offset:60
	v_add_f32_e32 v2, 1.0, v2
	v_cmp_gt_f32_e32 vcc, s13, v2
	s_nop 1
	v_cndmask_b32_e32 v3, 1.0, v0, vcc
	v_mul_f32_e32 v2, v2, v3
	v_log_f32_e32 v2, v2
	s_nop 0
	v_mul_f32_e32 v3, 0x3f317217, v2
	v_fma_f32 v3, v2, s7, -v3
	v_fmac_f32_e32 v3, 0x3377d1cf, v2
	v_fmac_f32_e32 v3, 0x3f317217, v2
	v_cmp_lt_f32_e64 s[4:5], |v2|, s12
	s_nop 1
	v_cndmask_b32_e64 v3, v2, v3, s[4:5]
	v_mov_b32_e32 v2, 0x41b17218
	v_cndmask_b32_e32 v4, 0, v2, vcc
	v_sub_f32_e32 v3, v3, v4
	v_cmp_lt_f16_e32 vcc, s6, v22
	s_nop 1
	v_cndmask_b32_e32 v3, v3, v20, vcc
	v_mul_f32_e32 v4, 0x4f800000, v3
	v_cmp_gt_f32_e32 vcc, s14, v3
	s_nop 1
	v_cndmask_b32_e32 v3, v3, v4, vcc
	v_sqrt_f32_e32 v4, v3
	s_nop 0
	v_add_u32_e32 v1, -1, v4
	v_fma_f32 v5, -v1, v4, v3
	v_cmp_ge_f32_e64 s[4:5], 0, v5
	v_add_u32_e32 v5, 1, v4
	s_nop 0
	v_cndmask_b32_e64 v1, v4, v1, s[4:5]
	v_fma_f32 v4, -v5, v4, v3
	v_cmp_lt_f32_e64 s[4:5], 0, v4
	s_nop 1
	v_cndmask_b32_e64 v1, v1, v5, s[4:5]
	v_mul_f32_e32 v4, 0x37800000, v1
	v_cndmask_b32_e32 v4, v1, v4, vcc
	v_mov_b32_e32 v1, 0x260
	v_cmp_class_f32_e64 s[4:5], v3, v1
	s_and_b64 vcc, exec, s[2:3]
	s_nop 0
	v_cndmask_b32_e64 v3, v4, v3, s[4:5]
	s_cbranch_vccnz .LBB239_38
; %bb.37:
	global_load_dword v4, v19, s[10:11] offset:2048
	s_waitcnt vmcnt(0)
	v_add_f32_e32 v3, v3, v4
.LBB239_38:
	v_mul_f32_e32 v4, 0x3fb8aa3b, v21
	v_exp_f32_e32 v4, v4
	scratch_store_dword off, v3, off offset:64
	v_add_f32_e32 v4, 1.0, v4
	v_cmp_gt_f32_e32 vcc, s13, v4
	s_nop 1
	v_cndmask_b32_e32 v0, 1.0, v0, vcc
	v_mul_f32_e32 v0, v4, v0
	v_log_f32_e32 v0, v0
	v_cndmask_b32_e32 v2, 0, v2, vcc
	v_mul_f32_e32 v4, 0x3f317217, v0
	v_fma_f32 v4, v0, s7, -v4
	v_fmac_f32_e32 v4, 0x3377d1cf, v0
	v_fmac_f32_e32 v4, 0x3f317217, v0
	v_cmp_lt_f32_e64 vcc, |v0|, s12
	s_nop 1
	v_cndmask_b32_e32 v0, v0, v4, vcc
	v_sub_f32_e32 v0, v0, v2
	v_cmp_lt_f16_e32 vcc, s6, v17
	s_nop 1
	v_cndmask_b32_e32 v0, v0, v21, vcc
	v_mul_f32_e32 v2, 0x4f800000, v0
	v_cmp_gt_f32_e32 vcc, s14, v0
	s_nop 1
	v_cndmask_b32_e32 v0, v0, v2, vcc
	v_sqrt_f32_e32 v2, v0
	s_nop 0
	v_add_u32_e32 v3, -1, v2
	v_add_u32_e32 v4, 1, v2
	v_fma_f32 v5, -v3, v2, v0
	v_fma_f32 v6, -v4, v2, v0
	v_cmp_ge_f32_e64 s[4:5], 0, v5
	s_nop 1
	v_cndmask_b32_e64 v2, v2, v3, s[4:5]
	v_cmp_lt_f32_e64 s[4:5], 0, v6
	s_nop 1
	v_cndmask_b32_e64 v2, v2, v4, s[4:5]
	v_mul_f32_e32 v3, 0x37800000, v2
	v_cndmask_b32_e32 v2, v2, v3, vcc
	v_cmp_class_f32_e64 s[4:5], v0, v1
	s_and_b64 vcc, exec, s[2:3]
	s_nop 0
	v_cndmask_b32_e64 v0, v2, v0, s[4:5]
	s_cbranch_vccnz .LBB239_40
; %bb.39:
	global_load_dword v1, v19, s[10:11] offset:2176
	s_waitcnt vmcnt(0)
	v_add_f32_e32 v0, v0, v1
.LBB239_40:
	s_load_dwordx4 s[12:15], s[0:1], 0x30
	s_mov_b32 s31, 0
	v_cmp_eq_u32_e64 s[6:7], 0, v18
	scratch_store_dword off, v0, off offset:68
	s_waitcnt lgkmcnt(0)
	s_bitcmp1_b32 s15, 0
	s_cselect_b64 s[4:5], -1, 0
	s_cmp_gt_i32 s12, 0
	s_cselect_b64 s[24:25], -1, 0
	s_and_b64 vcc, exec, s[24:25]
	s_cbranch_vccz .LBB239_69
; %bb.41:
	v_mbcnt_lo_u32_b32 v0, -1, 0
	v_mbcnt_hi_u32_b32 v0, -1, v0
	v_and_b32_e32 v1, 0x60, v0
	v_add_u32_e32 v1, 32, v1
	v_xor_b32_e32 v12, 16, v0
	v_cmp_lt_i32_e32 vcc, v12, v1
	s_load_dwordx4 s[16:19], s[0:1], 0x20
	v_mul_lo_u32 v2, v16, s12
	v_cndmask_b32_e32 v12, v0, v12, vcc
	v_lshlrev_b32_e32 v23, 2, v12
	v_xor_b32_e32 v12, 8, v0
	v_cmp_lt_i32_e32 vcc, v12, v1
	v_or_b32_e32 v3, 32, v18
	v_or_b32_e32 v4, 64, v18
	v_cndmask_b32_e32 v12, v0, v12, vcc
	v_lshlrev_b32_e32 v24, 2, v12
	v_xor_b32_e32 v12, 4, v0
	v_cmp_lt_i32_e32 vcc, v12, v1
	v_or_b32_e32 v5, 0x60, v18
	v_or_b32_e32 v6, 0x80, v18
	;; [unrolled: 6-line block ×4, first 2 shown]
	v_cndmask_b32_e32 v0, v0, v12, vcc
	v_or_b32_e32 v11, 0x120, v18
	v_or_b32_e32 v13, 0x140, v18
	;; [unrolled: 1-line block ×9, first 2 shown]
	v_lshlrev_b32_e32 v27, 2, v0
	v_mov_b32_e32 v12, 0
	v_mov_b32_e32 v28, 0
	v_mov_b32_e32 v29, 0xc61c4000
	v_mov_b32_e32 v30, 0x240
	v_mov_b32_e32 v31, v16
	s_branch .LBB239_43
.LBB239_42:                             ;   in Loop: Header=BB239_43 Depth=1
	s_or_b64 exec, exec, s[0:1]
	s_cmp_eq_u32 s12, s31
	v_add_u32_e32 v31, s30, v31
	s_cbranch_scc1 .LBB239_70
.LBB239_43:                             ; =>This Inner Loop Header: Depth=1
	s_waitcnt lgkmcnt(0)
	scratch_load_dwordx4 v[32:35], off, off
	scratch_load_dwordx4 v[36:39], off, off offset:16
	scratch_load_dwordx4 v[40:43], off, off offset:32
	;; [unrolled: 1-line block ×3, first 2 shown]
	scratch_load_dwordx2 v[0:1], off, off offset:64
	s_waitcnt vmcnt(4)
	v_cmp_gt_f32_e32 vcc, v33, v32
	s_nop 1
	v_cndmask_b32_e32 v32, v32, v33, vcc
	v_cndmask_b32_e32 v48, v18, v3, vcc
	v_cmp_gt_f32_e32 vcc, v34, v32
	s_nop 1
	v_cndmask_b32_e32 v32, v32, v34, vcc
	v_cndmask_b32_e32 v33, v48, v4, vcc
	v_cmp_gt_f32_e32 vcc, v35, v32
	s_nop 1
	v_cndmask_b32_e32 v32, v32, v35, vcc
	v_cndmask_b32_e32 v33, v33, v5, vcc
	s_waitcnt vmcnt(3)
	v_cmp_gt_f32_e32 vcc, v36, v32
	s_nop 1
	v_cndmask_b32_e32 v32, v32, v36, vcc
	v_cndmask_b32_e32 v33, v33, v6, vcc
	v_cmp_gt_f32_e32 vcc, v37, v32
	s_nop 1
	v_cndmask_b32_e32 v32, v32, v37, vcc
	v_cndmask_b32_e32 v33, v33, v7, vcc
	v_cmp_gt_f32_e32 vcc, v38, v32
	s_nop 1
	v_cndmask_b32_e32 v32, v32, v38, vcc
	v_cndmask_b32_e32 v33, v33, v8, vcc
	v_cmp_gt_f32_e32 vcc, v39, v32
	s_nop 1
	v_cndmask_b32_e32 v32, v32, v39, vcc
	v_cndmask_b32_e32 v33, v33, v9, vcc
	s_waitcnt vmcnt(2)
	v_cmp_gt_f32_e32 vcc, v40, v32
	s_nop 1
	v_cndmask_b32_e32 v32, v32, v40, vcc
	v_cndmask_b32_e32 v33, v33, v10, vcc
	v_cmp_gt_f32_e32 vcc, v41, v32
	s_nop 1
	v_cndmask_b32_e32 v32, v32, v41, vcc
	v_cndmask_b32_e32 v33, v33, v11, vcc
	v_cmp_gt_f32_e32 vcc, v42, v32
	s_nop 1
	v_cndmask_b32_e32 v32, v32, v42, vcc
	v_cndmask_b32_e32 v33, v33, v13, vcc
	v_cmp_gt_f32_e32 vcc, v43, v32
	s_nop 1
	v_cndmask_b32_e32 v32, v32, v43, vcc
	v_cndmask_b32_e32 v33, v33, v14, vcc
	s_waitcnt vmcnt(1)
	v_cmp_gt_f32_e32 vcc, v44, v32
	s_nop 1
	v_cndmask_b32_e32 v32, v32, v44, vcc
	v_cndmask_b32_e32 v33, v33, v15, vcc
	v_cmp_gt_f32_e32 vcc, v45, v32
	s_nop 1
	v_cndmask_b32_e32 v32, v32, v45, vcc
	v_cndmask_b32_e32 v33, v33, v17, vcc
	v_cmp_gt_f32_e32 vcc, v46, v32
	s_nop 1
	v_cndmask_b32_e32 v32, v32, v46, vcc
	v_cndmask_b32_e32 v33, v33, v19, vcc
	v_cmp_gt_f32_e32 vcc, v47, v32
	s_nop 1
	v_cndmask_b32_e32 v32, v32, v47, vcc
	v_cndmask_b32_e32 v33, v33, v20, vcc
	s_waitcnt vmcnt(0)
	v_cmp_gt_f32_e32 vcc, v0, v32
	s_nop 1
	v_cndmask_b32_e32 v32, v32, v0, vcc
	v_cndmask_b32_e32 v33, v33, v21, vcc
	v_cmp_gt_f32_e32 vcc, v1, v32
	s_nop 1
	v_cndmask_b32_e32 v32, v32, v1, vcc
	v_cndmask_b32_e32 v0, v33, v22, vcc
	ds_bpermute_b32 v1, v23, v32
	ds_bpermute_b32 v33, v23, v0
	s_waitcnt lgkmcnt(0)
	v_cmp_lt_f32_e64 s[26:27], v32, v1
	v_cmp_nlt_f32_e32 vcc, v32, v1
	s_and_saveexec_b64 s[28:29], vcc
; %bb.44:                               ;   in Loop: Header=BB239_43 Depth=1
	v_cmp_eq_f32_e32 vcc, v32, v1
	v_cmp_lt_i32_e64 s[0:1], v33, v0
	s_and_b64 s[0:1], vcc, s[0:1]
	s_andn2_b64 s[26:27], s[26:27], exec
	s_and_b64 s[0:1], s[0:1], exec
	s_or_b64 s[26:27], s[26:27], s[0:1]
; %bb.45:                               ;   in Loop: Header=BB239_43 Depth=1
	s_or_b64 exec, exec, s[28:29]
	s_and_saveexec_b64 s[0:1], s[26:27]
; %bb.46:                               ;   in Loop: Header=BB239_43 Depth=1
	v_mov_b32_e32 v32, v1
	v_mov_b32_e32 v0, v33
; %bb.47:                               ;   in Loop: Header=BB239_43 Depth=1
	s_or_b64 exec, exec, s[0:1]
	ds_bpermute_b32 v1, v24, v32
	ds_bpermute_b32 v33, v24, v0
	s_waitcnt lgkmcnt(1)
	v_cmp_lt_f32_e64 s[26:27], v32, v1
	v_cmp_nlt_f32_e32 vcc, v32, v1
	s_and_saveexec_b64 s[28:29], vcc
	s_cbranch_execz .LBB239_49
; %bb.48:                               ;   in Loop: Header=BB239_43 Depth=1
	v_cmp_eq_f32_e32 vcc, v32, v1
	s_waitcnt lgkmcnt(0)
	v_cmp_lt_i32_e64 s[0:1], v33, v0
	s_and_b64 s[0:1], vcc, s[0:1]
	s_andn2_b64 s[26:27], s[26:27], exec
	s_and_b64 s[0:1], s[0:1], exec
	s_or_b64 s[26:27], s[26:27], s[0:1]
.LBB239_49:                             ;   in Loop: Header=BB239_43 Depth=1
	s_or_b64 exec, exec, s[28:29]
	s_and_saveexec_b64 s[0:1], s[26:27]
	s_cbranch_execz .LBB239_51
; %bb.50:                               ;   in Loop: Header=BB239_43 Depth=1
	v_mov_b32_e32 v32, v1
	s_waitcnt lgkmcnt(0)
	v_mov_b32_e32 v0, v33
.LBB239_51:                             ;   in Loop: Header=BB239_43 Depth=1
	s_or_b64 exec, exec, s[0:1]
	ds_bpermute_b32 v1, v25, v32
	s_waitcnt lgkmcnt(1)
	ds_bpermute_b32 v33, v25, v0
	s_waitcnt lgkmcnt(1)
	v_cmp_lt_f32_e64 s[26:27], v32, v1
	v_cmp_nlt_f32_e32 vcc, v32, v1
	s_and_saveexec_b64 s[28:29], vcc
	s_cbranch_execz .LBB239_53
; %bb.52:                               ;   in Loop: Header=BB239_43 Depth=1
	v_cmp_eq_f32_e32 vcc, v32, v1
	s_waitcnt lgkmcnt(0)
	v_cmp_lt_i32_e64 s[0:1], v33, v0
	s_and_b64 s[0:1], vcc, s[0:1]
	s_andn2_b64 s[26:27], s[26:27], exec
	s_and_b64 s[0:1], s[0:1], exec
	s_or_b64 s[26:27], s[26:27], s[0:1]
.LBB239_53:                             ;   in Loop: Header=BB239_43 Depth=1
	s_or_b64 exec, exec, s[28:29]
	s_and_saveexec_b64 s[0:1], s[26:27]
	s_cbranch_execz .LBB239_55
; %bb.54:                               ;   in Loop: Header=BB239_43 Depth=1
	v_mov_b32_e32 v32, v1
	s_waitcnt lgkmcnt(0)
	v_mov_b32_e32 v0, v33
.LBB239_55:                             ;   in Loop: Header=BB239_43 Depth=1
	s_or_b64 exec, exec, s[0:1]
	ds_bpermute_b32 v1, v26, v32
	s_waitcnt lgkmcnt(1)
	ds_bpermute_b32 v33, v26, v0
	s_waitcnt lgkmcnt(1)
	v_cmp_lt_f32_e64 s[26:27], v32, v1
	v_cmp_nlt_f32_e32 vcc, v32, v1
	s_and_saveexec_b64 s[28:29], vcc
	s_cbranch_execz .LBB239_57
; %bb.56:                               ;   in Loop: Header=BB239_43 Depth=1
	v_cmp_eq_f32_e32 vcc, v32, v1
	s_waitcnt lgkmcnt(0)
	v_cmp_lt_i32_e64 s[0:1], v33, v0
	s_and_b64 s[0:1], vcc, s[0:1]
	s_andn2_b64 s[26:27], s[26:27], exec
	s_and_b64 s[0:1], s[0:1], exec
	s_or_b64 s[26:27], s[26:27], s[0:1]
.LBB239_57:                             ;   in Loop: Header=BB239_43 Depth=1
	s_or_b64 exec, exec, s[28:29]
	s_and_saveexec_b64 s[0:1], s[26:27]
	s_cbranch_execz .LBB239_59
; %bb.58:                               ;   in Loop: Header=BB239_43 Depth=1
	v_mov_b32_e32 v32, v1
	s_waitcnt lgkmcnt(0)
	v_mov_b32_e32 v0, v33
.LBB239_59:                             ;   in Loop: Header=BB239_43 Depth=1
	s_or_b64 exec, exec, s[0:1]
	ds_bpermute_b32 v1, v27, v32
	s_waitcnt lgkmcnt(1)
	ds_bpermute_b32 v33, v27, v0
	s_waitcnt lgkmcnt(1)
	v_cmp_lt_f32_e64 s[26:27], v32, v1
	v_cmp_nlt_f32_e32 vcc, v32, v1
	s_and_saveexec_b64 s[28:29], vcc
	s_cbranch_execnz .LBB239_62
; %bb.60:                               ;   in Loop: Header=BB239_43 Depth=1
	s_or_b64 exec, exec, s[28:29]
	s_and_saveexec_b64 s[0:1], s[26:27]
	s_cbranch_execnz .LBB239_63
.LBB239_61:                             ;   in Loop: Header=BB239_43 Depth=1
	s_or_b64 exec, exec, s[0:1]
	s_and_saveexec_b64 s[26:27], s[6:7]
	s_cbranch_execnz .LBB239_64
	s_branch .LBB239_67
.LBB239_62:                             ;   in Loop: Header=BB239_43 Depth=1
	v_cmp_eq_f32_e32 vcc, v32, v1
	s_waitcnt lgkmcnt(0)
	v_cmp_lt_i32_e64 s[0:1], v33, v0
	s_and_b64 s[0:1], vcc, s[0:1]
	s_andn2_b64 s[26:27], s[26:27], exec
	s_and_b64 s[0:1], s[0:1], exec
	s_or_b64 s[26:27], s[26:27], s[0:1]
	s_or_b64 exec, exec, s[28:29]
	s_and_saveexec_b64 s[0:1], s[26:27]
	s_cbranch_execz .LBB239_61
.LBB239_63:                             ;   in Loop: Header=BB239_43 Depth=1
	s_waitcnt lgkmcnt(0)
	v_mov_b32_e32 v0, v33
	v_mov_b32_e32 v32, v1
	s_or_b64 exec, exec, s[0:1]
	s_and_saveexec_b64 s[26:27], s[6:7]
	s_cbranch_execz .LBB239_67
.LBB239_64:                             ;   in Loop: Header=BB239_43 Depth=1
	s_and_b64 vcc, exec, s[2:3]
	s_cbranch_vccnz .LBB239_66
; %bb.65:                               ;   in Loop: Header=BB239_43 Depth=1
	v_ashrrev_i32_e32 v1, 31, v0
	v_lshl_add_u64 v[34:35], v[0:1], 2, s[10:11]
	global_load_dword v1, v[34:35], off
	s_waitcnt vmcnt(0)
	v_sub_f32_e32 v32, v32, v1
.LBB239_66:                             ;   in Loop: Header=BB239_43 Depth=1
	v_add_u32_e32 v34, s31, v2
	v_cmp_le_i32_e32 vcc, s13, v0
	v_cmp_gt_i32_e64 s[0:1], s14, v0
	v_ashrrev_i32_e32 v35, 31, v34
	s_and_b64 s[0:1], vcc, s[0:1]
	v_lshlrev_b64 v[34:35], 2, v[34:35]
	v_lshl_add_u64 v[36:37], s[20:21], 0, v[34:35]
	v_subrev_u32_e32 v1, s13, v0
	s_and_b64 vcc, s[22:23], s[0:1]
	global_store_dword v[36:37], v32, off
	v_cndmask_b32_e32 v1, v30, v1, vcc
	v_lshl_add_u64 v[36:37], s[16:17], 0, v[34:35]
	global_store_dword v[36:37], v1, off
	v_add_f32_e32 v1, v12, v32
	v_lshl_add_u64 v[34:35], s[18:19], 0, v[34:35]
	v_cndmask_b32_e64 v12, v12, v1, s[4:5]
	global_store_dword v[34:35], v31, off
.LBB239_67:                             ;   in Loop: Header=BB239_43 Depth=1
	s_or_b64 exec, exec, s[26:27]
	v_ashrrev_i32_e32 v1, 31, v0
	v_lshrrev_b32_e32 v1, 27, v1
	v_add_u32_e32 v1, v0, v1
	s_add_i32 s31, s31, 1
	v_and_b32_e32 v32, 0xffffffe0, v1
	s_cmp_lt_i32 s31, s12
	v_sub_u32_e32 v0, v0, v32
	s_cselect_b64 s[0:1], -1, 0
	v_cmp_eq_u32_e32 vcc, v18, v0
	s_and_b64 s[26:27], s[0:1], vcc
	s_and_saveexec_b64 s[0:1], s[26:27]
	s_cbranch_execz .LBB239_42
; %bb.68:                               ;   in Loop: Header=BB239_43 Depth=1
	v_ashrrev_i32_e32 v0, 5, v1
	v_lshl_add_u32 v0, v0, 2, v28
	scratch_store_dword v0, v29, off
	s_branch .LBB239_42
.LBB239_69:
	v_mov_b32_e32 v12, 0
.LBB239_70:
	v_cmp_eq_u32_e32 vcc, 0, v18
	s_and_b64 exec, exec, vcc
	s_cbranch_execz .LBB239_83
; %bb.71:
	s_andn2_b64 vcc, exec, s[4:5]
	v_cvt_f32_f64_e32 v0, s[8:9]
	s_cbranch_vccnz .LBB239_73
; %bb.72:
	v_cmp_lt_f32_e32 vcc, 0, v12
	s_nop 1
	v_cndmask_b32_e32 v1, 1.0, v12, vcc
	v_div_scale_f32 v2, s[0:1], v1, v1, v0
	v_rcp_f32_e32 v3, v2
	s_nop 0
	v_fma_f32 v4, -v2, v3, 1.0
	v_fmac_f32_e32 v3, v4, v3
	v_div_scale_f32 v4, vcc, v0, v1, v0
	v_mul_f32_e32 v5, v4, v3
	v_fma_f32 v6, -v2, v5, v4
	v_fmac_f32_e32 v5, v6, v3
	v_fma_f32 v2, -v2, v5, v4
	v_div_fmas_f32 v2, v2, v3, v5
	v_div_fixup_f32 v0, v2, v1, v0
.LBB239_73:
	s_andn2_b64 vcc, exec, s[24:25]
	s_cbranch_vccnz .LBB239_83
; %bb.74:
	v_mul_lo_u32 v2, v16, s12
	s_cmp_gt_u32 s12, 3
	v_ashrrev_i32_e32 v3, 31, v2
	s_cbranch_scc0 .LBB239_78
; %bb.75:
	s_and_b32 s0, s12, 0x7ffffffc
	v_lshl_add_u64 v[4:5], v[2:3], 2, s[20:21]
	v_mov_b32_e32 v1, v0
	v_lshl_add_u64 v[4:5], v[4:5], 0, 8
	s_mov_b32 s1, s0
.LBB239_76:                             ; =>This Inner Loop Header: Depth=1
	global_load_dwordx4 v[6:9], v[4:5], off offset:-8
	s_add_i32 s1, s1, -4
	s_cmp_lg_u32 s1, 0
	s_waitcnt vmcnt(0)
	v_pk_mul_f32 v[6:7], v[0:1], v[6:7]
	v_pk_mul_f32 v[8:9], v[0:1], v[8:9]
	global_store_dwordx4 v[4:5], v[6:9], off offset:-8
	v_lshl_add_u64 v[4:5], v[4:5], 0, 16
	s_cbranch_scc1 .LBB239_76
; %bb.77:
	s_cmp_lg_u32 s0, s12
	s_cselect_b64 s[2:3], -1, 0
	s_branch .LBB239_80
.LBB239_78:
	s_mov_b64 s[2:3], 0
                                        ; implicit-def: $sgpr0
	s_cbranch_execz .LBB239_80
; %bb.79:
	s_mov_b64 s[2:3], -1
	s_mov_b32 s0, 0
.LBB239_80:
	s_andn2_b64 vcc, exec, s[2:3]
	s_cbranch_vccnz .LBB239_83
; %bb.81:
	s_mov_b32 s1, 0
	v_lshl_add_u64 v[2:3], v[2:3], 0, s[0:1]
	s_sub_i32 s2, s12, s0
	v_lshl_add_u64 v[2:3], v[2:3], 2, s[20:21]
.LBB239_82:                             ; =>This Inner Loop Header: Depth=1
	global_load_dword v1, v[2:3], off
	s_add_i32 s2, s2, -1
	s_cmp_lg_u32 s2, 0
	s_waitcnt vmcnt(0)
	v_mul_f32_e32 v1, v0, v1
	global_store_dword v[2:3], v1, off
	v_lshl_add_u64 v[2:3], v[2:3], 0, 4
	s_cbranch_scc1 .LBB239_82
.LBB239_83:
	s_endpgm
	.section	.rodata,"a",@progbits
	.p2align	6, 0x0
	.amdhsa_kernel _ZN4vllm3moe22topkGatingSoftplusSqrtILi18ELi576ELi4ELi2ELi32ELb0Ei6__halfEEvPKT6_PKbPfiPT5_PiiiibdPKfPKS9_SF_
		.amdhsa_group_segment_fixed_size 0
		.amdhsa_private_segment_fixed_size 80
		.amdhsa_kernarg_size 96
		.amdhsa_user_sgpr_count 2
		.amdhsa_user_sgpr_dispatch_ptr 0
		.amdhsa_user_sgpr_queue_ptr 0
		.amdhsa_user_sgpr_kernarg_segment_ptr 1
		.amdhsa_user_sgpr_dispatch_id 0
		.amdhsa_user_sgpr_kernarg_preload_length 0
		.amdhsa_user_sgpr_kernarg_preload_offset 0
		.amdhsa_user_sgpr_private_segment_size 0
		.amdhsa_uses_dynamic_stack 0
		.amdhsa_enable_private_segment 1
		.amdhsa_system_sgpr_workgroup_id_x 1
		.amdhsa_system_sgpr_workgroup_id_y 0
		.amdhsa_system_sgpr_workgroup_id_z 0
		.amdhsa_system_sgpr_workgroup_info 0
		.amdhsa_system_vgpr_workitem_id 1
		.amdhsa_next_free_vgpr 49
		.amdhsa_next_free_sgpr 32
		.amdhsa_accum_offset 52
		.amdhsa_reserve_vcc 1
		.amdhsa_float_round_mode_32 0
		.amdhsa_float_round_mode_16_64 0
		.amdhsa_float_denorm_mode_32 3
		.amdhsa_float_denorm_mode_16_64 3
		.amdhsa_dx10_clamp 1
		.amdhsa_ieee_mode 1
		.amdhsa_fp16_overflow 0
		.amdhsa_tg_split 0
		.amdhsa_exception_fp_ieee_invalid_op 0
		.amdhsa_exception_fp_denorm_src 0
		.amdhsa_exception_fp_ieee_div_zero 0
		.amdhsa_exception_fp_ieee_overflow 0
		.amdhsa_exception_fp_ieee_underflow 0
		.amdhsa_exception_fp_ieee_inexact 0
		.amdhsa_exception_int_div_zero 0
	.end_amdhsa_kernel
	.section	.text._ZN4vllm3moe22topkGatingSoftplusSqrtILi18ELi576ELi4ELi2ELi32ELb0Ei6__halfEEvPKT6_PKbPfiPT5_PiiiibdPKfPKS9_SF_,"axG",@progbits,_ZN4vllm3moe22topkGatingSoftplusSqrtILi18ELi576ELi4ELi2ELi32ELb0Ei6__halfEEvPKT6_PKbPfiPT5_PiiiibdPKfPKS9_SF_,comdat
.Lfunc_end239:
	.size	_ZN4vllm3moe22topkGatingSoftplusSqrtILi18ELi576ELi4ELi2ELi32ELb0Ei6__halfEEvPKT6_PKbPfiPT5_PiiiibdPKfPKS9_SF_, .Lfunc_end239-_ZN4vllm3moe22topkGatingSoftplusSqrtILi18ELi576ELi4ELi2ELi32ELb0Ei6__halfEEvPKT6_PKbPfiPT5_PiiiibdPKfPKS9_SF_
                                        ; -- End function
	.section	.AMDGPU.csdata,"",@progbits
; Kernel info:
; codeLenInByte = 7360
; NumSgprs: 38
; NumVgprs: 49
; NumAgprs: 0
; TotalNumVgprs: 49
; ScratchSize: 80
; MemoryBound: 0
; FloatMode: 240
; IeeeMode: 1
; LDSByteSize: 0 bytes/workgroup (compile time only)
; SGPRBlocks: 4
; VGPRBlocks: 6
; NumSGPRsForWavesPerEU: 38
; NumVGPRsForWavesPerEU: 49
; AccumOffset: 52
; Occupancy: 8
; WaveLimiterHint : 0
; COMPUTE_PGM_RSRC2:SCRATCH_EN: 1
; COMPUTE_PGM_RSRC2:USER_SGPR: 2
; COMPUTE_PGM_RSRC2:TRAP_HANDLER: 0
; COMPUTE_PGM_RSRC2:TGID_X_EN: 1
; COMPUTE_PGM_RSRC2:TGID_Y_EN: 0
; COMPUTE_PGM_RSRC2:TGID_Z_EN: 0
; COMPUTE_PGM_RSRC2:TIDIG_COMP_CNT: 1
; COMPUTE_PGM_RSRC3_GFX90A:ACCUM_OFFSET: 12
; COMPUTE_PGM_RSRC3_GFX90A:TG_SPLIT: 0
	.section	.text._ZN4vllm3moe22topkGatingSoftplusSqrtILi1ELi1ELi4ELi2ELi64ELb1Ej6__halfEEvPKT6_PKbPfiPT5_PiiiibdPKfPKS9_SF_,"axG",@progbits,_ZN4vllm3moe22topkGatingSoftplusSqrtILi1ELi1ELi4ELi2ELi64ELb1Ej6__halfEEvPKT6_PKbPfiPT5_PiiiibdPKfPKS9_SF_,comdat
	.protected	_ZN4vllm3moe22topkGatingSoftplusSqrtILi1ELi1ELi4ELi2ELi64ELb1Ej6__halfEEvPKT6_PKbPfiPT5_PiiiibdPKfPKS9_SF_ ; -- Begin function _ZN4vllm3moe22topkGatingSoftplusSqrtILi1ELi1ELi4ELi2ELi64ELb1Ej6__halfEEvPKT6_PKbPfiPT5_PiiiibdPKfPKS9_SF_
	.globl	_ZN4vllm3moe22topkGatingSoftplusSqrtILi1ELi1ELi4ELi2ELi64ELb1Ej6__halfEEvPKT6_PKbPfiPT5_PiiiibdPKfPKS9_SF_
	.p2align	8
	.type	_ZN4vllm3moe22topkGatingSoftplusSqrtILi1ELi1ELi4ELi2ELi64ELb1Ej6__halfEEvPKT6_PKbPfiPT5_PiiiibdPKfPKS9_SF_,@function
_ZN4vllm3moe22topkGatingSoftplusSqrtILi1ELi1ELi4ELi2ELi64ELb1Ej6__halfEEvPKT6_PKbPfiPT5_PiiiibdPKfPKS9_SF_: ; @_ZN4vllm3moe22topkGatingSoftplusSqrtILi1ELi1ELi4ELi2ELi64ELb1Ej6__halfEEvPKT6_PKbPfiPT5_PiiiibdPKfPKS9_SF_
; %bb.0:
	s_load_dword s3, s[0:1], 0x18
	v_bfe_u32 v1, v0, 10, 10
	s_lshl_b32 s2, s2, 8
	v_lshlrev_b32_e32 v1, 6, v1
	v_and_b32_e32 v0, 0x3ff, v0
	v_add3_u32 v2, v1, v0, s2
	s_waitcnt lgkmcnt(0)
	v_cmp_gt_i32_e32 vcc, s3, v2
	s_and_saveexec_b64 s[2:3], vcc
	s_cbranch_execz .LBB240_55
; %bb.1:
	s_load_dwordx2 s[2:3], s[0:1], 0x0
	s_load_dword s14, s[0:1], 0x30
	v_ashrrev_i32_e32 v3, 31, v2
	s_load_dwordx4 s[4:7], s[0:1], 0x50
	v_mov_b32_e32 v7, 0x41b17218
	s_waitcnt lgkmcnt(0)
	v_lshl_add_u64 v[0:1], v[2:3], 1, s[2:3]
	global_load_ushort v4, v[0:1], off
	s_mov_b32 s3, 0x800000
	v_mov_b32_e32 v0, s4
	v_mov_b32_e32 v1, s5
	v_lshl_add_u64 v[0:1], v[2:3], 2, v[0:1]
	global_load_dword v0, v[0:1], off
	v_mov_b32_e32 v3, 0x4f800000
	s_mov_b32 s9, 0x3f317217
	s_mov_b32 s10, 0x7f800000
	s_movk_i32 s2, 0x4d00
	s_mov_b32 s11, 0xf800000
	v_mov_b32_e32 v8, 0x260
	v_mov_b32_e32 v1, 0
	s_cmp_gt_i32 s14, 0
	s_mov_b32 s8, 0
	s_cselect_b64 s[4:5], -1, 0
	s_cmp_lt_i32 s14, 1
	v_mul_lo_u32 v2, v2, s14
	s_waitcnt vmcnt(1)
	v_cvt_f32_f16_e32 v5, v4
	v_mul_f32_e32 v6, 0x3fb8aa3b, v5
	v_exp_f32_e32 v6, v6
	s_waitcnt vmcnt(0)
	v_mul_lo_u32 v0, v0, s14
	v_add_f32_e32 v6, 1.0, v6
	v_cmp_gt_f32_e32 vcc, s3, v6
	s_nop 1
	v_cndmask_b32_e32 v3, 1.0, v3, vcc
	v_mul_f32_e32 v3, v6, v3
	v_log_f32_e32 v3, v3
	v_cndmask_b32_e32 v6, 0, v7, vcc
	v_mul_f32_e32 v7, 0x3f317217, v3
	v_fma_f32 v7, v3, s9, -v7
	v_fmamk_f32 v7, v3, 0x3377d1cf, v7
	v_fmac_f32_e32 v7, 0x3f317217, v3
	v_cmp_lt_f32_e64 vcc, |v3|, s10
	s_nop 1
	v_cndmask_b32_e32 v3, v3, v7, vcc
	v_sub_f32_e32 v3, v3, v6
	v_cmp_lt_f16_e32 vcc, s2, v4
	s_nop 1
	v_cndmask_b32_e32 v3, v3, v5, vcc
	v_mul_f32_e32 v4, 0x4f800000, v3
	v_cmp_gt_f32_e32 vcc, s11, v3
	s_nop 1
	v_cndmask_b32_e32 v3, v3, v4, vcc
	v_sqrt_f32_e32 v6, v3
	v_lshl_add_u64 v[4:5], v[0:1], 2, s[6:7]
	v_add_u32_e32 v7, -1, v6
	v_add_u32_e32 v9, 1, v6
	v_fma_f32 v10, -v7, v6, v3
	v_fma_f32 v11, -v9, v6, v3
	v_cmp_ge_f32_e64 s[2:3], 0, v10
	s_nop 1
	v_cndmask_b32_e64 v6, v6, v7, s[2:3]
	v_cmp_lt_f32_e64 s[2:3], 0, v11
	s_nop 1
	v_cndmask_b32_e64 v6, v6, v9, s[2:3]
	v_mul_f32_e32 v7, 0x37800000, v6
	v_cndmask_b32_e32 v6, v6, v7, vcc
	v_cmp_class_f32_e32 vcc, v3, v8
	s_nop 1
	v_cndmask_b32_e32 v10, v6, v3, vcc
	s_cbranch_scc1 .LBB240_21
; %bb.2:
	s_load_dwordx2 s[2:3], s[0:1], 0x20
	s_cmp_lt_u32 s14, 8
	s_cbranch_scc1 .LBB240_22
; %bb.3:
	v_ashrrev_i32_e32 v3, 31, v2
	s_and_b32 s8, s14, 0x7ffffff8
	s_waitcnt lgkmcnt(0)
	v_lshl_add_u64 v[6:7], v[2:3], 2, s[2:3]
	s_mov_b32 s9, 0
	s_mov_b64 s[10:11], 0
	v_mov_b32_e32 v11, 0
	v_mov_b32_e32 v3, 0
	s_branch .LBB240_5
.LBB240_4:                              ;   in Loop: Header=BB240_5 Depth=1
	s_or_b64 exec, exec, s[12:13]
	s_add_i32 s9, s9, 8
	s_add_u32 s10, s10, 32
	s_addc_u32 s11, s11, 0
	s_cmp_eq_u32 s8, s9
	s_cbranch_scc1 .LBB240_23
.LBB240_5:                              ; =>This Inner Loop Header: Depth=1
	v_lshl_add_u64 v[8:9], v[4:5], 0, s[10:11]
	global_load_dword v12, v[8:9], off
	s_waitcnt vmcnt(0)
	v_cmp_eq_u32_e32 vcc, 0, v12
	s_and_saveexec_b64 s[12:13], vcc
	s_cbranch_execz .LBB240_7
; %bb.6:                                ;   in Loop: Header=BB240_5 Depth=1
	v_add_u32_e32 v12, s9, v2
	v_ashrrev_i32_e32 v13, 31, v12
	v_lshl_add_u64 v[12:13], v[12:13], 2, s[2:3]
	v_add_f32_e32 v3, v10, v3
	global_store_dword v[12:13], v11, off
.LBB240_7:                              ;   in Loop: Header=BB240_5 Depth=1
	s_or_b64 exec, exec, s[12:13]
	global_load_dword v12, v[8:9], off offset:4
	s_waitcnt vmcnt(0)
	v_cmp_eq_u32_e32 vcc, 0, v12
	s_and_saveexec_b64 s[12:13], vcc
	s_cbranch_execz .LBB240_9
; %bb.8:                                ;   in Loop: Header=BB240_5 Depth=1
	v_lshl_add_u64 v[12:13], v[6:7], 0, s[10:11]
	v_add_f32_e32 v3, v10, v3
	global_store_dword v[12:13], v11, off offset:4
.LBB240_9:                              ;   in Loop: Header=BB240_5 Depth=1
	s_or_b64 exec, exec, s[12:13]
	global_load_dword v12, v[8:9], off offset:8
	s_waitcnt vmcnt(0)
	v_cmp_eq_u32_e32 vcc, 0, v12
	s_and_saveexec_b64 s[12:13], vcc
	s_cbranch_execz .LBB240_11
; %bb.10:                               ;   in Loop: Header=BB240_5 Depth=1
	v_lshl_add_u64 v[12:13], v[6:7], 0, s[10:11]
	v_add_f32_e32 v3, v10, v3
	global_store_dword v[12:13], v11, off offset:8
.LBB240_11:                             ;   in Loop: Header=BB240_5 Depth=1
	s_or_b64 exec, exec, s[12:13]
	global_load_dword v12, v[8:9], off offset:12
	s_waitcnt vmcnt(0)
	v_cmp_eq_u32_e32 vcc, 0, v12
	s_and_saveexec_b64 s[12:13], vcc
	s_cbranch_execz .LBB240_13
; %bb.12:                               ;   in Loop: Header=BB240_5 Depth=1
	v_lshl_add_u64 v[12:13], v[6:7], 0, s[10:11]
	v_add_f32_e32 v3, v10, v3
	global_store_dword v[12:13], v11, off offset:12
.LBB240_13:                             ;   in Loop: Header=BB240_5 Depth=1
	;; [unrolled: 11-line block ×5, first 2 shown]
	s_or_b64 exec, exec, s[12:13]
	global_load_dword v8, v[8:9], off offset:28
	s_waitcnt vmcnt(0)
	v_cmp_eq_u32_e32 vcc, 0, v8
	s_and_saveexec_b64 s[12:13], vcc
	s_cbranch_execz .LBB240_4
; %bb.20:                               ;   in Loop: Header=BB240_5 Depth=1
	v_lshl_add_u64 v[8:9], v[6:7], 0, s[10:11]
	v_add_f32_e32 v3, v10, v3
	global_store_dword v[8:9], v11, off offset:28
	s_branch .LBB240_4
.LBB240_21:
	v_mov_b32_e32 v3, v1
	s_branch .LBB240_28
.LBB240_22:
	v_mov_b32_e32 v3, v1
.LBB240_23:
	s_and_b32 s10, s14, 7
	s_cmp_eq_u32 s10, 0
	s_mov_b32 s9, 0
	s_cbranch_scc1 .LBB240_28
; %bb.24:
	v_add_u32_e32 v6, s8, v2
	s_lshl_b64 s[8:9], s[8:9], 2
	s_add_u32 s8, s6, s8
	s_addc_u32 s9, s7, s9
	v_lshl_add_u64 v[8:9], v[0:1], 2, s[8:9]
	v_mov_b32_e32 v11, 0
	s_branch .LBB240_26
.LBB240_25:                             ;   in Loop: Header=BB240_26 Depth=1
	s_or_b64 exec, exec, s[8:9]
	s_add_i32 s10, s10, -1
	v_add_u32_e32 v6, 1, v6
	s_cmp_lg_u32 s10, 0
	v_lshl_add_u64 v[8:9], v[8:9], 0, 4
	s_cbranch_scc0 .LBB240_28
.LBB240_26:                             ; =>This Inner Loop Header: Depth=1
	global_load_dword v7, v[8:9], off
	s_waitcnt vmcnt(0)
	v_cmp_eq_u32_e32 vcc, 0, v7
	s_and_saveexec_b64 s[8:9], vcc
	s_cbranch_execz .LBB240_25
; %bb.27:                               ;   in Loop: Header=BB240_26 Depth=1
	v_ashrrev_i32_e32 v7, 31, v6
	s_waitcnt lgkmcnt(0)
	v_lshl_add_u64 v[12:13], v[6:7], 2, s[2:3]
	v_add_f32_e32 v3, v10, v3
	global_store_dword v[12:13], v11, off
	s_branch .LBB240_25
.LBB240_28:
	s_load_dword s8, s[0:1], 0x3c
	s_waitcnt lgkmcnt(0)
	s_load_dwordx2 s[2:3], s[0:1], 0x40
	s_bitcmp1_b32 s8, 0
	s_cselect_b64 s[8:9], -1, 0
	s_waitcnt lgkmcnt(0)
	v_cvt_f32_f64_e32 v6, s[2:3]
	s_and_b64 vcc, exec, s[8:9]
	s_cbranch_vccz .LBB240_30
; %bb.29:
	v_cmp_lt_f32_e32 vcc, 0, v3
	s_nop 1
	v_cndmask_b32_e32 v3, 1.0, v3, vcc
	v_div_scale_f32 v7, s[2:3], v3, v3, v6
	v_rcp_f32_e32 v8, v7
	s_nop 0
	v_fma_f32 v9, -v7, v8, 1.0
	v_fmac_f32_e32 v8, v9, v8
	v_div_scale_f32 v9, vcc, v6, v3, v6
	v_mul_f32_e32 v11, v9, v8
	v_fma_f32 v12, -v7, v11, v9
	v_fmac_f32_e32 v11, v12, v8
	v_fma_f32 v7, -v7, v11, v9
	v_div_fmas_f32 v7, v7, v8, v11
	v_div_fixup_f32 v6, v7, v3, v6
.LBB240_30:
	s_andn2_b64 vcc, exec, s[4:5]
	s_cbranch_vccnz .LBB240_55
; %bb.31:
	s_load_dwordx2 s[0:1], s[0:1], 0x10
	v_mul_f32_e32 v10, v10, v6
	s_cmp_lt_u32 s14, 8
	s_mov_b32 s2, 0
	s_cbranch_scc1 .LBB240_50
; %bb.32:
	v_ashrrev_i32_e32 v3, 31, v2
	s_and_b32 s2, s14, 0x7ffffff8
	s_waitcnt lgkmcnt(0)
	v_lshl_add_u64 v[6:7], v[2:3], 2, s[0:1]
	s_mov_b32 s3, 0
	s_mov_b64 s[4:5], 0
	s_branch .LBB240_34
.LBB240_33:                             ;   in Loop: Header=BB240_34 Depth=1
	s_or_b64 exec, exec, s[8:9]
	s_add_i32 s3, s3, 8
	s_add_u32 s4, s4, 32
	s_addc_u32 s5, s5, 0
	s_cmp_lg_u32 s2, s3
	s_cbranch_scc0 .LBB240_50
.LBB240_34:                             ; =>This Inner Loop Header: Depth=1
	v_lshl_add_u64 v[8:9], v[4:5], 0, s[4:5]
	global_load_dword v3, v[8:9], off
	s_waitcnt vmcnt(0)
	v_cmp_eq_u32_e32 vcc, 0, v3
	s_and_saveexec_b64 s[8:9], vcc
	s_cbranch_execz .LBB240_36
; %bb.35:                               ;   in Loop: Header=BB240_34 Depth=1
	v_add_u32_e32 v12, s3, v2
	v_ashrrev_i32_e32 v13, 31, v12
	v_lshl_add_u64 v[12:13], v[12:13], 2, s[0:1]
	global_store_dword v[12:13], v10, off
.LBB240_36:                             ;   in Loop: Header=BB240_34 Depth=1
	s_or_b64 exec, exec, s[8:9]
	global_load_dword v3, v[8:9], off offset:4
	s_waitcnt vmcnt(0)
	v_cmp_eq_u32_e32 vcc, 0, v3
	s_and_saveexec_b64 s[8:9], vcc
	s_cbranch_execz .LBB240_38
; %bb.37:                               ;   in Loop: Header=BB240_34 Depth=1
	v_lshl_add_u64 v[12:13], v[6:7], 0, s[4:5]
	global_store_dword v[12:13], v10, off offset:4
.LBB240_38:                             ;   in Loop: Header=BB240_34 Depth=1
	s_or_b64 exec, exec, s[8:9]
	global_load_dword v3, v[8:9], off offset:8
	s_waitcnt vmcnt(0)
	v_cmp_eq_u32_e32 vcc, 0, v3
	s_and_saveexec_b64 s[8:9], vcc
	s_cbranch_execz .LBB240_40
; %bb.39:                               ;   in Loop: Header=BB240_34 Depth=1
	v_lshl_add_u64 v[12:13], v[6:7], 0, s[4:5]
	global_store_dword v[12:13], v10, off offset:8
.LBB240_40:                             ;   in Loop: Header=BB240_34 Depth=1
	;; [unrolled: 10-line block ×6, first 2 shown]
	s_or_b64 exec, exec, s[8:9]
	global_load_dword v3, v[8:9], off offset:28
	s_waitcnt vmcnt(0)
	v_cmp_eq_u32_e32 vcc, 0, v3
	s_and_saveexec_b64 s[8:9], vcc
	s_cbranch_execz .LBB240_33
; %bb.49:                               ;   in Loop: Header=BB240_34 Depth=1
	v_lshl_add_u64 v[8:9], v[6:7], 0, s[4:5]
	global_store_dword v[8:9], v10, off offset:28
	s_branch .LBB240_33
.LBB240_50:
	s_and_b32 s4, s14, 7
	s_cmp_eq_u32 s4, 0
	s_mov_b32 s3, 0
	s_cbranch_scc1 .LBB240_55
; %bb.51:
	v_add_u32_e32 v2, s2, v2
	s_lshl_b64 s[2:3], s[2:3], 2
	s_add_u32 s2, s6, s2
	s_addc_u32 s3, s7, s3
	v_lshl_add_u64 v[0:1], v[0:1], 2, s[2:3]
	s_branch .LBB240_53
.LBB240_52:                             ;   in Loop: Header=BB240_53 Depth=1
	s_or_b64 exec, exec, s[2:3]
	s_add_i32 s4, s4, -1
	v_add_u32_e32 v2, 1, v2
	s_cmp_lg_u32 s4, 0
	v_lshl_add_u64 v[0:1], v[0:1], 0, 4
	s_cbranch_scc0 .LBB240_55
.LBB240_53:                             ; =>This Inner Loop Header: Depth=1
	global_load_dword v3, v[0:1], off
	s_waitcnt vmcnt(0)
	v_cmp_eq_u32_e32 vcc, 0, v3
	s_and_saveexec_b64 s[2:3], vcc
	s_cbranch_execz .LBB240_52
; %bb.54:                               ;   in Loop: Header=BB240_53 Depth=1
	v_ashrrev_i32_e32 v3, 31, v2
	s_waitcnt lgkmcnt(0)
	v_lshl_add_u64 v[4:5], v[2:3], 2, s[0:1]
	global_store_dword v[4:5], v10, off
	s_branch .LBB240_52
.LBB240_55:
	s_endpgm
	.section	.rodata,"a",@progbits
	.p2align	6, 0x0
	.amdhsa_kernel _ZN4vllm3moe22topkGatingSoftplusSqrtILi1ELi1ELi4ELi2ELi64ELb1Ej6__halfEEvPKT6_PKbPfiPT5_PiiiibdPKfPKS9_SF_
		.amdhsa_group_segment_fixed_size 0
		.amdhsa_private_segment_fixed_size 0
		.amdhsa_kernarg_size 96
		.amdhsa_user_sgpr_count 2
		.amdhsa_user_sgpr_dispatch_ptr 0
		.amdhsa_user_sgpr_queue_ptr 0
		.amdhsa_user_sgpr_kernarg_segment_ptr 1
		.amdhsa_user_sgpr_dispatch_id 0
		.amdhsa_user_sgpr_kernarg_preload_length 0
		.amdhsa_user_sgpr_kernarg_preload_offset 0
		.amdhsa_user_sgpr_private_segment_size 0
		.amdhsa_uses_dynamic_stack 0
		.amdhsa_enable_private_segment 0
		.amdhsa_system_sgpr_workgroup_id_x 1
		.amdhsa_system_sgpr_workgroup_id_y 0
		.amdhsa_system_sgpr_workgroup_id_z 0
		.amdhsa_system_sgpr_workgroup_info 0
		.amdhsa_system_vgpr_workitem_id 1
		.amdhsa_next_free_vgpr 14
		.amdhsa_next_free_sgpr 15
		.amdhsa_accum_offset 16
		.amdhsa_reserve_vcc 1
		.amdhsa_float_round_mode_32 0
		.amdhsa_float_round_mode_16_64 0
		.amdhsa_float_denorm_mode_32 3
		.amdhsa_float_denorm_mode_16_64 3
		.amdhsa_dx10_clamp 1
		.amdhsa_ieee_mode 1
		.amdhsa_fp16_overflow 0
		.amdhsa_tg_split 0
		.amdhsa_exception_fp_ieee_invalid_op 0
		.amdhsa_exception_fp_denorm_src 0
		.amdhsa_exception_fp_ieee_div_zero 0
		.amdhsa_exception_fp_ieee_overflow 0
		.amdhsa_exception_fp_ieee_underflow 0
		.amdhsa_exception_fp_ieee_inexact 0
		.amdhsa_exception_int_div_zero 0
	.end_amdhsa_kernel
	.section	.text._ZN4vllm3moe22topkGatingSoftplusSqrtILi1ELi1ELi4ELi2ELi64ELb1Ej6__halfEEvPKT6_PKbPfiPT5_PiiiibdPKfPKS9_SF_,"axG",@progbits,_ZN4vllm3moe22topkGatingSoftplusSqrtILi1ELi1ELi4ELi2ELi64ELb1Ej6__halfEEvPKT6_PKbPfiPT5_PiiiibdPKfPKS9_SF_,comdat
.Lfunc_end240:
	.size	_ZN4vllm3moe22topkGatingSoftplusSqrtILi1ELi1ELi4ELi2ELi64ELb1Ej6__halfEEvPKT6_PKbPfiPT5_PiiiibdPKfPKS9_SF_, .Lfunc_end240-_ZN4vllm3moe22topkGatingSoftplusSqrtILi1ELi1ELi4ELi2ELi64ELb1Ej6__halfEEvPKT6_PKbPfiPT5_PiiiibdPKfPKS9_SF_
                                        ; -- End function
	.section	.AMDGPU.csdata,"",@progbits
; Kernel info:
; codeLenInByte = 1812
; NumSgprs: 21
; NumVgprs: 14
; NumAgprs: 0
; TotalNumVgprs: 14
; ScratchSize: 0
; MemoryBound: 0
; FloatMode: 240
; IeeeMode: 1
; LDSByteSize: 0 bytes/workgroup (compile time only)
; SGPRBlocks: 2
; VGPRBlocks: 1
; NumSGPRsForWavesPerEU: 21
; NumVGPRsForWavesPerEU: 14
; AccumOffset: 16
; Occupancy: 8
; WaveLimiterHint : 1
; COMPUTE_PGM_RSRC2:SCRATCH_EN: 0
; COMPUTE_PGM_RSRC2:USER_SGPR: 2
; COMPUTE_PGM_RSRC2:TRAP_HANDLER: 0
; COMPUTE_PGM_RSRC2:TGID_X_EN: 1
; COMPUTE_PGM_RSRC2:TGID_Y_EN: 0
; COMPUTE_PGM_RSRC2:TGID_Z_EN: 0
; COMPUTE_PGM_RSRC2:TIDIG_COMP_CNT: 1
; COMPUTE_PGM_RSRC3_GFX90A:ACCUM_OFFSET: 3
; COMPUTE_PGM_RSRC3_GFX90A:TG_SPLIT: 0
	.section	.text._ZN4vllm3moe22topkGatingSoftplusSqrtILi1ELi1ELi4ELi2ELi64ELb0Ej6__halfEEvPKT6_PKbPfiPT5_PiiiibdPKfPKS9_SF_,"axG",@progbits,_ZN4vllm3moe22topkGatingSoftplusSqrtILi1ELi1ELi4ELi2ELi64ELb0Ej6__halfEEvPKT6_PKbPfiPT5_PiiiibdPKfPKS9_SF_,comdat
	.protected	_ZN4vllm3moe22topkGatingSoftplusSqrtILi1ELi1ELi4ELi2ELi64ELb0Ej6__halfEEvPKT6_PKbPfiPT5_PiiiibdPKfPKS9_SF_ ; -- Begin function _ZN4vllm3moe22topkGatingSoftplusSqrtILi1ELi1ELi4ELi2ELi64ELb0Ej6__halfEEvPKT6_PKbPfiPT5_PiiiibdPKfPKS9_SF_
	.globl	_ZN4vllm3moe22topkGatingSoftplusSqrtILi1ELi1ELi4ELi2ELi64ELb0Ej6__halfEEvPKT6_PKbPfiPT5_PiiiibdPKfPKS9_SF_
	.p2align	8
	.type	_ZN4vllm3moe22topkGatingSoftplusSqrtILi1ELi1ELi4ELi2ELi64ELb0Ej6__halfEEvPKT6_PKbPfiPT5_PiiiibdPKfPKS9_SF_,@function
_ZN4vllm3moe22topkGatingSoftplusSqrtILi1ELi1ELi4ELi2ELi64ELb0Ej6__halfEEvPKT6_PKbPfiPT5_PiiiibdPKfPKS9_SF_: ; @_ZN4vllm3moe22topkGatingSoftplusSqrtILi1ELi1ELi4ELi2ELi64ELb0Ej6__halfEEvPKT6_PKbPfiPT5_PiiiibdPKfPKS9_SF_
; %bb.0:
	s_load_dword s24, s[0:1], 0x18
	v_bfe_u32 v1, v0, 10, 10
	s_lshl_b32 s2, s2, 8
	v_lshlrev_b32_e32 v1, 6, v1
	v_and_b32_e32 v0, 0x3ff, v0
	v_add3_u32 v2, v1, v0, s2
	s_waitcnt lgkmcnt(0)
	v_cmp_gt_i32_e32 vcc, s24, v2
	s_and_saveexec_b64 s[2:3], vcc
	s_cbranch_execz .LBB241_24
; %bb.1:
	s_load_dwordx4 s[4:7], s[0:1], 0x0
	s_load_dwordx2 s[16:17], s[0:1], 0x10
	v_ashrrev_i32_e32 v3, 31, v2
	s_waitcnt lgkmcnt(0)
	s_cmp_eq_u64 s[6:7], 0
	s_cbranch_scc1 .LBB241_3
; %bb.2:
	v_lshl_add_u64 v[0:1], s[6:7], 0, v[2:3]
	global_load_ubyte v0, v[0:1], off
	s_waitcnt vmcnt(0)
	v_and_b32_e32 v0, 1, v0
	v_cmp_eq_u32_e32 vcc, 1, v0
	s_xor_b64 s[2:3], vcc, -1
	s_orn2_b64 s[18:19], s[2:3], exec
	s_branch .LBB241_4
.LBB241_3:
	s_mov_b64 s[18:19], -1
.LBB241_4:
	v_mov_b32_e32 v0, s4
	v_mov_b32_e32 v1, s5
	v_lshl_add_u64 v[0:1], v[2:3], 1, v[0:1]
	global_load_ushort v0, v[0:1], off
	s_mov_b32 s3, 0x800000
	v_mov_b32_e32 v3, 0x4f800000
	s_mov_b32 s4, 0x3f317217
	s_mov_b32 s5, 0x7f800000
	v_mov_b32_e32 v5, 0x41b17218
	s_movk_i32 s2, 0x4d00
	s_load_dwordx4 s[8:11], s[0:1], 0x40
	s_waitcnt lgkmcnt(0)
	s_cmp_lg_u64 s[10:11], 0
	s_cselect_b64 s[22:23], -1, 0
	s_cmp_eq_u64 s[10:11], 0
	s_waitcnt vmcnt(0)
	v_cvt_f32_f16_e32 v1, v0
	v_mul_f32_e32 v4, 0x3fb8aa3b, v1
	v_exp_f32_e32 v4, v4
	s_nop 0
	v_add_f32_e32 v4, 1.0, v4
	v_cmp_gt_f32_e32 vcc, s3, v4
	s_mov_b32 s3, 0xf800000
	s_nop 0
	v_cndmask_b32_e32 v3, 1.0, v3, vcc
	v_mul_f32_e32 v3, v4, v3
	v_log_f32_e32 v3, v3
	v_cndmask_b32_e32 v5, 0, v5, vcc
	v_mov_b32_e32 v4, 0x260
	v_mul_f32_e32 v6, 0x3f317217, v3
	v_fma_f32 v6, v3, s4, -v6
	v_fmamk_f32 v6, v3, 0x3377d1cf, v6
	v_fmac_f32_e32 v6, 0x3f317217, v3
	v_cmp_lt_f32_e64 vcc, |v3|, s5
	s_nop 1
	v_cndmask_b32_e32 v3, v3, v6, vcc
	v_sub_f32_e32 v3, v3, v5
	v_cmp_lt_f16_e32 vcc, s2, v0
	s_nop 1
	v_cndmask_b32_e32 v0, v3, v1, vcc
	v_mul_f32_e32 v1, 0x4f800000, v0
	v_cmp_gt_f32_e32 vcc, s3, v0
	s_nop 1
	v_cndmask_b32_e32 v0, v0, v1, vcc
	v_sqrt_f32_e32 v1, v0
	s_nop 0
	v_add_u32_e32 v3, -1, v1
	v_add_u32_e32 v5, 1, v1
	v_fma_f32 v6, -v3, v1, v0
	v_fma_f32 v7, -v5, v1, v0
	v_cmp_ge_f32_e64 s[2:3], 0, v6
	s_nop 1
	v_cndmask_b32_e64 v1, v1, v3, s[2:3]
	v_cmp_lt_f32_e64 s[2:3], 0, v7
	s_nop 1
	v_cndmask_b32_e64 v1, v1, v5, s[2:3]
	v_mul_f32_e32 v3, 0x37800000, v1
	v_cndmask_b32_e32 v1, v1, v3, vcc
	v_cmp_class_f32_e32 vcc, v0, v4
	s_nop 1
	v_cndmask_b32_e32 v1, v1, v0, vcc
	s_cbranch_scc1 .LBB241_6
; %bb.5:
	s_load_dword s2, s[10:11], 0x0
	s_waitcnt lgkmcnt(0)
	v_add_f32_e32 v1, s2, v1
.LBB241_6:
	s_load_dwordx4 s[4:7], s[0:1], 0x30
	s_waitcnt lgkmcnt(0)
	s_bitcmp1_b32 s7, 0
	s_cselect_b64 s[2:3], -1, 0
	s_cmp_gt_i32 s4, 0
	s_cselect_b64 s[20:21], -1, 0
	s_cmp_lt_i32 s4, 1
	v_mul_lo_u32 v0, v2, s4
	s_cbranch_scc1 .LBB241_11
; %bb.7:
	s_cmp_lt_i32 s5, 1
	s_load_dwordx4 s[12:15], s[0:1], 0x20
	s_cselect_b64 s[0:1], -1, 0
	s_cmp_gt_i32 s6, 0
	s_cselect_b64 s[26:27], -1, 0
	s_and_b64 s[0:1], s[0:1], s[26:27]
	s_sub_i32 s5, 0, s5
	v_mov_b32_e32 v3, s5
	s_and_b64 vcc, s[18:19], s[0:1]
	v_cndmask_b32_e32 v4, 1, v3, vcc
	v_cndmask_b32_e64 v3, 0, 1, s[22:23]
	s_mov_b32 s7, 0
	v_mov_b32_e32 v5, 0
	v_cmp_ne_u32_e64 s[0:1], 1, v3
	v_mov_b32_e32 v6, 0xc61c4000
	v_mov_b32_e32 v3, 0
	s_branch .LBB241_9
.LBB241_8:                              ;   in Loop: Header=BB241_9 Depth=1
	v_add_u32_e32 v8, s7, v0
	v_ashrrev_i32_e32 v9, 31, v8
	v_lshlrev_b64 v[8:9], 2, v[8:9]
	s_add_i32 s7, s7, 1
	v_lshl_add_u64 v[10:11], s[16:17], 0, v[8:9]
	s_cmp_ge_i32 s7, s4
	global_store_dword v[10:11], v7, off
	s_waitcnt lgkmcnt(0)
	v_lshl_add_u64 v[10:11], s[12:13], 0, v[8:9]
	v_lshl_add_u64 v[8:9], s[14:15], 0, v[8:9]
	v_add_f32_e32 v7, v3, v7
	s_cselect_b64 vcc, -1, 0
	global_store_dword v[10:11], v4, off
	global_store_dword v[8:9], v2, off
	v_cndmask_b32_e64 v3, v3, v7, s[2:3]
	v_cndmask_b32_e32 v1, v6, v1, vcc
	s_cmp_lg_u32 s4, s7
	v_add_u32_e32 v2, s24, v2
	s_cbranch_scc0 .LBB241_12
.LBB241_9:                              ; =>This Inner Loop Header: Depth=1
	s_and_b64 vcc, exec, s[0:1]
	v_mov_b32_e32 v7, v1
	s_cbranch_vccnz .LBB241_8
; %bb.10:                               ;   in Loop: Header=BB241_9 Depth=1
	global_load_dword v7, v5, s[10:11]
	s_waitcnt vmcnt(0)
	v_sub_f32_e32 v7, v1, v7
	s_branch .LBB241_8
.LBB241_11:
	v_mov_b32_e32 v3, 0
.LBB241_12:
	s_andn2_b64 vcc, exec, s[2:3]
	v_cvt_f32_f64_e32 v2, s[8:9]
	s_cbranch_vccnz .LBB241_14
; %bb.13:
	v_cmp_lt_f32_e32 vcc, 0, v3
	s_nop 1
	v_cndmask_b32_e32 v1, 1.0, v3, vcc
	v_div_scale_f32 v3, s[0:1], v1, v1, v2
	v_rcp_f32_e32 v4, v3
	s_nop 0
	v_fma_f32 v5, -v3, v4, 1.0
	v_fmac_f32_e32 v4, v5, v4
	v_div_scale_f32 v5, vcc, v2, v1, v2
	v_mul_f32_e32 v6, v5, v4
	v_fma_f32 v7, -v3, v6, v5
	v_fmac_f32_e32 v6, v7, v4
	v_fma_f32 v3, -v3, v6, v5
	v_div_fmas_f32 v3, v3, v4, v6
	v_div_fixup_f32 v2, v3, v1, v2
.LBB241_14:
	s_andn2_b64 vcc, exec, s[20:21]
	s_cbranch_vccnz .LBB241_24
; %bb.15:
	s_cmp_gt_u32 s4, 3
	v_ashrrev_i32_e32 v1, 31, v0
	s_cbranch_scc0 .LBB241_19
; %bb.16:
	s_and_b32 s0, s4, 0x7ffffffc
	v_lshl_add_u64 v[4:5], v[0:1], 2, s[16:17]
	v_mov_b32_e32 v3, v2
	v_lshl_add_u64 v[4:5], v[4:5], 0, 8
	s_mov_b32 s1, s0
.LBB241_17:                             ; =>This Inner Loop Header: Depth=1
	global_load_dwordx4 v[6:9], v[4:5], off offset:-8
	s_add_i32 s1, s1, -4
	s_cmp_lg_u32 s1, 0
	s_waitcnt vmcnt(0)
	v_pk_mul_f32 v[6:7], v[2:3], v[6:7]
	v_pk_mul_f32 v[8:9], v[2:3], v[8:9]
	global_store_dwordx4 v[4:5], v[6:9], off offset:-8
	v_lshl_add_u64 v[4:5], v[4:5], 0, 16
	s_cbranch_scc1 .LBB241_17
; %bb.18:
	s_cmp_lg_u32 s0, s4
	s_cselect_b64 s[2:3], -1, 0
	s_branch .LBB241_21
.LBB241_19:
	s_mov_b64 s[2:3], 0
                                        ; implicit-def: $sgpr0
	s_cbranch_execz .LBB241_21
; %bb.20:
	s_mov_b64 s[2:3], -1
	s_mov_b32 s0, 0
.LBB241_21:
	s_andn2_b64 vcc, exec, s[2:3]
	s_cbranch_vccnz .LBB241_24
; %bb.22:
	s_mov_b32 s1, 0
	v_lshl_add_u64 v[0:1], v[0:1], 0, s[0:1]
	s_sub_i32 s2, s4, s0
	v_lshl_add_u64 v[0:1], v[0:1], 2, s[16:17]
.LBB241_23:                             ; =>This Inner Loop Header: Depth=1
	global_load_dword v3, v[0:1], off
	s_add_i32 s2, s2, -1
	s_cmp_lg_u32 s2, 0
	s_waitcnt vmcnt(0)
	v_mul_f32_e32 v3, v2, v3
	global_store_dword v[0:1], v3, off
	v_lshl_add_u64 v[0:1], v[0:1], 0, 4
	s_cbranch_scc1 .LBB241_23
.LBB241_24:
	s_endpgm
	.section	.rodata,"a",@progbits
	.p2align	6, 0x0
	.amdhsa_kernel _ZN4vllm3moe22topkGatingSoftplusSqrtILi1ELi1ELi4ELi2ELi64ELb0Ej6__halfEEvPKT6_PKbPfiPT5_PiiiibdPKfPKS9_SF_
		.amdhsa_group_segment_fixed_size 0
		.amdhsa_private_segment_fixed_size 0
		.amdhsa_kernarg_size 96
		.amdhsa_user_sgpr_count 2
		.amdhsa_user_sgpr_dispatch_ptr 0
		.amdhsa_user_sgpr_queue_ptr 0
		.amdhsa_user_sgpr_kernarg_segment_ptr 1
		.amdhsa_user_sgpr_dispatch_id 0
		.amdhsa_user_sgpr_kernarg_preload_length 0
		.amdhsa_user_sgpr_kernarg_preload_offset 0
		.amdhsa_user_sgpr_private_segment_size 0
		.amdhsa_uses_dynamic_stack 0
		.amdhsa_enable_private_segment 0
		.amdhsa_system_sgpr_workgroup_id_x 1
		.amdhsa_system_sgpr_workgroup_id_y 0
		.amdhsa_system_sgpr_workgroup_id_z 0
		.amdhsa_system_sgpr_workgroup_info 0
		.amdhsa_system_vgpr_workitem_id 1
		.amdhsa_next_free_vgpr 12
		.amdhsa_next_free_sgpr 28
		.amdhsa_accum_offset 12
		.amdhsa_reserve_vcc 1
		.amdhsa_float_round_mode_32 0
		.amdhsa_float_round_mode_16_64 0
		.amdhsa_float_denorm_mode_32 3
		.amdhsa_float_denorm_mode_16_64 3
		.amdhsa_dx10_clamp 1
		.amdhsa_ieee_mode 1
		.amdhsa_fp16_overflow 0
		.amdhsa_tg_split 0
		.amdhsa_exception_fp_ieee_invalid_op 0
		.amdhsa_exception_fp_denorm_src 0
		.amdhsa_exception_fp_ieee_div_zero 0
		.amdhsa_exception_fp_ieee_overflow 0
		.amdhsa_exception_fp_ieee_underflow 0
		.amdhsa_exception_fp_ieee_inexact 0
		.amdhsa_exception_int_div_zero 0
	.end_amdhsa_kernel
	.section	.text._ZN4vllm3moe22topkGatingSoftplusSqrtILi1ELi1ELi4ELi2ELi64ELb0Ej6__halfEEvPKT6_PKbPfiPT5_PiiiibdPKfPKS9_SF_,"axG",@progbits,_ZN4vllm3moe22topkGatingSoftplusSqrtILi1ELi1ELi4ELi2ELi64ELb0Ej6__halfEEvPKT6_PKbPfiPT5_PiiiibdPKfPKS9_SF_,comdat
.Lfunc_end241:
	.size	_ZN4vllm3moe22topkGatingSoftplusSqrtILi1ELi1ELi4ELi2ELi64ELb0Ej6__halfEEvPKT6_PKbPfiPT5_PiiiibdPKfPKS9_SF_, .Lfunc_end241-_ZN4vllm3moe22topkGatingSoftplusSqrtILi1ELi1ELi4ELi2ELi64ELb0Ej6__halfEEvPKT6_PKbPfiPT5_PiiiibdPKfPKS9_SF_
                                        ; -- End function
	.section	.AMDGPU.csdata,"",@progbits
; Kernel info:
; codeLenInByte = 1080
; NumSgprs: 34
; NumVgprs: 12
; NumAgprs: 0
; TotalNumVgprs: 12
; ScratchSize: 0
; MemoryBound: 0
; FloatMode: 240
; IeeeMode: 1
; LDSByteSize: 0 bytes/workgroup (compile time only)
; SGPRBlocks: 4
; VGPRBlocks: 1
; NumSGPRsForWavesPerEU: 34
; NumVGPRsForWavesPerEU: 12
; AccumOffset: 12
; Occupancy: 8
; WaveLimiterHint : 0
; COMPUTE_PGM_RSRC2:SCRATCH_EN: 0
; COMPUTE_PGM_RSRC2:USER_SGPR: 2
; COMPUTE_PGM_RSRC2:TRAP_HANDLER: 0
; COMPUTE_PGM_RSRC2:TGID_X_EN: 1
; COMPUTE_PGM_RSRC2:TGID_Y_EN: 0
; COMPUTE_PGM_RSRC2:TGID_Z_EN: 0
; COMPUTE_PGM_RSRC2:TIDIG_COMP_CNT: 1
; COMPUTE_PGM_RSRC3_GFX90A:ACCUM_OFFSET: 2
; COMPUTE_PGM_RSRC3_GFX90A:TG_SPLIT: 0
	.section	.text._ZN4vllm3moe22topkGatingSoftplusSqrtILi1ELi1ELi4ELi2ELi32ELb1Ej6__halfEEvPKT6_PKbPfiPT5_PiiiibdPKfPKS9_SF_,"axG",@progbits,_ZN4vllm3moe22topkGatingSoftplusSqrtILi1ELi1ELi4ELi2ELi32ELb1Ej6__halfEEvPKT6_PKbPfiPT5_PiiiibdPKfPKS9_SF_,comdat
	.protected	_ZN4vllm3moe22topkGatingSoftplusSqrtILi1ELi1ELi4ELi2ELi32ELb1Ej6__halfEEvPKT6_PKbPfiPT5_PiiiibdPKfPKS9_SF_ ; -- Begin function _ZN4vllm3moe22topkGatingSoftplusSqrtILi1ELi1ELi4ELi2ELi32ELb1Ej6__halfEEvPKT6_PKbPfiPT5_PiiiibdPKfPKS9_SF_
	.globl	_ZN4vllm3moe22topkGatingSoftplusSqrtILi1ELi1ELi4ELi2ELi32ELb1Ej6__halfEEvPKT6_PKbPfiPT5_PiiiibdPKfPKS9_SF_
	.p2align	8
	.type	_ZN4vllm3moe22topkGatingSoftplusSqrtILi1ELi1ELi4ELi2ELi32ELb1Ej6__halfEEvPKT6_PKbPfiPT5_PiiiibdPKfPKS9_SF_,@function
_ZN4vllm3moe22topkGatingSoftplusSqrtILi1ELi1ELi4ELi2ELi32ELb1Ej6__halfEEvPKT6_PKbPfiPT5_PiiiibdPKfPKS9_SF_: ; @_ZN4vllm3moe22topkGatingSoftplusSqrtILi1ELi1ELi4ELi2ELi32ELb1Ej6__halfEEvPKT6_PKbPfiPT5_PiiiibdPKfPKS9_SF_
; %bb.0:
	s_load_dword s3, s[0:1], 0x18
	v_bfe_u32 v1, v0, 10, 10
	s_lshl_b32 s2, s2, 7
	v_lshlrev_b32_e32 v1, 5, v1
	v_and_b32_e32 v0, 0x3ff, v0
	v_add3_u32 v2, v1, v0, s2
	s_waitcnt lgkmcnt(0)
	v_cmp_gt_i32_e32 vcc, s3, v2
	s_and_saveexec_b64 s[2:3], vcc
	s_cbranch_execz .LBB242_55
; %bb.1:
	s_load_dwordx2 s[2:3], s[0:1], 0x0
	s_load_dword s14, s[0:1], 0x30
	v_ashrrev_i32_e32 v3, 31, v2
	s_load_dwordx4 s[4:7], s[0:1], 0x50
	v_mov_b32_e32 v7, 0x41b17218
	s_waitcnt lgkmcnt(0)
	v_lshl_add_u64 v[0:1], v[2:3], 1, s[2:3]
	global_load_ushort v4, v[0:1], off
	s_mov_b32 s3, 0x800000
	v_mov_b32_e32 v0, s4
	v_mov_b32_e32 v1, s5
	v_lshl_add_u64 v[0:1], v[2:3], 2, v[0:1]
	global_load_dword v0, v[0:1], off
	v_mov_b32_e32 v3, 0x4f800000
	s_mov_b32 s9, 0x3f317217
	s_mov_b32 s10, 0x7f800000
	s_movk_i32 s2, 0x4d00
	s_mov_b32 s11, 0xf800000
	v_mov_b32_e32 v8, 0x260
	v_mov_b32_e32 v1, 0
	s_cmp_gt_i32 s14, 0
	s_mov_b32 s8, 0
	s_cselect_b64 s[4:5], -1, 0
	s_cmp_lt_i32 s14, 1
	v_mul_lo_u32 v2, v2, s14
	s_waitcnt vmcnt(1)
	v_cvt_f32_f16_e32 v5, v4
	v_mul_f32_e32 v6, 0x3fb8aa3b, v5
	v_exp_f32_e32 v6, v6
	s_waitcnt vmcnt(0)
	v_mul_lo_u32 v0, v0, s14
	v_add_f32_e32 v6, 1.0, v6
	v_cmp_gt_f32_e32 vcc, s3, v6
	s_nop 1
	v_cndmask_b32_e32 v3, 1.0, v3, vcc
	v_mul_f32_e32 v3, v6, v3
	v_log_f32_e32 v3, v3
	v_cndmask_b32_e32 v6, 0, v7, vcc
	v_mul_f32_e32 v7, 0x3f317217, v3
	v_fma_f32 v7, v3, s9, -v7
	v_fmamk_f32 v7, v3, 0x3377d1cf, v7
	v_fmac_f32_e32 v7, 0x3f317217, v3
	v_cmp_lt_f32_e64 vcc, |v3|, s10
	s_nop 1
	v_cndmask_b32_e32 v3, v3, v7, vcc
	v_sub_f32_e32 v3, v3, v6
	v_cmp_lt_f16_e32 vcc, s2, v4
	s_nop 1
	v_cndmask_b32_e32 v3, v3, v5, vcc
	v_mul_f32_e32 v4, 0x4f800000, v3
	v_cmp_gt_f32_e32 vcc, s11, v3
	s_nop 1
	v_cndmask_b32_e32 v3, v3, v4, vcc
	v_sqrt_f32_e32 v6, v3
	v_lshl_add_u64 v[4:5], v[0:1], 2, s[6:7]
	v_add_u32_e32 v7, -1, v6
	v_add_u32_e32 v9, 1, v6
	v_fma_f32 v10, -v7, v6, v3
	v_fma_f32 v11, -v9, v6, v3
	v_cmp_ge_f32_e64 s[2:3], 0, v10
	s_nop 1
	v_cndmask_b32_e64 v6, v6, v7, s[2:3]
	v_cmp_lt_f32_e64 s[2:3], 0, v11
	s_nop 1
	v_cndmask_b32_e64 v6, v6, v9, s[2:3]
	v_mul_f32_e32 v7, 0x37800000, v6
	v_cndmask_b32_e32 v6, v6, v7, vcc
	v_cmp_class_f32_e32 vcc, v3, v8
	s_nop 1
	v_cndmask_b32_e32 v10, v6, v3, vcc
	s_cbranch_scc1 .LBB242_21
; %bb.2:
	s_load_dwordx2 s[2:3], s[0:1], 0x20
	s_cmp_lt_u32 s14, 8
	s_cbranch_scc1 .LBB242_22
; %bb.3:
	v_ashrrev_i32_e32 v3, 31, v2
	s_and_b32 s8, s14, 0x7ffffff8
	s_waitcnt lgkmcnt(0)
	v_lshl_add_u64 v[6:7], v[2:3], 2, s[2:3]
	s_mov_b32 s9, 0
	s_mov_b64 s[10:11], 0
	v_mov_b32_e32 v11, 0
	v_mov_b32_e32 v3, 0
	s_branch .LBB242_5
.LBB242_4:                              ;   in Loop: Header=BB242_5 Depth=1
	s_or_b64 exec, exec, s[12:13]
	s_add_i32 s9, s9, 8
	s_add_u32 s10, s10, 32
	s_addc_u32 s11, s11, 0
	s_cmp_eq_u32 s8, s9
	s_cbranch_scc1 .LBB242_23
.LBB242_5:                              ; =>This Inner Loop Header: Depth=1
	v_lshl_add_u64 v[8:9], v[4:5], 0, s[10:11]
	global_load_dword v12, v[8:9], off
	s_waitcnt vmcnt(0)
	v_cmp_eq_u32_e32 vcc, 0, v12
	s_and_saveexec_b64 s[12:13], vcc
	s_cbranch_execz .LBB242_7
; %bb.6:                                ;   in Loop: Header=BB242_5 Depth=1
	v_add_u32_e32 v12, s9, v2
	v_ashrrev_i32_e32 v13, 31, v12
	v_lshl_add_u64 v[12:13], v[12:13], 2, s[2:3]
	v_add_f32_e32 v3, v10, v3
	global_store_dword v[12:13], v11, off
.LBB242_7:                              ;   in Loop: Header=BB242_5 Depth=1
	s_or_b64 exec, exec, s[12:13]
	global_load_dword v12, v[8:9], off offset:4
	s_waitcnt vmcnt(0)
	v_cmp_eq_u32_e32 vcc, 0, v12
	s_and_saveexec_b64 s[12:13], vcc
	s_cbranch_execz .LBB242_9
; %bb.8:                                ;   in Loop: Header=BB242_5 Depth=1
	v_lshl_add_u64 v[12:13], v[6:7], 0, s[10:11]
	v_add_f32_e32 v3, v10, v3
	global_store_dword v[12:13], v11, off offset:4
.LBB242_9:                              ;   in Loop: Header=BB242_5 Depth=1
	s_or_b64 exec, exec, s[12:13]
	global_load_dword v12, v[8:9], off offset:8
	s_waitcnt vmcnt(0)
	v_cmp_eq_u32_e32 vcc, 0, v12
	s_and_saveexec_b64 s[12:13], vcc
	s_cbranch_execz .LBB242_11
; %bb.10:                               ;   in Loop: Header=BB242_5 Depth=1
	v_lshl_add_u64 v[12:13], v[6:7], 0, s[10:11]
	v_add_f32_e32 v3, v10, v3
	global_store_dword v[12:13], v11, off offset:8
.LBB242_11:                             ;   in Loop: Header=BB242_5 Depth=1
	s_or_b64 exec, exec, s[12:13]
	global_load_dword v12, v[8:9], off offset:12
	s_waitcnt vmcnt(0)
	v_cmp_eq_u32_e32 vcc, 0, v12
	s_and_saveexec_b64 s[12:13], vcc
	s_cbranch_execz .LBB242_13
; %bb.12:                               ;   in Loop: Header=BB242_5 Depth=1
	v_lshl_add_u64 v[12:13], v[6:7], 0, s[10:11]
	v_add_f32_e32 v3, v10, v3
	global_store_dword v[12:13], v11, off offset:12
.LBB242_13:                             ;   in Loop: Header=BB242_5 Depth=1
	;; [unrolled: 11-line block ×5, first 2 shown]
	s_or_b64 exec, exec, s[12:13]
	global_load_dword v8, v[8:9], off offset:28
	s_waitcnt vmcnt(0)
	v_cmp_eq_u32_e32 vcc, 0, v8
	s_and_saveexec_b64 s[12:13], vcc
	s_cbranch_execz .LBB242_4
; %bb.20:                               ;   in Loop: Header=BB242_5 Depth=1
	v_lshl_add_u64 v[8:9], v[6:7], 0, s[10:11]
	v_add_f32_e32 v3, v10, v3
	global_store_dword v[8:9], v11, off offset:28
	s_branch .LBB242_4
.LBB242_21:
	v_mov_b32_e32 v3, v1
	s_branch .LBB242_28
.LBB242_22:
	v_mov_b32_e32 v3, v1
.LBB242_23:
	s_and_b32 s10, s14, 7
	s_cmp_eq_u32 s10, 0
	s_mov_b32 s9, 0
	s_cbranch_scc1 .LBB242_28
; %bb.24:
	v_add_u32_e32 v6, s8, v2
	s_lshl_b64 s[8:9], s[8:9], 2
	s_add_u32 s8, s6, s8
	s_addc_u32 s9, s7, s9
	v_lshl_add_u64 v[8:9], v[0:1], 2, s[8:9]
	v_mov_b32_e32 v11, 0
	s_branch .LBB242_26
.LBB242_25:                             ;   in Loop: Header=BB242_26 Depth=1
	s_or_b64 exec, exec, s[8:9]
	s_add_i32 s10, s10, -1
	v_add_u32_e32 v6, 1, v6
	s_cmp_lg_u32 s10, 0
	v_lshl_add_u64 v[8:9], v[8:9], 0, 4
	s_cbranch_scc0 .LBB242_28
.LBB242_26:                             ; =>This Inner Loop Header: Depth=1
	global_load_dword v7, v[8:9], off
	s_waitcnt vmcnt(0)
	v_cmp_eq_u32_e32 vcc, 0, v7
	s_and_saveexec_b64 s[8:9], vcc
	s_cbranch_execz .LBB242_25
; %bb.27:                               ;   in Loop: Header=BB242_26 Depth=1
	v_ashrrev_i32_e32 v7, 31, v6
	s_waitcnt lgkmcnt(0)
	v_lshl_add_u64 v[12:13], v[6:7], 2, s[2:3]
	v_add_f32_e32 v3, v10, v3
	global_store_dword v[12:13], v11, off
	s_branch .LBB242_25
.LBB242_28:
	s_load_dword s8, s[0:1], 0x3c
	s_waitcnt lgkmcnt(0)
	s_load_dwordx2 s[2:3], s[0:1], 0x40
	s_bitcmp1_b32 s8, 0
	s_cselect_b64 s[8:9], -1, 0
	s_waitcnt lgkmcnt(0)
	v_cvt_f32_f64_e32 v6, s[2:3]
	s_and_b64 vcc, exec, s[8:9]
	s_cbranch_vccz .LBB242_30
; %bb.29:
	v_cmp_lt_f32_e32 vcc, 0, v3
	s_nop 1
	v_cndmask_b32_e32 v3, 1.0, v3, vcc
	v_div_scale_f32 v7, s[2:3], v3, v3, v6
	v_rcp_f32_e32 v8, v7
	s_nop 0
	v_fma_f32 v9, -v7, v8, 1.0
	v_fmac_f32_e32 v8, v9, v8
	v_div_scale_f32 v9, vcc, v6, v3, v6
	v_mul_f32_e32 v11, v9, v8
	v_fma_f32 v12, -v7, v11, v9
	v_fmac_f32_e32 v11, v12, v8
	v_fma_f32 v7, -v7, v11, v9
	v_div_fmas_f32 v7, v7, v8, v11
	v_div_fixup_f32 v6, v7, v3, v6
.LBB242_30:
	s_andn2_b64 vcc, exec, s[4:5]
	s_cbranch_vccnz .LBB242_55
; %bb.31:
	s_load_dwordx2 s[0:1], s[0:1], 0x10
	v_mul_f32_e32 v10, v10, v6
	s_cmp_lt_u32 s14, 8
	s_mov_b32 s2, 0
	s_cbranch_scc1 .LBB242_50
; %bb.32:
	v_ashrrev_i32_e32 v3, 31, v2
	s_and_b32 s2, s14, 0x7ffffff8
	s_waitcnt lgkmcnt(0)
	v_lshl_add_u64 v[6:7], v[2:3], 2, s[0:1]
	s_mov_b32 s3, 0
	s_mov_b64 s[4:5], 0
	s_branch .LBB242_34
.LBB242_33:                             ;   in Loop: Header=BB242_34 Depth=1
	s_or_b64 exec, exec, s[8:9]
	s_add_i32 s3, s3, 8
	s_add_u32 s4, s4, 32
	s_addc_u32 s5, s5, 0
	s_cmp_lg_u32 s2, s3
	s_cbranch_scc0 .LBB242_50
.LBB242_34:                             ; =>This Inner Loop Header: Depth=1
	v_lshl_add_u64 v[8:9], v[4:5], 0, s[4:5]
	global_load_dword v3, v[8:9], off
	s_waitcnt vmcnt(0)
	v_cmp_eq_u32_e32 vcc, 0, v3
	s_and_saveexec_b64 s[8:9], vcc
	s_cbranch_execz .LBB242_36
; %bb.35:                               ;   in Loop: Header=BB242_34 Depth=1
	v_add_u32_e32 v12, s3, v2
	v_ashrrev_i32_e32 v13, 31, v12
	v_lshl_add_u64 v[12:13], v[12:13], 2, s[0:1]
	global_store_dword v[12:13], v10, off
.LBB242_36:                             ;   in Loop: Header=BB242_34 Depth=1
	s_or_b64 exec, exec, s[8:9]
	global_load_dword v3, v[8:9], off offset:4
	s_waitcnt vmcnt(0)
	v_cmp_eq_u32_e32 vcc, 0, v3
	s_and_saveexec_b64 s[8:9], vcc
	s_cbranch_execz .LBB242_38
; %bb.37:                               ;   in Loop: Header=BB242_34 Depth=1
	v_lshl_add_u64 v[12:13], v[6:7], 0, s[4:5]
	global_store_dword v[12:13], v10, off offset:4
.LBB242_38:                             ;   in Loop: Header=BB242_34 Depth=1
	s_or_b64 exec, exec, s[8:9]
	global_load_dword v3, v[8:9], off offset:8
	s_waitcnt vmcnt(0)
	v_cmp_eq_u32_e32 vcc, 0, v3
	s_and_saveexec_b64 s[8:9], vcc
	s_cbranch_execz .LBB242_40
; %bb.39:                               ;   in Loop: Header=BB242_34 Depth=1
	v_lshl_add_u64 v[12:13], v[6:7], 0, s[4:5]
	global_store_dword v[12:13], v10, off offset:8
.LBB242_40:                             ;   in Loop: Header=BB242_34 Depth=1
	s_or_b64 exec, exec, s[8:9]
	global_load_dword v3, v[8:9], off offset:12
	s_waitcnt vmcnt(0)
	v_cmp_eq_u32_e32 vcc, 0, v3
	s_and_saveexec_b64 s[8:9], vcc
	s_cbranch_execz .LBB242_42
; %bb.41:                               ;   in Loop: Header=BB242_34 Depth=1
	v_lshl_add_u64 v[12:13], v[6:7], 0, s[4:5]
	global_store_dword v[12:13], v10, off offset:12
.LBB242_42:                             ;   in Loop: Header=BB242_34 Depth=1
	s_or_b64 exec, exec, s[8:9]
	global_load_dword v3, v[8:9], off offset:16
	s_waitcnt vmcnt(0)
	v_cmp_eq_u32_e32 vcc, 0, v3
	s_and_saveexec_b64 s[8:9], vcc
	s_cbranch_execz .LBB242_44
; %bb.43:                               ;   in Loop: Header=BB242_34 Depth=1
	v_lshl_add_u64 v[12:13], v[6:7], 0, s[4:5]
	global_store_dword v[12:13], v10, off offset:16
.LBB242_44:                             ;   in Loop: Header=BB242_34 Depth=1
	s_or_b64 exec, exec, s[8:9]
	global_load_dword v3, v[8:9], off offset:20
	s_waitcnt vmcnt(0)
	v_cmp_eq_u32_e32 vcc, 0, v3
	s_and_saveexec_b64 s[8:9], vcc
	s_cbranch_execz .LBB242_46
; %bb.45:                               ;   in Loop: Header=BB242_34 Depth=1
	v_lshl_add_u64 v[12:13], v[6:7], 0, s[4:5]
	global_store_dword v[12:13], v10, off offset:20
.LBB242_46:                             ;   in Loop: Header=BB242_34 Depth=1
	s_or_b64 exec, exec, s[8:9]
	global_load_dword v3, v[8:9], off offset:24
	s_waitcnt vmcnt(0)
	v_cmp_eq_u32_e32 vcc, 0, v3
	s_and_saveexec_b64 s[8:9], vcc
	s_cbranch_execz .LBB242_48
; %bb.47:                               ;   in Loop: Header=BB242_34 Depth=1
	v_lshl_add_u64 v[12:13], v[6:7], 0, s[4:5]
	global_store_dword v[12:13], v10, off offset:24
.LBB242_48:                             ;   in Loop: Header=BB242_34 Depth=1
	s_or_b64 exec, exec, s[8:9]
	global_load_dword v3, v[8:9], off offset:28
	s_waitcnt vmcnt(0)
	v_cmp_eq_u32_e32 vcc, 0, v3
	s_and_saveexec_b64 s[8:9], vcc
	s_cbranch_execz .LBB242_33
; %bb.49:                               ;   in Loop: Header=BB242_34 Depth=1
	v_lshl_add_u64 v[8:9], v[6:7], 0, s[4:5]
	global_store_dword v[8:9], v10, off offset:28
	s_branch .LBB242_33
.LBB242_50:
	s_and_b32 s4, s14, 7
	s_cmp_eq_u32 s4, 0
	s_mov_b32 s3, 0
	s_cbranch_scc1 .LBB242_55
; %bb.51:
	v_add_u32_e32 v2, s2, v2
	s_lshl_b64 s[2:3], s[2:3], 2
	s_add_u32 s2, s6, s2
	s_addc_u32 s3, s7, s3
	v_lshl_add_u64 v[0:1], v[0:1], 2, s[2:3]
	s_branch .LBB242_53
.LBB242_52:                             ;   in Loop: Header=BB242_53 Depth=1
	s_or_b64 exec, exec, s[2:3]
	s_add_i32 s4, s4, -1
	v_add_u32_e32 v2, 1, v2
	s_cmp_lg_u32 s4, 0
	v_lshl_add_u64 v[0:1], v[0:1], 0, 4
	s_cbranch_scc0 .LBB242_55
.LBB242_53:                             ; =>This Inner Loop Header: Depth=1
	global_load_dword v3, v[0:1], off
	s_waitcnt vmcnt(0)
	v_cmp_eq_u32_e32 vcc, 0, v3
	s_and_saveexec_b64 s[2:3], vcc
	s_cbranch_execz .LBB242_52
; %bb.54:                               ;   in Loop: Header=BB242_53 Depth=1
	v_ashrrev_i32_e32 v3, 31, v2
	s_waitcnt lgkmcnt(0)
	v_lshl_add_u64 v[4:5], v[2:3], 2, s[0:1]
	global_store_dword v[4:5], v10, off
	s_branch .LBB242_52
.LBB242_55:
	s_endpgm
	.section	.rodata,"a",@progbits
	.p2align	6, 0x0
	.amdhsa_kernel _ZN4vllm3moe22topkGatingSoftplusSqrtILi1ELi1ELi4ELi2ELi32ELb1Ej6__halfEEvPKT6_PKbPfiPT5_PiiiibdPKfPKS9_SF_
		.amdhsa_group_segment_fixed_size 0
		.amdhsa_private_segment_fixed_size 0
		.amdhsa_kernarg_size 96
		.amdhsa_user_sgpr_count 2
		.amdhsa_user_sgpr_dispatch_ptr 0
		.amdhsa_user_sgpr_queue_ptr 0
		.amdhsa_user_sgpr_kernarg_segment_ptr 1
		.amdhsa_user_sgpr_dispatch_id 0
		.amdhsa_user_sgpr_kernarg_preload_length 0
		.amdhsa_user_sgpr_kernarg_preload_offset 0
		.amdhsa_user_sgpr_private_segment_size 0
		.amdhsa_uses_dynamic_stack 0
		.amdhsa_enable_private_segment 0
		.amdhsa_system_sgpr_workgroup_id_x 1
		.amdhsa_system_sgpr_workgroup_id_y 0
		.amdhsa_system_sgpr_workgroup_id_z 0
		.amdhsa_system_sgpr_workgroup_info 0
		.amdhsa_system_vgpr_workitem_id 1
		.amdhsa_next_free_vgpr 14
		.amdhsa_next_free_sgpr 15
		.amdhsa_accum_offset 16
		.amdhsa_reserve_vcc 1
		.amdhsa_float_round_mode_32 0
		.amdhsa_float_round_mode_16_64 0
		.amdhsa_float_denorm_mode_32 3
		.amdhsa_float_denorm_mode_16_64 3
		.amdhsa_dx10_clamp 1
		.amdhsa_ieee_mode 1
		.amdhsa_fp16_overflow 0
		.amdhsa_tg_split 0
		.amdhsa_exception_fp_ieee_invalid_op 0
		.amdhsa_exception_fp_denorm_src 0
		.amdhsa_exception_fp_ieee_div_zero 0
		.amdhsa_exception_fp_ieee_overflow 0
		.amdhsa_exception_fp_ieee_underflow 0
		.amdhsa_exception_fp_ieee_inexact 0
		.amdhsa_exception_int_div_zero 0
	.end_amdhsa_kernel
	.section	.text._ZN4vllm3moe22topkGatingSoftplusSqrtILi1ELi1ELi4ELi2ELi32ELb1Ej6__halfEEvPKT6_PKbPfiPT5_PiiiibdPKfPKS9_SF_,"axG",@progbits,_ZN4vllm3moe22topkGatingSoftplusSqrtILi1ELi1ELi4ELi2ELi32ELb1Ej6__halfEEvPKT6_PKbPfiPT5_PiiiibdPKfPKS9_SF_,comdat
.Lfunc_end242:
	.size	_ZN4vllm3moe22topkGatingSoftplusSqrtILi1ELi1ELi4ELi2ELi32ELb1Ej6__halfEEvPKT6_PKbPfiPT5_PiiiibdPKfPKS9_SF_, .Lfunc_end242-_ZN4vllm3moe22topkGatingSoftplusSqrtILi1ELi1ELi4ELi2ELi32ELb1Ej6__halfEEvPKT6_PKbPfiPT5_PiiiibdPKfPKS9_SF_
                                        ; -- End function
	.section	.AMDGPU.csdata,"",@progbits
; Kernel info:
; codeLenInByte = 1812
; NumSgprs: 21
; NumVgprs: 14
; NumAgprs: 0
; TotalNumVgprs: 14
; ScratchSize: 0
; MemoryBound: 0
; FloatMode: 240
; IeeeMode: 1
; LDSByteSize: 0 bytes/workgroup (compile time only)
; SGPRBlocks: 2
; VGPRBlocks: 1
; NumSGPRsForWavesPerEU: 21
; NumVGPRsForWavesPerEU: 14
; AccumOffset: 16
; Occupancy: 8
; WaveLimiterHint : 1
; COMPUTE_PGM_RSRC2:SCRATCH_EN: 0
; COMPUTE_PGM_RSRC2:USER_SGPR: 2
; COMPUTE_PGM_RSRC2:TRAP_HANDLER: 0
; COMPUTE_PGM_RSRC2:TGID_X_EN: 1
; COMPUTE_PGM_RSRC2:TGID_Y_EN: 0
; COMPUTE_PGM_RSRC2:TGID_Z_EN: 0
; COMPUTE_PGM_RSRC2:TIDIG_COMP_CNT: 1
; COMPUTE_PGM_RSRC3_GFX90A:ACCUM_OFFSET: 3
; COMPUTE_PGM_RSRC3_GFX90A:TG_SPLIT: 0
	.section	.text._ZN4vllm3moe22topkGatingSoftplusSqrtILi1ELi1ELi4ELi2ELi32ELb0Ej6__halfEEvPKT6_PKbPfiPT5_PiiiibdPKfPKS9_SF_,"axG",@progbits,_ZN4vllm3moe22topkGatingSoftplusSqrtILi1ELi1ELi4ELi2ELi32ELb0Ej6__halfEEvPKT6_PKbPfiPT5_PiiiibdPKfPKS9_SF_,comdat
	.protected	_ZN4vllm3moe22topkGatingSoftplusSqrtILi1ELi1ELi4ELi2ELi32ELb0Ej6__halfEEvPKT6_PKbPfiPT5_PiiiibdPKfPKS9_SF_ ; -- Begin function _ZN4vllm3moe22topkGatingSoftplusSqrtILi1ELi1ELi4ELi2ELi32ELb0Ej6__halfEEvPKT6_PKbPfiPT5_PiiiibdPKfPKS9_SF_
	.globl	_ZN4vllm3moe22topkGatingSoftplusSqrtILi1ELi1ELi4ELi2ELi32ELb0Ej6__halfEEvPKT6_PKbPfiPT5_PiiiibdPKfPKS9_SF_
	.p2align	8
	.type	_ZN4vllm3moe22topkGatingSoftplusSqrtILi1ELi1ELi4ELi2ELi32ELb0Ej6__halfEEvPKT6_PKbPfiPT5_PiiiibdPKfPKS9_SF_,@function
_ZN4vllm3moe22topkGatingSoftplusSqrtILi1ELi1ELi4ELi2ELi32ELb0Ej6__halfEEvPKT6_PKbPfiPT5_PiiiibdPKfPKS9_SF_: ; @_ZN4vllm3moe22topkGatingSoftplusSqrtILi1ELi1ELi4ELi2ELi32ELb0Ej6__halfEEvPKT6_PKbPfiPT5_PiiiibdPKfPKS9_SF_
; %bb.0:
	s_load_dword s24, s[0:1], 0x18
	v_bfe_u32 v1, v0, 10, 10
	s_lshl_b32 s2, s2, 7
	v_lshlrev_b32_e32 v1, 5, v1
	v_and_b32_e32 v0, 0x3ff, v0
	v_add3_u32 v2, v1, v0, s2
	s_waitcnt lgkmcnt(0)
	v_cmp_gt_i32_e32 vcc, s24, v2
	s_and_saveexec_b64 s[2:3], vcc
	s_cbranch_execz .LBB243_24
; %bb.1:
	s_load_dwordx4 s[4:7], s[0:1], 0x0
	s_load_dwordx2 s[16:17], s[0:1], 0x10
	v_ashrrev_i32_e32 v3, 31, v2
	s_waitcnt lgkmcnt(0)
	s_cmp_eq_u64 s[6:7], 0
	s_cbranch_scc1 .LBB243_3
; %bb.2:
	v_lshl_add_u64 v[0:1], s[6:7], 0, v[2:3]
	global_load_ubyte v0, v[0:1], off
	s_waitcnt vmcnt(0)
	v_and_b32_e32 v0, 1, v0
	v_cmp_eq_u32_e32 vcc, 1, v0
	s_xor_b64 s[2:3], vcc, -1
	s_orn2_b64 s[18:19], s[2:3], exec
	s_branch .LBB243_4
.LBB243_3:
	s_mov_b64 s[18:19], -1
.LBB243_4:
	v_mov_b32_e32 v0, s4
	v_mov_b32_e32 v1, s5
	v_lshl_add_u64 v[0:1], v[2:3], 1, v[0:1]
	global_load_ushort v0, v[0:1], off
	s_mov_b32 s3, 0x800000
	v_mov_b32_e32 v3, 0x4f800000
	s_mov_b32 s4, 0x3f317217
	s_mov_b32 s5, 0x7f800000
	v_mov_b32_e32 v5, 0x41b17218
	s_movk_i32 s2, 0x4d00
	s_load_dwordx4 s[8:11], s[0:1], 0x40
	s_waitcnt lgkmcnt(0)
	s_cmp_lg_u64 s[10:11], 0
	s_cselect_b64 s[22:23], -1, 0
	s_cmp_eq_u64 s[10:11], 0
	s_waitcnt vmcnt(0)
	v_cvt_f32_f16_e32 v1, v0
	v_mul_f32_e32 v4, 0x3fb8aa3b, v1
	v_exp_f32_e32 v4, v4
	s_nop 0
	v_add_f32_e32 v4, 1.0, v4
	v_cmp_gt_f32_e32 vcc, s3, v4
	s_mov_b32 s3, 0xf800000
	s_nop 0
	v_cndmask_b32_e32 v3, 1.0, v3, vcc
	v_mul_f32_e32 v3, v4, v3
	v_log_f32_e32 v3, v3
	v_cndmask_b32_e32 v5, 0, v5, vcc
	v_mov_b32_e32 v4, 0x260
	v_mul_f32_e32 v6, 0x3f317217, v3
	v_fma_f32 v6, v3, s4, -v6
	v_fmamk_f32 v6, v3, 0x3377d1cf, v6
	v_fmac_f32_e32 v6, 0x3f317217, v3
	v_cmp_lt_f32_e64 vcc, |v3|, s5
	s_nop 1
	v_cndmask_b32_e32 v3, v3, v6, vcc
	v_sub_f32_e32 v3, v3, v5
	v_cmp_lt_f16_e32 vcc, s2, v0
	s_nop 1
	v_cndmask_b32_e32 v0, v3, v1, vcc
	v_mul_f32_e32 v1, 0x4f800000, v0
	v_cmp_gt_f32_e32 vcc, s3, v0
	s_nop 1
	v_cndmask_b32_e32 v0, v0, v1, vcc
	v_sqrt_f32_e32 v1, v0
	s_nop 0
	v_add_u32_e32 v3, -1, v1
	v_add_u32_e32 v5, 1, v1
	v_fma_f32 v6, -v3, v1, v0
	v_fma_f32 v7, -v5, v1, v0
	v_cmp_ge_f32_e64 s[2:3], 0, v6
	s_nop 1
	v_cndmask_b32_e64 v1, v1, v3, s[2:3]
	v_cmp_lt_f32_e64 s[2:3], 0, v7
	s_nop 1
	v_cndmask_b32_e64 v1, v1, v5, s[2:3]
	v_mul_f32_e32 v3, 0x37800000, v1
	v_cndmask_b32_e32 v1, v1, v3, vcc
	v_cmp_class_f32_e32 vcc, v0, v4
	s_nop 1
	v_cndmask_b32_e32 v1, v1, v0, vcc
	s_cbranch_scc1 .LBB243_6
; %bb.5:
	s_load_dword s2, s[10:11], 0x0
	s_waitcnt lgkmcnt(0)
	v_add_f32_e32 v1, s2, v1
.LBB243_6:
	s_load_dwordx4 s[4:7], s[0:1], 0x30
	s_waitcnt lgkmcnt(0)
	s_bitcmp1_b32 s7, 0
	s_cselect_b64 s[2:3], -1, 0
	s_cmp_gt_i32 s4, 0
	s_cselect_b64 s[20:21], -1, 0
	s_cmp_lt_i32 s4, 1
	v_mul_lo_u32 v0, v2, s4
	s_cbranch_scc1 .LBB243_11
; %bb.7:
	s_cmp_lt_i32 s5, 1
	s_load_dwordx4 s[12:15], s[0:1], 0x20
	s_cselect_b64 s[0:1], -1, 0
	s_cmp_gt_i32 s6, 0
	s_cselect_b64 s[26:27], -1, 0
	s_and_b64 s[0:1], s[0:1], s[26:27]
	s_sub_i32 s5, 0, s5
	v_mov_b32_e32 v3, s5
	s_and_b64 vcc, s[18:19], s[0:1]
	v_cndmask_b32_e32 v4, 1, v3, vcc
	v_cndmask_b32_e64 v3, 0, 1, s[22:23]
	s_mov_b32 s7, 0
	v_mov_b32_e32 v5, 0
	v_cmp_ne_u32_e64 s[0:1], 1, v3
	v_mov_b32_e32 v6, 0xc61c4000
	v_mov_b32_e32 v3, 0
	s_branch .LBB243_9
.LBB243_8:                              ;   in Loop: Header=BB243_9 Depth=1
	v_add_u32_e32 v8, s7, v0
	v_ashrrev_i32_e32 v9, 31, v8
	v_lshlrev_b64 v[8:9], 2, v[8:9]
	s_add_i32 s7, s7, 1
	v_lshl_add_u64 v[10:11], s[16:17], 0, v[8:9]
	s_cmp_ge_i32 s7, s4
	global_store_dword v[10:11], v7, off
	s_waitcnt lgkmcnt(0)
	v_lshl_add_u64 v[10:11], s[12:13], 0, v[8:9]
	v_lshl_add_u64 v[8:9], s[14:15], 0, v[8:9]
	v_add_f32_e32 v7, v3, v7
	s_cselect_b64 vcc, -1, 0
	global_store_dword v[10:11], v4, off
	global_store_dword v[8:9], v2, off
	v_cndmask_b32_e64 v3, v3, v7, s[2:3]
	v_cndmask_b32_e32 v1, v6, v1, vcc
	s_cmp_lg_u32 s4, s7
	v_add_u32_e32 v2, s24, v2
	s_cbranch_scc0 .LBB243_12
.LBB243_9:                              ; =>This Inner Loop Header: Depth=1
	s_and_b64 vcc, exec, s[0:1]
	v_mov_b32_e32 v7, v1
	s_cbranch_vccnz .LBB243_8
; %bb.10:                               ;   in Loop: Header=BB243_9 Depth=1
	global_load_dword v7, v5, s[10:11]
	s_waitcnt vmcnt(0)
	v_sub_f32_e32 v7, v1, v7
	s_branch .LBB243_8
.LBB243_11:
	v_mov_b32_e32 v3, 0
.LBB243_12:
	s_andn2_b64 vcc, exec, s[2:3]
	v_cvt_f32_f64_e32 v2, s[8:9]
	s_cbranch_vccnz .LBB243_14
; %bb.13:
	v_cmp_lt_f32_e32 vcc, 0, v3
	s_nop 1
	v_cndmask_b32_e32 v1, 1.0, v3, vcc
	v_div_scale_f32 v3, s[0:1], v1, v1, v2
	v_rcp_f32_e32 v4, v3
	s_nop 0
	v_fma_f32 v5, -v3, v4, 1.0
	v_fmac_f32_e32 v4, v5, v4
	v_div_scale_f32 v5, vcc, v2, v1, v2
	v_mul_f32_e32 v6, v5, v4
	v_fma_f32 v7, -v3, v6, v5
	v_fmac_f32_e32 v6, v7, v4
	v_fma_f32 v3, -v3, v6, v5
	v_div_fmas_f32 v3, v3, v4, v6
	v_div_fixup_f32 v2, v3, v1, v2
.LBB243_14:
	s_andn2_b64 vcc, exec, s[20:21]
	s_cbranch_vccnz .LBB243_24
; %bb.15:
	s_cmp_gt_u32 s4, 3
	v_ashrrev_i32_e32 v1, 31, v0
	s_cbranch_scc0 .LBB243_19
; %bb.16:
	s_and_b32 s0, s4, 0x7ffffffc
	v_lshl_add_u64 v[4:5], v[0:1], 2, s[16:17]
	v_mov_b32_e32 v3, v2
	v_lshl_add_u64 v[4:5], v[4:5], 0, 8
	s_mov_b32 s1, s0
.LBB243_17:                             ; =>This Inner Loop Header: Depth=1
	global_load_dwordx4 v[6:9], v[4:5], off offset:-8
	s_add_i32 s1, s1, -4
	s_cmp_lg_u32 s1, 0
	s_waitcnt vmcnt(0)
	v_pk_mul_f32 v[6:7], v[2:3], v[6:7]
	v_pk_mul_f32 v[8:9], v[2:3], v[8:9]
	global_store_dwordx4 v[4:5], v[6:9], off offset:-8
	v_lshl_add_u64 v[4:5], v[4:5], 0, 16
	s_cbranch_scc1 .LBB243_17
; %bb.18:
	s_cmp_lg_u32 s0, s4
	s_cselect_b64 s[2:3], -1, 0
	s_branch .LBB243_21
.LBB243_19:
	s_mov_b64 s[2:3], 0
                                        ; implicit-def: $sgpr0
	s_cbranch_execz .LBB243_21
; %bb.20:
	s_mov_b64 s[2:3], -1
	s_mov_b32 s0, 0
.LBB243_21:
	s_andn2_b64 vcc, exec, s[2:3]
	s_cbranch_vccnz .LBB243_24
; %bb.22:
	s_mov_b32 s1, 0
	v_lshl_add_u64 v[0:1], v[0:1], 0, s[0:1]
	s_sub_i32 s2, s4, s0
	v_lshl_add_u64 v[0:1], v[0:1], 2, s[16:17]
.LBB243_23:                             ; =>This Inner Loop Header: Depth=1
	global_load_dword v3, v[0:1], off
	s_add_i32 s2, s2, -1
	s_cmp_lg_u32 s2, 0
	s_waitcnt vmcnt(0)
	v_mul_f32_e32 v3, v2, v3
	global_store_dword v[0:1], v3, off
	v_lshl_add_u64 v[0:1], v[0:1], 0, 4
	s_cbranch_scc1 .LBB243_23
.LBB243_24:
	s_endpgm
	.section	.rodata,"a",@progbits
	.p2align	6, 0x0
	.amdhsa_kernel _ZN4vllm3moe22topkGatingSoftplusSqrtILi1ELi1ELi4ELi2ELi32ELb0Ej6__halfEEvPKT6_PKbPfiPT5_PiiiibdPKfPKS9_SF_
		.amdhsa_group_segment_fixed_size 0
		.amdhsa_private_segment_fixed_size 0
		.amdhsa_kernarg_size 96
		.amdhsa_user_sgpr_count 2
		.amdhsa_user_sgpr_dispatch_ptr 0
		.amdhsa_user_sgpr_queue_ptr 0
		.amdhsa_user_sgpr_kernarg_segment_ptr 1
		.amdhsa_user_sgpr_dispatch_id 0
		.amdhsa_user_sgpr_kernarg_preload_length 0
		.amdhsa_user_sgpr_kernarg_preload_offset 0
		.amdhsa_user_sgpr_private_segment_size 0
		.amdhsa_uses_dynamic_stack 0
		.amdhsa_enable_private_segment 0
		.amdhsa_system_sgpr_workgroup_id_x 1
		.amdhsa_system_sgpr_workgroup_id_y 0
		.amdhsa_system_sgpr_workgroup_id_z 0
		.amdhsa_system_sgpr_workgroup_info 0
		.amdhsa_system_vgpr_workitem_id 1
		.amdhsa_next_free_vgpr 12
		.amdhsa_next_free_sgpr 28
		.amdhsa_accum_offset 12
		.amdhsa_reserve_vcc 1
		.amdhsa_float_round_mode_32 0
		.amdhsa_float_round_mode_16_64 0
		.amdhsa_float_denorm_mode_32 3
		.amdhsa_float_denorm_mode_16_64 3
		.amdhsa_dx10_clamp 1
		.amdhsa_ieee_mode 1
		.amdhsa_fp16_overflow 0
		.amdhsa_tg_split 0
		.amdhsa_exception_fp_ieee_invalid_op 0
		.amdhsa_exception_fp_denorm_src 0
		.amdhsa_exception_fp_ieee_div_zero 0
		.amdhsa_exception_fp_ieee_overflow 0
		.amdhsa_exception_fp_ieee_underflow 0
		.amdhsa_exception_fp_ieee_inexact 0
		.amdhsa_exception_int_div_zero 0
	.end_amdhsa_kernel
	.section	.text._ZN4vllm3moe22topkGatingSoftplusSqrtILi1ELi1ELi4ELi2ELi32ELb0Ej6__halfEEvPKT6_PKbPfiPT5_PiiiibdPKfPKS9_SF_,"axG",@progbits,_ZN4vllm3moe22topkGatingSoftplusSqrtILi1ELi1ELi4ELi2ELi32ELb0Ej6__halfEEvPKT6_PKbPfiPT5_PiiiibdPKfPKS9_SF_,comdat
.Lfunc_end243:
	.size	_ZN4vllm3moe22topkGatingSoftplusSqrtILi1ELi1ELi4ELi2ELi32ELb0Ej6__halfEEvPKT6_PKbPfiPT5_PiiiibdPKfPKS9_SF_, .Lfunc_end243-_ZN4vllm3moe22topkGatingSoftplusSqrtILi1ELi1ELi4ELi2ELi32ELb0Ej6__halfEEvPKT6_PKbPfiPT5_PiiiibdPKfPKS9_SF_
                                        ; -- End function
	.section	.AMDGPU.csdata,"",@progbits
; Kernel info:
; codeLenInByte = 1080
; NumSgprs: 34
; NumVgprs: 12
; NumAgprs: 0
; TotalNumVgprs: 12
; ScratchSize: 0
; MemoryBound: 0
; FloatMode: 240
; IeeeMode: 1
; LDSByteSize: 0 bytes/workgroup (compile time only)
; SGPRBlocks: 4
; VGPRBlocks: 1
; NumSGPRsForWavesPerEU: 34
; NumVGPRsForWavesPerEU: 12
; AccumOffset: 12
; Occupancy: 8
; WaveLimiterHint : 0
; COMPUTE_PGM_RSRC2:SCRATCH_EN: 0
; COMPUTE_PGM_RSRC2:USER_SGPR: 2
; COMPUTE_PGM_RSRC2:TRAP_HANDLER: 0
; COMPUTE_PGM_RSRC2:TGID_X_EN: 1
; COMPUTE_PGM_RSRC2:TGID_Y_EN: 0
; COMPUTE_PGM_RSRC2:TGID_Z_EN: 0
; COMPUTE_PGM_RSRC2:TIDIG_COMP_CNT: 1
; COMPUTE_PGM_RSRC3_GFX90A:ACCUM_OFFSET: 2
; COMPUTE_PGM_RSRC3_GFX90A:TG_SPLIT: 0
	.section	.text._ZN4vllm3moe22topkGatingSoftplusSqrtILi2ELi2ELi4ELi4ELi64ELb1Ej6__halfEEvPKT6_PKbPfiPT5_PiiiibdPKfPKS9_SF_,"axG",@progbits,_ZN4vllm3moe22topkGatingSoftplusSqrtILi2ELi2ELi4ELi4ELi64ELb1Ej6__halfEEvPKT6_PKbPfiPT5_PiiiibdPKfPKS9_SF_,comdat
	.protected	_ZN4vllm3moe22topkGatingSoftplusSqrtILi2ELi2ELi4ELi4ELi64ELb1Ej6__halfEEvPKT6_PKbPfiPT5_PiiiibdPKfPKS9_SF_ ; -- Begin function _ZN4vllm3moe22topkGatingSoftplusSqrtILi2ELi2ELi4ELi4ELi64ELb1Ej6__halfEEvPKT6_PKbPfiPT5_PiiiibdPKfPKS9_SF_
	.globl	_ZN4vllm3moe22topkGatingSoftplusSqrtILi2ELi2ELi4ELi4ELi64ELb1Ej6__halfEEvPKT6_PKbPfiPT5_PiiiibdPKfPKS9_SF_
	.p2align	8
	.type	_ZN4vllm3moe22topkGatingSoftplusSqrtILi2ELi2ELi4ELi4ELi64ELb1Ej6__halfEEvPKT6_PKbPfiPT5_PiiiibdPKfPKS9_SF_,@function
_ZN4vllm3moe22topkGatingSoftplusSqrtILi2ELi2ELi4ELi4ELi64ELb1Ej6__halfEEvPKT6_PKbPfiPT5_PiiiibdPKfPKS9_SF_: ; @_ZN4vllm3moe22topkGatingSoftplusSqrtILi2ELi2ELi4ELi4ELi64ELb1Ej6__halfEEvPKT6_PKbPfiPT5_PiiiibdPKfPKS9_SF_
; %bb.0:
	s_load_dword s3, s[0:1], 0x18
	v_bfe_u32 v1, v0, 10, 10
	s_lshl_b32 s2, s2, 8
	v_lshlrev_b32_e32 v1, 6, v1
	v_and_b32_e32 v0, 0x3ff, v0
	v_add3_u32 v4, v1, v0, s2
	s_waitcnt lgkmcnt(0)
	v_cmp_gt_i32_e32 vcc, s3, v4
	s_and_saveexec_b64 s[2:3], vcc
	s_cbranch_execz .LBB244_57
; %bb.1:
	s_load_dwordx2 s[2:3], s[0:1], 0x0
	s_load_dword s16, s[0:1], 0x30
	v_lshlrev_b32_e32 v0, 1, v4
	v_ashrrev_i32_e32 v1, 31, v0
	s_load_dwordx4 s[4:7], s[0:1], 0x50
	s_waitcnt lgkmcnt(0)
	v_lshl_add_u64 v[0:1], v[0:1], 1, s[2:3]
	global_load_dword v6, v[0:1], off
	v_ashrrev_i32_e32 v5, 31, v4
	s_mov_b32 s2, 0x800000
	v_mov_b32_e32 v0, s4
	v_mov_b32_e32 v1, s5
	v_lshl_add_u64 v[0:1], v[4:5], 2, v[0:1]
	global_load_dword v0, v[0:1], off
	v_mov_b32_e32 v5, 0x4f800000
	s_mov_b32 s5, 0x3f317217
	s_mov_b32 s9, 0x7f800000
	v_mov_b32_e32 v7, 0x41b17218
	s_movk_i32 s4, 0x4d00
	s_mov_b32 s12, 0xf800000
	v_mov_b32_e32 v11, 0x260
	v_mov_b32_e32 v1, 0
	s_cmp_gt_i32 s16, 0
	s_mov_b32 s8, 0
	s_cselect_b64 s[10:11], -1, 0
	s_cmp_lt_i32 s16, 1
	v_mul_lo_u32 v4, v4, s16
	s_waitcnt vmcnt(1)
	v_cvt_f32_f16_e32 v8, v6
	v_cvt_f32_f16_sdwa v9, v6 dst_sel:DWORD dst_unused:UNUSED_PAD src0_sel:WORD_1
	v_mul_f32_e32 v2, 0x3fb8aa3b, v8
	v_mul_f32_e32 v3, 0x3fb8aa3b, v9
	v_exp_f32_e32 v2, v2
	v_exp_f32_e32 v3, v3
	s_waitcnt vmcnt(0)
	v_mul_lo_u32 v0, v0, s16
	v_pk_add_f32 v[2:3], v[2:3], 1.0 op_sel_hi:[1,0]
	s_nop 0
	v_cmp_gt_f32_e32 vcc, s2, v3
	v_cmp_gt_f32_e64 s[2:3], s2, v2
	s_nop 0
	v_cndmask_b32_e32 v10, 1.0, v5, vcc
	v_cndmask_b32_e64 v5, 1.0, v5, s[2:3]
	v_mul_f32_e32 v3, v3, v10
	v_mul_f32_e32 v2, v2, v5
	v_log_f32_e32 v3, v3
	v_log_f32_e32 v2, v2
	v_cndmask_b32_e32 v5, 0, v7, vcc
	v_cndmask_b32_e64 v7, 0, v7, s[2:3]
	v_mul_f32_e32 v10, 0x3f317217, v3
	v_mul_f32_e32 v12, 0x3f317217, v2
	v_fma_f32 v10, v3, s5, -v10
	v_fma_f32 v12, v2, s5, -v12
	v_fmac_f32_e32 v10, 0x3377d1cf, v3
	v_fmac_f32_e32 v12, 0x3377d1cf, v2
	;; [unrolled: 1-line block ×3, first 2 shown]
	v_cmp_lt_f32_e64 vcc, |v3|, s9
	v_fmac_f32_e32 v12, 0x3f317217, v2
	s_nop 0
	v_cndmask_b32_e32 v3, v3, v10, vcc
	v_cmp_lt_f32_e64 vcc, |v2|, s9
	v_sub_f32_e32 v3, v3, v5
	s_nop 0
	v_cndmask_b32_e32 v2, v2, v12, vcc
	v_sub_f32_e32 v2, v2, v7
	v_cmp_lt_f16_e32 vcc, s4, v6
	s_nop 1
	v_cndmask_b32_e32 v2, v2, v8, vcc
	v_cmp_gt_f16_sdwa vcc, v6, s4 src0_sel:WORD_1 src1_sel:DWORD
	v_mul_f32_e32 v6, 0x4f800000, v2
	v_cmp_gt_f32_e64 s[2:3], s12, v2
	v_cndmask_b32_e32 v3, v3, v9, vcc
	v_mul_f32_e32 v5, 0x4f800000, v3
	v_cmp_gt_f32_e32 vcc, s12, v3
	v_cndmask_b32_e64 v6, v2, v6, s[2:3]
	v_sqrt_f32_e32 v8, v6
	v_cndmask_b32_e32 v5, v3, v5, vcc
	v_sqrt_f32_e32 v7, v5
	v_lshl_add_u64 v[2:3], v[0:1], 2, s[6:7]
	v_add_u32_e32 v12, -1, v8
	v_fma_f32 v16, -v12, v8, v6
	v_add_u32_e32 v9, -1, v7
	v_fma_f32 v14, -v9, v7, v5
	v_add_u32_e32 v10, 1, v7
	v_cmp_ge_f32_e64 s[4:5], 0, v14
	v_add_u32_e32 v13, 1, v8
	v_fma_f32 v15, -v10, v7, v5
	v_cndmask_b32_e64 v7, v7, v9, s[4:5]
	v_cmp_ge_f32_e64 s[4:5], 0, v16
	v_fma_f32 v17, -v13, v8, v6
	s_nop 0
	v_cndmask_b32_e64 v8, v8, v12, s[4:5]
	v_cmp_lt_f32_e64 s[4:5], 0, v15
	s_nop 1
	v_cndmask_b32_e64 v7, v7, v10, s[4:5]
	v_cmp_lt_f32_e64 s[4:5], 0, v17
	v_mul_f32_e32 v9, 0x37800000, v7
	v_cndmask_b32_e32 v7, v7, v9, vcc
	v_cndmask_b32_e64 v8, v8, v13, s[4:5]
	v_mul_f32_e32 v10, 0x37800000, v8
	v_cmp_class_f32_e32 vcc, v5, v11
	v_cndmask_b32_e64 v8, v8, v10, s[2:3]
	s_nop 0
	v_cndmask_b32_e32 v10, v7, v5, vcc
	v_cmp_class_f32_e32 vcc, v6, v11
	s_nop 1
	v_cndmask_b32_e32 v11, v8, v6, vcc
	s_cbranch_scc1 .LBB244_21
; %bb.2:
	s_load_dwordx2 s[2:3], s[0:1], 0x20
	s_cmp_lt_u32 s16, 4
	s_cbranch_scc1 .LBB244_22
; %bb.3:
	s_mov_b32 s5, 0
	s_and_b32 s8, s16, 0x7ffffffc
	v_ashrrev_i32_e32 v5, 31, v4
	v_mov_b32_e32 v12, 0
	s_mov_b32 s4, s5
	s_branch .LBB244_5
.LBB244_4:                              ;   in Loop: Header=BB244_5 Depth=1
	s_or_b64 exec, exec, s[12:13]
	s_add_i32 s4, s4, 4
	s_cmp_eq_u32 s4, s8
	s_cbranch_scc1 .LBB244_23
.LBB244_5:                              ; =>This Loop Header: Depth=1
                                        ;     Child Loop BB244_7 Depth 2
                                        ;     Child Loop BB244_11 Depth 2
	;; [unrolled: 1-line block ×4, first 2 shown]
	v_lshl_add_u64 v[6:7], s[4:5], 2, v[2:3]
	global_load_dword v13, v[6:7], off
	v_add_u32_e32 v8, s4, v4
	v_ashrrev_i32_e32 v9, 31, v8
	s_mov_b64 s[12:13], 0
	s_waitcnt lgkmcnt(0)
	v_lshl_add_u64 v[8:9], v[8:9], 2, s[2:3]
	s_mov_b32 s9, 0
	s_waitcnt vmcnt(0)
	v_cmp_eq_u32_e32 vcc, 0, v13
	s_nop 1
	v_cndmask_b32_e64 v14, 2, 1, vcc
	v_cmp_eq_u32_e32 vcc, 1, v13
	s_nop 1
	v_cndmask_b32_e32 v15, v11, v10, vcc
	s_branch .LBB244_7
.LBB244_6:                              ;   in Loop: Header=BB244_7 Depth=2
	s_or_b64 exec, exec, s[14:15]
	s_add_i32 s9, s9, 1
	v_cmp_eq_u32_e32 vcc, s9, v14
	s_or_b64 s[12:13], vcc, s[12:13]
	s_andn2_b64 exec, exec, s[12:13]
	s_cbranch_execz .LBB244_9
.LBB244_7:                              ;   Parent Loop BB244_5 Depth=1
                                        ; =>  This Inner Loop Header: Depth=2
	v_cmp_eq_u32_e32 vcc, s9, v13
	s_and_saveexec_b64 s[14:15], vcc
	s_cbranch_execz .LBB244_6
; %bb.8:                                ;   in Loop: Header=BB244_7 Depth=2
	v_add_f32_e32 v12, v12, v15
	global_store_dword v[8:9], v13, off
	s_branch .LBB244_6
.LBB244_9:                              ;   in Loop: Header=BB244_5 Depth=1
	s_or_b64 exec, exec, s[12:13]
	global_load_dword v13, v[6:7], off offset:4
	s_ashr_i32 s13, s4, 31
	s_mov_b32 s12, s4
	v_lshl_add_u64 v[8:9], s[12:13], 0, v[4:5]
	s_mov_b32 s9, 0
	v_lshl_add_u64 v[8:9], v[8:9], 2, s[2:3]
	s_mov_b64 s[12:13], 0
	s_waitcnt vmcnt(0)
	v_cmp_eq_u32_e32 vcc, 0, v13
	s_nop 1
	v_cndmask_b32_e64 v14, 2, 1, vcc
	v_cmp_eq_u32_e32 vcc, 1, v13
	s_nop 1
	v_cndmask_b32_e32 v15, v11, v10, vcc
	s_branch .LBB244_11
.LBB244_10:                             ;   in Loop: Header=BB244_11 Depth=2
	s_or_b64 exec, exec, s[14:15]
	s_add_i32 s9, s9, 1
	v_cmp_eq_u32_e32 vcc, s9, v14
	s_or_b64 s[12:13], vcc, s[12:13]
	s_andn2_b64 exec, exec, s[12:13]
	s_cbranch_execz .LBB244_13
.LBB244_11:                             ;   Parent Loop BB244_5 Depth=1
                                        ; =>  This Inner Loop Header: Depth=2
	v_cmp_eq_u32_e32 vcc, s9, v13
	s_and_saveexec_b64 s[14:15], vcc
	s_cbranch_execz .LBB244_10
; %bb.12:                               ;   in Loop: Header=BB244_11 Depth=2
	v_add_f32_e32 v12, v12, v15
	global_store_dword v[8:9], v13, off offset:4
	s_branch .LBB244_10
.LBB244_13:                             ;   in Loop: Header=BB244_5 Depth=1
	s_or_b64 exec, exec, s[12:13]
	global_load_dword v13, v[6:7], off offset:8
	s_mov_b32 s9, 0
	s_mov_b64 s[12:13], 0
	s_waitcnt vmcnt(0)
	v_cmp_eq_u32_e32 vcc, 0, v13
	s_nop 1
	v_cndmask_b32_e64 v14, 2, 1, vcc
	v_cmp_eq_u32_e32 vcc, 1, v13
	s_nop 1
	v_cndmask_b32_e32 v15, v11, v10, vcc
	s_branch .LBB244_15
.LBB244_14:                             ;   in Loop: Header=BB244_15 Depth=2
	s_or_b64 exec, exec, s[14:15]
	s_add_i32 s9, s9, 1
	v_cmp_eq_u32_e32 vcc, s9, v14
	s_or_b64 s[12:13], vcc, s[12:13]
	s_andn2_b64 exec, exec, s[12:13]
	s_cbranch_execz .LBB244_17
.LBB244_15:                             ;   Parent Loop BB244_5 Depth=1
                                        ; =>  This Inner Loop Header: Depth=2
	v_cmp_eq_u32_e32 vcc, s9, v13
	s_and_saveexec_b64 s[14:15], vcc
	s_cbranch_execz .LBB244_14
; %bb.16:                               ;   in Loop: Header=BB244_15 Depth=2
	v_add_f32_e32 v12, v12, v15
	global_store_dword v[8:9], v13, off offset:8
	s_branch .LBB244_14
.LBB244_17:                             ;   in Loop: Header=BB244_5 Depth=1
	s_or_b64 exec, exec, s[12:13]
	global_load_dword v6, v[6:7], off offset:12
	s_mov_b32 s9, 0
	s_mov_b64 s[12:13], 0
	s_waitcnt vmcnt(0)
	v_cmp_eq_u32_e32 vcc, 0, v6
	s_nop 1
	v_cndmask_b32_e64 v7, 2, 1, vcc
	v_cmp_eq_u32_e32 vcc, 1, v6
	s_nop 1
	v_cndmask_b32_e32 v13, v11, v10, vcc
	s_branch .LBB244_19
.LBB244_18:                             ;   in Loop: Header=BB244_19 Depth=2
	s_or_b64 exec, exec, s[14:15]
	s_add_i32 s9, s9, 1
	v_cmp_eq_u32_e32 vcc, s9, v7
	s_or_b64 s[12:13], vcc, s[12:13]
	s_andn2_b64 exec, exec, s[12:13]
	s_cbranch_execz .LBB244_4
.LBB244_19:                             ;   Parent Loop BB244_5 Depth=1
                                        ; =>  This Inner Loop Header: Depth=2
	v_cmp_eq_u32_e32 vcc, s9, v6
	s_and_saveexec_b64 s[14:15], vcc
	s_cbranch_execz .LBB244_18
; %bb.20:                               ;   in Loop: Header=BB244_19 Depth=2
	v_add_f32_e32 v12, v12, v13
	global_store_dword v[8:9], v6, off offset:12
	s_branch .LBB244_18
.LBB244_21:
	v_mov_b32_e32 v12, v1
	s_branch .LBB244_30
.LBB244_22:
	v_mov_b32_e32 v12, v1
.LBB244_23:
	s_and_b32 s14, s16, 3
	s_cmp_eq_u32 s14, 0
	s_mov_b32 s9, 0
	s_cbranch_scc1 .LBB244_30
; %bb.24:
	s_mov_b32 s15, s9
	s_branch .LBB244_26
.LBB244_25:                             ;   in Loop: Header=BB244_26 Depth=1
	s_or_b64 exec, exec, s[4:5]
	s_add_i32 s8, s8, 1
	s_add_i32 s15, s15, 1
	s_cmp_lg_u32 s15, s14
	s_cbranch_scc0 .LBB244_30
.LBB244_26:                             ; =>This Loop Header: Depth=1
                                        ;     Child Loop BB244_28 Depth 2
	v_lshl_add_u64 v[6:7], s[8:9], 2, v[2:3]
	global_load_dword v5, v[6:7], off
	v_add_u32_e32 v6, s8, v4
	v_ashrrev_i32_e32 v7, 31, v6
	s_mov_b32 s17, 0
	s_waitcnt lgkmcnt(0)
	v_lshl_add_u64 v[6:7], v[6:7], 2, s[2:3]
	s_mov_b64 s[4:5], 0
	s_waitcnt vmcnt(0)
	v_cmp_eq_u32_e32 vcc, 0, v5
	s_nop 1
	v_cndmask_b32_e64 v8, 2, 1, vcc
	v_cmp_eq_u32_e32 vcc, 1, v5
	s_nop 1
	v_cndmask_b32_e32 v9, v11, v10, vcc
	s_branch .LBB244_28
.LBB244_27:                             ;   in Loop: Header=BB244_28 Depth=2
	s_or_b64 exec, exec, s[12:13]
	s_add_i32 s17, s17, 1
	v_cmp_eq_u32_e32 vcc, s17, v8
	s_or_b64 s[4:5], vcc, s[4:5]
	s_andn2_b64 exec, exec, s[4:5]
	s_cbranch_execz .LBB244_25
.LBB244_28:                             ;   Parent Loop BB244_26 Depth=1
                                        ; =>  This Inner Loop Header: Depth=2
	v_cmp_eq_u32_e32 vcc, s17, v5
	s_and_saveexec_b64 s[12:13], vcc
	s_cbranch_execz .LBB244_27
; %bb.29:                               ;   in Loop: Header=BB244_28 Depth=2
	v_add_f32_e32 v12, v12, v9
	global_store_dword v[6:7], v5, off
	s_branch .LBB244_27
.LBB244_30:
	s_load_dword s4, s[0:1], 0x3c
	s_waitcnt lgkmcnt(0)
	s_load_dwordx2 s[2:3], s[0:1], 0x40
	s_bitcmp1_b32 s4, 0
	s_cselect_b64 s[4:5], -1, 0
	s_waitcnt lgkmcnt(0)
	v_cvt_f32_f64_e32 v13, s[2:3]
	s_and_b64 vcc, exec, s[4:5]
	s_cbranch_vccz .LBB244_32
; %bb.31:
	v_cmp_lt_f32_e32 vcc, 0, v12
	s_nop 1
	v_cndmask_b32_e32 v5, 1.0, v12, vcc
	v_div_scale_f32 v6, s[2:3], v5, v5, v13
	v_rcp_f32_e32 v7, v6
	s_nop 0
	v_fma_f32 v8, -v6, v7, 1.0
	v_fmac_f32_e32 v7, v8, v7
	v_div_scale_f32 v8, vcc, v13, v5, v13
	v_mul_f32_e32 v9, v8, v7
	v_fma_f32 v12, -v6, v9, v8
	v_fmac_f32_e32 v9, v12, v7
	v_fma_f32 v6, -v6, v9, v8
	v_div_fmas_f32 v6, v6, v7, v9
	v_div_fixup_f32 v13, v6, v5, v13
.LBB244_32:
	s_andn2_b64 vcc, exec, s[10:11]
	s_cbranch_vccnz .LBB244_57
; %bb.33:
	s_load_dwordx2 s[0:1], s[0:1], 0x10
	s_cmp_lt_u32 s16, 8
	s_mov_b32 s2, 0
	s_cbranch_scc1 .LBB244_52
; %bb.34:
	v_ashrrev_i32_e32 v5, 31, v4
	s_and_b32 s2, s16, 0x7ffffff8
	s_waitcnt lgkmcnt(0)
	v_lshl_add_u64 v[6:7], v[4:5], 2, s[0:1]
	s_mov_b32 s3, 0
	s_mov_b64 s[4:5], 0
	s_branch .LBB244_36
.LBB244_35:                             ;   in Loop: Header=BB244_36 Depth=1
	s_or_b64 exec, exec, s[8:9]
	s_add_i32 s3, s3, 8
	s_add_u32 s4, s4, 32
	s_addc_u32 s5, s5, 0
	s_cmp_lg_u32 s2, s3
	s_cbranch_scc0 .LBB244_52
.LBB244_36:                             ; =>This Inner Loop Header: Depth=1
	v_lshl_add_u64 v[8:9], v[2:3], 0, s[4:5]
	global_load_dword v5, v[8:9], off
	s_waitcnt vmcnt(0)
	v_cmp_gt_u32_e32 vcc, 2, v5
	s_and_saveexec_b64 s[8:9], vcc
	s_cbranch_execz .LBB244_38
; %bb.37:                               ;   in Loop: Header=BB244_36 Depth=1
	v_add_u32_e32 v14, s3, v4
	v_cmp_eq_u32_e32 vcc, 1, v5
	v_ashrrev_i32_e32 v15, 31, v14
	v_lshl_add_u64 v[14:15], v[14:15], 2, s[0:1]
	v_cndmask_b32_e32 v5, v11, v10, vcc
	v_mul_f32_e32 v5, v13, v5
	global_store_dword v[14:15], v5, off
.LBB244_38:                             ;   in Loop: Header=BB244_36 Depth=1
	s_or_b64 exec, exec, s[8:9]
	global_load_dword v5, v[8:9], off offset:4
	s_waitcnt vmcnt(0)
	v_cmp_gt_u32_e32 vcc, 2, v5
	s_and_saveexec_b64 s[8:9], vcc
	s_cbranch_execz .LBB244_40
; %bb.39:                               ;   in Loop: Header=BB244_36 Depth=1
	v_cmp_eq_u32_e32 vcc, 1, v5
	v_lshl_add_u64 v[14:15], v[6:7], 0, s[4:5]
	s_nop 0
	v_cndmask_b32_e32 v5, v11, v10, vcc
	v_mul_f32_e32 v5, v13, v5
	global_store_dword v[14:15], v5, off offset:4
.LBB244_40:                             ;   in Loop: Header=BB244_36 Depth=1
	s_or_b64 exec, exec, s[8:9]
	global_load_dword v5, v[8:9], off offset:8
	s_waitcnt vmcnt(0)
	v_cmp_gt_u32_e32 vcc, 2, v5
	s_and_saveexec_b64 s[8:9], vcc
	s_cbranch_execz .LBB244_42
; %bb.41:                               ;   in Loop: Header=BB244_36 Depth=1
	v_cmp_eq_u32_e32 vcc, 1, v5
	v_lshl_add_u64 v[14:15], v[6:7], 0, s[4:5]
	s_nop 0
	v_cndmask_b32_e32 v5, v11, v10, vcc
	v_mul_f32_e32 v5, v13, v5
	global_store_dword v[14:15], v5, off offset:8
.LBB244_42:                             ;   in Loop: Header=BB244_36 Depth=1
	;; [unrolled: 14-line block ×6, first 2 shown]
	s_or_b64 exec, exec, s[8:9]
	global_load_dword v5, v[8:9], off offset:28
	s_waitcnt vmcnt(0)
	v_cmp_gt_u32_e32 vcc, 2, v5
	s_and_saveexec_b64 s[8:9], vcc
	s_cbranch_execz .LBB244_35
; %bb.51:                               ;   in Loop: Header=BB244_36 Depth=1
	v_cmp_eq_u32_e32 vcc, 1, v5
	v_lshl_add_u64 v[8:9], v[6:7], 0, s[4:5]
	s_nop 0
	v_cndmask_b32_e32 v5, v11, v10, vcc
	v_mul_f32_e32 v5, v13, v5
	global_store_dword v[8:9], v5, off offset:28
	s_branch .LBB244_35
.LBB244_52:
	s_and_b32 s4, s16, 7
	s_cmp_eq_u32 s4, 0
	s_mov_b32 s3, 0
	s_cbranch_scc1 .LBB244_57
; %bb.53:
	v_add_u32_e32 v2, s2, v4
	s_lshl_b64 s[2:3], s[2:3], 2
	s_add_u32 s2, s6, s2
	s_addc_u32 s3, s7, s3
	v_lshl_add_u64 v[0:1], v[0:1], 2, s[2:3]
	s_branch .LBB244_55
.LBB244_54:                             ;   in Loop: Header=BB244_55 Depth=1
	s_or_b64 exec, exec, s[2:3]
	s_add_i32 s4, s4, -1
	v_add_u32_e32 v2, 1, v2
	s_cmp_lg_u32 s4, 0
	v_lshl_add_u64 v[0:1], v[0:1], 0, 4
	s_cbranch_scc0 .LBB244_57
.LBB244_55:                             ; =>This Inner Loop Header: Depth=1
	global_load_dword v3, v[0:1], off
	s_waitcnt vmcnt(0)
	v_cmp_gt_u32_e32 vcc, 2, v3
	s_and_saveexec_b64 s[2:3], vcc
	s_cbranch_execz .LBB244_54
; %bb.56:                               ;   in Loop: Header=BB244_55 Depth=1
	v_cmp_eq_u32_e32 vcc, 1, v3
	s_nop 1
	v_cndmask_b32_e32 v3, v11, v10, vcc
	v_mul_f32_e32 v6, v13, v3
	v_ashrrev_i32_e32 v3, 31, v2
	s_waitcnt lgkmcnt(0)
	v_lshl_add_u64 v[4:5], v[2:3], 2, s[0:1]
	global_store_dword v[4:5], v6, off
	s_branch .LBB244_54
.LBB244_57:
	s_endpgm
	.section	.rodata,"a",@progbits
	.p2align	6, 0x0
	.amdhsa_kernel _ZN4vllm3moe22topkGatingSoftplusSqrtILi2ELi2ELi4ELi4ELi64ELb1Ej6__halfEEvPKT6_PKbPfiPT5_PiiiibdPKfPKS9_SF_
		.amdhsa_group_segment_fixed_size 0
		.amdhsa_private_segment_fixed_size 0
		.amdhsa_kernarg_size 96
		.amdhsa_user_sgpr_count 2
		.amdhsa_user_sgpr_dispatch_ptr 0
		.amdhsa_user_sgpr_queue_ptr 0
		.amdhsa_user_sgpr_kernarg_segment_ptr 1
		.amdhsa_user_sgpr_dispatch_id 0
		.amdhsa_user_sgpr_kernarg_preload_length 0
		.amdhsa_user_sgpr_kernarg_preload_offset 0
		.amdhsa_user_sgpr_private_segment_size 0
		.amdhsa_uses_dynamic_stack 0
		.amdhsa_enable_private_segment 0
		.amdhsa_system_sgpr_workgroup_id_x 1
		.amdhsa_system_sgpr_workgroup_id_y 0
		.amdhsa_system_sgpr_workgroup_id_z 0
		.amdhsa_system_sgpr_workgroup_info 0
		.amdhsa_system_vgpr_workitem_id 1
		.amdhsa_next_free_vgpr 18
		.amdhsa_next_free_sgpr 18
		.amdhsa_accum_offset 20
		.amdhsa_reserve_vcc 1
		.amdhsa_float_round_mode_32 0
		.amdhsa_float_round_mode_16_64 0
		.amdhsa_float_denorm_mode_32 3
		.amdhsa_float_denorm_mode_16_64 3
		.amdhsa_dx10_clamp 1
		.amdhsa_ieee_mode 1
		.amdhsa_fp16_overflow 0
		.amdhsa_tg_split 0
		.amdhsa_exception_fp_ieee_invalid_op 0
		.amdhsa_exception_fp_denorm_src 0
		.amdhsa_exception_fp_ieee_div_zero 0
		.amdhsa_exception_fp_ieee_overflow 0
		.amdhsa_exception_fp_ieee_underflow 0
		.amdhsa_exception_fp_ieee_inexact 0
		.amdhsa_exception_int_div_zero 0
	.end_amdhsa_kernel
	.section	.text._ZN4vllm3moe22topkGatingSoftplusSqrtILi2ELi2ELi4ELi4ELi64ELb1Ej6__halfEEvPKT6_PKbPfiPT5_PiiiibdPKfPKS9_SF_,"axG",@progbits,_ZN4vllm3moe22topkGatingSoftplusSqrtILi2ELi2ELi4ELi4ELi64ELb1Ej6__halfEEvPKT6_PKbPfiPT5_PiiiibdPKfPKS9_SF_,comdat
.Lfunc_end244:
	.size	_ZN4vllm3moe22topkGatingSoftplusSqrtILi2ELi2ELi4ELi4ELi64ELb1Ej6__halfEEvPKT6_PKbPfiPT5_PiiiibdPKfPKS9_SF_, .Lfunc_end244-_ZN4vllm3moe22topkGatingSoftplusSqrtILi2ELi2ELi4ELi4ELi64ELb1Ej6__halfEEvPKT6_PKbPfiPT5_PiiiibdPKfPKS9_SF_
                                        ; -- End function
	.section	.AMDGPU.csdata,"",@progbits
; Kernel info:
; codeLenInByte = 2288
; NumSgprs: 24
; NumVgprs: 18
; NumAgprs: 0
; TotalNumVgprs: 18
; ScratchSize: 0
; MemoryBound: 0
; FloatMode: 240
; IeeeMode: 1
; LDSByteSize: 0 bytes/workgroup (compile time only)
; SGPRBlocks: 2
; VGPRBlocks: 2
; NumSGPRsForWavesPerEU: 24
; NumVGPRsForWavesPerEU: 18
; AccumOffset: 20
; Occupancy: 8
; WaveLimiterHint : 1
; COMPUTE_PGM_RSRC2:SCRATCH_EN: 0
; COMPUTE_PGM_RSRC2:USER_SGPR: 2
; COMPUTE_PGM_RSRC2:TRAP_HANDLER: 0
; COMPUTE_PGM_RSRC2:TGID_X_EN: 1
; COMPUTE_PGM_RSRC2:TGID_Y_EN: 0
; COMPUTE_PGM_RSRC2:TGID_Z_EN: 0
; COMPUTE_PGM_RSRC2:TIDIG_COMP_CNT: 1
; COMPUTE_PGM_RSRC3_GFX90A:ACCUM_OFFSET: 4
; COMPUTE_PGM_RSRC3_GFX90A:TG_SPLIT: 0
	.section	.text._ZN4vllm3moe22topkGatingSoftplusSqrtILi2ELi2ELi4ELi4ELi64ELb0Ej6__halfEEvPKT6_PKbPfiPT5_PiiiibdPKfPKS9_SF_,"axG",@progbits,_ZN4vllm3moe22topkGatingSoftplusSqrtILi2ELi2ELi4ELi4ELi64ELb0Ej6__halfEEvPKT6_PKbPfiPT5_PiiiibdPKfPKS9_SF_,comdat
	.protected	_ZN4vllm3moe22topkGatingSoftplusSqrtILi2ELi2ELi4ELi4ELi64ELb0Ej6__halfEEvPKT6_PKbPfiPT5_PiiiibdPKfPKS9_SF_ ; -- Begin function _ZN4vllm3moe22topkGatingSoftplusSqrtILi2ELi2ELi4ELi4ELi64ELb0Ej6__halfEEvPKT6_PKbPfiPT5_PiiiibdPKfPKS9_SF_
	.globl	_ZN4vllm3moe22topkGatingSoftplusSqrtILi2ELi2ELi4ELi4ELi64ELb0Ej6__halfEEvPKT6_PKbPfiPT5_PiiiibdPKfPKS9_SF_
	.p2align	8
	.type	_ZN4vllm3moe22topkGatingSoftplusSqrtILi2ELi2ELi4ELi4ELi64ELb0Ej6__halfEEvPKT6_PKbPfiPT5_PiiiibdPKfPKS9_SF_,@function
_ZN4vllm3moe22topkGatingSoftplusSqrtILi2ELi2ELi4ELi4ELi64ELb0Ej6__halfEEvPKT6_PKbPfiPT5_PiiiibdPKfPKS9_SF_: ; @_ZN4vllm3moe22topkGatingSoftplusSqrtILi2ELi2ELi4ELi4ELi64ELb0Ej6__halfEEvPKT6_PKbPfiPT5_PiiiibdPKfPKS9_SF_
; %bb.0:
	s_load_dword s24, s[0:1], 0x18
	v_bfe_u32 v1, v0, 10, 10
	s_lshl_b32 s2, s2, 8
	v_lshlrev_b32_e32 v1, 6, v1
	v_and_b32_e32 v0, 0x3ff, v0
	v_add3_u32 v0, v1, v0, s2
	s_waitcnt lgkmcnt(0)
	v_cmp_gt_i32_e32 vcc, s24, v0
	s_and_saveexec_b64 s[2:3], vcc
	s_cbranch_execz .LBB245_28
; %bb.1:
	s_load_dwordx4 s[4:7], s[0:1], 0x0
	s_load_dwordx2 s[16:17], s[0:1], 0x10
	s_waitcnt lgkmcnt(0)
	s_cmp_eq_u64 s[6:7], 0
	s_cbranch_scc1 .LBB245_3
; %bb.2:
	v_ashrrev_i32_e32 v1, 31, v0
	v_lshl_add_u64 v[2:3], s[6:7], 0, v[0:1]
	global_load_ubyte v1, v[2:3], off
	s_waitcnt vmcnt(0)
	v_and_b32_e32 v1, 1, v1
	v_cmp_eq_u32_e32 vcc, 1, v1
	s_xor_b64 s[2:3], vcc, -1
	s_orn2_b64 s[18:19], s[2:3], exec
	s_branch .LBB245_4
.LBB245_3:
	s_mov_b64 s[18:19], -1
.LBB245_4:
	v_lshlrev_b32_e32 v4, 1, v0
	v_mov_b32_e32 v2, s4
	v_mov_b32_e32 v3, s5
	v_ashrrev_i32_e32 v5, 31, v4
	v_lshl_add_u64 v[2:3], v[4:5], 1, v[2:3]
	global_load_dword v1, v[2:3], off
	s_mov_b32 s13, 0x800000
	v_mov_b32_e32 v3, 0x4f800000
	s_mov_b32 s7, 0x3f317217
	s_mov_b32 s12, 0x7f800000
	v_mov_b32_e32 v5, 0x41b17218
	s_movk_i32 s6, 0x4d00
	s_mov_b32 s14, 0xf800000
	s_load_dwordx4 s[8:11], s[0:1], 0x40
	s_waitcnt lgkmcnt(0)
	s_cmp_lg_u64 s[10:11], 0
	s_cselect_b64 s[20:21], -1, 0
	s_and_b64 s[2:3], exec, s[20:21]
	s_waitcnt vmcnt(0)
	v_cvt_f32_f16_e32 v4, v1
	v_mul_f32_e32 v2, 0x3fb8aa3b, v4
	v_exp_f32_e32 v2, v2
	s_nop 0
	v_add_f32_e32 v2, 1.0, v2
	v_cmp_gt_f32_e32 vcc, s13, v2
	s_nop 1
	v_cndmask_b32_e32 v6, 1.0, v3, vcc
	v_mul_f32_e32 v2, v2, v6
	v_log_f32_e32 v6, v2
	v_cndmask_b32_e32 v7, 0, v5, vcc
	v_mov_b32_e32 v2, 0x260
	v_mul_f32_e32 v8, 0x3f317217, v6
	v_fma_f32 v8, v6, s7, -v8
	v_fmac_f32_e32 v8, 0x3377d1cf, v6
	v_fmac_f32_e32 v8, 0x3f317217, v6
	v_cmp_lt_f32_e64 vcc, |v6|, s12
	s_nop 1
	v_cndmask_b32_e32 v6, v6, v8, vcc
	v_sub_f32_e32 v6, v6, v7
	v_cmp_lt_f16_e32 vcc, s6, v1
	s_nop 1
	v_cndmask_b32_e32 v4, v6, v4, vcc
	v_mul_f32_e32 v6, 0x4f800000, v4
	v_cmp_gt_f32_e32 vcc, s14, v4
	s_nop 1
	v_cndmask_b32_e32 v4, v4, v6, vcc
	v_sqrt_f32_e32 v6, v4
	s_nop 0
	v_add_u32_e32 v7, -1, v6
	v_add_u32_e32 v8, 1, v6
	v_fma_f32 v9, -v7, v6, v4
	v_fma_f32 v10, -v8, v6, v4
	v_cmp_ge_f32_e64 s[4:5], 0, v9
	s_nop 1
	v_cndmask_b32_e64 v6, v6, v7, s[4:5]
	v_cmp_lt_f32_e64 s[4:5], 0, v10
	s_nop 1
	v_cndmask_b32_e64 v6, v6, v8, s[4:5]
	v_mul_f32_e32 v7, 0x37800000, v6
	v_cndmask_b32_e32 v6, v6, v7, vcc
	v_cmp_class_f32_e32 vcc, v4, v2
	s_nop 1
	v_cndmask_b32_e32 v4, v6, v4, vcc
	s_mov_b64 vcc, s[2:3]
	s_cbranch_vccz .LBB245_6
; %bb.5:
	s_load_dword s2, s[10:11], 0x0
	s_waitcnt lgkmcnt(0)
	v_add_f32_e32 v4, s2, v4
.LBB245_6:
	v_cvt_f32_f16_sdwa v6, v1 dst_sel:DWORD dst_unused:UNUSED_PAD src0_sel:WORD_1
	v_mul_f32_e32 v7, 0x3fb8aa3b, v6
	v_exp_f32_e32 v7, v7
	s_nop 0
	v_add_f32_e32 v7, 1.0, v7
	v_cmp_gt_f32_e32 vcc, s13, v7
	s_nop 1
	v_cndmask_b32_e32 v3, 1.0, v3, vcc
	v_mul_f32_e32 v3, v7, v3
	v_log_f32_e32 v3, v3
	v_cndmask_b32_e32 v5, 0, v5, vcc
	v_mul_f32_e32 v7, 0x3f317217, v3
	v_fma_f32 v7, v3, s7, -v7
	v_fmac_f32_e32 v7, 0x3377d1cf, v3
	v_fmac_f32_e32 v7, 0x3f317217, v3
	v_cmp_lt_f32_e64 vcc, |v3|, s12
	s_nop 1
	v_cndmask_b32_e32 v3, v3, v7, vcc
	v_sub_f32_e32 v3, v3, v5
	v_cmp_gt_f16_sdwa vcc, v1, s6 src0_sel:WORD_1 src1_sel:DWORD
	s_nop 1
	v_cndmask_b32_e32 v1, v3, v6, vcc
	v_mul_f32_e32 v3, 0x4f800000, v1
	v_cmp_gt_f32_e64 s[2:3], s14, v1
	s_andn2_b64 vcc, exec, s[20:21]
	s_nop 0
	v_cndmask_b32_e64 v1, v1, v3, s[2:3]
	v_sqrt_f32_e32 v3, v1
	s_nop 0
	v_add_u32_e32 v5, -1, v3
	v_add_u32_e32 v6, 1, v3
	v_fma_f32 v7, -v5, v3, v1
	v_fma_f32 v8, -v6, v3, v1
	v_cmp_ge_f32_e64 s[4:5], 0, v7
	s_nop 1
	v_cndmask_b32_e64 v3, v3, v5, s[4:5]
	v_cmp_lt_f32_e64 s[4:5], 0, v8
	s_nop 1
	v_cndmask_b32_e64 v3, v3, v6, s[4:5]
	v_mul_f32_e32 v5, 0x37800000, v3
	v_cndmask_b32_e64 v3, v3, v5, s[2:3]
	v_cmp_class_f32_e64 s[2:3], v1, v2
	s_nop 1
	v_cndmask_b32_e64 v1, v3, v1, s[2:3]
	s_cbranch_vccnz .LBB245_8
; %bb.7:
	s_load_dword s2, s[10:11], 0x4
	s_waitcnt lgkmcnt(0)
	v_add_f32_e32 v1, s2, v1
.LBB245_8:
	s_load_dwordx4 s[4:7], s[0:1], 0x30
	s_mov_b32 s25, 0
	s_waitcnt lgkmcnt(0)
	s_bitcmp1_b32 s7, 0
	s_cselect_b64 s[2:3], -1, 0
	s_cmp_gt_i32 s4, 0
	s_cselect_b64 s[22:23], -1, 0
	s_and_b64 vcc, exec, s[22:23]
	v_mul_lo_u32 v2, v0, s4
	s_cbranch_vccz .LBB245_15
; %bb.9:
	s_load_dwordx4 s[12:15], s[0:1], 0x20
	v_mov_b32_e32 v3, 0
	v_mov_b32_e32 v5, 0xc61c4000
	s_branch .LBB245_11
.LBB245_10:                             ;   in Loop: Header=BB245_11 Depth=1
	v_add_u32_e32 v8, s25, v2
	v_ashrrev_i32_e32 v9, 31, v8
	v_cmp_le_i32_e32 vcc, s5, v6
	v_cmp_gt_i32_e64 s[0:1], s6, v6
	v_lshlrev_b64 v[8:9], 2, v[8:9]
	s_and_b64 s[0:1], vcc, s[0:1]
	v_lshl_add_u64 v[10:11], s[16:17], 0, v[8:9]
	global_store_dword v[10:11], v7, off
	v_subrev_u32_e32 v10, s5, v6
	s_and_b64 vcc, s[18:19], s[0:1]
	v_cndmask_b32_e32 v12, 2, v10, vcc
	v_add_f32_e32 v7, v3, v7
	s_add_i32 s25, s25, 1
	v_cmp_ne_u32_e32 vcc, 0, v6
	v_cndmask_b32_e64 v3, v3, v7, s[2:3]
	s_cmp_lt_i32 s25, s4
	v_cndmask_b32_e32 v7, v5, v4, vcc
	v_cmp_ne_u32_e32 vcc, 1, v6
	s_waitcnt lgkmcnt(0)
	v_lshl_add_u64 v[10:11], s[12:13], 0, v[8:9]
	v_lshl_add_u64 v[8:9], s[14:15], 0, v[8:9]
	v_cndmask_b32_e32 v6, v5, v1, vcc
	s_cselect_b64 vcc, -1, 0
	global_store_dword v[10:11], v12, off
	global_store_dword v[8:9], v0, off
	v_cndmask_b32_e32 v1, v1, v6, vcc
	v_cndmask_b32_e32 v4, v4, v7, vcc
	s_cmp_lg_u32 s4, s25
	v_add_u32_e32 v0, s24, v0
	s_cbranch_scc0 .LBB245_16
.LBB245_11:                             ; =>This Inner Loop Header: Depth=1
	v_cmp_gt_f32_e32 vcc, v1, v4
	s_and_b64 s[0:1], exec, s[20:21]
	s_nop 0
	v_cndmask_b32_e32 v8, v4, v1, vcc
	v_cndmask_b32_e64 v6, 0, 1, vcc
	s_mov_b64 vcc, s[0:1]
	s_cbranch_vccz .LBB245_13
; %bb.12:                               ;   in Loop: Header=BB245_11 Depth=1
	v_lshlrev_b32_e32 v7, 2, v6
	global_load_dword v7, v7, s[10:11]
	s_waitcnt vmcnt(0)
	v_sub_f32_e32 v7, v8, v7
	s_cbranch_execnz .LBB245_10
	s_branch .LBB245_14
.LBB245_13:                             ;   in Loop: Header=BB245_11 Depth=1
                                        ; implicit-def: $vgpr7
.LBB245_14:                             ;   in Loop: Header=BB245_11 Depth=1
	v_mov_b32_e32 v7, v8
	s_branch .LBB245_10
.LBB245_15:
	v_mov_b32_e32 v3, 0
.LBB245_16:
	s_andn2_b64 vcc, exec, s[2:3]
	v_cvt_f32_f64_e32 v0, s[8:9]
	s_cbranch_vccnz .LBB245_18
; %bb.17:
	v_cmp_lt_f32_e32 vcc, 0, v3
	s_nop 1
	v_cndmask_b32_e32 v1, 1.0, v3, vcc
	v_div_scale_f32 v3, s[0:1], v1, v1, v0
	v_rcp_f32_e32 v4, v3
	s_nop 0
	v_fma_f32 v5, -v3, v4, 1.0
	v_fmac_f32_e32 v4, v5, v4
	v_div_scale_f32 v5, vcc, v0, v1, v0
	v_mul_f32_e32 v6, v5, v4
	v_fma_f32 v7, -v3, v6, v5
	v_fmac_f32_e32 v6, v7, v4
	v_fma_f32 v3, -v3, v6, v5
	v_div_fmas_f32 v3, v3, v4, v6
	v_div_fixup_f32 v0, v3, v1, v0
.LBB245_18:
	s_andn2_b64 vcc, exec, s[22:23]
	s_cbranch_vccnz .LBB245_28
; %bb.19:
	s_cmp_gt_u32 s4, 3
	v_ashrrev_i32_e32 v3, 31, v2
	s_cbranch_scc0 .LBB245_23
; %bb.20:
	s_and_b32 s0, s4, 0x7ffffffc
	v_lshl_add_u64 v[4:5], v[2:3], 2, s[16:17]
	v_mov_b32_e32 v1, v0
	v_lshl_add_u64 v[4:5], v[4:5], 0, 8
	s_mov_b32 s1, s0
.LBB245_21:                             ; =>This Inner Loop Header: Depth=1
	global_load_dwordx4 v[6:9], v[4:5], off offset:-8
	s_add_i32 s1, s1, -4
	s_cmp_lg_u32 s1, 0
	s_waitcnt vmcnt(0)
	v_pk_mul_f32 v[6:7], v[0:1], v[6:7]
	v_pk_mul_f32 v[8:9], v[0:1], v[8:9]
	global_store_dwordx4 v[4:5], v[6:9], off offset:-8
	v_lshl_add_u64 v[4:5], v[4:5], 0, 16
	s_cbranch_scc1 .LBB245_21
; %bb.22:
	s_cmp_lg_u32 s0, s4
	s_cselect_b64 s[2:3], -1, 0
	s_branch .LBB245_25
.LBB245_23:
	s_mov_b64 s[2:3], 0
                                        ; implicit-def: $sgpr0
	s_cbranch_execz .LBB245_25
; %bb.24:
	s_mov_b64 s[2:3], -1
	s_mov_b32 s0, 0
.LBB245_25:
	s_andn2_b64 vcc, exec, s[2:3]
	s_cbranch_vccnz .LBB245_28
; %bb.26:
	s_mov_b32 s1, 0
	v_lshl_add_u64 v[2:3], v[2:3], 0, s[0:1]
	s_sub_i32 s2, s4, s0
	v_lshl_add_u64 v[2:3], v[2:3], 2, s[16:17]
.LBB245_27:                             ; =>This Inner Loop Header: Depth=1
	global_load_dword v1, v[2:3], off
	s_add_i32 s2, s2, -1
	s_cmp_lg_u32 s2, 0
	s_waitcnt vmcnt(0)
	v_mul_f32_e32 v1, v0, v1
	global_store_dword v[2:3], v1, off
	v_lshl_add_u64 v[2:3], v[2:3], 0, 4
	s_cbranch_scc1 .LBB245_27
.LBB245_28:
	s_endpgm
	.section	.rodata,"a",@progbits
	.p2align	6, 0x0
	.amdhsa_kernel _ZN4vllm3moe22topkGatingSoftplusSqrtILi2ELi2ELi4ELi4ELi64ELb0Ej6__halfEEvPKT6_PKbPfiPT5_PiiiibdPKfPKS9_SF_
		.amdhsa_group_segment_fixed_size 0
		.amdhsa_private_segment_fixed_size 0
		.amdhsa_kernarg_size 96
		.amdhsa_user_sgpr_count 2
		.amdhsa_user_sgpr_dispatch_ptr 0
		.amdhsa_user_sgpr_queue_ptr 0
		.amdhsa_user_sgpr_kernarg_segment_ptr 1
		.amdhsa_user_sgpr_dispatch_id 0
		.amdhsa_user_sgpr_kernarg_preload_length 0
		.amdhsa_user_sgpr_kernarg_preload_offset 0
		.amdhsa_user_sgpr_private_segment_size 0
		.amdhsa_uses_dynamic_stack 0
		.amdhsa_enable_private_segment 0
		.amdhsa_system_sgpr_workgroup_id_x 1
		.amdhsa_system_sgpr_workgroup_id_y 0
		.amdhsa_system_sgpr_workgroup_id_z 0
		.amdhsa_system_sgpr_workgroup_info 0
		.amdhsa_system_vgpr_workitem_id 1
		.amdhsa_next_free_vgpr 13
		.amdhsa_next_free_sgpr 26
		.amdhsa_accum_offset 16
		.amdhsa_reserve_vcc 1
		.amdhsa_float_round_mode_32 0
		.amdhsa_float_round_mode_16_64 0
		.amdhsa_float_denorm_mode_32 3
		.amdhsa_float_denorm_mode_16_64 3
		.amdhsa_dx10_clamp 1
		.amdhsa_ieee_mode 1
		.amdhsa_fp16_overflow 0
		.amdhsa_tg_split 0
		.amdhsa_exception_fp_ieee_invalid_op 0
		.amdhsa_exception_fp_denorm_src 0
		.amdhsa_exception_fp_ieee_div_zero 0
		.amdhsa_exception_fp_ieee_overflow 0
		.amdhsa_exception_fp_ieee_underflow 0
		.amdhsa_exception_fp_ieee_inexact 0
		.amdhsa_exception_int_div_zero 0
	.end_amdhsa_kernel
	.section	.text._ZN4vllm3moe22topkGatingSoftplusSqrtILi2ELi2ELi4ELi4ELi64ELb0Ej6__halfEEvPKT6_PKbPfiPT5_PiiiibdPKfPKS9_SF_,"axG",@progbits,_ZN4vllm3moe22topkGatingSoftplusSqrtILi2ELi2ELi4ELi4ELi64ELb0Ej6__halfEEvPKT6_PKbPfiPT5_PiiiibdPKfPKS9_SF_,comdat
.Lfunc_end245:
	.size	_ZN4vllm3moe22topkGatingSoftplusSqrtILi2ELi2ELi4ELi4ELi64ELb0Ej6__halfEEvPKT6_PKbPfiPT5_PiiiibdPKfPKS9_SF_, .Lfunc_end245-_ZN4vllm3moe22topkGatingSoftplusSqrtILi2ELi2ELi4ELi4ELi64ELb0Ej6__halfEEvPKT6_PKbPfiPT5_PiiiibdPKfPKS9_SF_
                                        ; -- End function
	.section	.AMDGPU.csdata,"",@progbits
; Kernel info:
; codeLenInByte = 1400
; NumSgprs: 32
; NumVgprs: 13
; NumAgprs: 0
; TotalNumVgprs: 13
; ScratchSize: 0
; MemoryBound: 0
; FloatMode: 240
; IeeeMode: 1
; LDSByteSize: 0 bytes/workgroup (compile time only)
; SGPRBlocks: 3
; VGPRBlocks: 1
; NumSGPRsForWavesPerEU: 32
; NumVGPRsForWavesPerEU: 13
; AccumOffset: 16
; Occupancy: 8
; WaveLimiterHint : 0
; COMPUTE_PGM_RSRC2:SCRATCH_EN: 0
; COMPUTE_PGM_RSRC2:USER_SGPR: 2
; COMPUTE_PGM_RSRC2:TRAP_HANDLER: 0
; COMPUTE_PGM_RSRC2:TGID_X_EN: 1
; COMPUTE_PGM_RSRC2:TGID_Y_EN: 0
; COMPUTE_PGM_RSRC2:TGID_Z_EN: 0
; COMPUTE_PGM_RSRC2:TIDIG_COMP_CNT: 1
; COMPUTE_PGM_RSRC3_GFX90A:ACCUM_OFFSET: 3
; COMPUTE_PGM_RSRC3_GFX90A:TG_SPLIT: 0
	.section	.text._ZN4vllm3moe22topkGatingSoftplusSqrtILi2ELi2ELi4ELi4ELi32ELb1Ej6__halfEEvPKT6_PKbPfiPT5_PiiiibdPKfPKS9_SF_,"axG",@progbits,_ZN4vllm3moe22topkGatingSoftplusSqrtILi2ELi2ELi4ELi4ELi32ELb1Ej6__halfEEvPKT6_PKbPfiPT5_PiiiibdPKfPKS9_SF_,comdat
	.protected	_ZN4vllm3moe22topkGatingSoftplusSqrtILi2ELi2ELi4ELi4ELi32ELb1Ej6__halfEEvPKT6_PKbPfiPT5_PiiiibdPKfPKS9_SF_ ; -- Begin function _ZN4vllm3moe22topkGatingSoftplusSqrtILi2ELi2ELi4ELi4ELi32ELb1Ej6__halfEEvPKT6_PKbPfiPT5_PiiiibdPKfPKS9_SF_
	.globl	_ZN4vllm3moe22topkGatingSoftplusSqrtILi2ELi2ELi4ELi4ELi32ELb1Ej6__halfEEvPKT6_PKbPfiPT5_PiiiibdPKfPKS9_SF_
	.p2align	8
	.type	_ZN4vllm3moe22topkGatingSoftplusSqrtILi2ELi2ELi4ELi4ELi32ELb1Ej6__halfEEvPKT6_PKbPfiPT5_PiiiibdPKfPKS9_SF_,@function
_ZN4vllm3moe22topkGatingSoftplusSqrtILi2ELi2ELi4ELi4ELi32ELb1Ej6__halfEEvPKT6_PKbPfiPT5_PiiiibdPKfPKS9_SF_: ; @_ZN4vllm3moe22topkGatingSoftplusSqrtILi2ELi2ELi4ELi4ELi32ELb1Ej6__halfEEvPKT6_PKbPfiPT5_PiiiibdPKfPKS9_SF_
; %bb.0:
	s_load_dword s3, s[0:1], 0x18
	v_bfe_u32 v1, v0, 10, 10
	s_lshl_b32 s2, s2, 7
	v_lshlrev_b32_e32 v1, 5, v1
	v_and_b32_e32 v0, 0x3ff, v0
	v_add3_u32 v4, v1, v0, s2
	s_waitcnt lgkmcnt(0)
	v_cmp_gt_i32_e32 vcc, s3, v4
	s_and_saveexec_b64 s[2:3], vcc
	s_cbranch_execz .LBB246_57
; %bb.1:
	s_load_dwordx2 s[2:3], s[0:1], 0x0
	s_load_dword s16, s[0:1], 0x30
	v_lshlrev_b32_e32 v0, 1, v4
	v_ashrrev_i32_e32 v1, 31, v0
	s_load_dwordx4 s[4:7], s[0:1], 0x50
	s_waitcnt lgkmcnt(0)
	v_lshl_add_u64 v[0:1], v[0:1], 1, s[2:3]
	global_load_dword v6, v[0:1], off
	v_ashrrev_i32_e32 v5, 31, v4
	s_mov_b32 s2, 0x800000
	v_mov_b32_e32 v0, s4
	v_mov_b32_e32 v1, s5
	v_lshl_add_u64 v[0:1], v[4:5], 2, v[0:1]
	global_load_dword v0, v[0:1], off
	v_mov_b32_e32 v5, 0x4f800000
	s_mov_b32 s5, 0x3f317217
	s_mov_b32 s9, 0x7f800000
	v_mov_b32_e32 v7, 0x41b17218
	s_movk_i32 s4, 0x4d00
	s_mov_b32 s12, 0xf800000
	v_mov_b32_e32 v11, 0x260
	v_mov_b32_e32 v1, 0
	s_cmp_gt_i32 s16, 0
	s_mov_b32 s8, 0
	s_cselect_b64 s[10:11], -1, 0
	s_cmp_lt_i32 s16, 1
	v_mul_lo_u32 v4, v4, s16
	s_waitcnt vmcnt(1)
	v_cvt_f32_f16_e32 v8, v6
	v_cvt_f32_f16_sdwa v9, v6 dst_sel:DWORD dst_unused:UNUSED_PAD src0_sel:WORD_1
	v_mul_f32_e32 v2, 0x3fb8aa3b, v8
	v_mul_f32_e32 v3, 0x3fb8aa3b, v9
	v_exp_f32_e32 v2, v2
	v_exp_f32_e32 v3, v3
	s_waitcnt vmcnt(0)
	v_mul_lo_u32 v0, v0, s16
	v_pk_add_f32 v[2:3], v[2:3], 1.0 op_sel_hi:[1,0]
	s_nop 0
	v_cmp_gt_f32_e32 vcc, s2, v3
	v_cmp_gt_f32_e64 s[2:3], s2, v2
	s_nop 0
	v_cndmask_b32_e32 v10, 1.0, v5, vcc
	v_cndmask_b32_e64 v5, 1.0, v5, s[2:3]
	v_mul_f32_e32 v3, v3, v10
	v_mul_f32_e32 v2, v2, v5
	v_log_f32_e32 v3, v3
	v_log_f32_e32 v2, v2
	v_cndmask_b32_e32 v5, 0, v7, vcc
	v_cndmask_b32_e64 v7, 0, v7, s[2:3]
	v_mul_f32_e32 v10, 0x3f317217, v3
	v_mul_f32_e32 v12, 0x3f317217, v2
	v_fma_f32 v10, v3, s5, -v10
	v_fma_f32 v12, v2, s5, -v12
	v_fmac_f32_e32 v10, 0x3377d1cf, v3
	v_fmac_f32_e32 v12, 0x3377d1cf, v2
	;; [unrolled: 1-line block ×3, first 2 shown]
	v_cmp_lt_f32_e64 vcc, |v3|, s9
	v_fmac_f32_e32 v12, 0x3f317217, v2
	s_nop 0
	v_cndmask_b32_e32 v3, v3, v10, vcc
	v_cmp_lt_f32_e64 vcc, |v2|, s9
	v_sub_f32_e32 v3, v3, v5
	s_nop 0
	v_cndmask_b32_e32 v2, v2, v12, vcc
	v_sub_f32_e32 v2, v2, v7
	v_cmp_lt_f16_e32 vcc, s4, v6
	s_nop 1
	v_cndmask_b32_e32 v2, v2, v8, vcc
	v_cmp_gt_f16_sdwa vcc, v6, s4 src0_sel:WORD_1 src1_sel:DWORD
	v_mul_f32_e32 v6, 0x4f800000, v2
	v_cmp_gt_f32_e64 s[2:3], s12, v2
	v_cndmask_b32_e32 v3, v3, v9, vcc
	v_mul_f32_e32 v5, 0x4f800000, v3
	v_cmp_gt_f32_e32 vcc, s12, v3
	v_cndmask_b32_e64 v6, v2, v6, s[2:3]
	v_sqrt_f32_e32 v8, v6
	v_cndmask_b32_e32 v5, v3, v5, vcc
	v_sqrt_f32_e32 v7, v5
	v_lshl_add_u64 v[2:3], v[0:1], 2, s[6:7]
	v_add_u32_e32 v12, -1, v8
	v_fma_f32 v16, -v12, v8, v6
	v_add_u32_e32 v9, -1, v7
	v_fma_f32 v14, -v9, v7, v5
	v_add_u32_e32 v10, 1, v7
	v_cmp_ge_f32_e64 s[4:5], 0, v14
	v_add_u32_e32 v13, 1, v8
	v_fma_f32 v15, -v10, v7, v5
	v_cndmask_b32_e64 v7, v7, v9, s[4:5]
	v_cmp_ge_f32_e64 s[4:5], 0, v16
	v_fma_f32 v17, -v13, v8, v6
	s_nop 0
	v_cndmask_b32_e64 v8, v8, v12, s[4:5]
	v_cmp_lt_f32_e64 s[4:5], 0, v15
	s_nop 1
	v_cndmask_b32_e64 v7, v7, v10, s[4:5]
	v_cmp_lt_f32_e64 s[4:5], 0, v17
	v_mul_f32_e32 v9, 0x37800000, v7
	v_cndmask_b32_e32 v7, v7, v9, vcc
	v_cndmask_b32_e64 v8, v8, v13, s[4:5]
	v_mul_f32_e32 v10, 0x37800000, v8
	v_cmp_class_f32_e32 vcc, v5, v11
	v_cndmask_b32_e64 v8, v8, v10, s[2:3]
	s_nop 0
	v_cndmask_b32_e32 v10, v7, v5, vcc
	v_cmp_class_f32_e32 vcc, v6, v11
	s_nop 1
	v_cndmask_b32_e32 v11, v8, v6, vcc
	s_cbranch_scc1 .LBB246_21
; %bb.2:
	s_load_dwordx2 s[2:3], s[0:1], 0x20
	s_cmp_lt_u32 s16, 4
	s_cbranch_scc1 .LBB246_22
; %bb.3:
	s_mov_b32 s5, 0
	s_and_b32 s8, s16, 0x7ffffffc
	v_ashrrev_i32_e32 v5, 31, v4
	v_mov_b32_e32 v12, 0
	s_mov_b32 s4, s5
	s_branch .LBB246_5
.LBB246_4:                              ;   in Loop: Header=BB246_5 Depth=1
	s_or_b64 exec, exec, s[12:13]
	s_add_i32 s4, s4, 4
	s_cmp_eq_u32 s4, s8
	s_cbranch_scc1 .LBB246_23
.LBB246_5:                              ; =>This Loop Header: Depth=1
                                        ;     Child Loop BB246_7 Depth 2
                                        ;     Child Loop BB246_11 Depth 2
	;; [unrolled: 1-line block ×4, first 2 shown]
	v_lshl_add_u64 v[6:7], s[4:5], 2, v[2:3]
	global_load_dword v13, v[6:7], off
	v_add_u32_e32 v8, s4, v4
	v_ashrrev_i32_e32 v9, 31, v8
	s_mov_b64 s[12:13], 0
	s_waitcnt lgkmcnt(0)
	v_lshl_add_u64 v[8:9], v[8:9], 2, s[2:3]
	s_mov_b32 s9, 0
	s_waitcnt vmcnt(0)
	v_cmp_eq_u32_e32 vcc, 0, v13
	s_nop 1
	v_cndmask_b32_e64 v14, 2, 1, vcc
	v_cmp_eq_u32_e32 vcc, 1, v13
	s_nop 1
	v_cndmask_b32_e32 v15, v11, v10, vcc
	s_branch .LBB246_7
.LBB246_6:                              ;   in Loop: Header=BB246_7 Depth=2
	s_or_b64 exec, exec, s[14:15]
	s_add_i32 s9, s9, 1
	v_cmp_eq_u32_e32 vcc, s9, v14
	s_or_b64 s[12:13], vcc, s[12:13]
	s_andn2_b64 exec, exec, s[12:13]
	s_cbranch_execz .LBB246_9
.LBB246_7:                              ;   Parent Loop BB246_5 Depth=1
                                        ; =>  This Inner Loop Header: Depth=2
	v_cmp_eq_u32_e32 vcc, s9, v13
	s_and_saveexec_b64 s[14:15], vcc
	s_cbranch_execz .LBB246_6
; %bb.8:                                ;   in Loop: Header=BB246_7 Depth=2
	v_add_f32_e32 v12, v12, v15
	global_store_dword v[8:9], v13, off
	s_branch .LBB246_6
.LBB246_9:                              ;   in Loop: Header=BB246_5 Depth=1
	s_or_b64 exec, exec, s[12:13]
	global_load_dword v13, v[6:7], off offset:4
	s_ashr_i32 s13, s4, 31
	s_mov_b32 s12, s4
	v_lshl_add_u64 v[8:9], s[12:13], 0, v[4:5]
	s_mov_b32 s9, 0
	v_lshl_add_u64 v[8:9], v[8:9], 2, s[2:3]
	s_mov_b64 s[12:13], 0
	s_waitcnt vmcnt(0)
	v_cmp_eq_u32_e32 vcc, 0, v13
	s_nop 1
	v_cndmask_b32_e64 v14, 2, 1, vcc
	v_cmp_eq_u32_e32 vcc, 1, v13
	s_nop 1
	v_cndmask_b32_e32 v15, v11, v10, vcc
	s_branch .LBB246_11
.LBB246_10:                             ;   in Loop: Header=BB246_11 Depth=2
	s_or_b64 exec, exec, s[14:15]
	s_add_i32 s9, s9, 1
	v_cmp_eq_u32_e32 vcc, s9, v14
	s_or_b64 s[12:13], vcc, s[12:13]
	s_andn2_b64 exec, exec, s[12:13]
	s_cbranch_execz .LBB246_13
.LBB246_11:                             ;   Parent Loop BB246_5 Depth=1
                                        ; =>  This Inner Loop Header: Depth=2
	v_cmp_eq_u32_e32 vcc, s9, v13
	s_and_saveexec_b64 s[14:15], vcc
	s_cbranch_execz .LBB246_10
; %bb.12:                               ;   in Loop: Header=BB246_11 Depth=2
	v_add_f32_e32 v12, v12, v15
	global_store_dword v[8:9], v13, off offset:4
	s_branch .LBB246_10
.LBB246_13:                             ;   in Loop: Header=BB246_5 Depth=1
	s_or_b64 exec, exec, s[12:13]
	global_load_dword v13, v[6:7], off offset:8
	s_mov_b32 s9, 0
	s_mov_b64 s[12:13], 0
	s_waitcnt vmcnt(0)
	v_cmp_eq_u32_e32 vcc, 0, v13
	s_nop 1
	v_cndmask_b32_e64 v14, 2, 1, vcc
	v_cmp_eq_u32_e32 vcc, 1, v13
	s_nop 1
	v_cndmask_b32_e32 v15, v11, v10, vcc
	s_branch .LBB246_15
.LBB246_14:                             ;   in Loop: Header=BB246_15 Depth=2
	s_or_b64 exec, exec, s[14:15]
	s_add_i32 s9, s9, 1
	v_cmp_eq_u32_e32 vcc, s9, v14
	s_or_b64 s[12:13], vcc, s[12:13]
	s_andn2_b64 exec, exec, s[12:13]
	s_cbranch_execz .LBB246_17
.LBB246_15:                             ;   Parent Loop BB246_5 Depth=1
                                        ; =>  This Inner Loop Header: Depth=2
	v_cmp_eq_u32_e32 vcc, s9, v13
	s_and_saveexec_b64 s[14:15], vcc
	s_cbranch_execz .LBB246_14
; %bb.16:                               ;   in Loop: Header=BB246_15 Depth=2
	v_add_f32_e32 v12, v12, v15
	global_store_dword v[8:9], v13, off offset:8
	s_branch .LBB246_14
.LBB246_17:                             ;   in Loop: Header=BB246_5 Depth=1
	s_or_b64 exec, exec, s[12:13]
	global_load_dword v6, v[6:7], off offset:12
	s_mov_b32 s9, 0
	s_mov_b64 s[12:13], 0
	s_waitcnt vmcnt(0)
	v_cmp_eq_u32_e32 vcc, 0, v6
	s_nop 1
	v_cndmask_b32_e64 v7, 2, 1, vcc
	v_cmp_eq_u32_e32 vcc, 1, v6
	s_nop 1
	v_cndmask_b32_e32 v13, v11, v10, vcc
	s_branch .LBB246_19
.LBB246_18:                             ;   in Loop: Header=BB246_19 Depth=2
	s_or_b64 exec, exec, s[14:15]
	s_add_i32 s9, s9, 1
	v_cmp_eq_u32_e32 vcc, s9, v7
	s_or_b64 s[12:13], vcc, s[12:13]
	s_andn2_b64 exec, exec, s[12:13]
	s_cbranch_execz .LBB246_4
.LBB246_19:                             ;   Parent Loop BB246_5 Depth=1
                                        ; =>  This Inner Loop Header: Depth=2
	v_cmp_eq_u32_e32 vcc, s9, v6
	s_and_saveexec_b64 s[14:15], vcc
	s_cbranch_execz .LBB246_18
; %bb.20:                               ;   in Loop: Header=BB246_19 Depth=2
	v_add_f32_e32 v12, v12, v13
	global_store_dword v[8:9], v6, off offset:12
	s_branch .LBB246_18
.LBB246_21:
	v_mov_b32_e32 v12, v1
	s_branch .LBB246_30
.LBB246_22:
	v_mov_b32_e32 v12, v1
.LBB246_23:
	s_and_b32 s14, s16, 3
	s_cmp_eq_u32 s14, 0
	s_mov_b32 s9, 0
	s_cbranch_scc1 .LBB246_30
; %bb.24:
	s_mov_b32 s15, s9
	s_branch .LBB246_26
.LBB246_25:                             ;   in Loop: Header=BB246_26 Depth=1
	s_or_b64 exec, exec, s[4:5]
	s_add_i32 s8, s8, 1
	s_add_i32 s15, s15, 1
	s_cmp_lg_u32 s15, s14
	s_cbranch_scc0 .LBB246_30
.LBB246_26:                             ; =>This Loop Header: Depth=1
                                        ;     Child Loop BB246_28 Depth 2
	v_lshl_add_u64 v[6:7], s[8:9], 2, v[2:3]
	global_load_dword v5, v[6:7], off
	v_add_u32_e32 v6, s8, v4
	v_ashrrev_i32_e32 v7, 31, v6
	s_mov_b32 s17, 0
	s_waitcnt lgkmcnt(0)
	v_lshl_add_u64 v[6:7], v[6:7], 2, s[2:3]
	s_mov_b64 s[4:5], 0
	s_waitcnt vmcnt(0)
	v_cmp_eq_u32_e32 vcc, 0, v5
	s_nop 1
	v_cndmask_b32_e64 v8, 2, 1, vcc
	v_cmp_eq_u32_e32 vcc, 1, v5
	s_nop 1
	v_cndmask_b32_e32 v9, v11, v10, vcc
	s_branch .LBB246_28
.LBB246_27:                             ;   in Loop: Header=BB246_28 Depth=2
	s_or_b64 exec, exec, s[12:13]
	s_add_i32 s17, s17, 1
	v_cmp_eq_u32_e32 vcc, s17, v8
	s_or_b64 s[4:5], vcc, s[4:5]
	s_andn2_b64 exec, exec, s[4:5]
	s_cbranch_execz .LBB246_25
.LBB246_28:                             ;   Parent Loop BB246_26 Depth=1
                                        ; =>  This Inner Loop Header: Depth=2
	v_cmp_eq_u32_e32 vcc, s17, v5
	s_and_saveexec_b64 s[12:13], vcc
	s_cbranch_execz .LBB246_27
; %bb.29:                               ;   in Loop: Header=BB246_28 Depth=2
	v_add_f32_e32 v12, v12, v9
	global_store_dword v[6:7], v5, off
	s_branch .LBB246_27
.LBB246_30:
	s_load_dword s4, s[0:1], 0x3c
	s_waitcnt lgkmcnt(0)
	s_load_dwordx2 s[2:3], s[0:1], 0x40
	s_bitcmp1_b32 s4, 0
	s_cselect_b64 s[4:5], -1, 0
	s_waitcnt lgkmcnt(0)
	v_cvt_f32_f64_e32 v13, s[2:3]
	s_and_b64 vcc, exec, s[4:5]
	s_cbranch_vccz .LBB246_32
; %bb.31:
	v_cmp_lt_f32_e32 vcc, 0, v12
	s_nop 1
	v_cndmask_b32_e32 v5, 1.0, v12, vcc
	v_div_scale_f32 v6, s[2:3], v5, v5, v13
	v_rcp_f32_e32 v7, v6
	s_nop 0
	v_fma_f32 v8, -v6, v7, 1.0
	v_fmac_f32_e32 v7, v8, v7
	v_div_scale_f32 v8, vcc, v13, v5, v13
	v_mul_f32_e32 v9, v8, v7
	v_fma_f32 v12, -v6, v9, v8
	v_fmac_f32_e32 v9, v12, v7
	v_fma_f32 v6, -v6, v9, v8
	v_div_fmas_f32 v6, v6, v7, v9
	v_div_fixup_f32 v13, v6, v5, v13
.LBB246_32:
	s_andn2_b64 vcc, exec, s[10:11]
	s_cbranch_vccnz .LBB246_57
; %bb.33:
	s_load_dwordx2 s[0:1], s[0:1], 0x10
	s_cmp_lt_u32 s16, 8
	s_mov_b32 s2, 0
	s_cbranch_scc1 .LBB246_52
; %bb.34:
	v_ashrrev_i32_e32 v5, 31, v4
	s_and_b32 s2, s16, 0x7ffffff8
	s_waitcnt lgkmcnt(0)
	v_lshl_add_u64 v[6:7], v[4:5], 2, s[0:1]
	s_mov_b32 s3, 0
	s_mov_b64 s[4:5], 0
	s_branch .LBB246_36
.LBB246_35:                             ;   in Loop: Header=BB246_36 Depth=1
	s_or_b64 exec, exec, s[8:9]
	s_add_i32 s3, s3, 8
	s_add_u32 s4, s4, 32
	s_addc_u32 s5, s5, 0
	s_cmp_lg_u32 s2, s3
	s_cbranch_scc0 .LBB246_52
.LBB246_36:                             ; =>This Inner Loop Header: Depth=1
	v_lshl_add_u64 v[8:9], v[2:3], 0, s[4:5]
	global_load_dword v5, v[8:9], off
	s_waitcnt vmcnt(0)
	v_cmp_gt_u32_e32 vcc, 2, v5
	s_and_saveexec_b64 s[8:9], vcc
	s_cbranch_execz .LBB246_38
; %bb.37:                               ;   in Loop: Header=BB246_36 Depth=1
	v_add_u32_e32 v14, s3, v4
	v_cmp_eq_u32_e32 vcc, 1, v5
	v_ashrrev_i32_e32 v15, 31, v14
	v_lshl_add_u64 v[14:15], v[14:15], 2, s[0:1]
	v_cndmask_b32_e32 v5, v11, v10, vcc
	v_mul_f32_e32 v5, v13, v5
	global_store_dword v[14:15], v5, off
.LBB246_38:                             ;   in Loop: Header=BB246_36 Depth=1
	s_or_b64 exec, exec, s[8:9]
	global_load_dword v5, v[8:9], off offset:4
	s_waitcnt vmcnt(0)
	v_cmp_gt_u32_e32 vcc, 2, v5
	s_and_saveexec_b64 s[8:9], vcc
	s_cbranch_execz .LBB246_40
; %bb.39:                               ;   in Loop: Header=BB246_36 Depth=1
	v_cmp_eq_u32_e32 vcc, 1, v5
	v_lshl_add_u64 v[14:15], v[6:7], 0, s[4:5]
	s_nop 0
	v_cndmask_b32_e32 v5, v11, v10, vcc
	v_mul_f32_e32 v5, v13, v5
	global_store_dword v[14:15], v5, off offset:4
.LBB246_40:                             ;   in Loop: Header=BB246_36 Depth=1
	s_or_b64 exec, exec, s[8:9]
	global_load_dword v5, v[8:9], off offset:8
	s_waitcnt vmcnt(0)
	v_cmp_gt_u32_e32 vcc, 2, v5
	s_and_saveexec_b64 s[8:9], vcc
	s_cbranch_execz .LBB246_42
; %bb.41:                               ;   in Loop: Header=BB246_36 Depth=1
	v_cmp_eq_u32_e32 vcc, 1, v5
	v_lshl_add_u64 v[14:15], v[6:7], 0, s[4:5]
	s_nop 0
	v_cndmask_b32_e32 v5, v11, v10, vcc
	v_mul_f32_e32 v5, v13, v5
	global_store_dword v[14:15], v5, off offset:8
.LBB246_42:                             ;   in Loop: Header=BB246_36 Depth=1
	;; [unrolled: 14-line block ×6, first 2 shown]
	s_or_b64 exec, exec, s[8:9]
	global_load_dword v5, v[8:9], off offset:28
	s_waitcnt vmcnt(0)
	v_cmp_gt_u32_e32 vcc, 2, v5
	s_and_saveexec_b64 s[8:9], vcc
	s_cbranch_execz .LBB246_35
; %bb.51:                               ;   in Loop: Header=BB246_36 Depth=1
	v_cmp_eq_u32_e32 vcc, 1, v5
	v_lshl_add_u64 v[8:9], v[6:7], 0, s[4:5]
	s_nop 0
	v_cndmask_b32_e32 v5, v11, v10, vcc
	v_mul_f32_e32 v5, v13, v5
	global_store_dword v[8:9], v5, off offset:28
	s_branch .LBB246_35
.LBB246_52:
	s_and_b32 s4, s16, 7
	s_cmp_eq_u32 s4, 0
	s_mov_b32 s3, 0
	s_cbranch_scc1 .LBB246_57
; %bb.53:
	v_add_u32_e32 v2, s2, v4
	s_lshl_b64 s[2:3], s[2:3], 2
	s_add_u32 s2, s6, s2
	s_addc_u32 s3, s7, s3
	v_lshl_add_u64 v[0:1], v[0:1], 2, s[2:3]
	s_branch .LBB246_55
.LBB246_54:                             ;   in Loop: Header=BB246_55 Depth=1
	s_or_b64 exec, exec, s[2:3]
	s_add_i32 s4, s4, -1
	v_add_u32_e32 v2, 1, v2
	s_cmp_lg_u32 s4, 0
	v_lshl_add_u64 v[0:1], v[0:1], 0, 4
	s_cbranch_scc0 .LBB246_57
.LBB246_55:                             ; =>This Inner Loop Header: Depth=1
	global_load_dword v3, v[0:1], off
	s_waitcnt vmcnt(0)
	v_cmp_gt_u32_e32 vcc, 2, v3
	s_and_saveexec_b64 s[2:3], vcc
	s_cbranch_execz .LBB246_54
; %bb.56:                               ;   in Loop: Header=BB246_55 Depth=1
	v_cmp_eq_u32_e32 vcc, 1, v3
	s_nop 1
	v_cndmask_b32_e32 v3, v11, v10, vcc
	v_mul_f32_e32 v6, v13, v3
	v_ashrrev_i32_e32 v3, 31, v2
	s_waitcnt lgkmcnt(0)
	v_lshl_add_u64 v[4:5], v[2:3], 2, s[0:1]
	global_store_dword v[4:5], v6, off
	s_branch .LBB246_54
.LBB246_57:
	s_endpgm
	.section	.rodata,"a",@progbits
	.p2align	6, 0x0
	.amdhsa_kernel _ZN4vllm3moe22topkGatingSoftplusSqrtILi2ELi2ELi4ELi4ELi32ELb1Ej6__halfEEvPKT6_PKbPfiPT5_PiiiibdPKfPKS9_SF_
		.amdhsa_group_segment_fixed_size 0
		.amdhsa_private_segment_fixed_size 0
		.amdhsa_kernarg_size 96
		.amdhsa_user_sgpr_count 2
		.amdhsa_user_sgpr_dispatch_ptr 0
		.amdhsa_user_sgpr_queue_ptr 0
		.amdhsa_user_sgpr_kernarg_segment_ptr 1
		.amdhsa_user_sgpr_dispatch_id 0
		.amdhsa_user_sgpr_kernarg_preload_length 0
		.amdhsa_user_sgpr_kernarg_preload_offset 0
		.amdhsa_user_sgpr_private_segment_size 0
		.amdhsa_uses_dynamic_stack 0
		.amdhsa_enable_private_segment 0
		.amdhsa_system_sgpr_workgroup_id_x 1
		.amdhsa_system_sgpr_workgroup_id_y 0
		.amdhsa_system_sgpr_workgroup_id_z 0
		.amdhsa_system_sgpr_workgroup_info 0
		.amdhsa_system_vgpr_workitem_id 1
		.amdhsa_next_free_vgpr 18
		.amdhsa_next_free_sgpr 18
		.amdhsa_accum_offset 20
		.amdhsa_reserve_vcc 1
		.amdhsa_float_round_mode_32 0
		.amdhsa_float_round_mode_16_64 0
		.amdhsa_float_denorm_mode_32 3
		.amdhsa_float_denorm_mode_16_64 3
		.amdhsa_dx10_clamp 1
		.amdhsa_ieee_mode 1
		.amdhsa_fp16_overflow 0
		.amdhsa_tg_split 0
		.amdhsa_exception_fp_ieee_invalid_op 0
		.amdhsa_exception_fp_denorm_src 0
		.amdhsa_exception_fp_ieee_div_zero 0
		.amdhsa_exception_fp_ieee_overflow 0
		.amdhsa_exception_fp_ieee_underflow 0
		.amdhsa_exception_fp_ieee_inexact 0
		.amdhsa_exception_int_div_zero 0
	.end_amdhsa_kernel
	.section	.text._ZN4vllm3moe22topkGatingSoftplusSqrtILi2ELi2ELi4ELi4ELi32ELb1Ej6__halfEEvPKT6_PKbPfiPT5_PiiiibdPKfPKS9_SF_,"axG",@progbits,_ZN4vllm3moe22topkGatingSoftplusSqrtILi2ELi2ELi4ELi4ELi32ELb1Ej6__halfEEvPKT6_PKbPfiPT5_PiiiibdPKfPKS9_SF_,comdat
.Lfunc_end246:
	.size	_ZN4vllm3moe22topkGatingSoftplusSqrtILi2ELi2ELi4ELi4ELi32ELb1Ej6__halfEEvPKT6_PKbPfiPT5_PiiiibdPKfPKS9_SF_, .Lfunc_end246-_ZN4vllm3moe22topkGatingSoftplusSqrtILi2ELi2ELi4ELi4ELi32ELb1Ej6__halfEEvPKT6_PKbPfiPT5_PiiiibdPKfPKS9_SF_
                                        ; -- End function
	.section	.AMDGPU.csdata,"",@progbits
; Kernel info:
; codeLenInByte = 2288
; NumSgprs: 24
; NumVgprs: 18
; NumAgprs: 0
; TotalNumVgprs: 18
; ScratchSize: 0
; MemoryBound: 0
; FloatMode: 240
; IeeeMode: 1
; LDSByteSize: 0 bytes/workgroup (compile time only)
; SGPRBlocks: 2
; VGPRBlocks: 2
; NumSGPRsForWavesPerEU: 24
; NumVGPRsForWavesPerEU: 18
; AccumOffset: 20
; Occupancy: 8
; WaveLimiterHint : 1
; COMPUTE_PGM_RSRC2:SCRATCH_EN: 0
; COMPUTE_PGM_RSRC2:USER_SGPR: 2
; COMPUTE_PGM_RSRC2:TRAP_HANDLER: 0
; COMPUTE_PGM_RSRC2:TGID_X_EN: 1
; COMPUTE_PGM_RSRC2:TGID_Y_EN: 0
; COMPUTE_PGM_RSRC2:TGID_Z_EN: 0
; COMPUTE_PGM_RSRC2:TIDIG_COMP_CNT: 1
; COMPUTE_PGM_RSRC3_GFX90A:ACCUM_OFFSET: 4
; COMPUTE_PGM_RSRC3_GFX90A:TG_SPLIT: 0
	.section	.text._ZN4vllm3moe22topkGatingSoftplusSqrtILi2ELi2ELi4ELi4ELi32ELb0Ej6__halfEEvPKT6_PKbPfiPT5_PiiiibdPKfPKS9_SF_,"axG",@progbits,_ZN4vllm3moe22topkGatingSoftplusSqrtILi2ELi2ELi4ELi4ELi32ELb0Ej6__halfEEvPKT6_PKbPfiPT5_PiiiibdPKfPKS9_SF_,comdat
	.protected	_ZN4vllm3moe22topkGatingSoftplusSqrtILi2ELi2ELi4ELi4ELi32ELb0Ej6__halfEEvPKT6_PKbPfiPT5_PiiiibdPKfPKS9_SF_ ; -- Begin function _ZN4vllm3moe22topkGatingSoftplusSqrtILi2ELi2ELi4ELi4ELi32ELb0Ej6__halfEEvPKT6_PKbPfiPT5_PiiiibdPKfPKS9_SF_
	.globl	_ZN4vllm3moe22topkGatingSoftplusSqrtILi2ELi2ELi4ELi4ELi32ELb0Ej6__halfEEvPKT6_PKbPfiPT5_PiiiibdPKfPKS9_SF_
	.p2align	8
	.type	_ZN4vllm3moe22topkGatingSoftplusSqrtILi2ELi2ELi4ELi4ELi32ELb0Ej6__halfEEvPKT6_PKbPfiPT5_PiiiibdPKfPKS9_SF_,@function
_ZN4vllm3moe22topkGatingSoftplusSqrtILi2ELi2ELi4ELi4ELi32ELb0Ej6__halfEEvPKT6_PKbPfiPT5_PiiiibdPKfPKS9_SF_: ; @_ZN4vllm3moe22topkGatingSoftplusSqrtILi2ELi2ELi4ELi4ELi32ELb0Ej6__halfEEvPKT6_PKbPfiPT5_PiiiibdPKfPKS9_SF_
; %bb.0:
	s_load_dword s24, s[0:1], 0x18
	v_bfe_u32 v1, v0, 10, 10
	s_lshl_b32 s2, s2, 7
	v_lshlrev_b32_e32 v1, 5, v1
	v_and_b32_e32 v0, 0x3ff, v0
	v_add3_u32 v0, v1, v0, s2
	s_waitcnt lgkmcnt(0)
	v_cmp_gt_i32_e32 vcc, s24, v0
	s_and_saveexec_b64 s[2:3], vcc
	s_cbranch_execz .LBB247_28
; %bb.1:
	s_load_dwordx4 s[4:7], s[0:1], 0x0
	s_load_dwordx2 s[16:17], s[0:1], 0x10
	s_waitcnt lgkmcnt(0)
	s_cmp_eq_u64 s[6:7], 0
	s_cbranch_scc1 .LBB247_3
; %bb.2:
	v_ashrrev_i32_e32 v1, 31, v0
	v_lshl_add_u64 v[2:3], s[6:7], 0, v[0:1]
	global_load_ubyte v1, v[2:3], off
	s_waitcnt vmcnt(0)
	v_and_b32_e32 v1, 1, v1
	v_cmp_eq_u32_e32 vcc, 1, v1
	s_xor_b64 s[2:3], vcc, -1
	s_orn2_b64 s[18:19], s[2:3], exec
	s_branch .LBB247_4
.LBB247_3:
	s_mov_b64 s[18:19], -1
.LBB247_4:
	v_lshlrev_b32_e32 v4, 1, v0
	v_mov_b32_e32 v2, s4
	v_mov_b32_e32 v3, s5
	v_ashrrev_i32_e32 v5, 31, v4
	v_lshl_add_u64 v[2:3], v[4:5], 1, v[2:3]
	global_load_dword v1, v[2:3], off
	s_mov_b32 s13, 0x800000
	v_mov_b32_e32 v3, 0x4f800000
	s_mov_b32 s7, 0x3f317217
	s_mov_b32 s12, 0x7f800000
	v_mov_b32_e32 v5, 0x41b17218
	s_movk_i32 s6, 0x4d00
	s_mov_b32 s14, 0xf800000
	s_load_dwordx4 s[8:11], s[0:1], 0x40
	s_waitcnt lgkmcnt(0)
	s_cmp_lg_u64 s[10:11], 0
	s_cselect_b64 s[20:21], -1, 0
	s_and_b64 s[2:3], exec, s[20:21]
	s_waitcnt vmcnt(0)
	v_cvt_f32_f16_e32 v4, v1
	v_mul_f32_e32 v2, 0x3fb8aa3b, v4
	v_exp_f32_e32 v2, v2
	s_nop 0
	v_add_f32_e32 v2, 1.0, v2
	v_cmp_gt_f32_e32 vcc, s13, v2
	s_nop 1
	v_cndmask_b32_e32 v6, 1.0, v3, vcc
	v_mul_f32_e32 v2, v2, v6
	v_log_f32_e32 v6, v2
	v_cndmask_b32_e32 v7, 0, v5, vcc
	v_mov_b32_e32 v2, 0x260
	v_mul_f32_e32 v8, 0x3f317217, v6
	v_fma_f32 v8, v6, s7, -v8
	v_fmac_f32_e32 v8, 0x3377d1cf, v6
	v_fmac_f32_e32 v8, 0x3f317217, v6
	v_cmp_lt_f32_e64 vcc, |v6|, s12
	s_nop 1
	v_cndmask_b32_e32 v6, v6, v8, vcc
	v_sub_f32_e32 v6, v6, v7
	v_cmp_lt_f16_e32 vcc, s6, v1
	s_nop 1
	v_cndmask_b32_e32 v4, v6, v4, vcc
	v_mul_f32_e32 v6, 0x4f800000, v4
	v_cmp_gt_f32_e32 vcc, s14, v4
	s_nop 1
	v_cndmask_b32_e32 v4, v4, v6, vcc
	v_sqrt_f32_e32 v6, v4
	s_nop 0
	v_add_u32_e32 v7, -1, v6
	v_add_u32_e32 v8, 1, v6
	v_fma_f32 v9, -v7, v6, v4
	v_fma_f32 v10, -v8, v6, v4
	v_cmp_ge_f32_e64 s[4:5], 0, v9
	s_nop 1
	v_cndmask_b32_e64 v6, v6, v7, s[4:5]
	v_cmp_lt_f32_e64 s[4:5], 0, v10
	s_nop 1
	v_cndmask_b32_e64 v6, v6, v8, s[4:5]
	v_mul_f32_e32 v7, 0x37800000, v6
	v_cndmask_b32_e32 v6, v6, v7, vcc
	v_cmp_class_f32_e32 vcc, v4, v2
	s_nop 1
	v_cndmask_b32_e32 v4, v6, v4, vcc
	s_mov_b64 vcc, s[2:3]
	s_cbranch_vccz .LBB247_6
; %bb.5:
	s_load_dword s2, s[10:11], 0x0
	s_waitcnt lgkmcnt(0)
	v_add_f32_e32 v4, s2, v4
.LBB247_6:
	v_cvt_f32_f16_sdwa v6, v1 dst_sel:DWORD dst_unused:UNUSED_PAD src0_sel:WORD_1
	v_mul_f32_e32 v7, 0x3fb8aa3b, v6
	v_exp_f32_e32 v7, v7
	s_nop 0
	v_add_f32_e32 v7, 1.0, v7
	v_cmp_gt_f32_e32 vcc, s13, v7
	s_nop 1
	v_cndmask_b32_e32 v3, 1.0, v3, vcc
	v_mul_f32_e32 v3, v7, v3
	v_log_f32_e32 v3, v3
	v_cndmask_b32_e32 v5, 0, v5, vcc
	v_mul_f32_e32 v7, 0x3f317217, v3
	v_fma_f32 v7, v3, s7, -v7
	v_fmac_f32_e32 v7, 0x3377d1cf, v3
	v_fmac_f32_e32 v7, 0x3f317217, v3
	v_cmp_lt_f32_e64 vcc, |v3|, s12
	s_nop 1
	v_cndmask_b32_e32 v3, v3, v7, vcc
	v_sub_f32_e32 v3, v3, v5
	v_cmp_gt_f16_sdwa vcc, v1, s6 src0_sel:WORD_1 src1_sel:DWORD
	s_nop 1
	v_cndmask_b32_e32 v1, v3, v6, vcc
	v_mul_f32_e32 v3, 0x4f800000, v1
	v_cmp_gt_f32_e64 s[2:3], s14, v1
	s_andn2_b64 vcc, exec, s[20:21]
	s_nop 0
	v_cndmask_b32_e64 v1, v1, v3, s[2:3]
	v_sqrt_f32_e32 v3, v1
	s_nop 0
	v_add_u32_e32 v5, -1, v3
	v_add_u32_e32 v6, 1, v3
	v_fma_f32 v7, -v5, v3, v1
	v_fma_f32 v8, -v6, v3, v1
	v_cmp_ge_f32_e64 s[4:5], 0, v7
	s_nop 1
	v_cndmask_b32_e64 v3, v3, v5, s[4:5]
	v_cmp_lt_f32_e64 s[4:5], 0, v8
	s_nop 1
	v_cndmask_b32_e64 v3, v3, v6, s[4:5]
	v_mul_f32_e32 v5, 0x37800000, v3
	v_cndmask_b32_e64 v3, v3, v5, s[2:3]
	v_cmp_class_f32_e64 s[2:3], v1, v2
	s_nop 1
	v_cndmask_b32_e64 v1, v3, v1, s[2:3]
	s_cbranch_vccnz .LBB247_8
; %bb.7:
	s_load_dword s2, s[10:11], 0x4
	s_waitcnt lgkmcnt(0)
	v_add_f32_e32 v1, s2, v1
.LBB247_8:
	s_load_dwordx4 s[4:7], s[0:1], 0x30
	s_mov_b32 s25, 0
	s_waitcnt lgkmcnt(0)
	s_bitcmp1_b32 s7, 0
	s_cselect_b64 s[2:3], -1, 0
	s_cmp_gt_i32 s4, 0
	s_cselect_b64 s[22:23], -1, 0
	s_and_b64 vcc, exec, s[22:23]
	v_mul_lo_u32 v2, v0, s4
	s_cbranch_vccz .LBB247_15
; %bb.9:
	s_load_dwordx4 s[12:15], s[0:1], 0x20
	v_mov_b32_e32 v3, 0
	v_mov_b32_e32 v5, 0xc61c4000
	s_branch .LBB247_11
.LBB247_10:                             ;   in Loop: Header=BB247_11 Depth=1
	v_add_u32_e32 v8, s25, v2
	v_ashrrev_i32_e32 v9, 31, v8
	v_cmp_le_i32_e32 vcc, s5, v6
	v_cmp_gt_i32_e64 s[0:1], s6, v6
	v_lshlrev_b64 v[8:9], 2, v[8:9]
	s_and_b64 s[0:1], vcc, s[0:1]
	v_lshl_add_u64 v[10:11], s[16:17], 0, v[8:9]
	global_store_dword v[10:11], v7, off
	v_subrev_u32_e32 v10, s5, v6
	s_and_b64 vcc, s[18:19], s[0:1]
	v_cndmask_b32_e32 v12, 2, v10, vcc
	v_add_f32_e32 v7, v3, v7
	s_add_i32 s25, s25, 1
	v_cmp_ne_u32_e32 vcc, 0, v6
	v_cndmask_b32_e64 v3, v3, v7, s[2:3]
	s_cmp_lt_i32 s25, s4
	v_cndmask_b32_e32 v7, v5, v4, vcc
	v_cmp_ne_u32_e32 vcc, 1, v6
	s_waitcnt lgkmcnt(0)
	v_lshl_add_u64 v[10:11], s[12:13], 0, v[8:9]
	v_lshl_add_u64 v[8:9], s[14:15], 0, v[8:9]
	v_cndmask_b32_e32 v6, v5, v1, vcc
	s_cselect_b64 vcc, -1, 0
	global_store_dword v[10:11], v12, off
	global_store_dword v[8:9], v0, off
	v_cndmask_b32_e32 v1, v1, v6, vcc
	v_cndmask_b32_e32 v4, v4, v7, vcc
	s_cmp_lg_u32 s4, s25
	v_add_u32_e32 v0, s24, v0
	s_cbranch_scc0 .LBB247_16
.LBB247_11:                             ; =>This Inner Loop Header: Depth=1
	v_cmp_gt_f32_e32 vcc, v1, v4
	s_and_b64 s[0:1], exec, s[20:21]
	s_nop 0
	v_cndmask_b32_e32 v8, v4, v1, vcc
	v_cndmask_b32_e64 v6, 0, 1, vcc
	s_mov_b64 vcc, s[0:1]
	s_cbranch_vccz .LBB247_13
; %bb.12:                               ;   in Loop: Header=BB247_11 Depth=1
	v_lshlrev_b32_e32 v7, 2, v6
	global_load_dword v7, v7, s[10:11]
	s_waitcnt vmcnt(0)
	v_sub_f32_e32 v7, v8, v7
	s_cbranch_execnz .LBB247_10
	s_branch .LBB247_14
.LBB247_13:                             ;   in Loop: Header=BB247_11 Depth=1
                                        ; implicit-def: $vgpr7
.LBB247_14:                             ;   in Loop: Header=BB247_11 Depth=1
	v_mov_b32_e32 v7, v8
	s_branch .LBB247_10
.LBB247_15:
	v_mov_b32_e32 v3, 0
.LBB247_16:
	s_andn2_b64 vcc, exec, s[2:3]
	v_cvt_f32_f64_e32 v0, s[8:9]
	s_cbranch_vccnz .LBB247_18
; %bb.17:
	v_cmp_lt_f32_e32 vcc, 0, v3
	s_nop 1
	v_cndmask_b32_e32 v1, 1.0, v3, vcc
	v_div_scale_f32 v3, s[0:1], v1, v1, v0
	v_rcp_f32_e32 v4, v3
	s_nop 0
	v_fma_f32 v5, -v3, v4, 1.0
	v_fmac_f32_e32 v4, v5, v4
	v_div_scale_f32 v5, vcc, v0, v1, v0
	v_mul_f32_e32 v6, v5, v4
	v_fma_f32 v7, -v3, v6, v5
	v_fmac_f32_e32 v6, v7, v4
	v_fma_f32 v3, -v3, v6, v5
	v_div_fmas_f32 v3, v3, v4, v6
	v_div_fixup_f32 v0, v3, v1, v0
.LBB247_18:
	s_andn2_b64 vcc, exec, s[22:23]
	s_cbranch_vccnz .LBB247_28
; %bb.19:
	s_cmp_gt_u32 s4, 3
	v_ashrrev_i32_e32 v3, 31, v2
	s_cbranch_scc0 .LBB247_23
; %bb.20:
	s_and_b32 s0, s4, 0x7ffffffc
	v_lshl_add_u64 v[4:5], v[2:3], 2, s[16:17]
	v_mov_b32_e32 v1, v0
	v_lshl_add_u64 v[4:5], v[4:5], 0, 8
	s_mov_b32 s1, s0
.LBB247_21:                             ; =>This Inner Loop Header: Depth=1
	global_load_dwordx4 v[6:9], v[4:5], off offset:-8
	s_add_i32 s1, s1, -4
	s_cmp_lg_u32 s1, 0
	s_waitcnt vmcnt(0)
	v_pk_mul_f32 v[6:7], v[0:1], v[6:7]
	v_pk_mul_f32 v[8:9], v[0:1], v[8:9]
	global_store_dwordx4 v[4:5], v[6:9], off offset:-8
	v_lshl_add_u64 v[4:5], v[4:5], 0, 16
	s_cbranch_scc1 .LBB247_21
; %bb.22:
	s_cmp_lg_u32 s0, s4
	s_cselect_b64 s[2:3], -1, 0
	s_branch .LBB247_25
.LBB247_23:
	s_mov_b64 s[2:3], 0
                                        ; implicit-def: $sgpr0
	s_cbranch_execz .LBB247_25
; %bb.24:
	s_mov_b64 s[2:3], -1
	s_mov_b32 s0, 0
.LBB247_25:
	s_andn2_b64 vcc, exec, s[2:3]
	s_cbranch_vccnz .LBB247_28
; %bb.26:
	s_mov_b32 s1, 0
	v_lshl_add_u64 v[2:3], v[2:3], 0, s[0:1]
	s_sub_i32 s2, s4, s0
	v_lshl_add_u64 v[2:3], v[2:3], 2, s[16:17]
.LBB247_27:                             ; =>This Inner Loop Header: Depth=1
	global_load_dword v1, v[2:3], off
	s_add_i32 s2, s2, -1
	s_cmp_lg_u32 s2, 0
	s_waitcnt vmcnt(0)
	v_mul_f32_e32 v1, v0, v1
	global_store_dword v[2:3], v1, off
	v_lshl_add_u64 v[2:3], v[2:3], 0, 4
	s_cbranch_scc1 .LBB247_27
.LBB247_28:
	s_endpgm
	.section	.rodata,"a",@progbits
	.p2align	6, 0x0
	.amdhsa_kernel _ZN4vllm3moe22topkGatingSoftplusSqrtILi2ELi2ELi4ELi4ELi32ELb0Ej6__halfEEvPKT6_PKbPfiPT5_PiiiibdPKfPKS9_SF_
		.amdhsa_group_segment_fixed_size 0
		.amdhsa_private_segment_fixed_size 0
		.amdhsa_kernarg_size 96
		.amdhsa_user_sgpr_count 2
		.amdhsa_user_sgpr_dispatch_ptr 0
		.amdhsa_user_sgpr_queue_ptr 0
		.amdhsa_user_sgpr_kernarg_segment_ptr 1
		.amdhsa_user_sgpr_dispatch_id 0
		.amdhsa_user_sgpr_kernarg_preload_length 0
		.amdhsa_user_sgpr_kernarg_preload_offset 0
		.amdhsa_user_sgpr_private_segment_size 0
		.amdhsa_uses_dynamic_stack 0
		.amdhsa_enable_private_segment 0
		.amdhsa_system_sgpr_workgroup_id_x 1
		.amdhsa_system_sgpr_workgroup_id_y 0
		.amdhsa_system_sgpr_workgroup_id_z 0
		.amdhsa_system_sgpr_workgroup_info 0
		.amdhsa_system_vgpr_workitem_id 1
		.amdhsa_next_free_vgpr 13
		.amdhsa_next_free_sgpr 26
		.amdhsa_accum_offset 16
		.amdhsa_reserve_vcc 1
		.amdhsa_float_round_mode_32 0
		.amdhsa_float_round_mode_16_64 0
		.amdhsa_float_denorm_mode_32 3
		.amdhsa_float_denorm_mode_16_64 3
		.amdhsa_dx10_clamp 1
		.amdhsa_ieee_mode 1
		.amdhsa_fp16_overflow 0
		.amdhsa_tg_split 0
		.amdhsa_exception_fp_ieee_invalid_op 0
		.amdhsa_exception_fp_denorm_src 0
		.amdhsa_exception_fp_ieee_div_zero 0
		.amdhsa_exception_fp_ieee_overflow 0
		.amdhsa_exception_fp_ieee_underflow 0
		.amdhsa_exception_fp_ieee_inexact 0
		.amdhsa_exception_int_div_zero 0
	.end_amdhsa_kernel
	.section	.text._ZN4vllm3moe22topkGatingSoftplusSqrtILi2ELi2ELi4ELi4ELi32ELb0Ej6__halfEEvPKT6_PKbPfiPT5_PiiiibdPKfPKS9_SF_,"axG",@progbits,_ZN4vllm3moe22topkGatingSoftplusSqrtILi2ELi2ELi4ELi4ELi32ELb0Ej6__halfEEvPKT6_PKbPfiPT5_PiiiibdPKfPKS9_SF_,comdat
.Lfunc_end247:
	.size	_ZN4vllm3moe22topkGatingSoftplusSqrtILi2ELi2ELi4ELi4ELi32ELb0Ej6__halfEEvPKT6_PKbPfiPT5_PiiiibdPKfPKS9_SF_, .Lfunc_end247-_ZN4vllm3moe22topkGatingSoftplusSqrtILi2ELi2ELi4ELi4ELi32ELb0Ej6__halfEEvPKT6_PKbPfiPT5_PiiiibdPKfPKS9_SF_
                                        ; -- End function
	.section	.AMDGPU.csdata,"",@progbits
; Kernel info:
; codeLenInByte = 1400
; NumSgprs: 32
; NumVgprs: 13
; NumAgprs: 0
; TotalNumVgprs: 13
; ScratchSize: 0
; MemoryBound: 0
; FloatMode: 240
; IeeeMode: 1
; LDSByteSize: 0 bytes/workgroup (compile time only)
; SGPRBlocks: 3
; VGPRBlocks: 1
; NumSGPRsForWavesPerEU: 32
; NumVGPRsForWavesPerEU: 13
; AccumOffset: 16
; Occupancy: 8
; WaveLimiterHint : 0
; COMPUTE_PGM_RSRC2:SCRATCH_EN: 0
; COMPUTE_PGM_RSRC2:USER_SGPR: 2
; COMPUTE_PGM_RSRC2:TRAP_HANDLER: 0
; COMPUTE_PGM_RSRC2:TGID_X_EN: 1
; COMPUTE_PGM_RSRC2:TGID_Y_EN: 0
; COMPUTE_PGM_RSRC2:TGID_Z_EN: 0
; COMPUTE_PGM_RSRC2:TIDIG_COMP_CNT: 1
; COMPUTE_PGM_RSRC3_GFX90A:ACCUM_OFFSET: 3
; COMPUTE_PGM_RSRC3_GFX90A:TG_SPLIT: 0
	.section	.text._ZN4vllm3moe22topkGatingSoftplusSqrtILi4ELi4ELi4ELi8ELi64ELb1Ej6__halfEEvPKT6_PKbPfiPT5_PiiiibdPKfPKS9_SF_,"axG",@progbits,_ZN4vllm3moe22topkGatingSoftplusSqrtILi4ELi4ELi4ELi8ELi64ELb1Ej6__halfEEvPKT6_PKbPfiPT5_PiiiibdPKfPKS9_SF_,comdat
	.protected	_ZN4vllm3moe22topkGatingSoftplusSqrtILi4ELi4ELi4ELi8ELi64ELb1Ej6__halfEEvPKT6_PKbPfiPT5_PiiiibdPKfPKS9_SF_ ; -- Begin function _ZN4vllm3moe22topkGatingSoftplusSqrtILi4ELi4ELi4ELi8ELi64ELb1Ej6__halfEEvPKT6_PKbPfiPT5_PiiiibdPKfPKS9_SF_
	.globl	_ZN4vllm3moe22topkGatingSoftplusSqrtILi4ELi4ELi4ELi8ELi64ELb1Ej6__halfEEvPKT6_PKbPfiPT5_PiiiibdPKfPKS9_SF_
	.p2align	8
	.type	_ZN4vllm3moe22topkGatingSoftplusSqrtILi4ELi4ELi4ELi8ELi64ELb1Ej6__halfEEvPKT6_PKbPfiPT5_PiiiibdPKfPKS9_SF_,@function
_ZN4vllm3moe22topkGatingSoftplusSqrtILi4ELi4ELi4ELi8ELi64ELb1Ej6__halfEEvPKT6_PKbPfiPT5_PiiiibdPKfPKS9_SF_: ; @_ZN4vllm3moe22topkGatingSoftplusSqrtILi4ELi4ELi4ELi8ELi64ELb1Ej6__halfEEvPKT6_PKbPfiPT5_PiiiibdPKfPKS9_SF_
; %bb.0:
	s_load_dword s3, s[0:1], 0x18
	v_bfe_u32 v1, v0, 10, 10
	s_lshl_b32 s2, s2, 8
	v_lshlrev_b32_e32 v1, 6, v1
	v_and_b32_e32 v0, 0x3ff, v0
	v_add3_u32 v2, v1, v0, s2
	s_waitcnt lgkmcnt(0)
	v_cmp_gt_i32_e32 vcc, s3, v2
	s_and_saveexec_b64 s[2:3], vcc
	s_cbranch_execz .LBB248_57
; %bb.1:
	s_load_dwordx2 s[2:3], s[0:1], 0x0
	s_load_dword s16, s[0:1], 0x30
	v_lshlrev_b32_e32 v0, 2, v2
	v_ashrrev_i32_e32 v1, 31, v0
	s_load_dwordx4 s[8:11], s[0:1], 0x50
	s_waitcnt lgkmcnt(0)
	v_lshl_add_u64 v[0:1], v[0:1], 1, s[2:3]
	global_load_dwordx2 v[4:5], v[0:1], off
	v_ashrrev_i32_e32 v3, 31, v2
	s_mov_b32 s6, 0x800000
	v_mov_b32_e32 v0, s8
	v_mov_b32_e32 v1, s9
	v_lshl_add_u64 v[0:1], v[2:3], 2, v[0:1]
	global_load_dword v0, v[0:1], off
	v_mov_b32_e32 v3, 0x4f800000
	v_mov_b32_e32 v10, 0x41b17218
	s_mov_b32 s12, 0x3f317217
	s_mov_b32 s13, 0x7f800000
	s_movk_i32 s9, 0x4d00
	s_mov_b32 s14, 0xf800000
	v_mov_b32_e32 v15, 0x260
	v_mov_b32_e32 v1, 0
	s_cmp_gt_i32 s16, 0
	s_mov_b32 s8, 0
	v_mul_lo_u32 v2, v2, s16
	s_waitcnt vmcnt(1)
	v_cvt_f32_f16_e32 v11, v4
	v_cvt_f32_f16_sdwa v12, v4 dst_sel:DWORD dst_unused:UNUSED_PAD src0_sel:WORD_1
	v_cvt_f32_f16_e32 v13, v5
	v_cvt_f32_f16_sdwa v14, v5 dst_sel:DWORD dst_unused:UNUSED_PAD src0_sel:WORD_1
	v_mul_f32_e32 v6, 0x3fb8aa3b, v11
	v_mul_f32_e32 v7, 0x3fb8aa3b, v12
	v_exp_f32_e32 v6, v6
	v_exp_f32_e32 v7, v7
	v_mul_f32_e32 v8, 0x3fb8aa3b, v13
	v_mul_f32_e32 v9, 0x3fb8aa3b, v14
	v_exp_f32_e32 v8, v8
	v_exp_f32_e32 v9, v9
	v_pk_add_f32 v[6:7], v[6:7], 1.0 op_sel_hi:[1,0]
	s_waitcnt vmcnt(0)
	v_mul_lo_u32 v0, v0, s16
	v_cmp_gt_f32_e32 vcc, s6, v7
	v_pk_add_f32 v[8:9], v[8:9], 1.0 op_sel_hi:[1,0]
	v_cmp_gt_f32_e64 s[2:3], s6, v6
	v_cndmask_b32_e32 v16, 1.0, v3, vcc
	v_cmp_gt_f32_e64 s[4:5], s6, v9
	v_cndmask_b32_e64 v17, 1.0, v3, s[2:3]
	v_mul_f32_e32 v7, v7, v16
	v_cndmask_b32_e64 v18, 1.0, v3, s[4:5]
	v_cmp_gt_f32_e64 s[6:7], s6, v8
	v_mul_f32_e32 v6, v6, v17
	v_log_f32_e32 v7, v7
	v_cndmask_b32_e64 v3, 1.0, v3, s[6:7]
	v_mul_f32_e32 v9, v9, v18
	v_log_f32_e32 v6, v6
	v_mul_f32_e32 v3, v8, v3
	v_log_f32_e32 v9, v9
	v_log_f32_e32 v3, v3
	v_cndmask_b32_e32 v16, 0, v10, vcc
	v_cndmask_b32_e64 v17, 0, v10, s[2:3]
	v_cndmask_b32_e64 v18, 0, v10, s[4:5]
	;; [unrolled: 1-line block ×3, first 2 shown]
	v_mul_f32_e32 v10, 0x3f317217, v7
	v_mul_f32_e32 v19, 0x3f317217, v6
	v_fma_f32 v10, v7, s12, -v10
	v_mul_f32_e32 v20, 0x3f317217, v9
	v_fma_f32 v19, v6, s12, -v19
	v_fmac_f32_e32 v10, 0x3377d1cf, v7
	v_mul_f32_e32 v21, 0x3f317217, v3
	v_fma_f32 v20, v9, s12, -v20
	v_fmac_f32_e32 v19, 0x3377d1cf, v6
	v_fmac_f32_e32 v10, 0x3f317217, v7
	v_cmp_lt_f32_e64 vcc, |v7|, s13
	v_fma_f32 v21, v3, s12, -v21
	v_fmac_f32_e32 v20, 0x3377d1cf, v9
	v_fmac_f32_e32 v19, 0x3f317217, v6
	v_cndmask_b32_e32 v7, v7, v10, vcc
	v_cmp_lt_f32_e64 vcc, |v6|, s13
	v_fmac_f32_e32 v21, 0x3377d1cf, v3
	v_fmac_f32_e32 v20, 0x3f317217, v9
	v_cndmask_b32_e32 v6, v6, v19, vcc
	v_cmp_lt_f32_e64 vcc, |v9|, s13
	v_fmac_f32_e32 v21, 0x3f317217, v3
	v_sub_f32_e32 v6, v6, v17
	v_cndmask_b32_e32 v9, v9, v20, vcc
	v_cmp_lt_f32_e64 vcc, |v3|, s13
	v_sub_f32_e32 v7, v7, v16
	v_sub_f32_e32 v9, v9, v18
	v_cndmask_b32_e32 v3, v3, v21, vcc
	v_cmp_lt_f16_e32 vcc, s9, v4
	v_cmp_gt_f16_sdwa s[4:5], v5, s9 src0_sel:WORD_1 src1_sel:DWORD
	v_sub_f32_e32 v3, v3, v8
	v_cndmask_b32_e32 v6, v6, v11, vcc
	v_cmp_gt_f16_sdwa vcc, v4, s9 src0_sel:WORD_1 src1_sel:DWORD
	v_mul_f32_e32 v10, 0x4f800000, v6
	v_cmp_gt_f32_e64 s[2:3], s14, v6
	v_cndmask_b32_e32 v4, v7, v12, vcc
	v_mul_f32_e32 v7, 0x4f800000, v4
	v_cmp_gt_f32_e32 vcc, s14, v4
	v_cndmask_b32_e64 v6, v6, v10, s[2:3]
	v_sqrt_f32_e32 v10, v6
	v_cndmask_b32_e32 v4, v4, v7, vcc
	v_sqrt_f32_e32 v7, v4
	v_cndmask_b32_e64 v9, v9, v14, s[4:5]
	v_add_u32_e32 v14, -1, v10
	v_fma_f32 v19, -v14, v10, v6
	v_add_u32_e32 v11, -1, v7
	v_fma_f32 v17, -v11, v7, v4
	v_add_u32_e32 v12, 1, v7
	v_cmp_ge_f32_e64 s[4:5], 0, v17
	v_add_u32_e32 v16, 1, v10
	v_fma_f32 v18, -v12, v7, v4
	v_cndmask_b32_e64 v7, v7, v11, s[4:5]
	v_cmp_ge_f32_e64 s[4:5], 0, v19
	v_fma_f32 v20, -v16, v10, v6
	s_nop 0
	v_cndmask_b32_e64 v10, v10, v14, s[4:5]
	v_cmp_lt_f32_e64 s[4:5], 0, v18
	s_nop 1
	v_cndmask_b32_e64 v7, v7, v12, s[4:5]
	v_cmp_lt_f32_e64 s[4:5], 0, v20
	v_mul_f32_e32 v11, 0x37800000, v7
	v_cndmask_b32_e32 v7, v7, v11, vcc
	v_cndmask_b32_e64 v10, v10, v16, s[4:5]
	v_mul_f32_e32 v12, 0x37800000, v10
	v_cmp_class_f32_e32 vcc, v4, v15
	v_cndmask_b32_e64 v11, v10, v12, s[2:3]
	v_cmp_lt_f16_e64 s[2:3], s9, v5
	v_cndmask_b32_e32 v10, v7, v4, vcc
	v_cmp_class_f32_e32 vcc, v6, v15
	v_mul_f32_e32 v4, 0x4f800000, v9
	v_cndmask_b32_e64 v3, v3, v13, s[2:3]
	v_cndmask_b32_e32 v11, v11, v6, vcc
	v_cmp_gt_f32_e32 vcc, s14, v9
	s_nop 1
	v_cndmask_b32_e32 v4, v9, v4, vcc
	v_sqrt_f32_e32 v6, v4
	s_nop 0
	v_add_u32_e32 v5, -1, v6
	v_fma_f32 v7, -v5, v6, v4
	v_cmp_ge_f32_e64 s[2:3], 0, v7
	v_add_u32_e32 v7, 1, v6
	s_nop 0
	v_cndmask_b32_e64 v5, v6, v5, s[2:3]
	v_fma_f32 v6, -v7, v6, v4
	v_cmp_lt_f32_e64 s[2:3], 0, v6
	s_nop 1
	v_cndmask_b32_e64 v5, v5, v7, s[2:3]
	v_mul_f32_e32 v7, 0x4f800000, v3
	v_cmp_gt_f32_e64 s[2:3], s14, v3
	v_mul_f32_e32 v6, 0x37800000, v5
	v_cndmask_b32_e32 v5, v5, v6, vcc
	v_cndmask_b32_e64 v3, v3, v7, s[2:3]
	v_sqrt_f32_e32 v7, v3
	v_cmp_class_f32_e32 vcc, v4, v15
	s_nop 1
	v_cndmask_b32_e32 v12, v5, v4, vcc
	v_add_u32_e32 v4, -1, v7
	v_fma_f32 v5, -v4, v7, v3
	v_cmp_ge_f32_e32 vcc, 0, v5
	v_add_u32_e32 v5, 1, v7
	v_fma_f32 v6, -v5, v7, v3
	v_cndmask_b32_e32 v4, v7, v4, vcc
	v_cmp_lt_f32_e32 vcc, 0, v6
	s_nop 1
	v_cndmask_b32_e32 v4, v4, v5, vcc
	v_mul_f32_e32 v5, 0x37800000, v4
	v_cndmask_b32_e64 v4, v4, v5, s[2:3]
	v_cmp_class_f32_e32 vcc, v3, v15
	s_cselect_b64 s[2:3], -1, 0
	s_cmp_lt_i32 s16, 1
	v_cndmask_b32_e32 v13, v4, v3, vcc
	v_lshl_add_u64 v[4:5], v[0:1], 2, s[10:11]
	s_cbranch_scc1 .LBB248_21
; %bb.2:
	s_load_dwordx2 s[4:5], s[0:1], 0x20
	s_cmp_lt_u32 s16, 4
	s_cbranch_scc1 .LBB248_22
; %bb.3:
	s_mov_b32 s7, 0
	s_and_b32 s8, s16, 0x7ffffffc
	v_ashrrev_i32_e32 v3, 31, v2
	v_mov_b32_e32 v14, 0
	s_mov_b32 s6, s7
	s_branch .LBB248_5
.LBB248_4:                              ;   in Loop: Header=BB248_5 Depth=1
	s_or_b64 exec, exec, s[12:13]
	s_add_i32 s6, s6, 4
	s_cmp_eq_u32 s6, s8
	s_cbranch_scc1 .LBB248_23
.LBB248_5:                              ; =>This Loop Header: Depth=1
                                        ;     Child Loop BB248_7 Depth 2
                                        ;     Child Loop BB248_11 Depth 2
	;; [unrolled: 1-line block ×4, first 2 shown]
	v_lshl_add_u64 v[6:7], s[6:7], 2, v[4:5]
	global_load_dword v15, v[6:7], off
	v_add_u32_e32 v8, s6, v2
	v_ashrrev_i32_e32 v9, 31, v8
	s_mov_b64 s[12:13], 0
	s_waitcnt lgkmcnt(0)
	v_lshl_add_u64 v[8:9], v[8:9], 2, s[4:5]
	s_mov_b32 s9, 0
	s_waitcnt vmcnt(0)
	v_cmp_eq_u32_e32 vcc, 1, v15
	s_nop 1
	v_cndmask_b32_e32 v17, v11, v10, vcc
	v_cmp_eq_u32_e32 vcc, 2, v15
	v_min_u32_e32 v16, 3, v15
	v_add_u32_e32 v16, 1, v16
	v_cndmask_b32_e32 v17, v17, v13, vcc
	v_cmp_eq_u32_e32 vcc, 3, v15
	s_nop 1
	v_cndmask_b32_e32 v17, v17, v12, vcc
	s_branch .LBB248_7
.LBB248_6:                              ;   in Loop: Header=BB248_7 Depth=2
	s_or_b64 exec, exec, s[14:15]
	s_add_i32 s9, s9, 1
	v_cmp_eq_u32_e32 vcc, s9, v16
	s_or_b64 s[12:13], vcc, s[12:13]
	s_andn2_b64 exec, exec, s[12:13]
	s_cbranch_execz .LBB248_9
.LBB248_7:                              ;   Parent Loop BB248_5 Depth=1
                                        ; =>  This Inner Loop Header: Depth=2
	v_cmp_eq_u32_e32 vcc, s9, v15
	s_and_saveexec_b64 s[14:15], vcc
	s_cbranch_execz .LBB248_6
; %bb.8:                                ;   in Loop: Header=BB248_7 Depth=2
	v_add_f32_e32 v14, v14, v17
	global_store_dword v[8:9], v15, off
	s_branch .LBB248_6
.LBB248_9:                              ;   in Loop: Header=BB248_5 Depth=1
	s_or_b64 exec, exec, s[12:13]
	global_load_dword v15, v[6:7], off offset:4
	s_ashr_i32 s13, s6, 31
	s_mov_b32 s12, s6
	v_lshl_add_u64 v[8:9], s[12:13], 0, v[2:3]
	s_mov_b32 s9, 0
	v_lshl_add_u64 v[8:9], v[8:9], 2, s[4:5]
	s_mov_b64 s[12:13], 0
	s_waitcnt vmcnt(0)
	v_cmp_eq_u32_e32 vcc, 1, v15
	s_nop 1
	v_cndmask_b32_e32 v17, v11, v10, vcc
	v_cmp_eq_u32_e32 vcc, 2, v15
	v_min_u32_e32 v16, 3, v15
	v_add_u32_e32 v16, 1, v16
	v_cndmask_b32_e32 v17, v17, v13, vcc
	v_cmp_eq_u32_e32 vcc, 3, v15
	s_nop 1
	v_cndmask_b32_e32 v17, v17, v12, vcc
	s_branch .LBB248_11
.LBB248_10:                             ;   in Loop: Header=BB248_11 Depth=2
	s_or_b64 exec, exec, s[14:15]
	s_add_i32 s9, s9, 1
	v_cmp_eq_u32_e32 vcc, s9, v16
	s_or_b64 s[12:13], vcc, s[12:13]
	s_andn2_b64 exec, exec, s[12:13]
	s_cbranch_execz .LBB248_13
.LBB248_11:                             ;   Parent Loop BB248_5 Depth=1
                                        ; =>  This Inner Loop Header: Depth=2
	v_cmp_eq_u32_e32 vcc, s9, v15
	s_and_saveexec_b64 s[14:15], vcc
	s_cbranch_execz .LBB248_10
; %bb.12:                               ;   in Loop: Header=BB248_11 Depth=2
	v_add_f32_e32 v14, v14, v17
	global_store_dword v[8:9], v15, off offset:4
	s_branch .LBB248_10
.LBB248_13:                             ;   in Loop: Header=BB248_5 Depth=1
	s_or_b64 exec, exec, s[12:13]
	global_load_dword v15, v[6:7], off offset:8
	s_mov_b32 s9, 0
	s_mov_b64 s[12:13], 0
	s_waitcnt vmcnt(0)
	v_cmp_eq_u32_e32 vcc, 1, v15
	s_nop 1
	v_cndmask_b32_e32 v17, v11, v10, vcc
	v_cmp_eq_u32_e32 vcc, 2, v15
	v_min_u32_e32 v16, 3, v15
	v_add_u32_e32 v16, 1, v16
	v_cndmask_b32_e32 v17, v17, v13, vcc
	v_cmp_eq_u32_e32 vcc, 3, v15
	s_nop 1
	v_cndmask_b32_e32 v17, v17, v12, vcc
	s_branch .LBB248_15
.LBB248_14:                             ;   in Loop: Header=BB248_15 Depth=2
	s_or_b64 exec, exec, s[14:15]
	s_add_i32 s9, s9, 1
	v_cmp_eq_u32_e32 vcc, s9, v16
	s_or_b64 s[12:13], vcc, s[12:13]
	s_andn2_b64 exec, exec, s[12:13]
	s_cbranch_execz .LBB248_17
.LBB248_15:                             ;   Parent Loop BB248_5 Depth=1
                                        ; =>  This Inner Loop Header: Depth=2
	v_cmp_eq_u32_e32 vcc, s9, v15
	s_and_saveexec_b64 s[14:15], vcc
	s_cbranch_execz .LBB248_14
; %bb.16:                               ;   in Loop: Header=BB248_15 Depth=2
	v_add_f32_e32 v14, v14, v17
	global_store_dword v[8:9], v15, off offset:8
	s_branch .LBB248_14
.LBB248_17:                             ;   in Loop: Header=BB248_5 Depth=1
	s_or_b64 exec, exec, s[12:13]
	global_load_dword v6, v[6:7], off offset:12
	s_mov_b32 s9, 0
	s_mov_b64 s[12:13], 0
	s_waitcnt vmcnt(0)
	v_cmp_eq_u32_e32 vcc, 1, v6
	s_nop 1
	v_cndmask_b32_e32 v15, v11, v10, vcc
	v_cmp_eq_u32_e32 vcc, 2, v6
	v_min_u32_e32 v7, 3, v6
	v_add_u32_e32 v7, 1, v7
	v_cndmask_b32_e32 v15, v15, v13, vcc
	v_cmp_eq_u32_e32 vcc, 3, v6
	s_nop 1
	v_cndmask_b32_e32 v15, v15, v12, vcc
	s_branch .LBB248_19
.LBB248_18:                             ;   in Loop: Header=BB248_19 Depth=2
	s_or_b64 exec, exec, s[14:15]
	s_add_i32 s9, s9, 1
	v_cmp_eq_u32_e32 vcc, s9, v7
	s_or_b64 s[12:13], vcc, s[12:13]
	s_andn2_b64 exec, exec, s[12:13]
	s_cbranch_execz .LBB248_4
.LBB248_19:                             ;   Parent Loop BB248_5 Depth=1
                                        ; =>  This Inner Loop Header: Depth=2
	v_cmp_eq_u32_e32 vcc, s9, v6
	s_and_saveexec_b64 s[14:15], vcc
	s_cbranch_execz .LBB248_18
; %bb.20:                               ;   in Loop: Header=BB248_19 Depth=2
	v_add_f32_e32 v14, v14, v15
	global_store_dword v[8:9], v6, off offset:12
	s_branch .LBB248_18
.LBB248_21:
	v_mov_b32_e32 v14, v1
	s_branch .LBB248_30
.LBB248_22:
	v_mov_b32_e32 v14, v1
.LBB248_23:
	s_and_b32 s14, s16, 3
	s_cmp_eq_u32 s14, 0
	s_mov_b32 s9, 0
	s_cbranch_scc1 .LBB248_30
; %bb.24:
	s_mov_b32 s15, s9
	s_branch .LBB248_26
.LBB248_25:                             ;   in Loop: Header=BB248_26 Depth=1
	s_or_b64 exec, exec, s[6:7]
	s_add_i32 s8, s8, 1
	s_add_i32 s15, s15, 1
	s_cmp_lg_u32 s15, s14
	s_cbranch_scc0 .LBB248_30
.LBB248_26:                             ; =>This Loop Header: Depth=1
                                        ;     Child Loop BB248_28 Depth 2
	v_lshl_add_u64 v[6:7], s[8:9], 2, v[4:5]
	global_load_dword v3, v[6:7], off
	v_add_u32_e32 v6, s8, v2
	v_ashrrev_i32_e32 v7, 31, v6
	s_mov_b32 s17, 0
	s_waitcnt lgkmcnt(0)
	v_lshl_add_u64 v[6:7], v[6:7], 2, s[4:5]
	s_mov_b64 s[6:7], 0
	s_waitcnt vmcnt(0)
	v_cmp_eq_u32_e32 vcc, 1, v3
	s_nop 1
	v_cndmask_b32_e32 v9, v11, v10, vcc
	v_cmp_eq_u32_e32 vcc, 2, v3
	v_min_u32_e32 v8, 3, v3
	v_add_u32_e32 v8, 1, v8
	v_cndmask_b32_e32 v9, v9, v13, vcc
	v_cmp_eq_u32_e32 vcc, 3, v3
	s_nop 1
	v_cndmask_b32_e32 v9, v9, v12, vcc
	s_branch .LBB248_28
.LBB248_27:                             ;   in Loop: Header=BB248_28 Depth=2
	s_or_b64 exec, exec, s[12:13]
	s_add_i32 s17, s17, 1
	v_cmp_eq_u32_e32 vcc, s17, v8
	s_or_b64 s[6:7], vcc, s[6:7]
	s_andn2_b64 exec, exec, s[6:7]
	s_cbranch_execz .LBB248_25
.LBB248_28:                             ;   Parent Loop BB248_26 Depth=1
                                        ; =>  This Inner Loop Header: Depth=2
	v_cmp_eq_u32_e32 vcc, s17, v3
	s_and_saveexec_b64 s[12:13], vcc
	s_cbranch_execz .LBB248_27
; %bb.29:                               ;   in Loop: Header=BB248_28 Depth=2
	v_add_f32_e32 v14, v14, v9
	global_store_dword v[6:7], v3, off
	s_branch .LBB248_27
.LBB248_30:
	s_load_dword s6, s[0:1], 0x3c
	s_waitcnt lgkmcnt(0)
	s_load_dwordx2 s[4:5], s[0:1], 0x40
	s_bitcmp1_b32 s6, 0
	s_cselect_b64 s[6:7], -1, 0
	s_waitcnt lgkmcnt(0)
	v_cvt_f32_f64_e32 v15, s[4:5]
	s_and_b64 vcc, exec, s[6:7]
	s_cbranch_vccz .LBB248_32
; %bb.31:
	v_cmp_lt_f32_e32 vcc, 0, v14
	s_nop 1
	v_cndmask_b32_e32 v3, 1.0, v14, vcc
	v_div_scale_f32 v6, s[4:5], v3, v3, v15
	v_rcp_f32_e32 v7, v6
	s_nop 0
	v_fma_f32 v8, -v6, v7, 1.0
	v_fmac_f32_e32 v7, v8, v7
	v_div_scale_f32 v8, vcc, v15, v3, v15
	v_mul_f32_e32 v9, v8, v7
	v_fma_f32 v14, -v6, v9, v8
	v_fmac_f32_e32 v9, v14, v7
	v_fma_f32 v6, -v6, v9, v8
	v_div_fmas_f32 v6, v6, v7, v9
	v_div_fixup_f32 v15, v6, v3, v15
.LBB248_32:
	s_andn2_b64 vcc, exec, s[2:3]
	s_cbranch_vccnz .LBB248_57
; %bb.33:
	s_load_dwordx2 s[0:1], s[0:1], 0x10
	s_cmp_lt_u32 s16, 8
	s_mov_b32 s2, 0
	s_cbranch_scc1 .LBB248_52
; %bb.34:
	v_ashrrev_i32_e32 v3, 31, v2
	s_and_b32 s2, s16, 0x7ffffff8
	s_waitcnt lgkmcnt(0)
	v_lshl_add_u64 v[6:7], v[2:3], 2, s[0:1]
	s_mov_b32 s3, 0
	s_mov_b64 s[4:5], 0
	s_branch .LBB248_36
.LBB248_35:                             ;   in Loop: Header=BB248_36 Depth=1
	s_or_b64 exec, exec, s[6:7]
	s_add_i32 s3, s3, 8
	s_add_u32 s4, s4, 32
	s_addc_u32 s5, s5, 0
	s_cmp_eq_u32 s2, s3
	s_cbranch_scc1 .LBB248_52
.LBB248_36:                             ; =>This Inner Loop Header: Depth=1
	v_lshl_add_u64 v[8:9], v[4:5], 0, s[4:5]
	global_load_dword v3, v[8:9], off
	s_waitcnt vmcnt(0)
	v_cmp_gt_u32_e32 vcc, 4, v3
	s_and_saveexec_b64 s[6:7], vcc
	s_cbranch_execz .LBB248_38
; %bb.37:                               ;   in Loop: Header=BB248_36 Depth=1
	v_cmp_eq_u32_e32 vcc, 1, v3
	v_add_u32_e32 v16, s3, v2
	v_ashrrev_i32_e32 v17, 31, v16
	v_cndmask_b32_e32 v14, v11, v10, vcc
	v_cmp_eq_u32_e32 vcc, 2, v3
	v_lshl_add_u64 v[16:17], v[16:17], 2, s[0:1]
	s_nop 0
	v_cndmask_b32_e32 v14, v14, v13, vcc
	v_cmp_eq_u32_e32 vcc, 3, v3
	s_nop 1
	v_cndmask_b32_e32 v3, v14, v12, vcc
	v_mul_f32_e32 v3, v15, v3
	global_store_dword v[16:17], v3, off
.LBB248_38:                             ;   in Loop: Header=BB248_36 Depth=1
	s_or_b64 exec, exec, s[6:7]
	global_load_dword v3, v[8:9], off offset:4
	s_waitcnt vmcnt(0)
	v_cmp_gt_u32_e32 vcc, 4, v3
	s_and_saveexec_b64 s[6:7], vcc
	s_cbranch_execz .LBB248_40
; %bb.39:                               ;   in Loop: Header=BB248_36 Depth=1
	v_cmp_eq_u32_e32 vcc, 1, v3
	v_lshl_add_u64 v[16:17], v[6:7], 0, s[4:5]
	s_nop 0
	v_cndmask_b32_e32 v14, v11, v10, vcc
	v_cmp_eq_u32_e32 vcc, 2, v3
	s_nop 1
	v_cndmask_b32_e32 v14, v14, v13, vcc
	v_cmp_eq_u32_e32 vcc, 3, v3
	s_nop 1
	v_cndmask_b32_e32 v3, v14, v12, vcc
	v_mul_f32_e32 v3, v15, v3
	global_store_dword v[16:17], v3, off offset:4
.LBB248_40:                             ;   in Loop: Header=BB248_36 Depth=1
	s_or_b64 exec, exec, s[6:7]
	global_load_dword v3, v[8:9], off offset:8
	s_waitcnt vmcnt(0)
	v_cmp_gt_u32_e32 vcc, 4, v3
	s_and_saveexec_b64 s[6:7], vcc
	s_cbranch_execz .LBB248_42
; %bb.41:                               ;   in Loop: Header=BB248_36 Depth=1
	v_cmp_eq_u32_e32 vcc, 1, v3
	v_lshl_add_u64 v[16:17], v[6:7], 0, s[4:5]
	s_nop 0
	v_cndmask_b32_e32 v14, v11, v10, vcc
	v_cmp_eq_u32_e32 vcc, 2, v3
	s_nop 1
	v_cndmask_b32_e32 v14, v14, v13, vcc
	v_cmp_eq_u32_e32 vcc, 3, v3
	s_nop 1
	v_cndmask_b32_e32 v3, v14, v12, vcc
	v_mul_f32_e32 v3, v15, v3
	global_store_dword v[16:17], v3, off offset:8
.LBB248_42:                             ;   in Loop: Header=BB248_36 Depth=1
	;; [unrolled: 20-line block ×6, first 2 shown]
	s_or_b64 exec, exec, s[6:7]
	global_load_dword v3, v[8:9], off offset:28
	s_waitcnt vmcnt(0)
	v_cmp_gt_u32_e32 vcc, 4, v3
	s_and_saveexec_b64 s[6:7], vcc
	s_cbranch_execz .LBB248_35
; %bb.51:                               ;   in Loop: Header=BB248_36 Depth=1
	v_cmp_eq_u32_e32 vcc, 1, v3
	s_nop 1
	v_cndmask_b32_e32 v8, v11, v10, vcc
	v_cmp_eq_u32_e32 vcc, 2, v3
	s_nop 1
	v_cndmask_b32_e32 v8, v8, v13, vcc
	;; [unrolled: 3-line block ×3, first 2 shown]
	v_mul_f32_e32 v3, v15, v3
	v_lshl_add_u64 v[8:9], v[6:7], 0, s[4:5]
	global_store_dword v[8:9], v3, off offset:28
	s_branch .LBB248_35
.LBB248_52:
	s_and_b32 s4, s16, 7
	s_cmp_eq_u32 s4, 0
	s_mov_b32 s3, 0
	s_cbranch_scc1 .LBB248_57
; %bb.53:
	v_add_u32_e32 v2, s2, v2
	s_lshl_b64 s[2:3], s[2:3], 2
	s_add_u32 s2, s10, s2
	s_addc_u32 s3, s11, s3
	v_lshl_add_u64 v[0:1], v[0:1], 2, s[2:3]
	s_branch .LBB248_55
.LBB248_54:                             ;   in Loop: Header=BB248_55 Depth=1
	s_or_b64 exec, exec, s[2:3]
	s_add_i32 s4, s4, -1
	v_add_u32_e32 v2, 1, v2
	s_cmp_eq_u32 s4, 0
	v_lshl_add_u64 v[0:1], v[0:1], 0, 4
	s_cbranch_scc1 .LBB248_57
.LBB248_55:                             ; =>This Inner Loop Header: Depth=1
	global_load_dword v3, v[0:1], off
	s_waitcnt vmcnt(0)
	v_cmp_gt_u32_e32 vcc, 4, v3
	s_and_saveexec_b64 s[2:3], vcc
	s_cbranch_execz .LBB248_54
; %bb.56:                               ;   in Loop: Header=BB248_55 Depth=1
	v_cmp_eq_u32_e32 vcc, 1, v3
	s_nop 1
	v_cndmask_b32_e32 v4, v11, v10, vcc
	v_cmp_eq_u32_e32 vcc, 2, v3
	s_nop 1
	v_cndmask_b32_e32 v4, v4, v13, vcc
	;; [unrolled: 3-line block ×3, first 2 shown]
	v_mul_f32_e32 v6, v15, v3
	v_ashrrev_i32_e32 v3, 31, v2
	s_waitcnt lgkmcnt(0)
	v_lshl_add_u64 v[4:5], v[2:3], 2, s[0:1]
	global_store_dword v[4:5], v6, off
	s_branch .LBB248_54
.LBB248_57:
	s_endpgm
	.section	.rodata,"a",@progbits
	.p2align	6, 0x0
	.amdhsa_kernel _ZN4vllm3moe22topkGatingSoftplusSqrtILi4ELi4ELi4ELi8ELi64ELb1Ej6__halfEEvPKT6_PKbPfiPT5_PiiiibdPKfPKS9_SF_
		.amdhsa_group_segment_fixed_size 0
		.amdhsa_private_segment_fixed_size 0
		.amdhsa_kernarg_size 96
		.amdhsa_user_sgpr_count 2
		.amdhsa_user_sgpr_dispatch_ptr 0
		.amdhsa_user_sgpr_queue_ptr 0
		.amdhsa_user_sgpr_kernarg_segment_ptr 1
		.amdhsa_user_sgpr_dispatch_id 0
		.amdhsa_user_sgpr_kernarg_preload_length 0
		.amdhsa_user_sgpr_kernarg_preload_offset 0
		.amdhsa_user_sgpr_private_segment_size 0
		.amdhsa_uses_dynamic_stack 0
		.amdhsa_enable_private_segment 0
		.amdhsa_system_sgpr_workgroup_id_x 1
		.amdhsa_system_sgpr_workgroup_id_y 0
		.amdhsa_system_sgpr_workgroup_id_z 0
		.amdhsa_system_sgpr_workgroup_info 0
		.amdhsa_system_vgpr_workitem_id 1
		.amdhsa_next_free_vgpr 22
		.amdhsa_next_free_sgpr 18
		.amdhsa_accum_offset 24
		.amdhsa_reserve_vcc 1
		.amdhsa_float_round_mode_32 0
		.amdhsa_float_round_mode_16_64 0
		.amdhsa_float_denorm_mode_32 3
		.amdhsa_float_denorm_mode_16_64 3
		.amdhsa_dx10_clamp 1
		.amdhsa_ieee_mode 1
		.amdhsa_fp16_overflow 0
		.amdhsa_tg_split 0
		.amdhsa_exception_fp_ieee_invalid_op 0
		.amdhsa_exception_fp_denorm_src 0
		.amdhsa_exception_fp_ieee_div_zero 0
		.amdhsa_exception_fp_ieee_overflow 0
		.amdhsa_exception_fp_ieee_underflow 0
		.amdhsa_exception_fp_ieee_inexact 0
		.amdhsa_exception_int_div_zero 0
	.end_amdhsa_kernel
	.section	.text._ZN4vllm3moe22topkGatingSoftplusSqrtILi4ELi4ELi4ELi8ELi64ELb1Ej6__halfEEvPKT6_PKbPfiPT5_PiiiibdPKfPKS9_SF_,"axG",@progbits,_ZN4vllm3moe22topkGatingSoftplusSqrtILi4ELi4ELi4ELi8ELi64ELb1Ej6__halfEEvPKT6_PKbPfiPT5_PiiiibdPKfPKS9_SF_,comdat
.Lfunc_end248:
	.size	_ZN4vllm3moe22topkGatingSoftplusSqrtILi4ELi4ELi4ELi8ELi64ELb1Ej6__halfEEvPKT6_PKbPfiPT5_PiiiibdPKfPKS9_SF_, .Lfunc_end248-_ZN4vllm3moe22topkGatingSoftplusSqrtILi4ELi4ELi4ELi8ELi64ELb1Ej6__halfEEvPKT6_PKbPfiPT5_PiiiibdPKfPKS9_SF_
                                        ; -- End function
	.section	.AMDGPU.csdata,"",@progbits
; Kernel info:
; codeLenInByte = 2984
; NumSgprs: 24
; NumVgprs: 22
; NumAgprs: 0
; TotalNumVgprs: 22
; ScratchSize: 0
; MemoryBound: 0
; FloatMode: 240
; IeeeMode: 1
; LDSByteSize: 0 bytes/workgroup (compile time only)
; SGPRBlocks: 2
; VGPRBlocks: 2
; NumSGPRsForWavesPerEU: 24
; NumVGPRsForWavesPerEU: 22
; AccumOffset: 24
; Occupancy: 8
; WaveLimiterHint : 1
; COMPUTE_PGM_RSRC2:SCRATCH_EN: 0
; COMPUTE_PGM_RSRC2:USER_SGPR: 2
; COMPUTE_PGM_RSRC2:TRAP_HANDLER: 0
; COMPUTE_PGM_RSRC2:TGID_X_EN: 1
; COMPUTE_PGM_RSRC2:TGID_Y_EN: 0
; COMPUTE_PGM_RSRC2:TGID_Z_EN: 0
; COMPUTE_PGM_RSRC2:TIDIG_COMP_CNT: 1
; COMPUTE_PGM_RSRC3_GFX90A:ACCUM_OFFSET: 5
; COMPUTE_PGM_RSRC3_GFX90A:TG_SPLIT: 0
	.section	.text._ZN4vllm3moe22topkGatingSoftplusSqrtILi4ELi4ELi4ELi8ELi64ELb0Ej6__halfEEvPKT6_PKbPfiPT5_PiiiibdPKfPKS9_SF_,"axG",@progbits,_ZN4vllm3moe22topkGatingSoftplusSqrtILi4ELi4ELi4ELi8ELi64ELb0Ej6__halfEEvPKT6_PKbPfiPT5_PiiiibdPKfPKS9_SF_,comdat
	.protected	_ZN4vllm3moe22topkGatingSoftplusSqrtILi4ELi4ELi4ELi8ELi64ELb0Ej6__halfEEvPKT6_PKbPfiPT5_PiiiibdPKfPKS9_SF_ ; -- Begin function _ZN4vllm3moe22topkGatingSoftplusSqrtILi4ELi4ELi4ELi8ELi64ELb0Ej6__halfEEvPKT6_PKbPfiPT5_PiiiibdPKfPKS9_SF_
	.globl	_ZN4vllm3moe22topkGatingSoftplusSqrtILi4ELi4ELi4ELi8ELi64ELb0Ej6__halfEEvPKT6_PKbPfiPT5_PiiiibdPKfPKS9_SF_
	.p2align	8
	.type	_ZN4vllm3moe22topkGatingSoftplusSqrtILi4ELi4ELi4ELi8ELi64ELb0Ej6__halfEEvPKT6_PKbPfiPT5_PiiiibdPKfPKS9_SF_,@function
_ZN4vllm3moe22topkGatingSoftplusSqrtILi4ELi4ELi4ELi8ELi64ELb0Ej6__halfEEvPKT6_PKbPfiPT5_PiiiibdPKfPKS9_SF_: ; @_ZN4vllm3moe22topkGatingSoftplusSqrtILi4ELi4ELi4ELi8ELi64ELb0Ej6__halfEEvPKT6_PKbPfiPT5_PiiiibdPKfPKS9_SF_
; %bb.0:
	s_load_dword s24, s[0:1], 0x18
	v_bfe_u32 v1, v0, 10, 10
	s_lshl_b32 s2, s2, 8
	v_lshlrev_b32_e32 v1, 6, v1
	v_and_b32_e32 v0, 0x3ff, v0
	v_add3_u32 v4, v1, v0, s2
	s_waitcnt lgkmcnt(0)
	v_cmp_gt_i32_e32 vcc, s24, v4
	s_and_saveexec_b64 s[2:3], vcc
	s_cbranch_execz .LBB249_32
; %bb.1:
	s_load_dwordx4 s[4:7], s[0:1], 0x0
	s_load_dwordx2 s[20:21], s[0:1], 0x10
	s_waitcnt lgkmcnt(0)
	s_cmp_eq_u64 s[6:7], 0
	s_cbranch_scc1 .LBB249_3
; %bb.2:
	v_ashrrev_i32_e32 v5, 31, v4
	v_lshl_add_u64 v[0:1], s[6:7], 0, v[4:5]
	global_load_ubyte v0, v[0:1], off
	s_waitcnt vmcnt(0)
	v_and_b32_e32 v0, 1, v0
	v_cmp_eq_u32_e32 vcc, 1, v0
	s_xor_b64 s[2:3], vcc, -1
	s_orn2_b64 s[22:23], s[2:3], exec
	s_branch .LBB249_4
.LBB249_3:
	s_mov_b64 s[22:23], -1
.LBB249_4:
	v_lshlrev_b32_e32 v2, 2, v4
	v_mov_b32_e32 v0, s4
	v_mov_b32_e32 v1, s5
	v_ashrrev_i32_e32 v3, 31, v2
	v_lshl_add_u64 v[0:1], v[2:3], 1, v[0:1]
	global_load_dwordx2 v[2:3], v[0:1], off
	s_mov_b32 s15, 0x800000
	v_mov_b32_e32 v5, 0x4f800000
	s_mov_b32 s13, 0x3f317217
	s_mov_b32 s14, 0x7f800000
	v_mov_b32_e32 v6, 0x41b17218
	s_movk_i32 s12, 0x4d00
	s_mov_b32 s16, 0xf800000
	s_load_dwordx4 s[8:11], s[0:1], 0x40
	s_waitcnt lgkmcnt(0)
	s_cmp_lg_u64 s[10:11], 0
	s_cselect_b64 s[6:7], -1, 0
	s_and_b64 s[2:3], exec, s[6:7]
	s_waitcnt vmcnt(0)
	v_cvt_f32_f16_e32 v0, v2
	v_mul_f32_e32 v1, 0x3fb8aa3b, v0
	v_exp_f32_e32 v1, v1
	s_nop 0
	v_add_f32_e32 v1, 1.0, v1
	v_cmp_gt_f32_e32 vcc, s15, v1
	s_nop 1
	v_cndmask_b32_e32 v7, 1.0, v5, vcc
	v_mul_f32_e32 v1, v1, v7
	v_log_f32_e32 v7, v1
	v_cndmask_b32_e32 v8, 0, v6, vcc
	v_mov_b32_e32 v1, 0x260
	v_mul_f32_e32 v9, 0x3f317217, v7
	v_fma_f32 v9, v7, s13, -v9
	v_fmac_f32_e32 v9, 0x3377d1cf, v7
	v_fmac_f32_e32 v9, 0x3f317217, v7
	v_cmp_lt_f32_e64 vcc, |v7|, s14
	s_nop 1
	v_cndmask_b32_e32 v7, v7, v9, vcc
	v_sub_f32_e32 v7, v7, v8
	v_cmp_lt_f16_e32 vcc, s12, v2
	s_nop 1
	v_cndmask_b32_e32 v0, v7, v0, vcc
	v_mul_f32_e32 v7, 0x4f800000, v0
	v_cmp_gt_f32_e32 vcc, s16, v0
	s_nop 1
	v_cndmask_b32_e32 v0, v0, v7, vcc
	v_sqrt_f32_e32 v7, v0
	s_nop 0
	v_add_u32_e32 v8, -1, v7
	v_add_u32_e32 v9, 1, v7
	v_fma_f32 v10, -v8, v7, v0
	v_fma_f32 v11, -v9, v7, v0
	v_cmp_ge_f32_e64 s[4:5], 0, v10
	s_nop 1
	v_cndmask_b32_e64 v7, v7, v8, s[4:5]
	v_cmp_lt_f32_e64 s[4:5], 0, v11
	s_nop 1
	v_cndmask_b32_e64 v7, v7, v9, s[4:5]
	v_mul_f32_e32 v8, 0x37800000, v7
	v_cndmask_b32_e32 v7, v7, v8, vcc
	v_cmp_class_f32_e32 vcc, v0, v1
	s_nop 1
	v_cndmask_b32_e32 v0, v7, v0, vcc
	s_mov_b64 vcc, s[2:3]
	s_cbranch_vccz .LBB249_6
; %bb.5:
	s_load_dword s2, s[10:11], 0x0
	s_waitcnt lgkmcnt(0)
	v_add_f32_e32 v0, s2, v0
.LBB249_6:
	v_cvt_f32_f16_sdwa v7, v2 dst_sel:DWORD dst_unused:UNUSED_PAD src0_sel:WORD_1
	v_mul_f32_e32 v8, 0x3fb8aa3b, v7
	v_exp_f32_e32 v8, v8
	s_nop 0
	v_add_f32_e32 v8, 1.0, v8
	v_cmp_gt_f32_e32 vcc, s15, v8
	s_nop 1
	v_cndmask_b32_e32 v5, 1.0, v5, vcc
	v_mul_f32_e32 v5, v8, v5
	v_log_f32_e32 v5, v5
	v_cndmask_b32_e32 v6, 0, v6, vcc
	v_mul_f32_e32 v8, 0x3f317217, v5
	v_fma_f32 v8, v5, s13, -v8
	v_fmac_f32_e32 v8, 0x3377d1cf, v5
	v_fmac_f32_e32 v8, 0x3f317217, v5
	v_cmp_lt_f32_e64 vcc, |v5|, s14
	s_nop 1
	v_cndmask_b32_e32 v5, v5, v8, vcc
	v_sub_f32_e32 v5, v5, v6
	v_cmp_gt_f16_sdwa vcc, v2, s12 src0_sel:WORD_1 src1_sel:DWORD
	v_cndmask_b32_e64 v6, 0, 1, s[6:7]
	v_cmp_ne_u32_e64 s[2:3], 1, v6
	v_cndmask_b32_e32 v2, v5, v7, vcc
	v_mul_f32_e32 v5, 0x4f800000, v2
	v_cmp_gt_f32_e64 s[4:5], s16, v2
	s_andn2_b64 vcc, exec, s[6:7]
	s_nop 0
	v_cndmask_b32_e64 v2, v2, v5, s[4:5]
	v_sqrt_f32_e32 v5, v2
	s_nop 0
	v_add_u32_e32 v6, -1, v5
	v_add_u32_e32 v7, 1, v5
	v_fma_f32 v8, -v6, v5, v2
	v_fma_f32 v9, -v7, v5, v2
	v_cmp_ge_f32_e64 s[6:7], 0, v8
	s_nop 1
	v_cndmask_b32_e64 v5, v5, v6, s[6:7]
	v_cmp_lt_f32_e64 s[6:7], 0, v9
	s_nop 1
	v_cndmask_b32_e64 v5, v5, v7, s[6:7]
	v_mul_f32_e32 v6, 0x37800000, v5
	v_cndmask_b32_e64 v5, v5, v6, s[4:5]
	v_cmp_class_f32_e64 s[4:5], v2, v1
	s_nop 1
	v_cndmask_b32_e64 v1, v5, v2, s[4:5]
	s_cbranch_vccnz .LBB249_8
; %bb.7:
	s_load_dword s4, s[10:11], 0x4
	s_waitcnt lgkmcnt(0)
	v_add_f32_e32 v1, s4, v1
.LBB249_8:
	v_cvt_f32_f16_e32 v2, v3
	s_mov_b32 s12, 0x800000
	v_mov_b32_e32 v6, 0x4f800000
	s_mov_b32 s7, 0x3f317217
	v_mul_f32_e32 v5, 0x3fb8aa3b, v2
	v_exp_f32_e32 v5, v5
	s_mov_b32 s13, 0x7f800000
	s_movk_i32 s6, 0x4d00
	s_mov_b32 s14, 0xf800000
	v_add_f32_e32 v5, 1.0, v5
	v_cmp_gt_f32_e32 vcc, s12, v5
	s_nop 1
	v_cndmask_b32_e32 v7, 1.0, v6, vcc
	v_mul_f32_e32 v5, v5, v7
	v_log_f32_e32 v5, v5
	v_mov_b32_e32 v7, 0x41b17218
	v_cndmask_b32_e32 v8, 0, v7, vcc
	v_mul_f32_e32 v9, 0x3f317217, v5
	v_fma_f32 v9, v5, s7, -v9
	v_fmac_f32_e32 v9, 0x3377d1cf, v5
	v_fmac_f32_e32 v9, 0x3f317217, v5
	v_cmp_lt_f32_e64 vcc, |v5|, s13
	s_nop 1
	v_cndmask_b32_e32 v5, v5, v9, vcc
	v_sub_f32_e32 v5, v5, v8
	v_cmp_lt_f16_e32 vcc, s6, v3
	s_nop 1
	v_cndmask_b32_e32 v2, v5, v2, vcc
	v_mul_f32_e32 v5, 0x4f800000, v2
	v_cmp_gt_f32_e32 vcc, s14, v2
	s_nop 1
	v_cndmask_b32_e32 v2, v2, v5, vcc
	v_sqrt_f32_e32 v5, v2
	s_nop 0
	v_add_u32_e32 v8, -1, v5
	v_fma_f32 v9, -v8, v5, v2
	v_cmp_ge_f32_e64 s[4:5], 0, v9
	v_add_u32_e32 v9, 1, v5
	s_nop 0
	v_cndmask_b32_e64 v8, v5, v8, s[4:5]
	v_fma_f32 v5, -v9, v5, v2
	v_cmp_lt_f32_e64 s[4:5], 0, v5
	s_nop 1
	v_cndmask_b32_e64 v5, v8, v9, s[4:5]
	v_mul_f32_e32 v8, 0x37800000, v5
	v_cndmask_b32_e32 v8, v5, v8, vcc
	v_mov_b32_e32 v5, 0x260
	v_cmp_class_f32_e64 s[4:5], v2, v5
	s_and_b64 vcc, exec, s[2:3]
	s_nop 0
	v_cndmask_b32_e64 v2, v8, v2, s[4:5]
	s_cbranch_vccnz .LBB249_10
; %bb.9:
	s_load_dword s4, s[10:11], 0x8
	s_waitcnt lgkmcnt(0)
	v_add_f32_e32 v2, s4, v2
.LBB249_10:
	v_cvt_f32_f16_sdwa v8, v3 dst_sel:DWORD dst_unused:UNUSED_PAD src0_sel:WORD_1
	v_mul_f32_e32 v9, 0x3fb8aa3b, v8
	v_exp_f32_e32 v9, v9
	s_nop 0
	v_add_f32_e32 v9, 1.0, v9
	v_cmp_gt_f32_e32 vcc, s12, v9
	s_nop 1
	v_cndmask_b32_e32 v6, 1.0, v6, vcc
	v_mul_f32_e32 v6, v9, v6
	v_log_f32_e32 v6, v6
	v_cndmask_b32_e32 v7, 0, v7, vcc
	v_mul_f32_e32 v9, 0x3f317217, v6
	v_fma_f32 v9, v6, s7, -v9
	v_fmac_f32_e32 v9, 0x3377d1cf, v6
	v_fmac_f32_e32 v9, 0x3f317217, v6
	v_cmp_lt_f32_e64 vcc, |v6|, s13
	s_nop 1
	v_cndmask_b32_e32 v6, v6, v9, vcc
	v_sub_f32_e32 v6, v6, v7
	v_cmp_gt_f16_sdwa vcc, v3, s6 src0_sel:WORD_1 src1_sel:DWORD
	s_nop 1
	v_cndmask_b32_e32 v3, v6, v8, vcc
	v_mul_f32_e32 v6, 0x4f800000, v3
	v_cmp_gt_f32_e64 s[4:5], s14, v3
	s_and_b64 vcc, exec, s[2:3]
	s_nop 0
	v_cndmask_b32_e64 v3, v3, v6, s[4:5]
	v_sqrt_f32_e32 v6, v3
	s_nop 0
	v_add_u32_e32 v7, -1, v6
	v_add_u32_e32 v8, 1, v6
	v_fma_f32 v9, -v7, v6, v3
	v_fma_f32 v10, -v8, v6, v3
	v_cmp_ge_f32_e64 s[6:7], 0, v9
	s_nop 1
	v_cndmask_b32_e64 v6, v6, v7, s[6:7]
	v_cmp_lt_f32_e64 s[6:7], 0, v10
	s_nop 1
	v_cndmask_b32_e64 v6, v6, v8, s[6:7]
	v_mul_f32_e32 v7, 0x37800000, v6
	v_cndmask_b32_e64 v6, v6, v7, s[4:5]
	v_cmp_class_f32_e64 s[4:5], v3, v5
	s_nop 1
	v_cndmask_b32_e64 v3, v6, v3, s[4:5]
	s_cbranch_vccnz .LBB249_12
; %bb.11:
	s_load_dword s4, s[10:11], 0xc
	s_waitcnt lgkmcnt(0)
	v_add_f32_e32 v3, s4, v3
.LBB249_12:
	s_load_dwordx4 s[12:15], s[0:1], 0x30
	s_mov_b32 s25, 0
	s_waitcnt lgkmcnt(0)
	s_bitcmp1_b32 s15, 0
	s_cselect_b64 s[4:5], -1, 0
	s_cmp_gt_i32 s12, 0
	s_cselect_b64 s[6:7], -1, 0
	s_and_b64 vcc, exec, s[6:7]
	v_mul_lo_u32 v6, v4, s12
	s_cbranch_vccz .LBB249_19
; %bb.13:
	s_load_dwordx4 s[16:19], s[0:1], 0x20
	v_mov_b32_e32 v5, 0
	v_mov_b32_e32 v7, 0xc61c4000
	s_branch .LBB249_15
.LBB249_14:                             ;   in Loop: Header=BB249_15 Depth=1
	v_add_f32_e32 v8, v5, v8
	v_cndmask_b32_e64 v5, v5, v8, s[4:5]
	s_cmp_lg_u32 s12, s25
	v_add_u32_e32 v4, s24, v4
	s_cbranch_scc0 .LBB249_20
.LBB249_15:                             ; =>This Inner Loop Header: Depth=1
	v_cmp_gt_f32_e32 vcc, v1, v0
	s_nop 1
	v_cndmask_b32_e32 v9, v0, v1, vcc
	v_cndmask_b32_e64 v8, 0, 1, vcc
	v_cmp_gt_f32_e32 vcc, v2, v9
	s_nop 1
	v_cndmask_b32_e32 v10, v9, v2, vcc
	v_cndmask_b32_e64 v8, v8, 2, vcc
	v_cmp_gt_f32_e64 s[0:1], v3, v10
	s_and_b64 vcc, exec, s[2:3]
	s_nop 0
	v_cndmask_b32_e64 v9, v8, 3, s[0:1]
	v_cndmask_b32_e64 v8, v10, v3, s[0:1]
	s_cbranch_vccnz .LBB249_17
; %bb.16:                               ;   in Loop: Header=BB249_15 Depth=1
	v_lshlrev_b32_e32 v10, 2, v9
	global_load_dword v10, v10, s[10:11]
	s_waitcnt vmcnt(0)
	v_sub_f32_e32 v8, v8, v10
.LBB249_17:                             ;   in Loop: Header=BB249_15 Depth=1
	v_add_u32_e32 v10, s25, v6
	v_ashrrev_i32_e32 v11, 31, v10
	v_cmp_le_i32_e32 vcc, s13, v9
	v_cmp_gt_i32_e64 s[0:1], s14, v9
	v_lshlrev_b64 v[10:11], 2, v[10:11]
	s_and_b64 s[0:1], vcc, s[0:1]
	v_lshl_add_u64 v[12:13], s[20:21], 0, v[10:11]
	global_store_dword v[12:13], v8, off
	v_subrev_u32_e32 v12, s13, v9
	s_and_b64 vcc, s[22:23], s[0:1]
	s_add_i32 s25, s25, 1
	v_cndmask_b32_e32 v14, 4, v12, vcc
	s_waitcnt lgkmcnt(0)
	v_lshl_add_u64 v[12:13], s[16:17], 0, v[10:11]
	v_lshl_add_u64 v[10:11], s[18:19], 0, v[10:11]
	s_cmp_ge_i32 s25, s12
	global_store_dword v[12:13], v14, off
	global_store_dword v[10:11], v4, off
	s_cbranch_scc1 .LBB249_14
; %bb.18:                               ;   in Loop: Header=BB249_15 Depth=1
	v_cmp_ne_u32_e32 vcc, 3, v9
	s_nop 1
	v_cndmask_b32_e32 v3, v7, v3, vcc
	v_cmp_ne_u32_e32 vcc, 2, v9
	s_nop 1
	v_cndmask_b32_e32 v2, v7, v2, vcc
	;; [unrolled: 3-line block ×4, first 2 shown]
	s_branch .LBB249_14
.LBB249_19:
	v_mov_b32_e32 v5, 0
.LBB249_20:
	s_andn2_b64 vcc, exec, s[4:5]
	v_cvt_f32_f64_e32 v0, s[8:9]
	s_cbranch_vccnz .LBB249_22
; %bb.21:
	v_cmp_lt_f32_e32 vcc, 0, v5
	s_nop 1
	v_cndmask_b32_e32 v1, 1.0, v5, vcc
	v_div_scale_f32 v2, s[0:1], v1, v1, v0
	v_rcp_f32_e32 v3, v2
	s_nop 0
	v_fma_f32 v4, -v2, v3, 1.0
	v_fmac_f32_e32 v3, v4, v3
	v_div_scale_f32 v4, vcc, v0, v1, v0
	v_mul_f32_e32 v5, v4, v3
	v_fma_f32 v7, -v2, v5, v4
	v_fmac_f32_e32 v5, v7, v3
	v_fma_f32 v2, -v2, v5, v4
	v_div_fmas_f32 v2, v2, v3, v5
	v_div_fixup_f32 v0, v2, v1, v0
.LBB249_22:
	s_andn2_b64 vcc, exec, s[6:7]
	s_cbranch_vccnz .LBB249_32
; %bb.23:
	s_cmp_gt_u32 s12, 3
	v_ashrrev_i32_e32 v7, 31, v6
	s_cbranch_scc0 .LBB249_27
; %bb.24:
	s_and_b32 s0, s12, 0x7ffffffc
	v_lshl_add_u64 v[2:3], v[6:7], 2, s[20:21]
	v_mov_b32_e32 v1, v0
	v_lshl_add_u64 v[2:3], v[2:3], 0, 8
	s_mov_b32 s1, s0
.LBB249_25:                             ; =>This Inner Loop Header: Depth=1
	global_load_dwordx4 v[8:11], v[2:3], off offset:-8
	s_add_i32 s1, s1, -4
	s_cmp_lg_u32 s1, 0
	s_waitcnt vmcnt(0)
	v_pk_mul_f32 v[8:9], v[0:1], v[8:9]
	v_pk_mul_f32 v[10:11], v[0:1], v[10:11]
	global_store_dwordx4 v[2:3], v[8:11], off offset:-8
	v_lshl_add_u64 v[2:3], v[2:3], 0, 16
	s_cbranch_scc1 .LBB249_25
; %bb.26:
	s_cmp_lg_u32 s0, s12
	s_cselect_b64 s[2:3], -1, 0
	s_branch .LBB249_29
.LBB249_27:
	s_mov_b64 s[2:3], 0
                                        ; implicit-def: $sgpr0
	s_cbranch_execz .LBB249_29
; %bb.28:
	s_mov_b64 s[2:3], -1
	s_mov_b32 s0, 0
.LBB249_29:
	s_andn2_b64 vcc, exec, s[2:3]
	s_cbranch_vccnz .LBB249_32
; %bb.30:
	s_mov_b32 s1, 0
	v_lshl_add_u64 v[2:3], v[6:7], 0, s[0:1]
	s_sub_i32 s2, s12, s0
	v_lshl_add_u64 v[2:3], v[2:3], 2, s[20:21]
.LBB249_31:                             ; =>This Inner Loop Header: Depth=1
	global_load_dword v1, v[2:3], off
	s_add_i32 s2, s2, -1
	s_cmp_lg_u32 s2, 0
	s_waitcnt vmcnt(0)
	v_mul_f32_e32 v1, v0, v1
	global_store_dword v[2:3], v1, off
	v_lshl_add_u64 v[2:3], v[2:3], 0, 4
	s_cbranch_scc1 .LBB249_31
.LBB249_32:
	s_endpgm
	.section	.rodata,"a",@progbits
	.p2align	6, 0x0
	.amdhsa_kernel _ZN4vllm3moe22topkGatingSoftplusSqrtILi4ELi4ELi4ELi8ELi64ELb0Ej6__halfEEvPKT6_PKbPfiPT5_PiiiibdPKfPKS9_SF_
		.amdhsa_group_segment_fixed_size 0
		.amdhsa_private_segment_fixed_size 0
		.amdhsa_kernarg_size 96
		.amdhsa_user_sgpr_count 2
		.amdhsa_user_sgpr_dispatch_ptr 0
		.amdhsa_user_sgpr_queue_ptr 0
		.amdhsa_user_sgpr_kernarg_segment_ptr 1
		.amdhsa_user_sgpr_dispatch_id 0
		.amdhsa_user_sgpr_kernarg_preload_length 0
		.amdhsa_user_sgpr_kernarg_preload_offset 0
		.amdhsa_user_sgpr_private_segment_size 0
		.amdhsa_uses_dynamic_stack 0
		.amdhsa_enable_private_segment 0
		.amdhsa_system_sgpr_workgroup_id_x 1
		.amdhsa_system_sgpr_workgroup_id_y 0
		.amdhsa_system_sgpr_workgroup_id_z 0
		.amdhsa_system_sgpr_workgroup_info 0
		.amdhsa_system_vgpr_workitem_id 1
		.amdhsa_next_free_vgpr 15
		.amdhsa_next_free_sgpr 26
		.amdhsa_accum_offset 16
		.amdhsa_reserve_vcc 1
		.amdhsa_float_round_mode_32 0
		.amdhsa_float_round_mode_16_64 0
		.amdhsa_float_denorm_mode_32 3
		.amdhsa_float_denorm_mode_16_64 3
		.amdhsa_dx10_clamp 1
		.amdhsa_ieee_mode 1
		.amdhsa_fp16_overflow 0
		.amdhsa_tg_split 0
		.amdhsa_exception_fp_ieee_invalid_op 0
		.amdhsa_exception_fp_denorm_src 0
		.amdhsa_exception_fp_ieee_div_zero 0
		.amdhsa_exception_fp_ieee_overflow 0
		.amdhsa_exception_fp_ieee_underflow 0
		.amdhsa_exception_fp_ieee_inexact 0
		.amdhsa_exception_int_div_zero 0
	.end_amdhsa_kernel
	.section	.text._ZN4vllm3moe22topkGatingSoftplusSqrtILi4ELi4ELi4ELi8ELi64ELb0Ej6__halfEEvPKT6_PKbPfiPT5_PiiiibdPKfPKS9_SF_,"axG",@progbits,_ZN4vllm3moe22topkGatingSoftplusSqrtILi4ELi4ELi4ELi8ELi64ELb0Ej6__halfEEvPKT6_PKbPfiPT5_PiiiibdPKfPKS9_SF_,comdat
.Lfunc_end249:
	.size	_ZN4vllm3moe22topkGatingSoftplusSqrtILi4ELi4ELi4ELi8ELi64ELb0Ej6__halfEEvPKT6_PKbPfiPT5_PiiiibdPKfPKS9_SF_, .Lfunc_end249-_ZN4vllm3moe22topkGatingSoftplusSqrtILi4ELi4ELi4ELi8ELi64ELb0Ej6__halfEEvPKT6_PKbPfiPT5_PiiiibdPKfPKS9_SF_
                                        ; -- End function
	.section	.AMDGPU.csdata,"",@progbits
; Kernel info:
; codeLenInByte = 2064
; NumSgprs: 32
; NumVgprs: 15
; NumAgprs: 0
; TotalNumVgprs: 15
; ScratchSize: 0
; MemoryBound: 0
; FloatMode: 240
; IeeeMode: 1
; LDSByteSize: 0 bytes/workgroup (compile time only)
; SGPRBlocks: 3
; VGPRBlocks: 1
; NumSGPRsForWavesPerEU: 32
; NumVGPRsForWavesPerEU: 15
; AccumOffset: 16
; Occupancy: 8
; WaveLimiterHint : 0
; COMPUTE_PGM_RSRC2:SCRATCH_EN: 0
; COMPUTE_PGM_RSRC2:USER_SGPR: 2
; COMPUTE_PGM_RSRC2:TRAP_HANDLER: 0
; COMPUTE_PGM_RSRC2:TGID_X_EN: 1
; COMPUTE_PGM_RSRC2:TGID_Y_EN: 0
; COMPUTE_PGM_RSRC2:TGID_Z_EN: 0
; COMPUTE_PGM_RSRC2:TIDIG_COMP_CNT: 1
; COMPUTE_PGM_RSRC3_GFX90A:ACCUM_OFFSET: 3
; COMPUTE_PGM_RSRC3_GFX90A:TG_SPLIT: 0
	.section	.text._ZN4vllm3moe22topkGatingSoftplusSqrtILi4ELi4ELi4ELi8ELi32ELb1Ej6__halfEEvPKT6_PKbPfiPT5_PiiiibdPKfPKS9_SF_,"axG",@progbits,_ZN4vllm3moe22topkGatingSoftplusSqrtILi4ELi4ELi4ELi8ELi32ELb1Ej6__halfEEvPKT6_PKbPfiPT5_PiiiibdPKfPKS9_SF_,comdat
	.protected	_ZN4vllm3moe22topkGatingSoftplusSqrtILi4ELi4ELi4ELi8ELi32ELb1Ej6__halfEEvPKT6_PKbPfiPT5_PiiiibdPKfPKS9_SF_ ; -- Begin function _ZN4vllm3moe22topkGatingSoftplusSqrtILi4ELi4ELi4ELi8ELi32ELb1Ej6__halfEEvPKT6_PKbPfiPT5_PiiiibdPKfPKS9_SF_
	.globl	_ZN4vllm3moe22topkGatingSoftplusSqrtILi4ELi4ELi4ELi8ELi32ELb1Ej6__halfEEvPKT6_PKbPfiPT5_PiiiibdPKfPKS9_SF_
	.p2align	8
	.type	_ZN4vllm3moe22topkGatingSoftplusSqrtILi4ELi4ELi4ELi8ELi32ELb1Ej6__halfEEvPKT6_PKbPfiPT5_PiiiibdPKfPKS9_SF_,@function
_ZN4vllm3moe22topkGatingSoftplusSqrtILi4ELi4ELi4ELi8ELi32ELb1Ej6__halfEEvPKT6_PKbPfiPT5_PiiiibdPKfPKS9_SF_: ; @_ZN4vllm3moe22topkGatingSoftplusSqrtILi4ELi4ELi4ELi8ELi32ELb1Ej6__halfEEvPKT6_PKbPfiPT5_PiiiibdPKfPKS9_SF_
; %bb.0:
	s_load_dword s3, s[0:1], 0x18
	v_bfe_u32 v1, v0, 10, 10
	s_lshl_b32 s2, s2, 7
	v_lshlrev_b32_e32 v1, 5, v1
	v_and_b32_e32 v0, 0x3ff, v0
	v_add3_u32 v2, v1, v0, s2
	s_waitcnt lgkmcnt(0)
	v_cmp_gt_i32_e32 vcc, s3, v2
	s_and_saveexec_b64 s[2:3], vcc
	s_cbranch_execz .LBB250_57
; %bb.1:
	s_load_dwordx2 s[2:3], s[0:1], 0x0
	s_load_dword s16, s[0:1], 0x30
	v_lshlrev_b32_e32 v0, 2, v2
	v_ashrrev_i32_e32 v1, 31, v0
	s_load_dwordx4 s[8:11], s[0:1], 0x50
	s_waitcnt lgkmcnt(0)
	v_lshl_add_u64 v[0:1], v[0:1], 1, s[2:3]
	global_load_dwordx2 v[4:5], v[0:1], off
	v_ashrrev_i32_e32 v3, 31, v2
	s_mov_b32 s6, 0x800000
	v_mov_b32_e32 v0, s8
	v_mov_b32_e32 v1, s9
	v_lshl_add_u64 v[0:1], v[2:3], 2, v[0:1]
	global_load_dword v0, v[0:1], off
	v_mov_b32_e32 v3, 0x4f800000
	v_mov_b32_e32 v10, 0x41b17218
	s_mov_b32 s12, 0x3f317217
	s_mov_b32 s13, 0x7f800000
	s_movk_i32 s9, 0x4d00
	s_mov_b32 s14, 0xf800000
	v_mov_b32_e32 v15, 0x260
	v_mov_b32_e32 v1, 0
	s_cmp_gt_i32 s16, 0
	s_mov_b32 s8, 0
	v_mul_lo_u32 v2, v2, s16
	s_waitcnt vmcnt(1)
	v_cvt_f32_f16_e32 v11, v4
	v_cvt_f32_f16_sdwa v12, v4 dst_sel:DWORD dst_unused:UNUSED_PAD src0_sel:WORD_1
	v_cvt_f32_f16_e32 v13, v5
	v_cvt_f32_f16_sdwa v14, v5 dst_sel:DWORD dst_unused:UNUSED_PAD src0_sel:WORD_1
	v_mul_f32_e32 v6, 0x3fb8aa3b, v11
	v_mul_f32_e32 v7, 0x3fb8aa3b, v12
	v_exp_f32_e32 v6, v6
	v_exp_f32_e32 v7, v7
	v_mul_f32_e32 v8, 0x3fb8aa3b, v13
	v_mul_f32_e32 v9, 0x3fb8aa3b, v14
	v_exp_f32_e32 v8, v8
	v_exp_f32_e32 v9, v9
	v_pk_add_f32 v[6:7], v[6:7], 1.0 op_sel_hi:[1,0]
	s_waitcnt vmcnt(0)
	v_mul_lo_u32 v0, v0, s16
	v_cmp_gt_f32_e32 vcc, s6, v7
	v_pk_add_f32 v[8:9], v[8:9], 1.0 op_sel_hi:[1,0]
	v_cmp_gt_f32_e64 s[2:3], s6, v6
	v_cndmask_b32_e32 v16, 1.0, v3, vcc
	v_cmp_gt_f32_e64 s[4:5], s6, v9
	v_cndmask_b32_e64 v17, 1.0, v3, s[2:3]
	v_mul_f32_e32 v7, v7, v16
	v_cndmask_b32_e64 v18, 1.0, v3, s[4:5]
	v_cmp_gt_f32_e64 s[6:7], s6, v8
	v_mul_f32_e32 v6, v6, v17
	v_log_f32_e32 v7, v7
	v_cndmask_b32_e64 v3, 1.0, v3, s[6:7]
	v_mul_f32_e32 v9, v9, v18
	v_log_f32_e32 v6, v6
	v_mul_f32_e32 v3, v8, v3
	v_log_f32_e32 v9, v9
	v_log_f32_e32 v3, v3
	v_cndmask_b32_e32 v16, 0, v10, vcc
	v_cndmask_b32_e64 v17, 0, v10, s[2:3]
	v_cndmask_b32_e64 v18, 0, v10, s[4:5]
	v_cndmask_b32_e64 v8, 0, v10, s[6:7]
	v_mul_f32_e32 v10, 0x3f317217, v7
	v_mul_f32_e32 v19, 0x3f317217, v6
	v_fma_f32 v10, v7, s12, -v10
	v_mul_f32_e32 v20, 0x3f317217, v9
	v_fma_f32 v19, v6, s12, -v19
	v_fmac_f32_e32 v10, 0x3377d1cf, v7
	v_mul_f32_e32 v21, 0x3f317217, v3
	v_fma_f32 v20, v9, s12, -v20
	v_fmac_f32_e32 v19, 0x3377d1cf, v6
	v_fmac_f32_e32 v10, 0x3f317217, v7
	v_cmp_lt_f32_e64 vcc, |v7|, s13
	v_fma_f32 v21, v3, s12, -v21
	v_fmac_f32_e32 v20, 0x3377d1cf, v9
	v_fmac_f32_e32 v19, 0x3f317217, v6
	v_cndmask_b32_e32 v7, v7, v10, vcc
	v_cmp_lt_f32_e64 vcc, |v6|, s13
	v_fmac_f32_e32 v21, 0x3377d1cf, v3
	v_fmac_f32_e32 v20, 0x3f317217, v9
	v_cndmask_b32_e32 v6, v6, v19, vcc
	v_cmp_lt_f32_e64 vcc, |v9|, s13
	v_fmac_f32_e32 v21, 0x3f317217, v3
	v_sub_f32_e32 v6, v6, v17
	v_cndmask_b32_e32 v9, v9, v20, vcc
	v_cmp_lt_f32_e64 vcc, |v3|, s13
	v_sub_f32_e32 v7, v7, v16
	v_sub_f32_e32 v9, v9, v18
	v_cndmask_b32_e32 v3, v3, v21, vcc
	v_cmp_lt_f16_e32 vcc, s9, v4
	v_cmp_gt_f16_sdwa s[4:5], v5, s9 src0_sel:WORD_1 src1_sel:DWORD
	v_sub_f32_e32 v3, v3, v8
	v_cndmask_b32_e32 v6, v6, v11, vcc
	v_cmp_gt_f16_sdwa vcc, v4, s9 src0_sel:WORD_1 src1_sel:DWORD
	v_mul_f32_e32 v10, 0x4f800000, v6
	v_cmp_gt_f32_e64 s[2:3], s14, v6
	v_cndmask_b32_e32 v4, v7, v12, vcc
	v_mul_f32_e32 v7, 0x4f800000, v4
	v_cmp_gt_f32_e32 vcc, s14, v4
	v_cndmask_b32_e64 v6, v6, v10, s[2:3]
	v_sqrt_f32_e32 v10, v6
	v_cndmask_b32_e32 v4, v4, v7, vcc
	v_sqrt_f32_e32 v7, v4
	v_cndmask_b32_e64 v9, v9, v14, s[4:5]
	v_add_u32_e32 v14, -1, v10
	v_fma_f32 v19, -v14, v10, v6
	v_add_u32_e32 v11, -1, v7
	v_fma_f32 v17, -v11, v7, v4
	v_add_u32_e32 v12, 1, v7
	v_cmp_ge_f32_e64 s[4:5], 0, v17
	v_add_u32_e32 v16, 1, v10
	v_fma_f32 v18, -v12, v7, v4
	v_cndmask_b32_e64 v7, v7, v11, s[4:5]
	v_cmp_ge_f32_e64 s[4:5], 0, v19
	v_fma_f32 v20, -v16, v10, v6
	s_nop 0
	v_cndmask_b32_e64 v10, v10, v14, s[4:5]
	v_cmp_lt_f32_e64 s[4:5], 0, v18
	s_nop 1
	v_cndmask_b32_e64 v7, v7, v12, s[4:5]
	v_cmp_lt_f32_e64 s[4:5], 0, v20
	v_mul_f32_e32 v11, 0x37800000, v7
	v_cndmask_b32_e32 v7, v7, v11, vcc
	v_cndmask_b32_e64 v10, v10, v16, s[4:5]
	v_mul_f32_e32 v12, 0x37800000, v10
	v_cmp_class_f32_e32 vcc, v4, v15
	v_cndmask_b32_e64 v11, v10, v12, s[2:3]
	v_cmp_lt_f16_e64 s[2:3], s9, v5
	v_cndmask_b32_e32 v10, v7, v4, vcc
	v_cmp_class_f32_e32 vcc, v6, v15
	v_mul_f32_e32 v4, 0x4f800000, v9
	v_cndmask_b32_e64 v3, v3, v13, s[2:3]
	v_cndmask_b32_e32 v11, v11, v6, vcc
	v_cmp_gt_f32_e32 vcc, s14, v9
	s_nop 1
	v_cndmask_b32_e32 v4, v9, v4, vcc
	v_sqrt_f32_e32 v6, v4
	s_nop 0
	v_add_u32_e32 v5, -1, v6
	v_fma_f32 v7, -v5, v6, v4
	v_cmp_ge_f32_e64 s[2:3], 0, v7
	v_add_u32_e32 v7, 1, v6
	s_nop 0
	v_cndmask_b32_e64 v5, v6, v5, s[2:3]
	v_fma_f32 v6, -v7, v6, v4
	v_cmp_lt_f32_e64 s[2:3], 0, v6
	s_nop 1
	v_cndmask_b32_e64 v5, v5, v7, s[2:3]
	v_mul_f32_e32 v7, 0x4f800000, v3
	v_cmp_gt_f32_e64 s[2:3], s14, v3
	v_mul_f32_e32 v6, 0x37800000, v5
	v_cndmask_b32_e32 v5, v5, v6, vcc
	v_cndmask_b32_e64 v3, v3, v7, s[2:3]
	v_sqrt_f32_e32 v7, v3
	v_cmp_class_f32_e32 vcc, v4, v15
	s_nop 1
	v_cndmask_b32_e32 v12, v5, v4, vcc
	v_add_u32_e32 v4, -1, v7
	v_fma_f32 v5, -v4, v7, v3
	v_cmp_ge_f32_e32 vcc, 0, v5
	v_add_u32_e32 v5, 1, v7
	v_fma_f32 v6, -v5, v7, v3
	v_cndmask_b32_e32 v4, v7, v4, vcc
	v_cmp_lt_f32_e32 vcc, 0, v6
	s_nop 1
	v_cndmask_b32_e32 v4, v4, v5, vcc
	v_mul_f32_e32 v5, 0x37800000, v4
	v_cndmask_b32_e64 v4, v4, v5, s[2:3]
	v_cmp_class_f32_e32 vcc, v3, v15
	s_cselect_b64 s[2:3], -1, 0
	s_cmp_lt_i32 s16, 1
	v_cndmask_b32_e32 v13, v4, v3, vcc
	v_lshl_add_u64 v[4:5], v[0:1], 2, s[10:11]
	s_cbranch_scc1 .LBB250_21
; %bb.2:
	s_load_dwordx2 s[4:5], s[0:1], 0x20
	s_cmp_lt_u32 s16, 4
	s_cbranch_scc1 .LBB250_22
; %bb.3:
	s_mov_b32 s7, 0
	s_and_b32 s8, s16, 0x7ffffffc
	v_ashrrev_i32_e32 v3, 31, v2
	v_mov_b32_e32 v14, 0
	s_mov_b32 s6, s7
	s_branch .LBB250_5
.LBB250_4:                              ;   in Loop: Header=BB250_5 Depth=1
	s_or_b64 exec, exec, s[12:13]
	s_add_i32 s6, s6, 4
	s_cmp_eq_u32 s6, s8
	s_cbranch_scc1 .LBB250_23
.LBB250_5:                              ; =>This Loop Header: Depth=1
                                        ;     Child Loop BB250_7 Depth 2
                                        ;     Child Loop BB250_11 Depth 2
	;; [unrolled: 1-line block ×4, first 2 shown]
	v_lshl_add_u64 v[6:7], s[6:7], 2, v[4:5]
	global_load_dword v15, v[6:7], off
	v_add_u32_e32 v8, s6, v2
	v_ashrrev_i32_e32 v9, 31, v8
	s_mov_b64 s[12:13], 0
	s_waitcnt lgkmcnt(0)
	v_lshl_add_u64 v[8:9], v[8:9], 2, s[4:5]
	s_mov_b32 s9, 0
	s_waitcnt vmcnt(0)
	v_cmp_eq_u32_e32 vcc, 1, v15
	s_nop 1
	v_cndmask_b32_e32 v17, v11, v10, vcc
	v_cmp_eq_u32_e32 vcc, 2, v15
	v_min_u32_e32 v16, 3, v15
	v_add_u32_e32 v16, 1, v16
	v_cndmask_b32_e32 v17, v17, v13, vcc
	v_cmp_eq_u32_e32 vcc, 3, v15
	s_nop 1
	v_cndmask_b32_e32 v17, v17, v12, vcc
	s_branch .LBB250_7
.LBB250_6:                              ;   in Loop: Header=BB250_7 Depth=2
	s_or_b64 exec, exec, s[14:15]
	s_add_i32 s9, s9, 1
	v_cmp_eq_u32_e32 vcc, s9, v16
	s_or_b64 s[12:13], vcc, s[12:13]
	s_andn2_b64 exec, exec, s[12:13]
	s_cbranch_execz .LBB250_9
.LBB250_7:                              ;   Parent Loop BB250_5 Depth=1
                                        ; =>  This Inner Loop Header: Depth=2
	v_cmp_eq_u32_e32 vcc, s9, v15
	s_and_saveexec_b64 s[14:15], vcc
	s_cbranch_execz .LBB250_6
; %bb.8:                                ;   in Loop: Header=BB250_7 Depth=2
	v_add_f32_e32 v14, v14, v17
	global_store_dword v[8:9], v15, off
	s_branch .LBB250_6
.LBB250_9:                              ;   in Loop: Header=BB250_5 Depth=1
	s_or_b64 exec, exec, s[12:13]
	global_load_dword v15, v[6:7], off offset:4
	s_ashr_i32 s13, s6, 31
	s_mov_b32 s12, s6
	v_lshl_add_u64 v[8:9], s[12:13], 0, v[2:3]
	s_mov_b32 s9, 0
	v_lshl_add_u64 v[8:9], v[8:9], 2, s[4:5]
	s_mov_b64 s[12:13], 0
	s_waitcnt vmcnt(0)
	v_cmp_eq_u32_e32 vcc, 1, v15
	s_nop 1
	v_cndmask_b32_e32 v17, v11, v10, vcc
	v_cmp_eq_u32_e32 vcc, 2, v15
	v_min_u32_e32 v16, 3, v15
	v_add_u32_e32 v16, 1, v16
	v_cndmask_b32_e32 v17, v17, v13, vcc
	v_cmp_eq_u32_e32 vcc, 3, v15
	s_nop 1
	v_cndmask_b32_e32 v17, v17, v12, vcc
	s_branch .LBB250_11
.LBB250_10:                             ;   in Loop: Header=BB250_11 Depth=2
	s_or_b64 exec, exec, s[14:15]
	s_add_i32 s9, s9, 1
	v_cmp_eq_u32_e32 vcc, s9, v16
	s_or_b64 s[12:13], vcc, s[12:13]
	s_andn2_b64 exec, exec, s[12:13]
	s_cbranch_execz .LBB250_13
.LBB250_11:                             ;   Parent Loop BB250_5 Depth=1
                                        ; =>  This Inner Loop Header: Depth=2
	v_cmp_eq_u32_e32 vcc, s9, v15
	s_and_saveexec_b64 s[14:15], vcc
	s_cbranch_execz .LBB250_10
; %bb.12:                               ;   in Loop: Header=BB250_11 Depth=2
	v_add_f32_e32 v14, v14, v17
	global_store_dword v[8:9], v15, off offset:4
	s_branch .LBB250_10
.LBB250_13:                             ;   in Loop: Header=BB250_5 Depth=1
	s_or_b64 exec, exec, s[12:13]
	global_load_dword v15, v[6:7], off offset:8
	s_mov_b32 s9, 0
	s_mov_b64 s[12:13], 0
	s_waitcnt vmcnt(0)
	v_cmp_eq_u32_e32 vcc, 1, v15
	s_nop 1
	v_cndmask_b32_e32 v17, v11, v10, vcc
	v_cmp_eq_u32_e32 vcc, 2, v15
	v_min_u32_e32 v16, 3, v15
	v_add_u32_e32 v16, 1, v16
	v_cndmask_b32_e32 v17, v17, v13, vcc
	v_cmp_eq_u32_e32 vcc, 3, v15
	s_nop 1
	v_cndmask_b32_e32 v17, v17, v12, vcc
	s_branch .LBB250_15
.LBB250_14:                             ;   in Loop: Header=BB250_15 Depth=2
	s_or_b64 exec, exec, s[14:15]
	s_add_i32 s9, s9, 1
	v_cmp_eq_u32_e32 vcc, s9, v16
	s_or_b64 s[12:13], vcc, s[12:13]
	s_andn2_b64 exec, exec, s[12:13]
	s_cbranch_execz .LBB250_17
.LBB250_15:                             ;   Parent Loop BB250_5 Depth=1
                                        ; =>  This Inner Loop Header: Depth=2
	v_cmp_eq_u32_e32 vcc, s9, v15
	s_and_saveexec_b64 s[14:15], vcc
	s_cbranch_execz .LBB250_14
; %bb.16:                               ;   in Loop: Header=BB250_15 Depth=2
	v_add_f32_e32 v14, v14, v17
	global_store_dword v[8:9], v15, off offset:8
	s_branch .LBB250_14
.LBB250_17:                             ;   in Loop: Header=BB250_5 Depth=1
	s_or_b64 exec, exec, s[12:13]
	global_load_dword v6, v[6:7], off offset:12
	s_mov_b32 s9, 0
	s_mov_b64 s[12:13], 0
	s_waitcnt vmcnt(0)
	v_cmp_eq_u32_e32 vcc, 1, v6
	s_nop 1
	v_cndmask_b32_e32 v15, v11, v10, vcc
	v_cmp_eq_u32_e32 vcc, 2, v6
	v_min_u32_e32 v7, 3, v6
	v_add_u32_e32 v7, 1, v7
	v_cndmask_b32_e32 v15, v15, v13, vcc
	v_cmp_eq_u32_e32 vcc, 3, v6
	s_nop 1
	v_cndmask_b32_e32 v15, v15, v12, vcc
	s_branch .LBB250_19
.LBB250_18:                             ;   in Loop: Header=BB250_19 Depth=2
	s_or_b64 exec, exec, s[14:15]
	s_add_i32 s9, s9, 1
	v_cmp_eq_u32_e32 vcc, s9, v7
	s_or_b64 s[12:13], vcc, s[12:13]
	s_andn2_b64 exec, exec, s[12:13]
	s_cbranch_execz .LBB250_4
.LBB250_19:                             ;   Parent Loop BB250_5 Depth=1
                                        ; =>  This Inner Loop Header: Depth=2
	v_cmp_eq_u32_e32 vcc, s9, v6
	s_and_saveexec_b64 s[14:15], vcc
	s_cbranch_execz .LBB250_18
; %bb.20:                               ;   in Loop: Header=BB250_19 Depth=2
	v_add_f32_e32 v14, v14, v15
	global_store_dword v[8:9], v6, off offset:12
	s_branch .LBB250_18
.LBB250_21:
	v_mov_b32_e32 v14, v1
	s_branch .LBB250_30
.LBB250_22:
	v_mov_b32_e32 v14, v1
.LBB250_23:
	s_and_b32 s14, s16, 3
	s_cmp_eq_u32 s14, 0
	s_mov_b32 s9, 0
	s_cbranch_scc1 .LBB250_30
; %bb.24:
	s_mov_b32 s15, s9
	s_branch .LBB250_26
.LBB250_25:                             ;   in Loop: Header=BB250_26 Depth=1
	s_or_b64 exec, exec, s[6:7]
	s_add_i32 s8, s8, 1
	s_add_i32 s15, s15, 1
	s_cmp_lg_u32 s15, s14
	s_cbranch_scc0 .LBB250_30
.LBB250_26:                             ; =>This Loop Header: Depth=1
                                        ;     Child Loop BB250_28 Depth 2
	v_lshl_add_u64 v[6:7], s[8:9], 2, v[4:5]
	global_load_dword v3, v[6:7], off
	v_add_u32_e32 v6, s8, v2
	v_ashrrev_i32_e32 v7, 31, v6
	s_mov_b32 s17, 0
	s_waitcnt lgkmcnt(0)
	v_lshl_add_u64 v[6:7], v[6:7], 2, s[4:5]
	s_mov_b64 s[6:7], 0
	s_waitcnt vmcnt(0)
	v_cmp_eq_u32_e32 vcc, 1, v3
	s_nop 1
	v_cndmask_b32_e32 v9, v11, v10, vcc
	v_cmp_eq_u32_e32 vcc, 2, v3
	v_min_u32_e32 v8, 3, v3
	v_add_u32_e32 v8, 1, v8
	v_cndmask_b32_e32 v9, v9, v13, vcc
	v_cmp_eq_u32_e32 vcc, 3, v3
	s_nop 1
	v_cndmask_b32_e32 v9, v9, v12, vcc
	s_branch .LBB250_28
.LBB250_27:                             ;   in Loop: Header=BB250_28 Depth=2
	s_or_b64 exec, exec, s[12:13]
	s_add_i32 s17, s17, 1
	v_cmp_eq_u32_e32 vcc, s17, v8
	s_or_b64 s[6:7], vcc, s[6:7]
	s_andn2_b64 exec, exec, s[6:7]
	s_cbranch_execz .LBB250_25
.LBB250_28:                             ;   Parent Loop BB250_26 Depth=1
                                        ; =>  This Inner Loop Header: Depth=2
	v_cmp_eq_u32_e32 vcc, s17, v3
	s_and_saveexec_b64 s[12:13], vcc
	s_cbranch_execz .LBB250_27
; %bb.29:                               ;   in Loop: Header=BB250_28 Depth=2
	v_add_f32_e32 v14, v14, v9
	global_store_dword v[6:7], v3, off
	s_branch .LBB250_27
.LBB250_30:
	s_load_dword s6, s[0:1], 0x3c
	s_waitcnt lgkmcnt(0)
	s_load_dwordx2 s[4:5], s[0:1], 0x40
	s_bitcmp1_b32 s6, 0
	s_cselect_b64 s[6:7], -1, 0
	s_waitcnt lgkmcnt(0)
	v_cvt_f32_f64_e32 v15, s[4:5]
	s_and_b64 vcc, exec, s[6:7]
	s_cbranch_vccz .LBB250_32
; %bb.31:
	v_cmp_lt_f32_e32 vcc, 0, v14
	s_nop 1
	v_cndmask_b32_e32 v3, 1.0, v14, vcc
	v_div_scale_f32 v6, s[4:5], v3, v3, v15
	v_rcp_f32_e32 v7, v6
	s_nop 0
	v_fma_f32 v8, -v6, v7, 1.0
	v_fmac_f32_e32 v7, v8, v7
	v_div_scale_f32 v8, vcc, v15, v3, v15
	v_mul_f32_e32 v9, v8, v7
	v_fma_f32 v14, -v6, v9, v8
	v_fmac_f32_e32 v9, v14, v7
	v_fma_f32 v6, -v6, v9, v8
	v_div_fmas_f32 v6, v6, v7, v9
	v_div_fixup_f32 v15, v6, v3, v15
.LBB250_32:
	s_andn2_b64 vcc, exec, s[2:3]
	s_cbranch_vccnz .LBB250_57
; %bb.33:
	s_load_dwordx2 s[0:1], s[0:1], 0x10
	s_cmp_lt_u32 s16, 8
	s_mov_b32 s2, 0
	s_cbranch_scc1 .LBB250_52
; %bb.34:
	v_ashrrev_i32_e32 v3, 31, v2
	s_and_b32 s2, s16, 0x7ffffff8
	s_waitcnt lgkmcnt(0)
	v_lshl_add_u64 v[6:7], v[2:3], 2, s[0:1]
	s_mov_b32 s3, 0
	s_mov_b64 s[4:5], 0
	s_branch .LBB250_36
.LBB250_35:                             ;   in Loop: Header=BB250_36 Depth=1
	s_or_b64 exec, exec, s[6:7]
	s_add_i32 s3, s3, 8
	s_add_u32 s4, s4, 32
	s_addc_u32 s5, s5, 0
	s_cmp_eq_u32 s2, s3
	s_cbranch_scc1 .LBB250_52
.LBB250_36:                             ; =>This Inner Loop Header: Depth=1
	v_lshl_add_u64 v[8:9], v[4:5], 0, s[4:5]
	global_load_dword v3, v[8:9], off
	s_waitcnt vmcnt(0)
	v_cmp_gt_u32_e32 vcc, 4, v3
	s_and_saveexec_b64 s[6:7], vcc
	s_cbranch_execz .LBB250_38
; %bb.37:                               ;   in Loop: Header=BB250_36 Depth=1
	v_cmp_eq_u32_e32 vcc, 1, v3
	v_add_u32_e32 v16, s3, v2
	v_ashrrev_i32_e32 v17, 31, v16
	v_cndmask_b32_e32 v14, v11, v10, vcc
	v_cmp_eq_u32_e32 vcc, 2, v3
	v_lshl_add_u64 v[16:17], v[16:17], 2, s[0:1]
	s_nop 0
	v_cndmask_b32_e32 v14, v14, v13, vcc
	v_cmp_eq_u32_e32 vcc, 3, v3
	s_nop 1
	v_cndmask_b32_e32 v3, v14, v12, vcc
	v_mul_f32_e32 v3, v15, v3
	global_store_dword v[16:17], v3, off
.LBB250_38:                             ;   in Loop: Header=BB250_36 Depth=1
	s_or_b64 exec, exec, s[6:7]
	global_load_dword v3, v[8:9], off offset:4
	s_waitcnt vmcnt(0)
	v_cmp_gt_u32_e32 vcc, 4, v3
	s_and_saveexec_b64 s[6:7], vcc
	s_cbranch_execz .LBB250_40
; %bb.39:                               ;   in Loop: Header=BB250_36 Depth=1
	v_cmp_eq_u32_e32 vcc, 1, v3
	v_lshl_add_u64 v[16:17], v[6:7], 0, s[4:5]
	s_nop 0
	v_cndmask_b32_e32 v14, v11, v10, vcc
	v_cmp_eq_u32_e32 vcc, 2, v3
	s_nop 1
	v_cndmask_b32_e32 v14, v14, v13, vcc
	v_cmp_eq_u32_e32 vcc, 3, v3
	s_nop 1
	v_cndmask_b32_e32 v3, v14, v12, vcc
	v_mul_f32_e32 v3, v15, v3
	global_store_dword v[16:17], v3, off offset:4
.LBB250_40:                             ;   in Loop: Header=BB250_36 Depth=1
	s_or_b64 exec, exec, s[6:7]
	global_load_dword v3, v[8:9], off offset:8
	s_waitcnt vmcnt(0)
	v_cmp_gt_u32_e32 vcc, 4, v3
	s_and_saveexec_b64 s[6:7], vcc
	s_cbranch_execz .LBB250_42
; %bb.41:                               ;   in Loop: Header=BB250_36 Depth=1
	v_cmp_eq_u32_e32 vcc, 1, v3
	v_lshl_add_u64 v[16:17], v[6:7], 0, s[4:5]
	s_nop 0
	v_cndmask_b32_e32 v14, v11, v10, vcc
	v_cmp_eq_u32_e32 vcc, 2, v3
	s_nop 1
	v_cndmask_b32_e32 v14, v14, v13, vcc
	v_cmp_eq_u32_e32 vcc, 3, v3
	s_nop 1
	v_cndmask_b32_e32 v3, v14, v12, vcc
	v_mul_f32_e32 v3, v15, v3
	global_store_dword v[16:17], v3, off offset:8
.LBB250_42:                             ;   in Loop: Header=BB250_36 Depth=1
	;; [unrolled: 20-line block ×6, first 2 shown]
	s_or_b64 exec, exec, s[6:7]
	global_load_dword v3, v[8:9], off offset:28
	s_waitcnt vmcnt(0)
	v_cmp_gt_u32_e32 vcc, 4, v3
	s_and_saveexec_b64 s[6:7], vcc
	s_cbranch_execz .LBB250_35
; %bb.51:                               ;   in Loop: Header=BB250_36 Depth=1
	v_cmp_eq_u32_e32 vcc, 1, v3
	s_nop 1
	v_cndmask_b32_e32 v8, v11, v10, vcc
	v_cmp_eq_u32_e32 vcc, 2, v3
	s_nop 1
	v_cndmask_b32_e32 v8, v8, v13, vcc
	;; [unrolled: 3-line block ×3, first 2 shown]
	v_mul_f32_e32 v3, v15, v3
	v_lshl_add_u64 v[8:9], v[6:7], 0, s[4:5]
	global_store_dword v[8:9], v3, off offset:28
	s_branch .LBB250_35
.LBB250_52:
	s_and_b32 s4, s16, 7
	s_cmp_eq_u32 s4, 0
	s_mov_b32 s3, 0
	s_cbranch_scc1 .LBB250_57
; %bb.53:
	v_add_u32_e32 v2, s2, v2
	s_lshl_b64 s[2:3], s[2:3], 2
	s_add_u32 s2, s10, s2
	s_addc_u32 s3, s11, s3
	v_lshl_add_u64 v[0:1], v[0:1], 2, s[2:3]
	s_branch .LBB250_55
.LBB250_54:                             ;   in Loop: Header=BB250_55 Depth=1
	s_or_b64 exec, exec, s[2:3]
	s_add_i32 s4, s4, -1
	v_add_u32_e32 v2, 1, v2
	s_cmp_eq_u32 s4, 0
	v_lshl_add_u64 v[0:1], v[0:1], 0, 4
	s_cbranch_scc1 .LBB250_57
.LBB250_55:                             ; =>This Inner Loop Header: Depth=1
	global_load_dword v3, v[0:1], off
	s_waitcnt vmcnt(0)
	v_cmp_gt_u32_e32 vcc, 4, v3
	s_and_saveexec_b64 s[2:3], vcc
	s_cbranch_execz .LBB250_54
; %bb.56:                               ;   in Loop: Header=BB250_55 Depth=1
	v_cmp_eq_u32_e32 vcc, 1, v3
	s_nop 1
	v_cndmask_b32_e32 v4, v11, v10, vcc
	v_cmp_eq_u32_e32 vcc, 2, v3
	s_nop 1
	v_cndmask_b32_e32 v4, v4, v13, vcc
	;; [unrolled: 3-line block ×3, first 2 shown]
	v_mul_f32_e32 v6, v15, v3
	v_ashrrev_i32_e32 v3, 31, v2
	s_waitcnt lgkmcnt(0)
	v_lshl_add_u64 v[4:5], v[2:3], 2, s[0:1]
	global_store_dword v[4:5], v6, off
	s_branch .LBB250_54
.LBB250_57:
	s_endpgm
	.section	.rodata,"a",@progbits
	.p2align	6, 0x0
	.amdhsa_kernel _ZN4vllm3moe22topkGatingSoftplusSqrtILi4ELi4ELi4ELi8ELi32ELb1Ej6__halfEEvPKT6_PKbPfiPT5_PiiiibdPKfPKS9_SF_
		.amdhsa_group_segment_fixed_size 0
		.amdhsa_private_segment_fixed_size 0
		.amdhsa_kernarg_size 96
		.amdhsa_user_sgpr_count 2
		.amdhsa_user_sgpr_dispatch_ptr 0
		.amdhsa_user_sgpr_queue_ptr 0
		.amdhsa_user_sgpr_kernarg_segment_ptr 1
		.amdhsa_user_sgpr_dispatch_id 0
		.amdhsa_user_sgpr_kernarg_preload_length 0
		.amdhsa_user_sgpr_kernarg_preload_offset 0
		.amdhsa_user_sgpr_private_segment_size 0
		.amdhsa_uses_dynamic_stack 0
		.amdhsa_enable_private_segment 0
		.amdhsa_system_sgpr_workgroup_id_x 1
		.amdhsa_system_sgpr_workgroup_id_y 0
		.amdhsa_system_sgpr_workgroup_id_z 0
		.amdhsa_system_sgpr_workgroup_info 0
		.amdhsa_system_vgpr_workitem_id 1
		.amdhsa_next_free_vgpr 22
		.amdhsa_next_free_sgpr 18
		.amdhsa_accum_offset 24
		.amdhsa_reserve_vcc 1
		.amdhsa_float_round_mode_32 0
		.amdhsa_float_round_mode_16_64 0
		.amdhsa_float_denorm_mode_32 3
		.amdhsa_float_denorm_mode_16_64 3
		.amdhsa_dx10_clamp 1
		.amdhsa_ieee_mode 1
		.amdhsa_fp16_overflow 0
		.amdhsa_tg_split 0
		.amdhsa_exception_fp_ieee_invalid_op 0
		.amdhsa_exception_fp_denorm_src 0
		.amdhsa_exception_fp_ieee_div_zero 0
		.amdhsa_exception_fp_ieee_overflow 0
		.amdhsa_exception_fp_ieee_underflow 0
		.amdhsa_exception_fp_ieee_inexact 0
		.amdhsa_exception_int_div_zero 0
	.end_amdhsa_kernel
	.section	.text._ZN4vllm3moe22topkGatingSoftplusSqrtILi4ELi4ELi4ELi8ELi32ELb1Ej6__halfEEvPKT6_PKbPfiPT5_PiiiibdPKfPKS9_SF_,"axG",@progbits,_ZN4vllm3moe22topkGatingSoftplusSqrtILi4ELi4ELi4ELi8ELi32ELb1Ej6__halfEEvPKT6_PKbPfiPT5_PiiiibdPKfPKS9_SF_,comdat
.Lfunc_end250:
	.size	_ZN4vllm3moe22topkGatingSoftplusSqrtILi4ELi4ELi4ELi8ELi32ELb1Ej6__halfEEvPKT6_PKbPfiPT5_PiiiibdPKfPKS9_SF_, .Lfunc_end250-_ZN4vllm3moe22topkGatingSoftplusSqrtILi4ELi4ELi4ELi8ELi32ELb1Ej6__halfEEvPKT6_PKbPfiPT5_PiiiibdPKfPKS9_SF_
                                        ; -- End function
	.section	.AMDGPU.csdata,"",@progbits
; Kernel info:
; codeLenInByte = 2984
; NumSgprs: 24
; NumVgprs: 22
; NumAgprs: 0
; TotalNumVgprs: 22
; ScratchSize: 0
; MemoryBound: 0
; FloatMode: 240
; IeeeMode: 1
; LDSByteSize: 0 bytes/workgroup (compile time only)
; SGPRBlocks: 2
; VGPRBlocks: 2
; NumSGPRsForWavesPerEU: 24
; NumVGPRsForWavesPerEU: 22
; AccumOffset: 24
; Occupancy: 8
; WaveLimiterHint : 1
; COMPUTE_PGM_RSRC2:SCRATCH_EN: 0
; COMPUTE_PGM_RSRC2:USER_SGPR: 2
; COMPUTE_PGM_RSRC2:TRAP_HANDLER: 0
; COMPUTE_PGM_RSRC2:TGID_X_EN: 1
; COMPUTE_PGM_RSRC2:TGID_Y_EN: 0
; COMPUTE_PGM_RSRC2:TGID_Z_EN: 0
; COMPUTE_PGM_RSRC2:TIDIG_COMP_CNT: 1
; COMPUTE_PGM_RSRC3_GFX90A:ACCUM_OFFSET: 5
; COMPUTE_PGM_RSRC3_GFX90A:TG_SPLIT: 0
	.section	.text._ZN4vllm3moe22topkGatingSoftplusSqrtILi4ELi4ELi4ELi8ELi32ELb0Ej6__halfEEvPKT6_PKbPfiPT5_PiiiibdPKfPKS9_SF_,"axG",@progbits,_ZN4vllm3moe22topkGatingSoftplusSqrtILi4ELi4ELi4ELi8ELi32ELb0Ej6__halfEEvPKT6_PKbPfiPT5_PiiiibdPKfPKS9_SF_,comdat
	.protected	_ZN4vllm3moe22topkGatingSoftplusSqrtILi4ELi4ELi4ELi8ELi32ELb0Ej6__halfEEvPKT6_PKbPfiPT5_PiiiibdPKfPKS9_SF_ ; -- Begin function _ZN4vllm3moe22topkGatingSoftplusSqrtILi4ELi4ELi4ELi8ELi32ELb0Ej6__halfEEvPKT6_PKbPfiPT5_PiiiibdPKfPKS9_SF_
	.globl	_ZN4vllm3moe22topkGatingSoftplusSqrtILi4ELi4ELi4ELi8ELi32ELb0Ej6__halfEEvPKT6_PKbPfiPT5_PiiiibdPKfPKS9_SF_
	.p2align	8
	.type	_ZN4vllm3moe22topkGatingSoftplusSqrtILi4ELi4ELi4ELi8ELi32ELb0Ej6__halfEEvPKT6_PKbPfiPT5_PiiiibdPKfPKS9_SF_,@function
_ZN4vllm3moe22topkGatingSoftplusSqrtILi4ELi4ELi4ELi8ELi32ELb0Ej6__halfEEvPKT6_PKbPfiPT5_PiiiibdPKfPKS9_SF_: ; @_ZN4vllm3moe22topkGatingSoftplusSqrtILi4ELi4ELi4ELi8ELi32ELb0Ej6__halfEEvPKT6_PKbPfiPT5_PiiiibdPKfPKS9_SF_
; %bb.0:
	s_load_dword s24, s[0:1], 0x18
	v_bfe_u32 v1, v0, 10, 10
	s_lshl_b32 s2, s2, 7
	v_lshlrev_b32_e32 v1, 5, v1
	v_and_b32_e32 v0, 0x3ff, v0
	v_add3_u32 v4, v1, v0, s2
	s_waitcnt lgkmcnt(0)
	v_cmp_gt_i32_e32 vcc, s24, v4
	s_and_saveexec_b64 s[2:3], vcc
	s_cbranch_execz .LBB251_32
; %bb.1:
	s_load_dwordx4 s[4:7], s[0:1], 0x0
	s_load_dwordx2 s[20:21], s[0:1], 0x10
	s_waitcnt lgkmcnt(0)
	s_cmp_eq_u64 s[6:7], 0
	s_cbranch_scc1 .LBB251_3
; %bb.2:
	v_ashrrev_i32_e32 v5, 31, v4
	v_lshl_add_u64 v[0:1], s[6:7], 0, v[4:5]
	global_load_ubyte v0, v[0:1], off
	s_waitcnt vmcnt(0)
	v_and_b32_e32 v0, 1, v0
	v_cmp_eq_u32_e32 vcc, 1, v0
	s_xor_b64 s[2:3], vcc, -1
	s_orn2_b64 s[22:23], s[2:3], exec
	s_branch .LBB251_4
.LBB251_3:
	s_mov_b64 s[22:23], -1
.LBB251_4:
	v_lshlrev_b32_e32 v2, 2, v4
	v_mov_b32_e32 v0, s4
	v_mov_b32_e32 v1, s5
	v_ashrrev_i32_e32 v3, 31, v2
	v_lshl_add_u64 v[0:1], v[2:3], 1, v[0:1]
	global_load_dwordx2 v[2:3], v[0:1], off
	s_mov_b32 s15, 0x800000
	v_mov_b32_e32 v5, 0x4f800000
	s_mov_b32 s13, 0x3f317217
	s_mov_b32 s14, 0x7f800000
	v_mov_b32_e32 v6, 0x41b17218
	s_movk_i32 s12, 0x4d00
	s_mov_b32 s16, 0xf800000
	s_load_dwordx4 s[8:11], s[0:1], 0x40
	s_waitcnt lgkmcnt(0)
	s_cmp_lg_u64 s[10:11], 0
	s_cselect_b64 s[6:7], -1, 0
	s_and_b64 s[2:3], exec, s[6:7]
	s_waitcnt vmcnt(0)
	v_cvt_f32_f16_e32 v0, v2
	v_mul_f32_e32 v1, 0x3fb8aa3b, v0
	v_exp_f32_e32 v1, v1
	s_nop 0
	v_add_f32_e32 v1, 1.0, v1
	v_cmp_gt_f32_e32 vcc, s15, v1
	s_nop 1
	v_cndmask_b32_e32 v7, 1.0, v5, vcc
	v_mul_f32_e32 v1, v1, v7
	v_log_f32_e32 v7, v1
	v_cndmask_b32_e32 v8, 0, v6, vcc
	v_mov_b32_e32 v1, 0x260
	v_mul_f32_e32 v9, 0x3f317217, v7
	v_fma_f32 v9, v7, s13, -v9
	v_fmac_f32_e32 v9, 0x3377d1cf, v7
	v_fmac_f32_e32 v9, 0x3f317217, v7
	v_cmp_lt_f32_e64 vcc, |v7|, s14
	s_nop 1
	v_cndmask_b32_e32 v7, v7, v9, vcc
	v_sub_f32_e32 v7, v7, v8
	v_cmp_lt_f16_e32 vcc, s12, v2
	s_nop 1
	v_cndmask_b32_e32 v0, v7, v0, vcc
	v_mul_f32_e32 v7, 0x4f800000, v0
	v_cmp_gt_f32_e32 vcc, s16, v0
	s_nop 1
	v_cndmask_b32_e32 v0, v0, v7, vcc
	v_sqrt_f32_e32 v7, v0
	s_nop 0
	v_add_u32_e32 v8, -1, v7
	v_add_u32_e32 v9, 1, v7
	v_fma_f32 v10, -v8, v7, v0
	v_fma_f32 v11, -v9, v7, v0
	v_cmp_ge_f32_e64 s[4:5], 0, v10
	s_nop 1
	v_cndmask_b32_e64 v7, v7, v8, s[4:5]
	v_cmp_lt_f32_e64 s[4:5], 0, v11
	s_nop 1
	v_cndmask_b32_e64 v7, v7, v9, s[4:5]
	v_mul_f32_e32 v8, 0x37800000, v7
	v_cndmask_b32_e32 v7, v7, v8, vcc
	v_cmp_class_f32_e32 vcc, v0, v1
	s_nop 1
	v_cndmask_b32_e32 v0, v7, v0, vcc
	s_mov_b64 vcc, s[2:3]
	s_cbranch_vccz .LBB251_6
; %bb.5:
	s_load_dword s2, s[10:11], 0x0
	s_waitcnt lgkmcnt(0)
	v_add_f32_e32 v0, s2, v0
.LBB251_6:
	v_cvt_f32_f16_sdwa v7, v2 dst_sel:DWORD dst_unused:UNUSED_PAD src0_sel:WORD_1
	v_mul_f32_e32 v8, 0x3fb8aa3b, v7
	v_exp_f32_e32 v8, v8
	s_nop 0
	v_add_f32_e32 v8, 1.0, v8
	v_cmp_gt_f32_e32 vcc, s15, v8
	s_nop 1
	v_cndmask_b32_e32 v5, 1.0, v5, vcc
	v_mul_f32_e32 v5, v8, v5
	v_log_f32_e32 v5, v5
	v_cndmask_b32_e32 v6, 0, v6, vcc
	v_mul_f32_e32 v8, 0x3f317217, v5
	v_fma_f32 v8, v5, s13, -v8
	v_fmac_f32_e32 v8, 0x3377d1cf, v5
	v_fmac_f32_e32 v8, 0x3f317217, v5
	v_cmp_lt_f32_e64 vcc, |v5|, s14
	s_nop 1
	v_cndmask_b32_e32 v5, v5, v8, vcc
	v_sub_f32_e32 v5, v5, v6
	v_cmp_gt_f16_sdwa vcc, v2, s12 src0_sel:WORD_1 src1_sel:DWORD
	v_cndmask_b32_e64 v6, 0, 1, s[6:7]
	v_cmp_ne_u32_e64 s[2:3], 1, v6
	v_cndmask_b32_e32 v2, v5, v7, vcc
	v_mul_f32_e32 v5, 0x4f800000, v2
	v_cmp_gt_f32_e64 s[4:5], s16, v2
	s_andn2_b64 vcc, exec, s[6:7]
	s_nop 0
	v_cndmask_b32_e64 v2, v2, v5, s[4:5]
	v_sqrt_f32_e32 v5, v2
	s_nop 0
	v_add_u32_e32 v6, -1, v5
	v_add_u32_e32 v7, 1, v5
	v_fma_f32 v8, -v6, v5, v2
	v_fma_f32 v9, -v7, v5, v2
	v_cmp_ge_f32_e64 s[6:7], 0, v8
	s_nop 1
	v_cndmask_b32_e64 v5, v5, v6, s[6:7]
	v_cmp_lt_f32_e64 s[6:7], 0, v9
	s_nop 1
	v_cndmask_b32_e64 v5, v5, v7, s[6:7]
	v_mul_f32_e32 v6, 0x37800000, v5
	v_cndmask_b32_e64 v5, v5, v6, s[4:5]
	v_cmp_class_f32_e64 s[4:5], v2, v1
	s_nop 1
	v_cndmask_b32_e64 v1, v5, v2, s[4:5]
	s_cbranch_vccnz .LBB251_8
; %bb.7:
	s_load_dword s4, s[10:11], 0x4
	s_waitcnt lgkmcnt(0)
	v_add_f32_e32 v1, s4, v1
.LBB251_8:
	v_cvt_f32_f16_e32 v2, v3
	s_mov_b32 s12, 0x800000
	v_mov_b32_e32 v6, 0x4f800000
	s_mov_b32 s7, 0x3f317217
	v_mul_f32_e32 v5, 0x3fb8aa3b, v2
	v_exp_f32_e32 v5, v5
	s_mov_b32 s13, 0x7f800000
	s_movk_i32 s6, 0x4d00
	s_mov_b32 s14, 0xf800000
	v_add_f32_e32 v5, 1.0, v5
	v_cmp_gt_f32_e32 vcc, s12, v5
	s_nop 1
	v_cndmask_b32_e32 v7, 1.0, v6, vcc
	v_mul_f32_e32 v5, v5, v7
	v_log_f32_e32 v5, v5
	v_mov_b32_e32 v7, 0x41b17218
	v_cndmask_b32_e32 v8, 0, v7, vcc
	v_mul_f32_e32 v9, 0x3f317217, v5
	v_fma_f32 v9, v5, s7, -v9
	v_fmac_f32_e32 v9, 0x3377d1cf, v5
	v_fmac_f32_e32 v9, 0x3f317217, v5
	v_cmp_lt_f32_e64 vcc, |v5|, s13
	s_nop 1
	v_cndmask_b32_e32 v5, v5, v9, vcc
	v_sub_f32_e32 v5, v5, v8
	v_cmp_lt_f16_e32 vcc, s6, v3
	s_nop 1
	v_cndmask_b32_e32 v2, v5, v2, vcc
	v_mul_f32_e32 v5, 0x4f800000, v2
	v_cmp_gt_f32_e32 vcc, s14, v2
	s_nop 1
	v_cndmask_b32_e32 v2, v2, v5, vcc
	v_sqrt_f32_e32 v5, v2
	s_nop 0
	v_add_u32_e32 v8, -1, v5
	v_fma_f32 v9, -v8, v5, v2
	v_cmp_ge_f32_e64 s[4:5], 0, v9
	v_add_u32_e32 v9, 1, v5
	s_nop 0
	v_cndmask_b32_e64 v8, v5, v8, s[4:5]
	v_fma_f32 v5, -v9, v5, v2
	v_cmp_lt_f32_e64 s[4:5], 0, v5
	s_nop 1
	v_cndmask_b32_e64 v5, v8, v9, s[4:5]
	v_mul_f32_e32 v8, 0x37800000, v5
	v_cndmask_b32_e32 v8, v5, v8, vcc
	v_mov_b32_e32 v5, 0x260
	v_cmp_class_f32_e64 s[4:5], v2, v5
	s_and_b64 vcc, exec, s[2:3]
	s_nop 0
	v_cndmask_b32_e64 v2, v8, v2, s[4:5]
	s_cbranch_vccnz .LBB251_10
; %bb.9:
	s_load_dword s4, s[10:11], 0x8
	s_waitcnt lgkmcnt(0)
	v_add_f32_e32 v2, s4, v2
.LBB251_10:
	v_cvt_f32_f16_sdwa v8, v3 dst_sel:DWORD dst_unused:UNUSED_PAD src0_sel:WORD_1
	v_mul_f32_e32 v9, 0x3fb8aa3b, v8
	v_exp_f32_e32 v9, v9
	s_nop 0
	v_add_f32_e32 v9, 1.0, v9
	v_cmp_gt_f32_e32 vcc, s12, v9
	s_nop 1
	v_cndmask_b32_e32 v6, 1.0, v6, vcc
	v_mul_f32_e32 v6, v9, v6
	v_log_f32_e32 v6, v6
	v_cndmask_b32_e32 v7, 0, v7, vcc
	v_mul_f32_e32 v9, 0x3f317217, v6
	v_fma_f32 v9, v6, s7, -v9
	v_fmac_f32_e32 v9, 0x3377d1cf, v6
	v_fmac_f32_e32 v9, 0x3f317217, v6
	v_cmp_lt_f32_e64 vcc, |v6|, s13
	s_nop 1
	v_cndmask_b32_e32 v6, v6, v9, vcc
	v_sub_f32_e32 v6, v6, v7
	v_cmp_gt_f16_sdwa vcc, v3, s6 src0_sel:WORD_1 src1_sel:DWORD
	s_nop 1
	v_cndmask_b32_e32 v3, v6, v8, vcc
	v_mul_f32_e32 v6, 0x4f800000, v3
	v_cmp_gt_f32_e64 s[4:5], s14, v3
	s_and_b64 vcc, exec, s[2:3]
	s_nop 0
	v_cndmask_b32_e64 v3, v3, v6, s[4:5]
	v_sqrt_f32_e32 v6, v3
	s_nop 0
	v_add_u32_e32 v7, -1, v6
	v_add_u32_e32 v8, 1, v6
	v_fma_f32 v9, -v7, v6, v3
	v_fma_f32 v10, -v8, v6, v3
	v_cmp_ge_f32_e64 s[6:7], 0, v9
	s_nop 1
	v_cndmask_b32_e64 v6, v6, v7, s[6:7]
	v_cmp_lt_f32_e64 s[6:7], 0, v10
	s_nop 1
	v_cndmask_b32_e64 v6, v6, v8, s[6:7]
	v_mul_f32_e32 v7, 0x37800000, v6
	v_cndmask_b32_e64 v6, v6, v7, s[4:5]
	v_cmp_class_f32_e64 s[4:5], v3, v5
	s_nop 1
	v_cndmask_b32_e64 v3, v6, v3, s[4:5]
	s_cbranch_vccnz .LBB251_12
; %bb.11:
	s_load_dword s4, s[10:11], 0xc
	s_waitcnt lgkmcnt(0)
	v_add_f32_e32 v3, s4, v3
.LBB251_12:
	s_load_dwordx4 s[12:15], s[0:1], 0x30
	s_mov_b32 s25, 0
	s_waitcnt lgkmcnt(0)
	s_bitcmp1_b32 s15, 0
	s_cselect_b64 s[4:5], -1, 0
	s_cmp_gt_i32 s12, 0
	s_cselect_b64 s[6:7], -1, 0
	s_and_b64 vcc, exec, s[6:7]
	v_mul_lo_u32 v6, v4, s12
	s_cbranch_vccz .LBB251_19
; %bb.13:
	s_load_dwordx4 s[16:19], s[0:1], 0x20
	v_mov_b32_e32 v5, 0
	v_mov_b32_e32 v7, 0xc61c4000
	s_branch .LBB251_15
.LBB251_14:                             ;   in Loop: Header=BB251_15 Depth=1
	v_add_f32_e32 v8, v5, v8
	v_cndmask_b32_e64 v5, v5, v8, s[4:5]
	s_cmp_lg_u32 s12, s25
	v_add_u32_e32 v4, s24, v4
	s_cbranch_scc0 .LBB251_20
.LBB251_15:                             ; =>This Inner Loop Header: Depth=1
	v_cmp_gt_f32_e32 vcc, v1, v0
	s_nop 1
	v_cndmask_b32_e32 v9, v0, v1, vcc
	v_cndmask_b32_e64 v8, 0, 1, vcc
	v_cmp_gt_f32_e32 vcc, v2, v9
	s_nop 1
	v_cndmask_b32_e32 v10, v9, v2, vcc
	v_cndmask_b32_e64 v8, v8, 2, vcc
	v_cmp_gt_f32_e64 s[0:1], v3, v10
	s_and_b64 vcc, exec, s[2:3]
	s_nop 0
	v_cndmask_b32_e64 v9, v8, 3, s[0:1]
	v_cndmask_b32_e64 v8, v10, v3, s[0:1]
	s_cbranch_vccnz .LBB251_17
; %bb.16:                               ;   in Loop: Header=BB251_15 Depth=1
	v_lshlrev_b32_e32 v10, 2, v9
	global_load_dword v10, v10, s[10:11]
	s_waitcnt vmcnt(0)
	v_sub_f32_e32 v8, v8, v10
.LBB251_17:                             ;   in Loop: Header=BB251_15 Depth=1
	v_add_u32_e32 v10, s25, v6
	v_ashrrev_i32_e32 v11, 31, v10
	v_cmp_le_i32_e32 vcc, s13, v9
	v_cmp_gt_i32_e64 s[0:1], s14, v9
	v_lshlrev_b64 v[10:11], 2, v[10:11]
	s_and_b64 s[0:1], vcc, s[0:1]
	v_lshl_add_u64 v[12:13], s[20:21], 0, v[10:11]
	global_store_dword v[12:13], v8, off
	v_subrev_u32_e32 v12, s13, v9
	s_and_b64 vcc, s[22:23], s[0:1]
	s_add_i32 s25, s25, 1
	v_cndmask_b32_e32 v14, 4, v12, vcc
	s_waitcnt lgkmcnt(0)
	v_lshl_add_u64 v[12:13], s[16:17], 0, v[10:11]
	v_lshl_add_u64 v[10:11], s[18:19], 0, v[10:11]
	s_cmp_ge_i32 s25, s12
	global_store_dword v[12:13], v14, off
	global_store_dword v[10:11], v4, off
	s_cbranch_scc1 .LBB251_14
; %bb.18:                               ;   in Loop: Header=BB251_15 Depth=1
	v_cmp_ne_u32_e32 vcc, 3, v9
	s_nop 1
	v_cndmask_b32_e32 v3, v7, v3, vcc
	v_cmp_ne_u32_e32 vcc, 2, v9
	s_nop 1
	v_cndmask_b32_e32 v2, v7, v2, vcc
	v_cmp_ne_u32_e32 vcc, 1, v9
	s_nop 1
	v_cndmask_b32_e32 v1, v7, v1, vcc
	v_cmp_ne_u32_e32 vcc, 0, v9
	s_nop 1
	v_cndmask_b32_e32 v0, v7, v0, vcc
	s_branch .LBB251_14
.LBB251_19:
	v_mov_b32_e32 v5, 0
.LBB251_20:
	s_andn2_b64 vcc, exec, s[4:5]
	v_cvt_f32_f64_e32 v0, s[8:9]
	s_cbranch_vccnz .LBB251_22
; %bb.21:
	v_cmp_lt_f32_e32 vcc, 0, v5
	s_nop 1
	v_cndmask_b32_e32 v1, 1.0, v5, vcc
	v_div_scale_f32 v2, s[0:1], v1, v1, v0
	v_rcp_f32_e32 v3, v2
	s_nop 0
	v_fma_f32 v4, -v2, v3, 1.0
	v_fmac_f32_e32 v3, v4, v3
	v_div_scale_f32 v4, vcc, v0, v1, v0
	v_mul_f32_e32 v5, v4, v3
	v_fma_f32 v7, -v2, v5, v4
	v_fmac_f32_e32 v5, v7, v3
	v_fma_f32 v2, -v2, v5, v4
	v_div_fmas_f32 v2, v2, v3, v5
	v_div_fixup_f32 v0, v2, v1, v0
.LBB251_22:
	s_andn2_b64 vcc, exec, s[6:7]
	s_cbranch_vccnz .LBB251_32
; %bb.23:
	s_cmp_gt_u32 s12, 3
	v_ashrrev_i32_e32 v7, 31, v6
	s_cbranch_scc0 .LBB251_27
; %bb.24:
	s_and_b32 s0, s12, 0x7ffffffc
	v_lshl_add_u64 v[2:3], v[6:7], 2, s[20:21]
	v_mov_b32_e32 v1, v0
	v_lshl_add_u64 v[2:3], v[2:3], 0, 8
	s_mov_b32 s1, s0
.LBB251_25:                             ; =>This Inner Loop Header: Depth=1
	global_load_dwordx4 v[8:11], v[2:3], off offset:-8
	s_add_i32 s1, s1, -4
	s_cmp_lg_u32 s1, 0
	s_waitcnt vmcnt(0)
	v_pk_mul_f32 v[8:9], v[0:1], v[8:9]
	v_pk_mul_f32 v[10:11], v[0:1], v[10:11]
	global_store_dwordx4 v[2:3], v[8:11], off offset:-8
	v_lshl_add_u64 v[2:3], v[2:3], 0, 16
	s_cbranch_scc1 .LBB251_25
; %bb.26:
	s_cmp_lg_u32 s0, s12
	s_cselect_b64 s[2:3], -1, 0
	s_branch .LBB251_29
.LBB251_27:
	s_mov_b64 s[2:3], 0
                                        ; implicit-def: $sgpr0
	s_cbranch_execz .LBB251_29
; %bb.28:
	s_mov_b64 s[2:3], -1
	s_mov_b32 s0, 0
.LBB251_29:
	s_andn2_b64 vcc, exec, s[2:3]
	s_cbranch_vccnz .LBB251_32
; %bb.30:
	s_mov_b32 s1, 0
	v_lshl_add_u64 v[2:3], v[6:7], 0, s[0:1]
	s_sub_i32 s2, s12, s0
	v_lshl_add_u64 v[2:3], v[2:3], 2, s[20:21]
.LBB251_31:                             ; =>This Inner Loop Header: Depth=1
	global_load_dword v1, v[2:3], off
	s_add_i32 s2, s2, -1
	s_cmp_lg_u32 s2, 0
	s_waitcnt vmcnt(0)
	v_mul_f32_e32 v1, v0, v1
	global_store_dword v[2:3], v1, off
	v_lshl_add_u64 v[2:3], v[2:3], 0, 4
	s_cbranch_scc1 .LBB251_31
.LBB251_32:
	s_endpgm
	.section	.rodata,"a",@progbits
	.p2align	6, 0x0
	.amdhsa_kernel _ZN4vllm3moe22topkGatingSoftplusSqrtILi4ELi4ELi4ELi8ELi32ELb0Ej6__halfEEvPKT6_PKbPfiPT5_PiiiibdPKfPKS9_SF_
		.amdhsa_group_segment_fixed_size 0
		.amdhsa_private_segment_fixed_size 0
		.amdhsa_kernarg_size 96
		.amdhsa_user_sgpr_count 2
		.amdhsa_user_sgpr_dispatch_ptr 0
		.amdhsa_user_sgpr_queue_ptr 0
		.amdhsa_user_sgpr_kernarg_segment_ptr 1
		.amdhsa_user_sgpr_dispatch_id 0
		.amdhsa_user_sgpr_kernarg_preload_length 0
		.amdhsa_user_sgpr_kernarg_preload_offset 0
		.amdhsa_user_sgpr_private_segment_size 0
		.amdhsa_uses_dynamic_stack 0
		.amdhsa_enable_private_segment 0
		.amdhsa_system_sgpr_workgroup_id_x 1
		.amdhsa_system_sgpr_workgroup_id_y 0
		.amdhsa_system_sgpr_workgroup_id_z 0
		.amdhsa_system_sgpr_workgroup_info 0
		.amdhsa_system_vgpr_workitem_id 1
		.amdhsa_next_free_vgpr 15
		.amdhsa_next_free_sgpr 26
		.amdhsa_accum_offset 16
		.amdhsa_reserve_vcc 1
		.amdhsa_float_round_mode_32 0
		.amdhsa_float_round_mode_16_64 0
		.amdhsa_float_denorm_mode_32 3
		.amdhsa_float_denorm_mode_16_64 3
		.amdhsa_dx10_clamp 1
		.amdhsa_ieee_mode 1
		.amdhsa_fp16_overflow 0
		.amdhsa_tg_split 0
		.amdhsa_exception_fp_ieee_invalid_op 0
		.amdhsa_exception_fp_denorm_src 0
		.amdhsa_exception_fp_ieee_div_zero 0
		.amdhsa_exception_fp_ieee_overflow 0
		.amdhsa_exception_fp_ieee_underflow 0
		.amdhsa_exception_fp_ieee_inexact 0
		.amdhsa_exception_int_div_zero 0
	.end_amdhsa_kernel
	.section	.text._ZN4vllm3moe22topkGatingSoftplusSqrtILi4ELi4ELi4ELi8ELi32ELb0Ej6__halfEEvPKT6_PKbPfiPT5_PiiiibdPKfPKS9_SF_,"axG",@progbits,_ZN4vllm3moe22topkGatingSoftplusSqrtILi4ELi4ELi4ELi8ELi32ELb0Ej6__halfEEvPKT6_PKbPfiPT5_PiiiibdPKfPKS9_SF_,comdat
.Lfunc_end251:
	.size	_ZN4vllm3moe22topkGatingSoftplusSqrtILi4ELi4ELi4ELi8ELi32ELb0Ej6__halfEEvPKT6_PKbPfiPT5_PiiiibdPKfPKS9_SF_, .Lfunc_end251-_ZN4vllm3moe22topkGatingSoftplusSqrtILi4ELi4ELi4ELi8ELi32ELb0Ej6__halfEEvPKT6_PKbPfiPT5_PiiiibdPKfPKS9_SF_
                                        ; -- End function
	.section	.AMDGPU.csdata,"",@progbits
; Kernel info:
; codeLenInByte = 2064
; NumSgprs: 32
; NumVgprs: 15
; NumAgprs: 0
; TotalNumVgprs: 15
; ScratchSize: 0
; MemoryBound: 0
; FloatMode: 240
; IeeeMode: 1
; LDSByteSize: 0 bytes/workgroup (compile time only)
; SGPRBlocks: 3
; VGPRBlocks: 1
; NumSGPRsForWavesPerEU: 32
; NumVGPRsForWavesPerEU: 15
; AccumOffset: 16
; Occupancy: 8
; WaveLimiterHint : 0
; COMPUTE_PGM_RSRC2:SCRATCH_EN: 0
; COMPUTE_PGM_RSRC2:USER_SGPR: 2
; COMPUTE_PGM_RSRC2:TRAP_HANDLER: 0
; COMPUTE_PGM_RSRC2:TGID_X_EN: 1
; COMPUTE_PGM_RSRC2:TGID_Y_EN: 0
; COMPUTE_PGM_RSRC2:TGID_Z_EN: 0
; COMPUTE_PGM_RSRC2:TIDIG_COMP_CNT: 1
; COMPUTE_PGM_RSRC3_GFX90A:ACCUM_OFFSET: 3
; COMPUTE_PGM_RSRC3_GFX90A:TG_SPLIT: 0
	.section	.text._ZN4vllm3moe22topkGatingSoftplusSqrtILi8ELi8ELi4ELi16ELi64ELb1Ej6__halfEEvPKT6_PKbPfiPT5_PiiiibdPKfPKS9_SF_,"axG",@progbits,_ZN4vllm3moe22topkGatingSoftplusSqrtILi8ELi8ELi4ELi16ELi64ELb1Ej6__halfEEvPKT6_PKbPfiPT5_PiiiibdPKfPKS9_SF_,comdat
	.protected	_ZN4vllm3moe22topkGatingSoftplusSqrtILi8ELi8ELi4ELi16ELi64ELb1Ej6__halfEEvPKT6_PKbPfiPT5_PiiiibdPKfPKS9_SF_ ; -- Begin function _ZN4vllm3moe22topkGatingSoftplusSqrtILi8ELi8ELi4ELi16ELi64ELb1Ej6__halfEEvPKT6_PKbPfiPT5_PiiiibdPKfPKS9_SF_
	.globl	_ZN4vllm3moe22topkGatingSoftplusSqrtILi8ELi8ELi4ELi16ELi64ELb1Ej6__halfEEvPKT6_PKbPfiPT5_PiiiibdPKfPKS9_SF_
	.p2align	8
	.type	_ZN4vllm3moe22topkGatingSoftplusSqrtILi8ELi8ELi4ELi16ELi64ELb1Ej6__halfEEvPKT6_PKbPfiPT5_PiiiibdPKfPKS9_SF_,@function
_ZN4vllm3moe22topkGatingSoftplusSqrtILi8ELi8ELi4ELi16ELi64ELb1Ej6__halfEEvPKT6_PKbPfiPT5_PiiiibdPKfPKS9_SF_: ; @_ZN4vllm3moe22topkGatingSoftplusSqrtILi8ELi8ELi4ELi16ELi64ELb1Ej6__halfEEvPKT6_PKbPfiPT5_PiiiibdPKfPKS9_SF_
; %bb.0:
	s_load_dword s3, s[0:1], 0x18
	v_bfe_u32 v1, v0, 10, 10
	s_lshl_b32 s2, s2, 8
	v_lshlrev_b32_e32 v1, 6, v1
	v_and_b32_e32 v0, 0x3ff, v0
	v_add3_u32 v6, v1, v0, s2
	s_waitcnt lgkmcnt(0)
	v_cmp_gt_i32_e32 vcc, s3, v6
	s_and_saveexec_b64 s[2:3], vcc
	s_cbranch_execz .LBB252_57
; %bb.1:
	s_load_dwordx2 s[2:3], s[0:1], 0x0
	s_load_dword s16, s[0:1], 0x30
	v_lshlrev_b32_e32 v0, 3, v6
	v_ashrrev_i32_e32 v1, 31, v0
	s_load_dwordx4 s[8:11], s[0:1], 0x50
	s_waitcnt lgkmcnt(0)
	v_lshl_add_u64 v[0:1], v[0:1], 1, s[2:3]
	global_load_dwordx4 v[0:3], v[0:1], off
	v_ashrrev_i32_e32 v7, 31, v6
	s_mov_b32 s15, 0x800000
	v_mov_b32_e32 v4, s8
	v_mov_b32_e32 v5, s9
	v_lshl_add_u64 v[4:5], v[6:7], 2, v[4:5]
	v_mov_b32_e32 v7, 0x4f800000
	s_mov_b32 s13, 0x3f317217
	s_mov_b32 s14, 0x7f800000
	v_mov_b32_e32 v16, 0x41b17218
	s_movk_i32 s9, 0x4d00
	s_mov_b32 s12, 0xf800000
	v_mov_b32_e32 v17, 0x260
	global_load_dword v4, v[4:5], off
	v_mov_b32_e32 v5, 0
	s_cmp_gt_i32 s16, 0
	s_mov_b32 s8, 0
	s_waitcnt vmcnt(1)
	v_cvt_f32_f16_e32 v12, v0
	v_cvt_f32_f16_sdwa v13, v0 dst_sel:DWORD dst_unused:UNUSED_PAD src0_sel:WORD_1
	v_cvt_f32_f16_e32 v14, v1
	v_cvt_f32_f16_sdwa v15, v1 dst_sel:DWORD dst_unused:UNUSED_PAD src0_sel:WORD_1
	v_mul_f32_e32 v8, 0x3fb8aa3b, v12
	v_mul_f32_e32 v9, 0x3fb8aa3b, v13
	v_exp_f32_e32 v8, v8
	v_exp_f32_e32 v9, v9
	v_mul_f32_e32 v10, 0x3fb8aa3b, v14
	v_mul_f32_e32 v11, 0x3fb8aa3b, v15
	v_exp_f32_e32 v10, v10
	v_exp_f32_e32 v11, v11
	v_pk_add_f32 v[8:9], v[8:9], 1.0 op_sel_hi:[1,0]
	s_waitcnt vmcnt(0)
	v_mul_lo_u32 v4, v4, s16
	v_cmp_gt_f32_e32 vcc, s15, v9
	v_pk_add_f32 v[10:11], v[10:11], 1.0 op_sel_hi:[1,0]
	v_cmp_gt_f32_e64 s[2:3], s15, v8
	v_cndmask_b32_e32 v18, 1.0, v7, vcc
	v_cmp_gt_f32_e64 s[4:5], s15, v11
	v_cndmask_b32_e64 v19, 1.0, v7, s[2:3]
	v_mul_f32_e32 v9, v9, v18
	v_cndmask_b32_e64 v20, 1.0, v7, s[4:5]
	v_cmp_gt_f32_e64 s[6:7], s15, v10
	v_mul_f32_e32 v8, v8, v19
	v_log_f32_e32 v9, v9
	v_cndmask_b32_e64 v21, 1.0, v7, s[6:7]
	v_mul_f32_e32 v11, v11, v20
	v_log_f32_e32 v8, v8
	v_mul_f32_e32 v10, v10, v21
	v_log_f32_e32 v11, v11
	v_log_f32_e32 v10, v10
	v_mul_f32_e32 v22, 0x3f317217, v9
	v_mul_f32_e32 v23, 0x3f317217, v8
	v_fma_f32 v22, v9, s13, -v22
	v_mul_f32_e32 v24, 0x3f317217, v11
	v_fma_f32 v23, v8, s13, -v23
	v_fmac_f32_e32 v22, 0x3377d1cf, v9
	v_cndmask_b32_e32 v18, 0, v16, vcc
	v_mul_f32_e32 v25, 0x3f317217, v10
	v_fma_f32 v24, v11, s13, -v24
	v_fmac_f32_e32 v23, 0x3377d1cf, v8
	v_fmac_f32_e32 v22, 0x3f317217, v9
	v_cmp_lt_f32_e64 vcc, |v9|, s14
	v_fma_f32 v25, v10, s13, -v25
	v_fmac_f32_e32 v24, 0x3377d1cf, v11
	v_fmac_f32_e32 v23, 0x3f317217, v8
	v_cndmask_b32_e32 v9, v9, v22, vcc
	v_cmp_lt_f32_e64 vcc, |v8|, s14
	v_fmac_f32_e32 v25, 0x3377d1cf, v10
	v_fmac_f32_e32 v24, 0x3f317217, v11
	v_cndmask_b32_e32 v8, v8, v23, vcc
	v_cmp_lt_f32_e64 vcc, |v11|, s14
	v_cndmask_b32_e64 v19, 0, v16, s[2:3]
	v_fmac_f32_e32 v25, 0x3f317217, v10
	v_cndmask_b32_e32 v11, v11, v24, vcc
	v_cmp_lt_f32_e64 vcc, |v10|, s14
	v_sub_f32_e32 v8, v8, v19
	v_sub_f32_e32 v9, v9, v18
	v_cndmask_b32_e32 v22, v10, v25, vcc
	v_cmp_lt_f16_e32 vcc, s9, v0
	v_cndmask_b32_e64 v20, 0, v16, s[4:5]
	v_sub_f32_e32 v10, v11, v20
	v_cndmask_b32_e32 v8, v8, v12, vcc
	v_cmp_gt_f16_sdwa vcc, v0, s9 src0_sel:WORD_1 src1_sel:DWORD
	v_mul_f32_e32 v11, 0x4f800000, v8
	v_cmp_gt_f32_e64 s[2:3], s12, v8
	v_cndmask_b32_e32 v0, v9, v13, vcc
	v_mul_f32_e32 v9, 0x4f800000, v0
	v_cmp_gt_f32_e32 vcc, s12, v0
	v_cndmask_b32_e64 v8, v8, v11, s[2:3]
	v_sqrt_f32_e32 v11, v8
	v_cndmask_b32_e32 v0, v0, v9, vcc
	v_sqrt_f32_e32 v9, v0
	v_cmp_gt_f16_sdwa s[4:5], v1, s9 src0_sel:WORD_1 src1_sel:DWORD
	v_add_u32_e32 v18, 1, v11
	v_fma_f32 v24, -v18, v11, v8
	v_cndmask_b32_e64 v12, v10, v15, s[4:5]
	v_add_u32_e32 v10, -1, v9
	v_add_u32_e32 v15, -1, v11
	v_fma_f32 v19, -v10, v9, v0
	v_add_u32_e32 v13, 1, v9
	v_fma_f32 v23, -v15, v11, v8
	v_cmp_ge_f32_e64 s[4:5], 0, v19
	v_fma_f32 v20, -v13, v9, v0
	v_cndmask_b32_e64 v21, 0, v16, s[6:7]
	v_cndmask_b32_e64 v9, v9, v10, s[4:5]
	v_cmp_ge_f32_e64 s[4:5], 0, v23
	s_nop 1
	v_cndmask_b32_e64 v10, v11, v15, s[4:5]
	v_cmp_lt_f32_e64 s[4:5], 0, v20
	v_cvt_f32_f16_sdwa v15, v2 dst_sel:DWORD dst_unused:UNUSED_PAD src0_sel:WORD_1
	s_nop 0
	v_cndmask_b32_e64 v9, v9, v13, s[4:5]
	v_cmp_lt_f32_e64 s[4:5], 0, v24
	v_mul_f32_e32 v11, 0x37800000, v9
	v_cndmask_b32_e32 v9, v9, v11, vcc
	v_cndmask_b32_e64 v10, v10, v18, s[4:5]
	v_mul_f32_e32 v13, 0x37800000, v10
	v_cmp_class_f32_e32 vcc, v0, v17
	v_cndmask_b32_e64 v11, v10, v13, s[2:3]
	v_cmp_lt_f16_e64 s[2:3], s9, v1
	v_cndmask_b32_e32 v10, v9, v0, vcc
	v_cmp_class_f32_e32 vcc, v8, v17
	v_mul_f32_e32 v0, 0x4f800000, v12
	v_sub_f32_e32 v9, v22, v21
	v_cndmask_b32_e32 v11, v11, v8, vcc
	v_cmp_gt_f32_e32 vcc, s12, v12
	v_cndmask_b32_e64 v1, v9, v14, s[2:3]
	s_nop 0
	v_cndmask_b32_e32 v0, v12, v0, vcc
	v_sqrt_f32_e32 v8, v0
	s_nop 0
	v_add_u32_e32 v9, -1, v8
	v_fma_f32 v12, -v9, v8, v0
	v_cmp_ge_f32_e64 s[2:3], 0, v12
	v_add_u32_e32 v12, 1, v8
	s_nop 0
	v_cndmask_b32_e64 v9, v8, v9, s[2:3]
	v_fma_f32 v8, -v12, v8, v0
	v_cmp_lt_f32_e64 s[2:3], 0, v8
	s_nop 1
	v_cndmask_b32_e64 v8, v9, v12, s[2:3]
	v_mul_f32_e32 v12, 0x4f800000, v1
	v_cmp_gt_f32_e64 s[2:3], s12, v1
	v_mul_f32_e32 v9, 0x37800000, v8
	v_cndmask_b32_e32 v8, v8, v9, vcc
	v_cndmask_b32_e64 v13, v1, v12, s[2:3]
	v_sqrt_f32_e32 v1, v13
	v_cmp_class_f32_e32 vcc, v0, v17
	v_cvt_f32_f16_e32 v9, v2
	v_add_u32_e32 v14, 1, v1
	v_cndmask_b32_e32 v12, v8, v0, vcc
	v_add_u32_e32 v0, -1, v1
	v_fma_f32 v8, -v0, v1, v13
	v_cmp_ge_f32_e32 vcc, 0, v8
	v_fma_f32 v18, -v14, v1, v13
	s_nop 0
	v_cndmask_b32_e32 v8, v1, v0, vcc
	v_mul_f32_e32 v0, 0x3fb8aa3b, v9
	v_mul_f32_e32 v1, 0x3fb8aa3b, v15
	v_exp_f32_e32 v0, v0
	v_exp_f32_e32 v1, v1
	v_cmp_lt_f32_e32 vcc, 0, v18
	v_pk_add_f32 v[0:1], v[0:1], 1.0 op_sel_hi:[1,0]
	s_nop 0
	v_cndmask_b32_e32 v8, v8, v14, vcc
	v_cmp_gt_f32_e32 vcc, s15, v1
	v_mul_f32_e32 v14, 0x37800000, v8
	v_cndmask_b32_e64 v8, v8, v14, s[2:3]
	v_cndmask_b32_e32 v18, 1.0, v7, vcc
	v_mul_f32_e32 v1, v1, v18
	v_log_f32_e32 v1, v1
	v_cmp_class_f32_e64 s[2:3], v13, v17
	v_cvt_f32_f16_sdwa v18, v3 dst_sel:DWORD dst_unused:UNUSED_PAD src0_sel:WORD_1
	v_cmp_lt_f32_e64 s[4:5], |v1|, s14
	v_cndmask_b32_e64 v13, v8, v13, s[2:3]
	v_cmp_gt_f32_e64 s[2:3], s15, v0
	v_mul_f32_e32 v8, 0x3f317217, v1
	v_fma_f32 v8, v1, s13, -v8
	v_cndmask_b32_e64 v14, 1.0, v7, s[2:3]
	v_mul_f32_e32 v0, v0, v14
	v_log_f32_e32 v0, v0
	v_fmac_f32_e32 v8, 0x3377d1cf, v1
	v_fmac_f32_e32 v8, 0x3f317217, v1
	v_cndmask_b32_e64 v1, v1, v8, s[4:5]
	v_cndmask_b32_e32 v8, 0, v16, vcc
	v_sub_f32_e32 v1, v1, v8
	v_mul_f32_e32 v8, 0x3f317217, v0
	v_fma_f32 v8, v0, s13, -v8
	v_fmac_f32_e32 v8, 0x3377d1cf, v0
	v_fmac_f32_e32 v8, 0x3f317217, v0
	v_cmp_lt_f32_e64 vcc, |v0|, s14
	s_nop 1
	v_cndmask_b32_e32 v0, v0, v8, vcc
	v_cmp_gt_f16_sdwa vcc, v2, s9 src0_sel:WORD_1 src1_sel:DWORD
	v_cndmask_b32_e64 v8, 0, v16, s[2:3]
	v_cmp_lt_f16_e64 s[2:3], s9, v2
	v_cndmask_b32_e32 v1, v1, v15, vcc
	v_mul_f32_e32 v14, 0x4f800000, v1
	v_cmp_gt_f32_e32 vcc, s12, v1
	v_sub_f32_e32 v0, v0, v8
	v_cndmask_b32_e64 v0, v0, v9, s[2:3]
	v_cndmask_b32_e32 v1, v1, v14, vcc
	v_sqrt_f32_e32 v14, v1
	s_nop 0
	v_add_u32_e32 v2, -1, v14
	v_fma_f32 v8, -v2, v14, v1
	v_cmp_ge_f32_e64 s[2:3], 0, v8
	v_add_u32_e32 v8, 1, v14
	v_fma_f32 v9, -v8, v14, v1
	v_cndmask_b32_e64 v2, v14, v2, s[2:3]
	v_cmp_lt_f32_e64 s[2:3], 0, v9
	v_mul_f32_e32 v9, 0x4f800000, v0
	s_nop 0
	v_cndmask_b32_e64 v2, v2, v8, s[2:3]
	v_cmp_gt_f32_e64 s[2:3], s12, v0
	v_mul_f32_e32 v8, 0x37800000, v2
	v_cndmask_b32_e32 v2, v2, v8, vcc
	v_cndmask_b32_e64 v9, v0, v9, s[2:3]
	v_sqrt_f32_e32 v0, v9
	v_cmp_class_f32_e32 vcc, v1, v17
	v_cvt_f32_f16_e32 v8, v3
	v_add_u32_e32 v15, 1, v0
	v_cndmask_b32_e32 v14, v2, v1, vcc
	v_add_u32_e32 v1, -1, v0
	v_fma_f32 v2, -v1, v0, v9
	v_cmp_ge_f32_e32 vcc, 0, v2
	v_fma_f32 v19, -v15, v0, v9
	s_nop 0
	v_cndmask_b32_e32 v2, v0, v1, vcc
	v_mul_f32_e32 v0, 0x3fb8aa3b, v8
	v_mul_f32_e32 v1, 0x3fb8aa3b, v18
	v_exp_f32_e32 v0, v0
	v_exp_f32_e32 v1, v1
	v_cmp_lt_f32_e32 vcc, 0, v19
	v_pk_add_f32 v[0:1], v[0:1], 1.0 op_sel_hi:[1,0]
	s_nop 0
	v_cndmask_b32_e32 v2, v2, v15, vcc
	v_cmp_gt_f32_e32 vcc, s15, v1
	v_mul_f32_e32 v15, 0x37800000, v2
	v_cndmask_b32_e64 v2, v2, v15, s[2:3]
	v_cndmask_b32_e32 v19, 1.0, v7, vcc
	v_mul_f32_e32 v1, v1, v19
	v_log_f32_e32 v1, v1
	v_cmp_class_f32_e64 s[2:3], v9, v17
	v_cmp_lt_f32_e64 s[4:5], |v1|, s14
	s_nop 0
	v_cndmask_b32_e64 v15, v2, v9, s[2:3]
	v_cmp_gt_f32_e64 s[2:3], s15, v0
	v_mul_f32_e32 v2, 0x3f317217, v1
	v_fma_f32 v2, v1, s13, -v2
	v_cndmask_b32_e64 v7, 1.0, v7, s[2:3]
	v_mul_f32_e32 v0, v0, v7
	v_log_f32_e32 v0, v0
	v_fmac_f32_e32 v2, 0x3377d1cf, v1
	v_fmac_f32_e32 v2, 0x3f317217, v1
	v_cndmask_b32_e64 v1, v1, v2, s[4:5]
	v_cndmask_b32_e32 v2, 0, v16, vcc
	v_sub_f32_e32 v1, v1, v2
	v_mul_f32_e32 v2, 0x3f317217, v0
	v_fma_f32 v2, v0, s13, -v2
	v_fmac_f32_e32 v2, 0x3377d1cf, v0
	v_fmac_f32_e32 v2, 0x3f317217, v0
	v_cmp_lt_f32_e64 vcc, |v0|, s14
	s_nop 1
	v_cndmask_b32_e32 v0, v0, v2, vcc
	v_cmp_gt_f16_sdwa vcc, v3, s9 src0_sel:WORD_1 src1_sel:DWORD
	v_cndmask_b32_e64 v2, 0, v16, s[2:3]
	v_sub_f32_e32 v0, v0, v2
	v_cndmask_b32_e32 v1, v1, v18, vcc
	v_mul_f32_e32 v7, 0x4f800000, v1
	v_cmp_gt_f32_e32 vcc, s12, v1
	v_cmp_lt_f16_e64 s[2:3], s9, v3
	s_nop 0
	v_cndmask_b32_e32 v1, v1, v7, vcc
	v_sqrt_f32_e32 v7, v1
	v_cndmask_b32_e64 v0, v0, v8, s[2:3]
	v_add_u32_e32 v2, -1, v7
	v_fma_f32 v3, -v2, v7, v1
	v_cmp_ge_f32_e64 s[2:3], 0, v3
	v_add_u32_e32 v3, 1, v7
	s_nop 0
	v_cndmask_b32_e64 v2, v7, v2, s[2:3]
	v_fma_f32 v7, -v3, v7, v1
	v_cmp_lt_f32_e64 s[2:3], 0, v7
	v_mul_f32_e32 v7, 0x4f800000, v0
	s_nop 0
	v_cndmask_b32_e64 v2, v2, v3, s[2:3]
	v_cmp_gt_f32_e64 s[2:3], s12, v0
	v_mul_f32_e32 v3, 0x37800000, v2
	v_cndmask_b32_e32 v2, v2, v3, vcc
	v_cndmask_b32_e64 v0, v0, v7, s[2:3]
	v_sqrt_f32_e32 v7, v0
	v_cmp_class_f32_e32 vcc, v1, v17
	s_nop 1
	v_cndmask_b32_e32 v16, v2, v1, vcc
	v_add_u32_e32 v1, -1, v7
	v_fma_f32 v2, -v1, v7, v0
	v_cmp_ge_f32_e32 vcc, 0, v2
	v_add_u32_e32 v2, 1, v7
	v_fma_f32 v3, -v2, v7, v0
	v_cndmask_b32_e32 v1, v7, v1, vcc
	v_cmp_lt_f32_e32 vcc, 0, v3
	s_nop 1
	v_cndmask_b32_e32 v1, v1, v2, vcc
	v_mul_f32_e32 v2, 0x37800000, v1
	v_cndmask_b32_e64 v1, v1, v2, s[2:3]
	v_cmp_class_f32_e32 vcc, v0, v17
	v_lshl_add_u64 v[2:3], v[4:5], 2, s[10:11]
	s_cselect_b64 s[2:3], -1, 0
	v_cndmask_b32_e32 v17, v1, v0, vcc
	s_cmp_lt_i32 s16, 1
	v_mul_lo_u32 v0, v6, s16
	s_cbranch_scc1 .LBB252_21
; %bb.2:
	s_load_dwordx2 s[4:5], s[0:1], 0x20
	s_cmp_lt_u32 s16, 4
	s_cbranch_scc1 .LBB252_22
; %bb.3:
	s_mov_b32 s7, 0
	s_and_b32 s8, s16, 0x7ffffffc
	v_ashrrev_i32_e32 v1, 31, v0
	v_mov_b32_e32 v18, 0
	s_mov_b32 s6, s7
	s_branch .LBB252_5
.LBB252_4:                              ;   in Loop: Header=BB252_5 Depth=1
	s_or_b64 exec, exec, s[12:13]
	s_add_i32 s6, s6, 4
	s_cmp_eq_u32 s6, s8
	s_cbranch_scc1 .LBB252_23
.LBB252_5:                              ; =>This Loop Header: Depth=1
                                        ;     Child Loop BB252_7 Depth 2
                                        ;     Child Loop BB252_11 Depth 2
	;; [unrolled: 1-line block ×4, first 2 shown]
	v_lshl_add_u64 v[6:7], s[6:7], 2, v[2:3]
	global_load_dword v19, v[6:7], off
	v_add_u32_e32 v8, s6, v0
	v_ashrrev_i32_e32 v9, 31, v8
	s_mov_b64 s[12:13], 0
	s_waitcnt lgkmcnt(0)
	v_lshl_add_u64 v[8:9], v[8:9], 2, s[4:5]
	s_mov_b32 s9, 0
	s_waitcnt vmcnt(0)
	v_cmp_eq_u32_e32 vcc, 1, v19
	s_nop 1
	v_cndmask_b32_e32 v21, v11, v10, vcc
	v_cmp_eq_u32_e32 vcc, 2, v19
	v_min_u32_e32 v20, 7, v19
	v_add_u32_e32 v20, 1, v20
	v_cndmask_b32_e32 v21, v21, v13, vcc
	v_cmp_eq_u32_e32 vcc, 3, v19
	s_nop 1
	v_cndmask_b32_e32 v21, v21, v12, vcc
	v_cmp_eq_u32_e32 vcc, 4, v19
	s_nop 1
	;; [unrolled: 3-line block ×5, first 2 shown]
	v_cndmask_b32_e32 v21, v21, v16, vcc
	s_branch .LBB252_7
.LBB252_6:                              ;   in Loop: Header=BB252_7 Depth=2
	s_or_b64 exec, exec, s[14:15]
	s_add_i32 s9, s9, 1
	v_cmp_eq_u32_e32 vcc, s9, v20
	s_or_b64 s[12:13], vcc, s[12:13]
	s_andn2_b64 exec, exec, s[12:13]
	s_cbranch_execz .LBB252_9
.LBB252_7:                              ;   Parent Loop BB252_5 Depth=1
                                        ; =>  This Inner Loop Header: Depth=2
	v_cmp_eq_u32_e32 vcc, s9, v19
	s_and_saveexec_b64 s[14:15], vcc
	s_cbranch_execz .LBB252_6
; %bb.8:                                ;   in Loop: Header=BB252_7 Depth=2
	v_add_f32_e32 v18, v18, v21
	global_store_dword v[8:9], v19, off
	s_branch .LBB252_6
.LBB252_9:                              ;   in Loop: Header=BB252_5 Depth=1
	s_or_b64 exec, exec, s[12:13]
	global_load_dword v19, v[6:7], off offset:4
	s_ashr_i32 s13, s6, 31
	s_mov_b32 s12, s6
	v_lshl_add_u64 v[8:9], s[12:13], 0, v[0:1]
	s_mov_b32 s9, 0
	v_lshl_add_u64 v[8:9], v[8:9], 2, s[4:5]
	s_mov_b64 s[12:13], 0
	s_waitcnt vmcnt(0)
	v_cmp_eq_u32_e32 vcc, 1, v19
	s_nop 1
	v_cndmask_b32_e32 v21, v11, v10, vcc
	v_cmp_eq_u32_e32 vcc, 2, v19
	v_min_u32_e32 v20, 7, v19
	v_add_u32_e32 v20, 1, v20
	v_cndmask_b32_e32 v21, v21, v13, vcc
	v_cmp_eq_u32_e32 vcc, 3, v19
	s_nop 1
	v_cndmask_b32_e32 v21, v21, v12, vcc
	v_cmp_eq_u32_e32 vcc, 4, v19
	s_nop 1
	;; [unrolled: 3-line block ×5, first 2 shown]
	v_cndmask_b32_e32 v21, v21, v16, vcc
	s_branch .LBB252_11
.LBB252_10:                             ;   in Loop: Header=BB252_11 Depth=2
	s_or_b64 exec, exec, s[14:15]
	s_add_i32 s9, s9, 1
	v_cmp_eq_u32_e32 vcc, s9, v20
	s_or_b64 s[12:13], vcc, s[12:13]
	s_andn2_b64 exec, exec, s[12:13]
	s_cbranch_execz .LBB252_13
.LBB252_11:                             ;   Parent Loop BB252_5 Depth=1
                                        ; =>  This Inner Loop Header: Depth=2
	v_cmp_eq_u32_e32 vcc, s9, v19
	s_and_saveexec_b64 s[14:15], vcc
	s_cbranch_execz .LBB252_10
; %bb.12:                               ;   in Loop: Header=BB252_11 Depth=2
	v_add_f32_e32 v18, v18, v21
	global_store_dword v[8:9], v19, off offset:4
	s_branch .LBB252_10
.LBB252_13:                             ;   in Loop: Header=BB252_5 Depth=1
	s_or_b64 exec, exec, s[12:13]
	global_load_dword v19, v[6:7], off offset:8
	s_mov_b32 s9, 0
	s_mov_b64 s[12:13], 0
	s_waitcnt vmcnt(0)
	v_cmp_eq_u32_e32 vcc, 1, v19
	s_nop 1
	v_cndmask_b32_e32 v21, v11, v10, vcc
	v_cmp_eq_u32_e32 vcc, 2, v19
	v_min_u32_e32 v20, 7, v19
	v_add_u32_e32 v20, 1, v20
	v_cndmask_b32_e32 v21, v21, v13, vcc
	v_cmp_eq_u32_e32 vcc, 3, v19
	s_nop 1
	v_cndmask_b32_e32 v21, v21, v12, vcc
	v_cmp_eq_u32_e32 vcc, 4, v19
	s_nop 1
	;; [unrolled: 3-line block ×5, first 2 shown]
	v_cndmask_b32_e32 v21, v21, v16, vcc
	s_branch .LBB252_15
.LBB252_14:                             ;   in Loop: Header=BB252_15 Depth=2
	s_or_b64 exec, exec, s[14:15]
	s_add_i32 s9, s9, 1
	v_cmp_eq_u32_e32 vcc, s9, v20
	s_or_b64 s[12:13], vcc, s[12:13]
	s_andn2_b64 exec, exec, s[12:13]
	s_cbranch_execz .LBB252_17
.LBB252_15:                             ;   Parent Loop BB252_5 Depth=1
                                        ; =>  This Inner Loop Header: Depth=2
	v_cmp_eq_u32_e32 vcc, s9, v19
	s_and_saveexec_b64 s[14:15], vcc
	s_cbranch_execz .LBB252_14
; %bb.16:                               ;   in Loop: Header=BB252_15 Depth=2
	v_add_f32_e32 v18, v18, v21
	global_store_dword v[8:9], v19, off offset:8
	s_branch .LBB252_14
.LBB252_17:                             ;   in Loop: Header=BB252_5 Depth=1
	s_or_b64 exec, exec, s[12:13]
	global_load_dword v6, v[6:7], off offset:12
	s_mov_b32 s9, 0
	s_mov_b64 s[12:13], 0
	s_waitcnt vmcnt(0)
	v_cmp_eq_u32_e32 vcc, 1, v6
	s_nop 1
	v_cndmask_b32_e32 v19, v11, v10, vcc
	v_cmp_eq_u32_e32 vcc, 2, v6
	v_min_u32_e32 v7, 7, v6
	v_add_u32_e32 v7, 1, v7
	v_cndmask_b32_e32 v19, v19, v13, vcc
	v_cmp_eq_u32_e32 vcc, 3, v6
	s_nop 1
	v_cndmask_b32_e32 v19, v19, v12, vcc
	v_cmp_eq_u32_e32 vcc, 4, v6
	s_nop 1
	;; [unrolled: 3-line block ×5, first 2 shown]
	v_cndmask_b32_e32 v19, v19, v16, vcc
	s_branch .LBB252_19
.LBB252_18:                             ;   in Loop: Header=BB252_19 Depth=2
	s_or_b64 exec, exec, s[14:15]
	s_add_i32 s9, s9, 1
	v_cmp_eq_u32_e32 vcc, s9, v7
	s_or_b64 s[12:13], vcc, s[12:13]
	s_andn2_b64 exec, exec, s[12:13]
	s_cbranch_execz .LBB252_4
.LBB252_19:                             ;   Parent Loop BB252_5 Depth=1
                                        ; =>  This Inner Loop Header: Depth=2
	v_cmp_eq_u32_e32 vcc, s9, v6
	s_and_saveexec_b64 s[14:15], vcc
	s_cbranch_execz .LBB252_18
; %bb.20:                               ;   in Loop: Header=BB252_19 Depth=2
	v_add_f32_e32 v18, v18, v19
	global_store_dword v[8:9], v6, off offset:12
	s_branch .LBB252_18
.LBB252_21:
	v_mov_b32_e32 v18, v5
	s_branch .LBB252_30
.LBB252_22:
	v_mov_b32_e32 v18, v5
.LBB252_23:
	s_and_b32 s14, s16, 3
	s_cmp_eq_u32 s14, 0
	s_mov_b32 s9, 0
	s_cbranch_scc1 .LBB252_30
; %bb.24:
	s_mov_b32 s15, s9
	s_branch .LBB252_26
.LBB252_25:                             ;   in Loop: Header=BB252_26 Depth=1
	s_or_b64 exec, exec, s[6:7]
	s_add_i32 s8, s8, 1
	s_add_i32 s15, s15, 1
	s_cmp_lg_u32 s15, s14
	s_cbranch_scc0 .LBB252_30
.LBB252_26:                             ; =>This Loop Header: Depth=1
                                        ;     Child Loop BB252_28 Depth 2
	v_lshl_add_u64 v[6:7], s[8:9], 2, v[2:3]
	global_load_dword v1, v[6:7], off
	v_add_u32_e32 v6, s8, v0
	v_ashrrev_i32_e32 v7, 31, v6
	s_mov_b32 s17, 0
	s_waitcnt lgkmcnt(0)
	v_lshl_add_u64 v[6:7], v[6:7], 2, s[4:5]
	s_mov_b64 s[6:7], 0
	s_waitcnt vmcnt(0)
	v_cmp_eq_u32_e32 vcc, 1, v1
	s_nop 1
	v_cndmask_b32_e32 v9, v11, v10, vcc
	v_cmp_eq_u32_e32 vcc, 2, v1
	v_min_u32_e32 v8, 7, v1
	v_add_u32_e32 v8, 1, v8
	v_cndmask_b32_e32 v9, v9, v13, vcc
	v_cmp_eq_u32_e32 vcc, 3, v1
	s_nop 1
	v_cndmask_b32_e32 v9, v9, v12, vcc
	v_cmp_eq_u32_e32 vcc, 4, v1
	s_nop 1
	v_cndmask_b32_e32 v9, v9, v15, vcc
	v_cmp_eq_u32_e32 vcc, 5, v1
	s_nop 1
	v_cndmask_b32_e32 v9, v9, v14, vcc
	v_cmp_eq_u32_e32 vcc, 6, v1
	s_nop 1
	v_cndmask_b32_e32 v9, v9, v17, vcc
	v_cmp_eq_u32_e32 vcc, 7, v1
	s_nop 1
	v_cndmask_b32_e32 v9, v9, v16, vcc
	s_branch .LBB252_28
.LBB252_27:                             ;   in Loop: Header=BB252_28 Depth=2
	s_or_b64 exec, exec, s[12:13]
	s_add_i32 s17, s17, 1
	v_cmp_eq_u32_e32 vcc, s17, v8
	s_or_b64 s[6:7], vcc, s[6:7]
	s_andn2_b64 exec, exec, s[6:7]
	s_cbranch_execz .LBB252_25
.LBB252_28:                             ;   Parent Loop BB252_26 Depth=1
                                        ; =>  This Inner Loop Header: Depth=2
	v_cmp_eq_u32_e32 vcc, s17, v1
	s_and_saveexec_b64 s[12:13], vcc
	s_cbranch_execz .LBB252_27
; %bb.29:                               ;   in Loop: Header=BB252_28 Depth=2
	v_add_f32_e32 v18, v18, v9
	global_store_dword v[6:7], v1, off
	s_branch .LBB252_27
.LBB252_30:
	s_load_dword s6, s[0:1], 0x3c
	s_waitcnt lgkmcnt(0)
	s_load_dwordx2 s[4:5], s[0:1], 0x40
	s_bitcmp1_b32 s6, 0
	s_cselect_b64 s[6:7], -1, 0
	s_waitcnt lgkmcnt(0)
	v_cvt_f32_f64_e32 v19, s[4:5]
	s_and_b64 vcc, exec, s[6:7]
	s_cbranch_vccz .LBB252_32
; %bb.31:
	v_cmp_lt_f32_e32 vcc, 0, v18
	s_nop 1
	v_cndmask_b32_e32 v1, 1.0, v18, vcc
	v_div_scale_f32 v6, s[4:5], v1, v1, v19
	v_rcp_f32_e32 v7, v6
	s_nop 0
	v_fma_f32 v8, -v6, v7, 1.0
	v_fmac_f32_e32 v7, v8, v7
	v_div_scale_f32 v8, vcc, v19, v1, v19
	v_mul_f32_e32 v9, v8, v7
	v_fma_f32 v18, -v6, v9, v8
	v_fmac_f32_e32 v9, v18, v7
	v_fma_f32 v6, -v6, v9, v8
	v_div_fmas_f32 v6, v6, v7, v9
	v_div_fixup_f32 v19, v6, v1, v19
.LBB252_32:
	s_andn2_b64 vcc, exec, s[2:3]
	s_cbranch_vccnz .LBB252_57
; %bb.33:
	s_load_dwordx2 s[0:1], s[0:1], 0x10
	s_cmp_lt_u32 s16, 8
	s_mov_b32 s2, 0
	s_cbranch_scc1 .LBB252_52
; %bb.34:
	v_ashrrev_i32_e32 v1, 31, v0
	s_and_b32 s2, s16, 0x7ffffff8
	s_waitcnt lgkmcnt(0)
	v_lshl_add_u64 v[6:7], v[0:1], 2, s[0:1]
	s_mov_b32 s3, 0
	s_mov_b64 s[4:5], 0
	s_branch .LBB252_36
.LBB252_35:                             ;   in Loop: Header=BB252_36 Depth=1
	s_or_b64 exec, exec, s[6:7]
	s_add_i32 s3, s3, 8
	s_add_u32 s4, s4, 32
	s_addc_u32 s5, s5, 0
	s_cmp_eq_u32 s2, s3
	s_cbranch_scc1 .LBB252_52
.LBB252_36:                             ; =>This Inner Loop Header: Depth=1
	v_lshl_add_u64 v[8:9], v[2:3], 0, s[4:5]
	global_load_dword v1, v[8:9], off
	s_waitcnt vmcnt(0)
	v_cmp_gt_u32_e32 vcc, 8, v1
	s_and_saveexec_b64 s[6:7], vcc
	s_cbranch_execz .LBB252_38
; %bb.37:                               ;   in Loop: Header=BB252_36 Depth=1
	v_cmp_eq_u32_e32 vcc, 1, v1
	v_add_u32_e32 v20, s3, v0
	v_ashrrev_i32_e32 v21, 31, v20
	v_cndmask_b32_e32 v18, v11, v10, vcc
	v_cmp_eq_u32_e32 vcc, 2, v1
	v_lshl_add_u64 v[20:21], v[20:21], 2, s[0:1]
	s_nop 0
	v_cndmask_b32_e32 v18, v18, v13, vcc
	v_cmp_eq_u32_e32 vcc, 3, v1
	s_nop 1
	v_cndmask_b32_e32 v18, v18, v12, vcc
	v_cmp_eq_u32_e32 vcc, 4, v1
	;; [unrolled: 3-line block ×5, first 2 shown]
	s_nop 1
	v_cndmask_b32_e32 v1, v18, v16, vcc
	v_mul_f32_e32 v1, v19, v1
	global_store_dword v[20:21], v1, off
.LBB252_38:                             ;   in Loop: Header=BB252_36 Depth=1
	s_or_b64 exec, exec, s[6:7]
	global_load_dword v1, v[8:9], off offset:4
	s_waitcnt vmcnt(0)
	v_cmp_gt_u32_e32 vcc, 8, v1
	s_and_saveexec_b64 s[6:7], vcc
	s_cbranch_execz .LBB252_40
; %bb.39:                               ;   in Loop: Header=BB252_36 Depth=1
	v_cmp_eq_u32_e32 vcc, 1, v1
	v_lshl_add_u64 v[20:21], v[6:7], 0, s[4:5]
	s_nop 0
	v_cndmask_b32_e32 v18, v11, v10, vcc
	v_cmp_eq_u32_e32 vcc, 2, v1
	s_nop 1
	v_cndmask_b32_e32 v18, v18, v13, vcc
	v_cmp_eq_u32_e32 vcc, 3, v1
	s_nop 1
	v_cndmask_b32_e32 v18, v18, v12, vcc
	v_cmp_eq_u32_e32 vcc, 4, v1
	s_nop 1
	v_cndmask_b32_e32 v18, v18, v15, vcc
	v_cmp_eq_u32_e32 vcc, 5, v1
	s_nop 1
	v_cndmask_b32_e32 v18, v18, v14, vcc
	v_cmp_eq_u32_e32 vcc, 6, v1
	s_nop 1
	v_cndmask_b32_e32 v18, v18, v17, vcc
	v_cmp_eq_u32_e32 vcc, 7, v1
	s_nop 1
	v_cndmask_b32_e32 v1, v18, v16, vcc
	v_mul_f32_e32 v1, v19, v1
	global_store_dword v[20:21], v1, off offset:4
.LBB252_40:                             ;   in Loop: Header=BB252_36 Depth=1
	s_or_b64 exec, exec, s[6:7]
	global_load_dword v1, v[8:9], off offset:8
	s_waitcnt vmcnt(0)
	v_cmp_gt_u32_e32 vcc, 8, v1
	s_and_saveexec_b64 s[6:7], vcc
	s_cbranch_execz .LBB252_42
; %bb.41:                               ;   in Loop: Header=BB252_36 Depth=1
	v_cmp_eq_u32_e32 vcc, 1, v1
	v_lshl_add_u64 v[20:21], v[6:7], 0, s[4:5]
	s_nop 0
	v_cndmask_b32_e32 v18, v11, v10, vcc
	v_cmp_eq_u32_e32 vcc, 2, v1
	s_nop 1
	v_cndmask_b32_e32 v18, v18, v13, vcc
	v_cmp_eq_u32_e32 vcc, 3, v1
	s_nop 1
	v_cndmask_b32_e32 v18, v18, v12, vcc
	v_cmp_eq_u32_e32 vcc, 4, v1
	s_nop 1
	v_cndmask_b32_e32 v18, v18, v15, vcc
	v_cmp_eq_u32_e32 vcc, 5, v1
	s_nop 1
	v_cndmask_b32_e32 v18, v18, v14, vcc
	v_cmp_eq_u32_e32 vcc, 6, v1
	s_nop 1
	v_cndmask_b32_e32 v18, v18, v17, vcc
	v_cmp_eq_u32_e32 vcc, 7, v1
	s_nop 1
	v_cndmask_b32_e32 v1, v18, v16, vcc
	v_mul_f32_e32 v1, v19, v1
	global_store_dword v[20:21], v1, off offset:8
.LBB252_42:                             ;   in Loop: Header=BB252_36 Depth=1
	;; [unrolled: 32-line block ×6, first 2 shown]
	s_or_b64 exec, exec, s[6:7]
	global_load_dword v1, v[8:9], off offset:28
	s_waitcnt vmcnt(0)
	v_cmp_gt_u32_e32 vcc, 8, v1
	s_and_saveexec_b64 s[6:7], vcc
	s_cbranch_execz .LBB252_35
; %bb.51:                               ;   in Loop: Header=BB252_36 Depth=1
	v_cmp_eq_u32_e32 vcc, 1, v1
	s_nop 1
	v_cndmask_b32_e32 v8, v11, v10, vcc
	v_cmp_eq_u32_e32 vcc, 2, v1
	s_nop 1
	v_cndmask_b32_e32 v8, v8, v13, vcc
	v_cmp_eq_u32_e32 vcc, 3, v1
	s_nop 1
	v_cndmask_b32_e32 v8, v8, v12, vcc
	v_cmp_eq_u32_e32 vcc, 4, v1
	s_nop 1
	v_cndmask_b32_e32 v8, v8, v15, vcc
	v_cmp_eq_u32_e32 vcc, 5, v1
	s_nop 1
	v_cndmask_b32_e32 v8, v8, v14, vcc
	v_cmp_eq_u32_e32 vcc, 6, v1
	s_nop 1
	v_cndmask_b32_e32 v8, v8, v17, vcc
	v_cmp_eq_u32_e32 vcc, 7, v1
	s_nop 1
	v_cndmask_b32_e32 v1, v8, v16, vcc
	v_mul_f32_e32 v1, v19, v1
	v_lshl_add_u64 v[8:9], v[6:7], 0, s[4:5]
	global_store_dword v[8:9], v1, off offset:28
	s_branch .LBB252_35
.LBB252_52:
	s_and_b32 s4, s16, 7
	s_cmp_eq_u32 s4, 0
	s_mov_b32 s3, 0
	s_cbranch_scc1 .LBB252_57
; %bb.53:
	v_add_u32_e32 v0, s2, v0
	s_lshl_b64 s[2:3], s[2:3], 2
	s_add_u32 s2, s10, s2
	s_addc_u32 s3, s11, s3
	v_lshl_add_u64 v[2:3], v[4:5], 2, s[2:3]
	s_branch .LBB252_55
.LBB252_54:                             ;   in Loop: Header=BB252_55 Depth=1
	s_or_b64 exec, exec, s[2:3]
	s_add_i32 s4, s4, -1
	v_add_u32_e32 v0, 1, v0
	s_cmp_eq_u32 s4, 0
	v_lshl_add_u64 v[2:3], v[2:3], 0, 4
	s_cbranch_scc1 .LBB252_57
.LBB252_55:                             ; =>This Inner Loop Header: Depth=1
	global_load_dword v1, v[2:3], off
	s_waitcnt vmcnt(0)
	v_cmp_gt_u32_e32 vcc, 8, v1
	s_and_saveexec_b64 s[2:3], vcc
	s_cbranch_execz .LBB252_54
; %bb.56:                               ;   in Loop: Header=BB252_55 Depth=1
	v_cmp_eq_u32_e32 vcc, 1, v1
	s_nop 1
	v_cndmask_b32_e32 v4, v11, v10, vcc
	v_cmp_eq_u32_e32 vcc, 2, v1
	s_nop 1
	v_cndmask_b32_e32 v4, v4, v13, vcc
	;; [unrolled: 3-line block ×7, first 2 shown]
	v_mul_f32_e32 v6, v19, v1
	v_ashrrev_i32_e32 v1, 31, v0
	s_waitcnt lgkmcnt(0)
	v_lshl_add_u64 v[4:5], v[0:1], 2, s[0:1]
	global_store_dword v[4:5], v6, off
	s_branch .LBB252_54
.LBB252_57:
	s_endpgm
	.section	.rodata,"a",@progbits
	.p2align	6, 0x0
	.amdhsa_kernel _ZN4vllm3moe22topkGatingSoftplusSqrtILi8ELi8ELi4ELi16ELi64ELb1Ej6__halfEEvPKT6_PKbPfiPT5_PiiiibdPKfPKS9_SF_
		.amdhsa_group_segment_fixed_size 0
		.amdhsa_private_segment_fixed_size 0
		.amdhsa_kernarg_size 96
		.amdhsa_user_sgpr_count 2
		.amdhsa_user_sgpr_dispatch_ptr 0
		.amdhsa_user_sgpr_queue_ptr 0
		.amdhsa_user_sgpr_kernarg_segment_ptr 1
		.amdhsa_user_sgpr_dispatch_id 0
		.amdhsa_user_sgpr_kernarg_preload_length 0
		.amdhsa_user_sgpr_kernarg_preload_offset 0
		.amdhsa_user_sgpr_private_segment_size 0
		.amdhsa_uses_dynamic_stack 0
		.amdhsa_enable_private_segment 0
		.amdhsa_system_sgpr_workgroup_id_x 1
		.amdhsa_system_sgpr_workgroup_id_y 0
		.amdhsa_system_sgpr_workgroup_id_z 0
		.amdhsa_system_sgpr_workgroup_info 0
		.amdhsa_system_vgpr_workitem_id 1
		.amdhsa_next_free_vgpr 26
		.amdhsa_next_free_sgpr 18
		.amdhsa_accum_offset 28
		.amdhsa_reserve_vcc 1
		.amdhsa_float_round_mode_32 0
		.amdhsa_float_round_mode_16_64 0
		.amdhsa_float_denorm_mode_32 3
		.amdhsa_float_denorm_mode_16_64 3
		.amdhsa_dx10_clamp 1
		.amdhsa_ieee_mode 1
		.amdhsa_fp16_overflow 0
		.amdhsa_tg_split 0
		.amdhsa_exception_fp_ieee_invalid_op 0
		.amdhsa_exception_fp_denorm_src 0
		.amdhsa_exception_fp_ieee_div_zero 0
		.amdhsa_exception_fp_ieee_overflow 0
		.amdhsa_exception_fp_ieee_underflow 0
		.amdhsa_exception_fp_ieee_inexact 0
		.amdhsa_exception_int_div_zero 0
	.end_amdhsa_kernel
	.section	.text._ZN4vllm3moe22topkGatingSoftplusSqrtILi8ELi8ELi4ELi16ELi64ELb1Ej6__halfEEvPKT6_PKbPfiPT5_PiiiibdPKfPKS9_SF_,"axG",@progbits,_ZN4vllm3moe22topkGatingSoftplusSqrtILi8ELi8ELi4ELi16ELi64ELb1Ej6__halfEEvPKT6_PKbPfiPT5_PiiiibdPKfPKS9_SF_,comdat
.Lfunc_end252:
	.size	_ZN4vllm3moe22topkGatingSoftplusSqrtILi8ELi8ELi4ELi16ELi64ELb1Ej6__halfEEvPKT6_PKbPfiPT5_PiiiibdPKfPKS9_SF_, .Lfunc_end252-_ZN4vllm3moe22topkGatingSoftplusSqrtILi8ELi8ELi4ELi16ELi64ELb1Ej6__halfEEvPKT6_PKbPfiPT5_PiiiibdPKfPKS9_SF_
                                        ; -- End function
	.section	.AMDGPU.csdata,"",@progbits
; Kernel info:
; codeLenInByte = 4544
; NumSgprs: 24
; NumVgprs: 26
; NumAgprs: 0
; TotalNumVgprs: 26
; ScratchSize: 0
; MemoryBound: 0
; FloatMode: 240
; IeeeMode: 1
; LDSByteSize: 0 bytes/workgroup (compile time only)
; SGPRBlocks: 2
; VGPRBlocks: 3
; NumSGPRsForWavesPerEU: 24
; NumVGPRsForWavesPerEU: 26
; AccumOffset: 28
; Occupancy: 8
; WaveLimiterHint : 1
; COMPUTE_PGM_RSRC2:SCRATCH_EN: 0
; COMPUTE_PGM_RSRC2:USER_SGPR: 2
; COMPUTE_PGM_RSRC2:TRAP_HANDLER: 0
; COMPUTE_PGM_RSRC2:TGID_X_EN: 1
; COMPUTE_PGM_RSRC2:TGID_Y_EN: 0
; COMPUTE_PGM_RSRC2:TGID_Z_EN: 0
; COMPUTE_PGM_RSRC2:TIDIG_COMP_CNT: 1
; COMPUTE_PGM_RSRC3_GFX90A:ACCUM_OFFSET: 6
; COMPUTE_PGM_RSRC3_GFX90A:TG_SPLIT: 0
	.section	.text._ZN4vllm3moe22topkGatingSoftplusSqrtILi8ELi8ELi4ELi16ELi64ELb0Ej6__halfEEvPKT6_PKbPfiPT5_PiiiibdPKfPKS9_SF_,"axG",@progbits,_ZN4vllm3moe22topkGatingSoftplusSqrtILi8ELi8ELi4ELi16ELi64ELb0Ej6__halfEEvPKT6_PKbPfiPT5_PiiiibdPKfPKS9_SF_,comdat
	.protected	_ZN4vllm3moe22topkGatingSoftplusSqrtILi8ELi8ELi4ELi16ELi64ELb0Ej6__halfEEvPKT6_PKbPfiPT5_PiiiibdPKfPKS9_SF_ ; -- Begin function _ZN4vllm3moe22topkGatingSoftplusSqrtILi8ELi8ELi4ELi16ELi64ELb0Ej6__halfEEvPKT6_PKbPfiPT5_PiiiibdPKfPKS9_SF_
	.globl	_ZN4vllm3moe22topkGatingSoftplusSqrtILi8ELi8ELi4ELi16ELi64ELb0Ej6__halfEEvPKT6_PKbPfiPT5_PiiiibdPKfPKS9_SF_
	.p2align	8
	.type	_ZN4vllm3moe22topkGatingSoftplusSqrtILi8ELi8ELi4ELi16ELi64ELb0Ej6__halfEEvPKT6_PKbPfiPT5_PiiiibdPKfPKS9_SF_,@function
_ZN4vllm3moe22topkGatingSoftplusSqrtILi8ELi8ELi4ELi16ELi64ELb0Ej6__halfEEvPKT6_PKbPfiPT5_PiiiibdPKfPKS9_SF_: ; @_ZN4vllm3moe22topkGatingSoftplusSqrtILi8ELi8ELi4ELi16ELi64ELb0Ej6__halfEEvPKT6_PKbPfiPT5_PiiiibdPKfPKS9_SF_
; %bb.0:
	s_load_dword s24, s[0:1], 0x18
	v_bfe_u32 v1, v0, 10, 10
	s_lshl_b32 s2, s2, 8
	v_lshlrev_b32_e32 v1, 6, v1
	v_and_b32_e32 v0, 0x3ff, v0
	v_add3_u32 v8, v1, v0, s2
	s_waitcnt lgkmcnt(0)
	v_cmp_gt_i32_e32 vcc, s24, v8
	s_and_saveexec_b64 s[2:3], vcc
	s_cbranch_execz .LBB253_40
; %bb.1:
	s_load_dwordx4 s[4:7], s[0:1], 0x0
	s_load_dwordx2 s[20:21], s[0:1], 0x10
	s_waitcnt lgkmcnt(0)
	s_cmp_eq_u64 s[6:7], 0
	s_cbranch_scc1 .LBB253_3
; %bb.2:
	v_ashrrev_i32_e32 v9, 31, v8
	v_lshl_add_u64 v[0:1], s[6:7], 0, v[8:9]
	global_load_ubyte v0, v[0:1], off
	s_waitcnt vmcnt(0)
	v_and_b32_e32 v0, 1, v0
	v_cmp_eq_u32_e32 vcc, 1, v0
	s_xor_b64 s[2:3], vcc, -1
	s_orn2_b64 s[22:23], s[2:3], exec
	s_branch .LBB253_4
.LBB253_3:
	s_mov_b64 s[22:23], -1
.LBB253_4:
	v_lshlrev_b32_e32 v2, 3, v8
	v_mov_b32_e32 v0, s4
	v_mov_b32_e32 v1, s5
	v_ashrrev_i32_e32 v3, 31, v2
	v_lshl_add_u64 v[0:1], v[2:3], 1, v[0:1]
	global_load_dwordx4 v[4:7], v[0:1], off
	s_mov_b32 s15, 0x800000
	v_mov_b32_e32 v2, 0x4f800000
	s_mov_b32 s13, 0x3f317217
	s_mov_b32 s14, 0x7f800000
	v_mov_b32_e32 v3, 0x41b17218
	s_movk_i32 s12, 0x4d00
	s_mov_b32 s16, 0xf800000
	s_load_dwordx4 s[8:11], s[0:1], 0x40
	s_waitcnt lgkmcnt(0)
	s_cmp_lg_u64 s[10:11], 0
	s_cselect_b64 s[6:7], -1, 0
	s_and_b64 s[2:3], exec, s[6:7]
	s_waitcnt vmcnt(0)
	v_cvt_f32_f16_e32 v0, v4
	v_mul_f32_e32 v1, 0x3fb8aa3b, v0
	v_exp_f32_e32 v1, v1
	s_nop 0
	v_add_f32_e32 v1, 1.0, v1
	v_cmp_gt_f32_e32 vcc, s15, v1
	s_nop 1
	v_cndmask_b32_e32 v9, 1.0, v2, vcc
	v_mul_f32_e32 v1, v1, v9
	v_log_f32_e32 v9, v1
	v_cndmask_b32_e32 v10, 0, v3, vcc
	v_mov_b32_e32 v1, 0x260
	v_mul_f32_e32 v11, 0x3f317217, v9
	v_fma_f32 v11, v9, s13, -v11
	v_fmac_f32_e32 v11, 0x3377d1cf, v9
	v_fmac_f32_e32 v11, 0x3f317217, v9
	v_cmp_lt_f32_e64 vcc, |v9|, s14
	s_nop 1
	v_cndmask_b32_e32 v9, v9, v11, vcc
	v_sub_f32_e32 v9, v9, v10
	v_cmp_lt_f16_e32 vcc, s12, v4
	s_nop 1
	v_cndmask_b32_e32 v0, v9, v0, vcc
	v_mul_f32_e32 v9, 0x4f800000, v0
	v_cmp_gt_f32_e32 vcc, s16, v0
	s_nop 1
	v_cndmask_b32_e32 v0, v0, v9, vcc
	v_sqrt_f32_e32 v9, v0
	s_nop 0
	v_add_u32_e32 v10, -1, v9
	v_add_u32_e32 v11, 1, v9
	v_fma_f32 v12, -v10, v9, v0
	v_fma_f32 v13, -v11, v9, v0
	v_cmp_ge_f32_e64 s[4:5], 0, v12
	s_nop 1
	v_cndmask_b32_e64 v9, v9, v10, s[4:5]
	v_cmp_lt_f32_e64 s[4:5], 0, v13
	s_nop 1
	v_cndmask_b32_e64 v9, v9, v11, s[4:5]
	v_mul_f32_e32 v10, 0x37800000, v9
	v_cndmask_b32_e32 v9, v9, v10, vcc
	v_cmp_class_f32_e32 vcc, v0, v1
	s_nop 1
	v_cndmask_b32_e32 v0, v9, v0, vcc
	s_mov_b64 vcc, s[2:3]
	s_cbranch_vccz .LBB253_6
; %bb.5:
	s_load_dword s2, s[10:11], 0x0
	s_waitcnt lgkmcnt(0)
	v_add_f32_e32 v0, s2, v0
.LBB253_6:
	v_cvt_f32_f16_sdwa v9, v4 dst_sel:DWORD dst_unused:UNUSED_PAD src0_sel:WORD_1
	v_mul_f32_e32 v10, 0x3fb8aa3b, v9
	v_exp_f32_e32 v10, v10
	s_nop 0
	v_add_f32_e32 v10, 1.0, v10
	v_cmp_gt_f32_e32 vcc, s15, v10
	s_nop 1
	v_cndmask_b32_e32 v2, 1.0, v2, vcc
	v_mul_f32_e32 v2, v10, v2
	v_log_f32_e32 v2, v2
	v_cndmask_b32_e32 v3, 0, v3, vcc
	v_mul_f32_e32 v10, 0x3f317217, v2
	v_fma_f32 v10, v2, s13, -v10
	v_fmac_f32_e32 v10, 0x3377d1cf, v2
	v_fmac_f32_e32 v10, 0x3f317217, v2
	v_cmp_lt_f32_e64 vcc, |v2|, s14
	s_nop 1
	v_cndmask_b32_e32 v2, v2, v10, vcc
	v_sub_f32_e32 v2, v2, v3
	v_cmp_gt_f16_sdwa vcc, v4, s12 src0_sel:WORD_1 src1_sel:DWORD
	v_cndmask_b32_e64 v4, 0, 1, s[6:7]
	v_cmp_ne_u32_e64 s[2:3], 1, v4
	v_cndmask_b32_e32 v2, v2, v9, vcc
	v_mul_f32_e32 v3, 0x4f800000, v2
	v_cmp_gt_f32_e64 s[4:5], s16, v2
	s_andn2_b64 vcc, exec, s[6:7]
	s_nop 0
	v_cndmask_b32_e64 v2, v2, v3, s[4:5]
	v_sqrt_f32_e32 v3, v2
	s_nop 0
	v_add_u32_e32 v4, -1, v3
	v_add_u32_e32 v9, 1, v3
	v_fma_f32 v10, -v4, v3, v2
	v_fma_f32 v11, -v9, v3, v2
	v_cmp_ge_f32_e64 s[6:7], 0, v10
	s_nop 1
	v_cndmask_b32_e64 v3, v3, v4, s[6:7]
	v_cmp_lt_f32_e64 s[6:7], 0, v11
	s_nop 1
	v_cndmask_b32_e64 v3, v3, v9, s[6:7]
	v_mul_f32_e32 v4, 0x37800000, v3
	v_cndmask_b32_e64 v3, v3, v4, s[4:5]
	v_cmp_class_f32_e64 s[4:5], v2, v1
	s_nop 1
	v_cndmask_b32_e64 v1, v3, v2, s[4:5]
	s_cbranch_vccnz .LBB253_8
; %bb.7:
	s_load_dword s4, s[10:11], 0x4
	s_waitcnt lgkmcnt(0)
	v_add_f32_e32 v1, s4, v1
.LBB253_8:
	v_cvt_f32_f16_e32 v2, v5
	s_mov_b32 s12, 0x800000
	v_mov_b32_e32 v4, 0x4f800000
	s_mov_b32 s7, 0x3f317217
	v_mul_f32_e32 v3, 0x3fb8aa3b, v2
	v_exp_f32_e32 v3, v3
	s_mov_b32 s13, 0x7f800000
	s_movk_i32 s6, 0x4d00
	s_mov_b32 s14, 0xf800000
	v_add_f32_e32 v3, 1.0, v3
	v_cmp_gt_f32_e32 vcc, s12, v3
	s_nop 1
	v_cndmask_b32_e32 v9, 1.0, v4, vcc
	v_mul_f32_e32 v3, v3, v9
	v_log_f32_e32 v3, v3
	v_mov_b32_e32 v9, 0x41b17218
	v_cndmask_b32_e32 v10, 0, v9, vcc
	v_mul_f32_e32 v11, 0x3f317217, v3
	v_fma_f32 v11, v3, s7, -v11
	v_fmac_f32_e32 v11, 0x3377d1cf, v3
	v_fmac_f32_e32 v11, 0x3f317217, v3
	v_cmp_lt_f32_e64 vcc, |v3|, s13
	s_nop 1
	v_cndmask_b32_e32 v3, v3, v11, vcc
	v_sub_f32_e32 v3, v3, v10
	v_cmp_lt_f16_e32 vcc, s6, v5
	s_nop 1
	v_cndmask_b32_e32 v2, v3, v2, vcc
	v_mul_f32_e32 v3, 0x4f800000, v2
	v_cmp_gt_f32_e32 vcc, s14, v2
	s_nop 1
	v_cndmask_b32_e32 v2, v2, v3, vcc
	v_sqrt_f32_e32 v3, v2
	s_nop 0
	v_add_u32_e32 v10, -1, v3
	v_fma_f32 v11, -v10, v3, v2
	v_cmp_ge_f32_e64 s[4:5], 0, v11
	v_add_u32_e32 v11, 1, v3
	s_nop 0
	v_cndmask_b32_e64 v10, v3, v10, s[4:5]
	v_fma_f32 v3, -v11, v3, v2
	v_cmp_lt_f32_e64 s[4:5], 0, v3
	s_nop 1
	v_cndmask_b32_e64 v3, v10, v11, s[4:5]
	v_mul_f32_e32 v10, 0x37800000, v3
	v_cndmask_b32_e32 v10, v3, v10, vcc
	v_mov_b32_e32 v3, 0x260
	v_cmp_class_f32_e64 s[4:5], v2, v3
	s_and_b64 vcc, exec, s[2:3]
	s_nop 0
	v_cndmask_b32_e64 v2, v10, v2, s[4:5]
	s_cbranch_vccnz .LBB253_10
; %bb.9:
	s_load_dword s4, s[10:11], 0x8
	s_waitcnt lgkmcnt(0)
	v_add_f32_e32 v2, s4, v2
.LBB253_10:
	v_cvt_f32_f16_sdwa v10, v5 dst_sel:DWORD dst_unused:UNUSED_PAD src0_sel:WORD_1
	v_mul_f32_e32 v11, 0x3fb8aa3b, v10
	v_exp_f32_e32 v11, v11
	s_nop 0
	v_add_f32_e32 v11, 1.0, v11
	v_cmp_gt_f32_e32 vcc, s12, v11
	s_nop 1
	v_cndmask_b32_e32 v4, 1.0, v4, vcc
	v_mul_f32_e32 v4, v11, v4
	v_log_f32_e32 v4, v4
	v_cndmask_b32_e32 v9, 0, v9, vcc
	v_mul_f32_e32 v11, 0x3f317217, v4
	v_fma_f32 v11, v4, s7, -v11
	v_fmac_f32_e32 v11, 0x3377d1cf, v4
	v_fmac_f32_e32 v11, 0x3f317217, v4
	v_cmp_lt_f32_e64 vcc, |v4|, s13
	s_nop 1
	v_cndmask_b32_e32 v4, v4, v11, vcc
	v_sub_f32_e32 v4, v4, v9
	v_cmp_gt_f16_sdwa vcc, v5, s6 src0_sel:WORD_1 src1_sel:DWORD
	s_nop 1
	v_cndmask_b32_e32 v4, v4, v10, vcc
	v_mul_f32_e32 v5, 0x4f800000, v4
	v_cmp_gt_f32_e64 s[4:5], s14, v4
	s_and_b64 vcc, exec, s[2:3]
	s_nop 0
	v_cndmask_b32_e64 v4, v4, v5, s[4:5]
	v_sqrt_f32_e32 v5, v4
	s_nop 0
	v_add_u32_e32 v9, -1, v5
	v_add_u32_e32 v10, 1, v5
	v_fma_f32 v11, -v9, v5, v4
	v_fma_f32 v12, -v10, v5, v4
	v_cmp_ge_f32_e64 s[6:7], 0, v11
	s_nop 1
	v_cndmask_b32_e64 v5, v5, v9, s[6:7]
	v_cmp_lt_f32_e64 s[6:7], 0, v12
	s_nop 1
	v_cndmask_b32_e64 v5, v5, v10, s[6:7]
	v_mul_f32_e32 v9, 0x37800000, v5
	v_cndmask_b32_e64 v5, v5, v9, s[4:5]
	v_cmp_class_f32_e64 s[4:5], v4, v3
	s_nop 1
	v_cndmask_b32_e64 v3, v5, v4, s[4:5]
	s_cbranch_vccnz .LBB253_12
; %bb.11:
	s_load_dword s4, s[10:11], 0xc
	s_waitcnt lgkmcnt(0)
	v_add_f32_e32 v3, s4, v3
.LBB253_12:
	v_cvt_f32_f16_e32 v4, v6
	v_mov_b32_e32 v9, 0x4f800000
	s_mov_b32 s7, 0x3f317217
	s_movk_i32 s6, 0x4d00
	v_mul_f32_e32 v5, 0x3fb8aa3b, v4
	v_exp_f32_e32 v5, v5
	s_nop 0
	v_add_f32_e32 v5, 1.0, v5
	v_cmp_gt_f32_e32 vcc, s12, v5
	s_nop 1
	v_cndmask_b32_e32 v10, 1.0, v9, vcc
	v_mul_f32_e32 v5, v5, v10
	v_log_f32_e32 v5, v5
	v_mov_b32_e32 v10, 0x41b17218
	v_cndmask_b32_e32 v11, 0, v10, vcc
	v_mul_f32_e32 v12, 0x3f317217, v5
	v_fma_f32 v12, v5, s7, -v12
	v_fmac_f32_e32 v12, 0x3377d1cf, v5
	v_fmac_f32_e32 v12, 0x3f317217, v5
	v_cmp_lt_f32_e64 vcc, |v5|, s13
	s_nop 1
	v_cndmask_b32_e32 v5, v5, v12, vcc
	v_sub_f32_e32 v5, v5, v11
	v_cmp_lt_f16_e32 vcc, s6, v6
	s_nop 1
	v_cndmask_b32_e32 v4, v5, v4, vcc
	v_mul_f32_e32 v5, 0x4f800000, v4
	v_cmp_gt_f32_e32 vcc, s14, v4
	s_nop 1
	v_cndmask_b32_e32 v4, v4, v5, vcc
	v_sqrt_f32_e32 v5, v4
	s_nop 0
	v_add_u32_e32 v11, -1, v5
	v_fma_f32 v12, -v11, v5, v4
	v_cmp_ge_f32_e64 s[4:5], 0, v12
	v_add_u32_e32 v12, 1, v5
	s_nop 0
	v_cndmask_b32_e64 v11, v5, v11, s[4:5]
	v_fma_f32 v5, -v12, v5, v4
	v_cmp_lt_f32_e64 s[4:5], 0, v5
	s_nop 1
	v_cndmask_b32_e64 v5, v11, v12, s[4:5]
	v_mul_f32_e32 v11, 0x37800000, v5
	v_cndmask_b32_e32 v11, v5, v11, vcc
	v_mov_b32_e32 v5, 0x260
	v_cmp_class_f32_e64 s[4:5], v4, v5
	s_and_b64 vcc, exec, s[2:3]
	s_nop 0
	v_cndmask_b32_e64 v4, v11, v4, s[4:5]
	s_cbranch_vccnz .LBB253_14
; %bb.13:
	s_load_dword s4, s[10:11], 0x10
	s_waitcnt lgkmcnt(0)
	v_add_f32_e32 v4, s4, v4
.LBB253_14:
	v_cvt_f32_f16_sdwa v11, v6 dst_sel:DWORD dst_unused:UNUSED_PAD src0_sel:WORD_1
	v_mul_f32_e32 v12, 0x3fb8aa3b, v11
	v_exp_f32_e32 v12, v12
	s_nop 0
	v_add_f32_e32 v12, 1.0, v12
	v_cmp_gt_f32_e32 vcc, s12, v12
	s_nop 1
	v_cndmask_b32_e32 v9, 1.0, v9, vcc
	v_mul_f32_e32 v9, v12, v9
	v_log_f32_e32 v9, v9
	v_cndmask_b32_e32 v10, 0, v10, vcc
	v_mul_f32_e32 v12, 0x3f317217, v9
	v_fma_f32 v12, v9, s7, -v12
	v_fmac_f32_e32 v12, 0x3377d1cf, v9
	v_fmac_f32_e32 v12, 0x3f317217, v9
	v_cmp_lt_f32_e64 vcc, |v9|, s13
	s_nop 1
	v_cndmask_b32_e32 v9, v9, v12, vcc
	v_sub_f32_e32 v9, v9, v10
	v_cmp_gt_f16_sdwa vcc, v6, s6 src0_sel:WORD_1 src1_sel:DWORD
	s_nop 1
	v_cndmask_b32_e32 v6, v9, v11, vcc
	v_mul_f32_e32 v9, 0x4f800000, v6
	v_cmp_gt_f32_e64 s[4:5], s14, v6
	s_and_b64 vcc, exec, s[2:3]
	s_nop 0
	v_cndmask_b32_e64 v6, v6, v9, s[4:5]
	v_sqrt_f32_e32 v9, v6
	s_nop 0
	v_add_u32_e32 v10, -1, v9
	v_add_u32_e32 v11, 1, v9
	v_fma_f32 v12, -v10, v9, v6
	v_fma_f32 v13, -v11, v9, v6
	v_cmp_ge_f32_e64 s[6:7], 0, v12
	s_nop 1
	v_cndmask_b32_e64 v9, v9, v10, s[6:7]
	v_cmp_lt_f32_e64 s[6:7], 0, v13
	s_nop 1
	v_cndmask_b32_e64 v9, v9, v11, s[6:7]
	v_mul_f32_e32 v10, 0x37800000, v9
	v_cndmask_b32_e64 v9, v9, v10, s[4:5]
	v_cmp_class_f32_e64 s[4:5], v6, v5
	s_nop 1
	v_cndmask_b32_e64 v5, v9, v6, s[4:5]
	s_cbranch_vccnz .LBB253_16
; %bb.15:
	s_load_dword s4, s[10:11], 0x14
	s_waitcnt lgkmcnt(0)
	v_add_f32_e32 v5, s4, v5
.LBB253_16:
	v_cvt_f32_f16_e32 v6, v7
	v_mov_b32_e32 v10, 0x4f800000
	s_mov_b32 s7, 0x3f317217
	s_movk_i32 s6, 0x4d00
	v_mul_f32_e32 v9, 0x3fb8aa3b, v6
	v_exp_f32_e32 v9, v9
	s_nop 0
	v_add_f32_e32 v9, 1.0, v9
	v_cmp_gt_f32_e32 vcc, s12, v9
	s_nop 1
	v_cndmask_b32_e32 v11, 1.0, v10, vcc
	v_mul_f32_e32 v9, v9, v11
	v_log_f32_e32 v9, v9
	v_mov_b32_e32 v11, 0x41b17218
	v_cndmask_b32_e32 v12, 0, v11, vcc
	v_mul_f32_e32 v13, 0x3f317217, v9
	v_fma_f32 v13, v9, s7, -v13
	v_fmac_f32_e32 v13, 0x3377d1cf, v9
	v_fmac_f32_e32 v13, 0x3f317217, v9
	v_cmp_lt_f32_e64 vcc, |v9|, s13
	s_nop 1
	v_cndmask_b32_e32 v9, v9, v13, vcc
	v_sub_f32_e32 v9, v9, v12
	v_cmp_lt_f16_e32 vcc, s6, v7
	s_nop 1
	v_cndmask_b32_e32 v6, v9, v6, vcc
	v_mul_f32_e32 v9, 0x4f800000, v6
	v_cmp_gt_f32_e32 vcc, s14, v6
	s_nop 1
	v_cndmask_b32_e32 v6, v6, v9, vcc
	v_sqrt_f32_e32 v9, v6
	s_nop 0
	v_add_u32_e32 v12, -1, v9
	v_fma_f32 v13, -v12, v9, v6
	v_cmp_ge_f32_e64 s[4:5], 0, v13
	v_add_u32_e32 v13, 1, v9
	s_nop 0
	v_cndmask_b32_e64 v12, v9, v12, s[4:5]
	v_fma_f32 v9, -v13, v9, v6
	v_cmp_lt_f32_e64 s[4:5], 0, v9
	s_nop 1
	v_cndmask_b32_e64 v9, v12, v13, s[4:5]
	v_mul_f32_e32 v12, 0x37800000, v9
	v_cndmask_b32_e32 v12, v9, v12, vcc
	v_mov_b32_e32 v9, 0x260
	v_cmp_class_f32_e64 s[4:5], v6, v9
	s_and_b64 vcc, exec, s[2:3]
	s_nop 0
	v_cndmask_b32_e64 v6, v12, v6, s[4:5]
	s_cbranch_vccnz .LBB253_18
; %bb.17:
	s_load_dword s4, s[10:11], 0x18
	s_waitcnt lgkmcnt(0)
	v_add_f32_e32 v6, s4, v6
.LBB253_18:
	v_cvt_f32_f16_sdwa v12, v7 dst_sel:DWORD dst_unused:UNUSED_PAD src0_sel:WORD_1
	v_mul_f32_e32 v13, 0x3fb8aa3b, v12
	v_exp_f32_e32 v13, v13
	s_nop 0
	v_add_f32_e32 v13, 1.0, v13
	v_cmp_gt_f32_e32 vcc, s12, v13
	s_nop 1
	v_cndmask_b32_e32 v10, 1.0, v10, vcc
	v_mul_f32_e32 v10, v13, v10
	v_log_f32_e32 v10, v10
	v_cndmask_b32_e32 v11, 0, v11, vcc
	v_mul_f32_e32 v13, 0x3f317217, v10
	v_fma_f32 v13, v10, s7, -v13
	v_fmac_f32_e32 v13, 0x3377d1cf, v10
	v_fmac_f32_e32 v13, 0x3f317217, v10
	v_cmp_lt_f32_e64 vcc, |v10|, s13
	s_nop 1
	v_cndmask_b32_e32 v10, v10, v13, vcc
	v_sub_f32_e32 v10, v10, v11
	v_cmp_gt_f16_sdwa vcc, v7, s6 src0_sel:WORD_1 src1_sel:DWORD
	s_nop 1
	v_cndmask_b32_e32 v7, v10, v12, vcc
	v_mul_f32_e32 v10, 0x4f800000, v7
	v_cmp_gt_f32_e64 s[4:5], s14, v7
	s_and_b64 vcc, exec, s[2:3]
	s_nop 0
	v_cndmask_b32_e64 v7, v7, v10, s[4:5]
	v_sqrt_f32_e32 v10, v7
	s_nop 0
	v_add_u32_e32 v11, -1, v10
	v_add_u32_e32 v12, 1, v10
	v_fma_f32 v13, -v11, v10, v7
	v_fma_f32 v14, -v12, v10, v7
	v_cmp_ge_f32_e64 s[6:7], 0, v13
	s_nop 1
	v_cndmask_b32_e64 v10, v10, v11, s[6:7]
	v_cmp_lt_f32_e64 s[6:7], 0, v14
	s_nop 1
	v_cndmask_b32_e64 v10, v10, v12, s[6:7]
	v_mul_f32_e32 v11, 0x37800000, v10
	v_cndmask_b32_e64 v10, v10, v11, s[4:5]
	v_cmp_class_f32_e64 s[4:5], v7, v9
	s_nop 1
	v_cndmask_b32_e64 v7, v10, v7, s[4:5]
	s_cbranch_vccnz .LBB253_20
; %bb.19:
	s_load_dword s4, s[10:11], 0x1c
	s_waitcnt lgkmcnt(0)
	v_add_f32_e32 v7, s4, v7
.LBB253_20:
	s_load_dwordx4 s[12:15], s[0:1], 0x30
	s_mov_b32 s25, 0
	s_waitcnt lgkmcnt(0)
	s_bitcmp1_b32 s15, 0
	s_cselect_b64 s[4:5], -1, 0
	s_cmp_gt_i32 s12, 0
	s_cselect_b64 s[6:7], -1, 0
	s_and_b64 vcc, exec, s[6:7]
	v_mul_lo_u32 v10, v8, s12
	s_cbranch_vccz .LBB253_27
; %bb.21:
	s_load_dwordx4 s[16:19], s[0:1], 0x20
	v_mov_b32_e32 v13, 0
	v_mov_b32_e32 v11, 0xc61c4000
	;; [unrolled: 1-line block ×3, first 2 shown]
	s_branch .LBB253_23
.LBB253_22:                             ;   in Loop: Header=BB253_23 Depth=1
	v_add_f32_e32 v12, v9, v14
	v_cndmask_b32_e64 v9, v9, v12, s[4:5]
	s_cmp_lg_u32 s12, s25
	v_add_u32_e32 v8, s24, v8
	s_cbranch_scc0 .LBB253_28
.LBB253_23:                             ; =>This Inner Loop Header: Depth=1
	v_cmp_gt_f32_e32 vcc, v1, v0
	s_nop 1
	v_cndmask_b32_e32 v14, v0, v1, vcc
	v_cndmask_b32_e64 v12, 0, 1, vcc
	v_cmp_gt_f32_e32 vcc, v2, v14
	s_nop 1
	v_cndmask_b32_e32 v14, v14, v2, vcc
	v_cndmask_b32_e64 v12, v12, 2, vcc
	;; [unrolled: 4-line block ×6, first 2 shown]
	v_cmp_gt_f32_e64 s[0:1], v7, v14
	s_and_b64 vcc, exec, s[2:3]
	s_nop 0
	v_cndmask_b32_e64 v12, v12, 7, s[0:1]
	v_cndmask_b32_e64 v14, v14, v7, s[0:1]
	s_cbranch_vccnz .LBB253_25
; %bb.24:                               ;   in Loop: Header=BB253_23 Depth=1
	v_lshl_add_u64 v[16:17], v[12:13], 2, s[10:11]
	global_load_dword v15, v[16:17], off
	s_waitcnt vmcnt(0)
	v_sub_f32_e32 v14, v14, v15
.LBB253_25:                             ;   in Loop: Header=BB253_23 Depth=1
	v_add_u32_e32 v16, s25, v10
	v_cmp_le_i32_e32 vcc, s13, v12
	v_cmp_gt_i32_e64 s[0:1], s14, v12
	v_ashrrev_i32_e32 v17, 31, v16
	s_and_b64 s[0:1], vcc, s[0:1]
	v_lshlrev_b64 v[16:17], 2, v[16:17]
	v_lshl_add_u64 v[18:19], s[20:21], 0, v[16:17]
	v_subrev_u32_e32 v15, s13, v12
	s_and_b64 vcc, s[22:23], s[0:1]
	s_add_i32 s25, s25, 1
	global_store_dword v[18:19], v14, off
	v_cndmask_b32_e32 v15, 8, v15, vcc
	s_waitcnt lgkmcnt(0)
	v_lshl_add_u64 v[18:19], s[16:17], 0, v[16:17]
	v_lshl_add_u64 v[16:17], s[18:19], 0, v[16:17]
	s_cmp_ge_i32 s25, s12
	global_store_dword v[18:19], v15, off
	global_store_dword v[16:17], v8, off
	s_cbranch_scc1 .LBB253_22
; %bb.26:                               ;   in Loop: Header=BB253_23 Depth=1
	v_cmp_ne_u32_e32 vcc, 7, v12
	s_nop 1
	v_cndmask_b32_e32 v7, v11, v7, vcc
	v_cmp_ne_u32_e32 vcc, 6, v12
	s_nop 1
	v_cndmask_b32_e32 v6, v11, v6, vcc
	;; [unrolled: 3-line block ×8, first 2 shown]
	s_branch .LBB253_22
.LBB253_27:
	v_mov_b32_e32 v9, 0
.LBB253_28:
	s_andn2_b64 vcc, exec, s[4:5]
	v_cvt_f32_f64_e32 v0, s[8:9]
	s_cbranch_vccnz .LBB253_30
; %bb.29:
	v_cmp_lt_f32_e32 vcc, 0, v9
	s_nop 1
	v_cndmask_b32_e32 v1, 1.0, v9, vcc
	v_div_scale_f32 v2, s[0:1], v1, v1, v0
	v_rcp_f32_e32 v3, v2
	s_nop 0
	v_fma_f32 v4, -v2, v3, 1.0
	v_fmac_f32_e32 v3, v4, v3
	v_div_scale_f32 v4, vcc, v0, v1, v0
	v_mul_f32_e32 v5, v4, v3
	v_fma_f32 v6, -v2, v5, v4
	v_fmac_f32_e32 v5, v6, v3
	v_fma_f32 v2, -v2, v5, v4
	v_div_fmas_f32 v2, v2, v3, v5
	v_div_fixup_f32 v0, v2, v1, v0
.LBB253_30:
	s_andn2_b64 vcc, exec, s[6:7]
	s_cbranch_vccnz .LBB253_40
; %bb.31:
	s_cmp_gt_u32 s12, 3
	v_ashrrev_i32_e32 v11, 31, v10
	s_cbranch_scc0 .LBB253_35
; %bb.32:
	s_and_b32 s0, s12, 0x7ffffffc
	v_lshl_add_u64 v[2:3], v[10:11], 2, s[20:21]
	v_mov_b32_e32 v1, v0
	v_lshl_add_u64 v[2:3], v[2:3], 0, 8
	s_mov_b32 s1, s0
.LBB253_33:                             ; =>This Inner Loop Header: Depth=1
	global_load_dwordx4 v[4:7], v[2:3], off offset:-8
	s_add_i32 s1, s1, -4
	s_cmp_lg_u32 s1, 0
	s_waitcnt vmcnt(0)
	v_pk_mul_f32 v[4:5], v[0:1], v[4:5]
	v_pk_mul_f32 v[6:7], v[0:1], v[6:7]
	global_store_dwordx4 v[2:3], v[4:7], off offset:-8
	v_lshl_add_u64 v[2:3], v[2:3], 0, 16
	s_cbranch_scc1 .LBB253_33
; %bb.34:
	s_cmp_lg_u32 s0, s12
	s_cselect_b64 s[2:3], -1, 0
	s_branch .LBB253_37
.LBB253_35:
	s_mov_b64 s[2:3], 0
                                        ; implicit-def: $sgpr0
	s_cbranch_execz .LBB253_37
; %bb.36:
	s_mov_b64 s[2:3], -1
	s_mov_b32 s0, 0
.LBB253_37:
	s_andn2_b64 vcc, exec, s[2:3]
	s_cbranch_vccnz .LBB253_40
; %bb.38:
	s_mov_b32 s1, 0
	v_lshl_add_u64 v[2:3], v[10:11], 0, s[0:1]
	s_sub_i32 s2, s12, s0
	v_lshl_add_u64 v[2:3], v[2:3], 2, s[20:21]
.LBB253_39:                             ; =>This Inner Loop Header: Depth=1
	global_load_dword v1, v[2:3], off
	s_add_i32 s2, s2, -1
	s_cmp_lg_u32 s2, 0
	s_waitcnt vmcnt(0)
	v_mul_f32_e32 v1, v0, v1
	global_store_dword v[2:3], v1, off
	v_lshl_add_u64 v[2:3], v[2:3], 0, 4
	s_cbranch_scc1 .LBB253_39
.LBB253_40:
	s_endpgm
	.section	.rodata,"a",@progbits
	.p2align	6, 0x0
	.amdhsa_kernel _ZN4vllm3moe22topkGatingSoftplusSqrtILi8ELi8ELi4ELi16ELi64ELb0Ej6__halfEEvPKT6_PKbPfiPT5_PiiiibdPKfPKS9_SF_
		.amdhsa_group_segment_fixed_size 0
		.amdhsa_private_segment_fixed_size 0
		.amdhsa_kernarg_size 96
		.amdhsa_user_sgpr_count 2
		.amdhsa_user_sgpr_dispatch_ptr 0
		.amdhsa_user_sgpr_queue_ptr 0
		.amdhsa_user_sgpr_kernarg_segment_ptr 1
		.amdhsa_user_sgpr_dispatch_id 0
		.amdhsa_user_sgpr_kernarg_preload_length 0
		.amdhsa_user_sgpr_kernarg_preload_offset 0
		.amdhsa_user_sgpr_private_segment_size 0
		.amdhsa_uses_dynamic_stack 0
		.amdhsa_enable_private_segment 0
		.amdhsa_system_sgpr_workgroup_id_x 1
		.amdhsa_system_sgpr_workgroup_id_y 0
		.amdhsa_system_sgpr_workgroup_id_z 0
		.amdhsa_system_sgpr_workgroup_info 0
		.amdhsa_system_vgpr_workitem_id 1
		.amdhsa_next_free_vgpr 20
		.amdhsa_next_free_sgpr 26
		.amdhsa_accum_offset 20
		.amdhsa_reserve_vcc 1
		.amdhsa_float_round_mode_32 0
		.amdhsa_float_round_mode_16_64 0
		.amdhsa_float_denorm_mode_32 3
		.amdhsa_float_denorm_mode_16_64 3
		.amdhsa_dx10_clamp 1
		.amdhsa_ieee_mode 1
		.amdhsa_fp16_overflow 0
		.amdhsa_tg_split 0
		.amdhsa_exception_fp_ieee_invalid_op 0
		.amdhsa_exception_fp_denorm_src 0
		.amdhsa_exception_fp_ieee_div_zero 0
		.amdhsa_exception_fp_ieee_overflow 0
		.amdhsa_exception_fp_ieee_underflow 0
		.amdhsa_exception_fp_ieee_inexact 0
		.amdhsa_exception_int_div_zero 0
	.end_amdhsa_kernel
	.section	.text._ZN4vllm3moe22topkGatingSoftplusSqrtILi8ELi8ELi4ELi16ELi64ELb0Ej6__halfEEvPKT6_PKbPfiPT5_PiiiibdPKfPKS9_SF_,"axG",@progbits,_ZN4vllm3moe22topkGatingSoftplusSqrtILi8ELi8ELi4ELi16ELi64ELb0Ej6__halfEEvPKT6_PKbPfiPT5_PiiiibdPKfPKS9_SF_,comdat
.Lfunc_end253:
	.size	_ZN4vllm3moe22topkGatingSoftplusSqrtILi8ELi8ELi4ELi16ELi64ELb0Ej6__halfEEvPKT6_PKbPfiPT5_PiiiibdPKfPKS9_SF_, .Lfunc_end253-_ZN4vllm3moe22topkGatingSoftplusSqrtILi8ELi8ELi4ELi16ELi64ELb0Ej6__halfEEvPKT6_PKbPfiPT5_PiiiibdPKfPKS9_SF_
                                        ; -- End function
	.section	.AMDGPU.csdata,"",@progbits
; Kernel info:
; codeLenInByte = 3352
; NumSgprs: 32
; NumVgprs: 20
; NumAgprs: 0
; TotalNumVgprs: 20
; ScratchSize: 0
; MemoryBound: 0
; FloatMode: 240
; IeeeMode: 1
; LDSByteSize: 0 bytes/workgroup (compile time only)
; SGPRBlocks: 3
; VGPRBlocks: 2
; NumSGPRsForWavesPerEU: 32
; NumVGPRsForWavesPerEU: 20
; AccumOffset: 20
; Occupancy: 8
; WaveLimiterHint : 0
; COMPUTE_PGM_RSRC2:SCRATCH_EN: 0
; COMPUTE_PGM_RSRC2:USER_SGPR: 2
; COMPUTE_PGM_RSRC2:TRAP_HANDLER: 0
; COMPUTE_PGM_RSRC2:TGID_X_EN: 1
; COMPUTE_PGM_RSRC2:TGID_Y_EN: 0
; COMPUTE_PGM_RSRC2:TGID_Z_EN: 0
; COMPUTE_PGM_RSRC2:TIDIG_COMP_CNT: 1
; COMPUTE_PGM_RSRC3_GFX90A:ACCUM_OFFSET: 4
; COMPUTE_PGM_RSRC3_GFX90A:TG_SPLIT: 0
	.section	.text._ZN4vllm3moe22topkGatingSoftplusSqrtILi8ELi8ELi4ELi16ELi32ELb1Ej6__halfEEvPKT6_PKbPfiPT5_PiiiibdPKfPKS9_SF_,"axG",@progbits,_ZN4vllm3moe22topkGatingSoftplusSqrtILi8ELi8ELi4ELi16ELi32ELb1Ej6__halfEEvPKT6_PKbPfiPT5_PiiiibdPKfPKS9_SF_,comdat
	.protected	_ZN4vllm3moe22topkGatingSoftplusSqrtILi8ELi8ELi4ELi16ELi32ELb1Ej6__halfEEvPKT6_PKbPfiPT5_PiiiibdPKfPKS9_SF_ ; -- Begin function _ZN4vllm3moe22topkGatingSoftplusSqrtILi8ELi8ELi4ELi16ELi32ELb1Ej6__halfEEvPKT6_PKbPfiPT5_PiiiibdPKfPKS9_SF_
	.globl	_ZN4vllm3moe22topkGatingSoftplusSqrtILi8ELi8ELi4ELi16ELi32ELb1Ej6__halfEEvPKT6_PKbPfiPT5_PiiiibdPKfPKS9_SF_
	.p2align	8
	.type	_ZN4vllm3moe22topkGatingSoftplusSqrtILi8ELi8ELi4ELi16ELi32ELb1Ej6__halfEEvPKT6_PKbPfiPT5_PiiiibdPKfPKS9_SF_,@function
_ZN4vllm3moe22topkGatingSoftplusSqrtILi8ELi8ELi4ELi16ELi32ELb1Ej6__halfEEvPKT6_PKbPfiPT5_PiiiibdPKfPKS9_SF_: ; @_ZN4vllm3moe22topkGatingSoftplusSqrtILi8ELi8ELi4ELi16ELi32ELb1Ej6__halfEEvPKT6_PKbPfiPT5_PiiiibdPKfPKS9_SF_
; %bb.0:
	s_load_dword s3, s[0:1], 0x18
	v_bfe_u32 v1, v0, 10, 10
	s_lshl_b32 s2, s2, 7
	v_lshlrev_b32_e32 v1, 5, v1
	v_and_b32_e32 v0, 0x3ff, v0
	v_add3_u32 v6, v1, v0, s2
	s_waitcnt lgkmcnt(0)
	v_cmp_gt_i32_e32 vcc, s3, v6
	s_and_saveexec_b64 s[2:3], vcc
	s_cbranch_execz .LBB254_57
; %bb.1:
	s_load_dwordx2 s[2:3], s[0:1], 0x0
	s_load_dword s16, s[0:1], 0x30
	v_lshlrev_b32_e32 v0, 3, v6
	v_ashrrev_i32_e32 v1, 31, v0
	s_load_dwordx4 s[8:11], s[0:1], 0x50
	s_waitcnt lgkmcnt(0)
	v_lshl_add_u64 v[0:1], v[0:1], 1, s[2:3]
	global_load_dwordx4 v[0:3], v[0:1], off
	v_ashrrev_i32_e32 v7, 31, v6
	s_mov_b32 s15, 0x800000
	v_mov_b32_e32 v4, s8
	v_mov_b32_e32 v5, s9
	v_lshl_add_u64 v[4:5], v[6:7], 2, v[4:5]
	v_mov_b32_e32 v7, 0x4f800000
	s_mov_b32 s13, 0x3f317217
	s_mov_b32 s14, 0x7f800000
	v_mov_b32_e32 v16, 0x41b17218
	s_movk_i32 s9, 0x4d00
	s_mov_b32 s12, 0xf800000
	v_mov_b32_e32 v17, 0x260
	global_load_dword v4, v[4:5], off
	v_mov_b32_e32 v5, 0
	s_cmp_gt_i32 s16, 0
	s_mov_b32 s8, 0
	s_waitcnt vmcnt(1)
	v_cvt_f32_f16_e32 v12, v0
	v_cvt_f32_f16_sdwa v13, v0 dst_sel:DWORD dst_unused:UNUSED_PAD src0_sel:WORD_1
	v_cvt_f32_f16_e32 v14, v1
	v_cvt_f32_f16_sdwa v15, v1 dst_sel:DWORD dst_unused:UNUSED_PAD src0_sel:WORD_1
	v_mul_f32_e32 v8, 0x3fb8aa3b, v12
	v_mul_f32_e32 v9, 0x3fb8aa3b, v13
	v_exp_f32_e32 v8, v8
	v_exp_f32_e32 v9, v9
	v_mul_f32_e32 v10, 0x3fb8aa3b, v14
	v_mul_f32_e32 v11, 0x3fb8aa3b, v15
	v_exp_f32_e32 v10, v10
	v_exp_f32_e32 v11, v11
	v_pk_add_f32 v[8:9], v[8:9], 1.0 op_sel_hi:[1,0]
	s_waitcnt vmcnt(0)
	v_mul_lo_u32 v4, v4, s16
	v_cmp_gt_f32_e32 vcc, s15, v9
	v_pk_add_f32 v[10:11], v[10:11], 1.0 op_sel_hi:[1,0]
	v_cmp_gt_f32_e64 s[2:3], s15, v8
	v_cndmask_b32_e32 v18, 1.0, v7, vcc
	v_cmp_gt_f32_e64 s[4:5], s15, v11
	v_cndmask_b32_e64 v19, 1.0, v7, s[2:3]
	v_mul_f32_e32 v9, v9, v18
	v_cndmask_b32_e64 v20, 1.0, v7, s[4:5]
	v_cmp_gt_f32_e64 s[6:7], s15, v10
	v_mul_f32_e32 v8, v8, v19
	v_log_f32_e32 v9, v9
	v_cndmask_b32_e64 v21, 1.0, v7, s[6:7]
	v_mul_f32_e32 v11, v11, v20
	v_log_f32_e32 v8, v8
	v_mul_f32_e32 v10, v10, v21
	v_log_f32_e32 v11, v11
	v_log_f32_e32 v10, v10
	v_mul_f32_e32 v22, 0x3f317217, v9
	v_mul_f32_e32 v23, 0x3f317217, v8
	v_fma_f32 v22, v9, s13, -v22
	v_mul_f32_e32 v24, 0x3f317217, v11
	v_fma_f32 v23, v8, s13, -v23
	v_fmac_f32_e32 v22, 0x3377d1cf, v9
	v_cndmask_b32_e32 v18, 0, v16, vcc
	v_mul_f32_e32 v25, 0x3f317217, v10
	v_fma_f32 v24, v11, s13, -v24
	v_fmac_f32_e32 v23, 0x3377d1cf, v8
	v_fmac_f32_e32 v22, 0x3f317217, v9
	v_cmp_lt_f32_e64 vcc, |v9|, s14
	v_fma_f32 v25, v10, s13, -v25
	v_fmac_f32_e32 v24, 0x3377d1cf, v11
	v_fmac_f32_e32 v23, 0x3f317217, v8
	v_cndmask_b32_e32 v9, v9, v22, vcc
	v_cmp_lt_f32_e64 vcc, |v8|, s14
	v_fmac_f32_e32 v25, 0x3377d1cf, v10
	v_fmac_f32_e32 v24, 0x3f317217, v11
	v_cndmask_b32_e32 v8, v8, v23, vcc
	v_cmp_lt_f32_e64 vcc, |v11|, s14
	v_cndmask_b32_e64 v19, 0, v16, s[2:3]
	v_fmac_f32_e32 v25, 0x3f317217, v10
	v_cndmask_b32_e32 v11, v11, v24, vcc
	v_cmp_lt_f32_e64 vcc, |v10|, s14
	v_sub_f32_e32 v8, v8, v19
	v_sub_f32_e32 v9, v9, v18
	v_cndmask_b32_e32 v22, v10, v25, vcc
	v_cmp_lt_f16_e32 vcc, s9, v0
	v_cndmask_b32_e64 v20, 0, v16, s[4:5]
	v_sub_f32_e32 v10, v11, v20
	v_cndmask_b32_e32 v8, v8, v12, vcc
	v_cmp_gt_f16_sdwa vcc, v0, s9 src0_sel:WORD_1 src1_sel:DWORD
	v_mul_f32_e32 v11, 0x4f800000, v8
	v_cmp_gt_f32_e64 s[2:3], s12, v8
	v_cndmask_b32_e32 v0, v9, v13, vcc
	v_mul_f32_e32 v9, 0x4f800000, v0
	v_cmp_gt_f32_e32 vcc, s12, v0
	v_cndmask_b32_e64 v8, v8, v11, s[2:3]
	v_sqrt_f32_e32 v11, v8
	v_cndmask_b32_e32 v0, v0, v9, vcc
	v_sqrt_f32_e32 v9, v0
	v_cmp_gt_f16_sdwa s[4:5], v1, s9 src0_sel:WORD_1 src1_sel:DWORD
	v_add_u32_e32 v18, 1, v11
	v_fma_f32 v24, -v18, v11, v8
	v_cndmask_b32_e64 v12, v10, v15, s[4:5]
	v_add_u32_e32 v10, -1, v9
	v_add_u32_e32 v15, -1, v11
	v_fma_f32 v19, -v10, v9, v0
	v_add_u32_e32 v13, 1, v9
	v_fma_f32 v23, -v15, v11, v8
	v_cmp_ge_f32_e64 s[4:5], 0, v19
	v_fma_f32 v20, -v13, v9, v0
	v_cndmask_b32_e64 v21, 0, v16, s[6:7]
	v_cndmask_b32_e64 v9, v9, v10, s[4:5]
	v_cmp_ge_f32_e64 s[4:5], 0, v23
	s_nop 1
	v_cndmask_b32_e64 v10, v11, v15, s[4:5]
	v_cmp_lt_f32_e64 s[4:5], 0, v20
	v_cvt_f32_f16_sdwa v15, v2 dst_sel:DWORD dst_unused:UNUSED_PAD src0_sel:WORD_1
	s_nop 0
	v_cndmask_b32_e64 v9, v9, v13, s[4:5]
	v_cmp_lt_f32_e64 s[4:5], 0, v24
	v_mul_f32_e32 v11, 0x37800000, v9
	v_cndmask_b32_e32 v9, v9, v11, vcc
	v_cndmask_b32_e64 v10, v10, v18, s[4:5]
	v_mul_f32_e32 v13, 0x37800000, v10
	v_cmp_class_f32_e32 vcc, v0, v17
	v_cndmask_b32_e64 v11, v10, v13, s[2:3]
	v_cmp_lt_f16_e64 s[2:3], s9, v1
	v_cndmask_b32_e32 v10, v9, v0, vcc
	v_cmp_class_f32_e32 vcc, v8, v17
	v_mul_f32_e32 v0, 0x4f800000, v12
	v_sub_f32_e32 v9, v22, v21
	v_cndmask_b32_e32 v11, v11, v8, vcc
	v_cmp_gt_f32_e32 vcc, s12, v12
	v_cndmask_b32_e64 v1, v9, v14, s[2:3]
	s_nop 0
	v_cndmask_b32_e32 v0, v12, v0, vcc
	v_sqrt_f32_e32 v8, v0
	s_nop 0
	v_add_u32_e32 v9, -1, v8
	v_fma_f32 v12, -v9, v8, v0
	v_cmp_ge_f32_e64 s[2:3], 0, v12
	v_add_u32_e32 v12, 1, v8
	s_nop 0
	v_cndmask_b32_e64 v9, v8, v9, s[2:3]
	v_fma_f32 v8, -v12, v8, v0
	v_cmp_lt_f32_e64 s[2:3], 0, v8
	s_nop 1
	v_cndmask_b32_e64 v8, v9, v12, s[2:3]
	v_mul_f32_e32 v12, 0x4f800000, v1
	v_cmp_gt_f32_e64 s[2:3], s12, v1
	v_mul_f32_e32 v9, 0x37800000, v8
	v_cndmask_b32_e32 v8, v8, v9, vcc
	v_cndmask_b32_e64 v13, v1, v12, s[2:3]
	v_sqrt_f32_e32 v1, v13
	v_cmp_class_f32_e32 vcc, v0, v17
	v_cvt_f32_f16_e32 v9, v2
	v_add_u32_e32 v14, 1, v1
	v_cndmask_b32_e32 v12, v8, v0, vcc
	v_add_u32_e32 v0, -1, v1
	v_fma_f32 v8, -v0, v1, v13
	v_cmp_ge_f32_e32 vcc, 0, v8
	v_fma_f32 v18, -v14, v1, v13
	s_nop 0
	v_cndmask_b32_e32 v8, v1, v0, vcc
	v_mul_f32_e32 v0, 0x3fb8aa3b, v9
	v_mul_f32_e32 v1, 0x3fb8aa3b, v15
	v_exp_f32_e32 v0, v0
	v_exp_f32_e32 v1, v1
	v_cmp_lt_f32_e32 vcc, 0, v18
	v_pk_add_f32 v[0:1], v[0:1], 1.0 op_sel_hi:[1,0]
	s_nop 0
	v_cndmask_b32_e32 v8, v8, v14, vcc
	v_cmp_gt_f32_e32 vcc, s15, v1
	v_mul_f32_e32 v14, 0x37800000, v8
	v_cndmask_b32_e64 v8, v8, v14, s[2:3]
	v_cndmask_b32_e32 v18, 1.0, v7, vcc
	v_mul_f32_e32 v1, v1, v18
	v_log_f32_e32 v1, v1
	v_cmp_class_f32_e64 s[2:3], v13, v17
	v_cvt_f32_f16_sdwa v18, v3 dst_sel:DWORD dst_unused:UNUSED_PAD src0_sel:WORD_1
	v_cmp_lt_f32_e64 s[4:5], |v1|, s14
	v_cndmask_b32_e64 v13, v8, v13, s[2:3]
	v_cmp_gt_f32_e64 s[2:3], s15, v0
	v_mul_f32_e32 v8, 0x3f317217, v1
	v_fma_f32 v8, v1, s13, -v8
	v_cndmask_b32_e64 v14, 1.0, v7, s[2:3]
	v_mul_f32_e32 v0, v0, v14
	v_log_f32_e32 v0, v0
	v_fmac_f32_e32 v8, 0x3377d1cf, v1
	v_fmac_f32_e32 v8, 0x3f317217, v1
	v_cndmask_b32_e64 v1, v1, v8, s[4:5]
	v_cndmask_b32_e32 v8, 0, v16, vcc
	v_sub_f32_e32 v1, v1, v8
	v_mul_f32_e32 v8, 0x3f317217, v0
	v_fma_f32 v8, v0, s13, -v8
	v_fmac_f32_e32 v8, 0x3377d1cf, v0
	v_fmac_f32_e32 v8, 0x3f317217, v0
	v_cmp_lt_f32_e64 vcc, |v0|, s14
	s_nop 1
	v_cndmask_b32_e32 v0, v0, v8, vcc
	v_cmp_gt_f16_sdwa vcc, v2, s9 src0_sel:WORD_1 src1_sel:DWORD
	v_cndmask_b32_e64 v8, 0, v16, s[2:3]
	v_cmp_lt_f16_e64 s[2:3], s9, v2
	v_cndmask_b32_e32 v1, v1, v15, vcc
	v_mul_f32_e32 v14, 0x4f800000, v1
	v_cmp_gt_f32_e32 vcc, s12, v1
	v_sub_f32_e32 v0, v0, v8
	v_cndmask_b32_e64 v0, v0, v9, s[2:3]
	v_cndmask_b32_e32 v1, v1, v14, vcc
	v_sqrt_f32_e32 v14, v1
	s_nop 0
	v_add_u32_e32 v2, -1, v14
	v_fma_f32 v8, -v2, v14, v1
	v_cmp_ge_f32_e64 s[2:3], 0, v8
	v_add_u32_e32 v8, 1, v14
	v_fma_f32 v9, -v8, v14, v1
	v_cndmask_b32_e64 v2, v14, v2, s[2:3]
	v_cmp_lt_f32_e64 s[2:3], 0, v9
	v_mul_f32_e32 v9, 0x4f800000, v0
	s_nop 0
	v_cndmask_b32_e64 v2, v2, v8, s[2:3]
	v_cmp_gt_f32_e64 s[2:3], s12, v0
	v_mul_f32_e32 v8, 0x37800000, v2
	v_cndmask_b32_e32 v2, v2, v8, vcc
	v_cndmask_b32_e64 v9, v0, v9, s[2:3]
	v_sqrt_f32_e32 v0, v9
	v_cmp_class_f32_e32 vcc, v1, v17
	v_cvt_f32_f16_e32 v8, v3
	v_add_u32_e32 v15, 1, v0
	v_cndmask_b32_e32 v14, v2, v1, vcc
	v_add_u32_e32 v1, -1, v0
	v_fma_f32 v2, -v1, v0, v9
	v_cmp_ge_f32_e32 vcc, 0, v2
	v_fma_f32 v19, -v15, v0, v9
	s_nop 0
	v_cndmask_b32_e32 v2, v0, v1, vcc
	v_mul_f32_e32 v0, 0x3fb8aa3b, v8
	v_mul_f32_e32 v1, 0x3fb8aa3b, v18
	v_exp_f32_e32 v0, v0
	v_exp_f32_e32 v1, v1
	v_cmp_lt_f32_e32 vcc, 0, v19
	v_pk_add_f32 v[0:1], v[0:1], 1.0 op_sel_hi:[1,0]
	s_nop 0
	v_cndmask_b32_e32 v2, v2, v15, vcc
	v_cmp_gt_f32_e32 vcc, s15, v1
	v_mul_f32_e32 v15, 0x37800000, v2
	v_cndmask_b32_e64 v2, v2, v15, s[2:3]
	v_cndmask_b32_e32 v19, 1.0, v7, vcc
	v_mul_f32_e32 v1, v1, v19
	v_log_f32_e32 v1, v1
	v_cmp_class_f32_e64 s[2:3], v9, v17
	v_cmp_lt_f32_e64 s[4:5], |v1|, s14
	s_nop 0
	v_cndmask_b32_e64 v15, v2, v9, s[2:3]
	v_cmp_gt_f32_e64 s[2:3], s15, v0
	v_mul_f32_e32 v2, 0x3f317217, v1
	v_fma_f32 v2, v1, s13, -v2
	v_cndmask_b32_e64 v7, 1.0, v7, s[2:3]
	v_mul_f32_e32 v0, v0, v7
	v_log_f32_e32 v0, v0
	v_fmac_f32_e32 v2, 0x3377d1cf, v1
	v_fmac_f32_e32 v2, 0x3f317217, v1
	v_cndmask_b32_e64 v1, v1, v2, s[4:5]
	v_cndmask_b32_e32 v2, 0, v16, vcc
	v_sub_f32_e32 v1, v1, v2
	v_mul_f32_e32 v2, 0x3f317217, v0
	v_fma_f32 v2, v0, s13, -v2
	v_fmac_f32_e32 v2, 0x3377d1cf, v0
	v_fmac_f32_e32 v2, 0x3f317217, v0
	v_cmp_lt_f32_e64 vcc, |v0|, s14
	s_nop 1
	v_cndmask_b32_e32 v0, v0, v2, vcc
	v_cmp_gt_f16_sdwa vcc, v3, s9 src0_sel:WORD_1 src1_sel:DWORD
	v_cndmask_b32_e64 v2, 0, v16, s[2:3]
	v_sub_f32_e32 v0, v0, v2
	v_cndmask_b32_e32 v1, v1, v18, vcc
	v_mul_f32_e32 v7, 0x4f800000, v1
	v_cmp_gt_f32_e32 vcc, s12, v1
	v_cmp_lt_f16_e64 s[2:3], s9, v3
	s_nop 0
	v_cndmask_b32_e32 v1, v1, v7, vcc
	v_sqrt_f32_e32 v7, v1
	v_cndmask_b32_e64 v0, v0, v8, s[2:3]
	v_add_u32_e32 v2, -1, v7
	v_fma_f32 v3, -v2, v7, v1
	v_cmp_ge_f32_e64 s[2:3], 0, v3
	v_add_u32_e32 v3, 1, v7
	s_nop 0
	v_cndmask_b32_e64 v2, v7, v2, s[2:3]
	v_fma_f32 v7, -v3, v7, v1
	v_cmp_lt_f32_e64 s[2:3], 0, v7
	v_mul_f32_e32 v7, 0x4f800000, v0
	s_nop 0
	v_cndmask_b32_e64 v2, v2, v3, s[2:3]
	v_cmp_gt_f32_e64 s[2:3], s12, v0
	v_mul_f32_e32 v3, 0x37800000, v2
	v_cndmask_b32_e32 v2, v2, v3, vcc
	v_cndmask_b32_e64 v0, v0, v7, s[2:3]
	v_sqrt_f32_e32 v7, v0
	v_cmp_class_f32_e32 vcc, v1, v17
	s_nop 1
	v_cndmask_b32_e32 v16, v2, v1, vcc
	v_add_u32_e32 v1, -1, v7
	v_fma_f32 v2, -v1, v7, v0
	v_cmp_ge_f32_e32 vcc, 0, v2
	v_add_u32_e32 v2, 1, v7
	v_fma_f32 v3, -v2, v7, v0
	v_cndmask_b32_e32 v1, v7, v1, vcc
	v_cmp_lt_f32_e32 vcc, 0, v3
	s_nop 1
	v_cndmask_b32_e32 v1, v1, v2, vcc
	v_mul_f32_e32 v2, 0x37800000, v1
	v_cndmask_b32_e64 v1, v1, v2, s[2:3]
	v_cmp_class_f32_e32 vcc, v0, v17
	v_lshl_add_u64 v[2:3], v[4:5], 2, s[10:11]
	s_cselect_b64 s[2:3], -1, 0
	v_cndmask_b32_e32 v17, v1, v0, vcc
	s_cmp_lt_i32 s16, 1
	v_mul_lo_u32 v0, v6, s16
	s_cbranch_scc1 .LBB254_21
; %bb.2:
	s_load_dwordx2 s[4:5], s[0:1], 0x20
	s_cmp_lt_u32 s16, 4
	s_cbranch_scc1 .LBB254_22
; %bb.3:
	s_mov_b32 s7, 0
	s_and_b32 s8, s16, 0x7ffffffc
	v_ashrrev_i32_e32 v1, 31, v0
	v_mov_b32_e32 v18, 0
	s_mov_b32 s6, s7
	s_branch .LBB254_5
.LBB254_4:                              ;   in Loop: Header=BB254_5 Depth=1
	s_or_b64 exec, exec, s[12:13]
	s_add_i32 s6, s6, 4
	s_cmp_eq_u32 s6, s8
	s_cbranch_scc1 .LBB254_23
.LBB254_5:                              ; =>This Loop Header: Depth=1
                                        ;     Child Loop BB254_7 Depth 2
                                        ;     Child Loop BB254_11 Depth 2
	;; [unrolled: 1-line block ×4, first 2 shown]
	v_lshl_add_u64 v[6:7], s[6:7], 2, v[2:3]
	global_load_dword v19, v[6:7], off
	v_add_u32_e32 v8, s6, v0
	v_ashrrev_i32_e32 v9, 31, v8
	s_mov_b64 s[12:13], 0
	s_waitcnt lgkmcnt(0)
	v_lshl_add_u64 v[8:9], v[8:9], 2, s[4:5]
	s_mov_b32 s9, 0
	s_waitcnt vmcnt(0)
	v_cmp_eq_u32_e32 vcc, 1, v19
	s_nop 1
	v_cndmask_b32_e32 v21, v11, v10, vcc
	v_cmp_eq_u32_e32 vcc, 2, v19
	v_min_u32_e32 v20, 7, v19
	v_add_u32_e32 v20, 1, v20
	v_cndmask_b32_e32 v21, v21, v13, vcc
	v_cmp_eq_u32_e32 vcc, 3, v19
	s_nop 1
	v_cndmask_b32_e32 v21, v21, v12, vcc
	v_cmp_eq_u32_e32 vcc, 4, v19
	s_nop 1
	;; [unrolled: 3-line block ×5, first 2 shown]
	v_cndmask_b32_e32 v21, v21, v16, vcc
	s_branch .LBB254_7
.LBB254_6:                              ;   in Loop: Header=BB254_7 Depth=2
	s_or_b64 exec, exec, s[14:15]
	s_add_i32 s9, s9, 1
	v_cmp_eq_u32_e32 vcc, s9, v20
	s_or_b64 s[12:13], vcc, s[12:13]
	s_andn2_b64 exec, exec, s[12:13]
	s_cbranch_execz .LBB254_9
.LBB254_7:                              ;   Parent Loop BB254_5 Depth=1
                                        ; =>  This Inner Loop Header: Depth=2
	v_cmp_eq_u32_e32 vcc, s9, v19
	s_and_saveexec_b64 s[14:15], vcc
	s_cbranch_execz .LBB254_6
; %bb.8:                                ;   in Loop: Header=BB254_7 Depth=2
	v_add_f32_e32 v18, v18, v21
	global_store_dword v[8:9], v19, off
	s_branch .LBB254_6
.LBB254_9:                              ;   in Loop: Header=BB254_5 Depth=1
	s_or_b64 exec, exec, s[12:13]
	global_load_dword v19, v[6:7], off offset:4
	s_ashr_i32 s13, s6, 31
	s_mov_b32 s12, s6
	v_lshl_add_u64 v[8:9], s[12:13], 0, v[0:1]
	s_mov_b32 s9, 0
	v_lshl_add_u64 v[8:9], v[8:9], 2, s[4:5]
	s_mov_b64 s[12:13], 0
	s_waitcnt vmcnt(0)
	v_cmp_eq_u32_e32 vcc, 1, v19
	s_nop 1
	v_cndmask_b32_e32 v21, v11, v10, vcc
	v_cmp_eq_u32_e32 vcc, 2, v19
	v_min_u32_e32 v20, 7, v19
	v_add_u32_e32 v20, 1, v20
	v_cndmask_b32_e32 v21, v21, v13, vcc
	v_cmp_eq_u32_e32 vcc, 3, v19
	s_nop 1
	v_cndmask_b32_e32 v21, v21, v12, vcc
	v_cmp_eq_u32_e32 vcc, 4, v19
	s_nop 1
	;; [unrolled: 3-line block ×5, first 2 shown]
	v_cndmask_b32_e32 v21, v21, v16, vcc
	s_branch .LBB254_11
.LBB254_10:                             ;   in Loop: Header=BB254_11 Depth=2
	s_or_b64 exec, exec, s[14:15]
	s_add_i32 s9, s9, 1
	v_cmp_eq_u32_e32 vcc, s9, v20
	s_or_b64 s[12:13], vcc, s[12:13]
	s_andn2_b64 exec, exec, s[12:13]
	s_cbranch_execz .LBB254_13
.LBB254_11:                             ;   Parent Loop BB254_5 Depth=1
                                        ; =>  This Inner Loop Header: Depth=2
	v_cmp_eq_u32_e32 vcc, s9, v19
	s_and_saveexec_b64 s[14:15], vcc
	s_cbranch_execz .LBB254_10
; %bb.12:                               ;   in Loop: Header=BB254_11 Depth=2
	v_add_f32_e32 v18, v18, v21
	global_store_dword v[8:9], v19, off offset:4
	s_branch .LBB254_10
.LBB254_13:                             ;   in Loop: Header=BB254_5 Depth=1
	s_or_b64 exec, exec, s[12:13]
	global_load_dword v19, v[6:7], off offset:8
	s_mov_b32 s9, 0
	s_mov_b64 s[12:13], 0
	s_waitcnt vmcnt(0)
	v_cmp_eq_u32_e32 vcc, 1, v19
	s_nop 1
	v_cndmask_b32_e32 v21, v11, v10, vcc
	v_cmp_eq_u32_e32 vcc, 2, v19
	v_min_u32_e32 v20, 7, v19
	v_add_u32_e32 v20, 1, v20
	v_cndmask_b32_e32 v21, v21, v13, vcc
	v_cmp_eq_u32_e32 vcc, 3, v19
	s_nop 1
	v_cndmask_b32_e32 v21, v21, v12, vcc
	v_cmp_eq_u32_e32 vcc, 4, v19
	s_nop 1
	;; [unrolled: 3-line block ×5, first 2 shown]
	v_cndmask_b32_e32 v21, v21, v16, vcc
	s_branch .LBB254_15
.LBB254_14:                             ;   in Loop: Header=BB254_15 Depth=2
	s_or_b64 exec, exec, s[14:15]
	s_add_i32 s9, s9, 1
	v_cmp_eq_u32_e32 vcc, s9, v20
	s_or_b64 s[12:13], vcc, s[12:13]
	s_andn2_b64 exec, exec, s[12:13]
	s_cbranch_execz .LBB254_17
.LBB254_15:                             ;   Parent Loop BB254_5 Depth=1
                                        ; =>  This Inner Loop Header: Depth=2
	v_cmp_eq_u32_e32 vcc, s9, v19
	s_and_saveexec_b64 s[14:15], vcc
	s_cbranch_execz .LBB254_14
; %bb.16:                               ;   in Loop: Header=BB254_15 Depth=2
	v_add_f32_e32 v18, v18, v21
	global_store_dword v[8:9], v19, off offset:8
	s_branch .LBB254_14
.LBB254_17:                             ;   in Loop: Header=BB254_5 Depth=1
	s_or_b64 exec, exec, s[12:13]
	global_load_dword v6, v[6:7], off offset:12
	s_mov_b32 s9, 0
	s_mov_b64 s[12:13], 0
	s_waitcnt vmcnt(0)
	v_cmp_eq_u32_e32 vcc, 1, v6
	s_nop 1
	v_cndmask_b32_e32 v19, v11, v10, vcc
	v_cmp_eq_u32_e32 vcc, 2, v6
	v_min_u32_e32 v7, 7, v6
	v_add_u32_e32 v7, 1, v7
	v_cndmask_b32_e32 v19, v19, v13, vcc
	v_cmp_eq_u32_e32 vcc, 3, v6
	s_nop 1
	v_cndmask_b32_e32 v19, v19, v12, vcc
	v_cmp_eq_u32_e32 vcc, 4, v6
	s_nop 1
	;; [unrolled: 3-line block ×5, first 2 shown]
	v_cndmask_b32_e32 v19, v19, v16, vcc
	s_branch .LBB254_19
.LBB254_18:                             ;   in Loop: Header=BB254_19 Depth=2
	s_or_b64 exec, exec, s[14:15]
	s_add_i32 s9, s9, 1
	v_cmp_eq_u32_e32 vcc, s9, v7
	s_or_b64 s[12:13], vcc, s[12:13]
	s_andn2_b64 exec, exec, s[12:13]
	s_cbranch_execz .LBB254_4
.LBB254_19:                             ;   Parent Loop BB254_5 Depth=1
                                        ; =>  This Inner Loop Header: Depth=2
	v_cmp_eq_u32_e32 vcc, s9, v6
	s_and_saveexec_b64 s[14:15], vcc
	s_cbranch_execz .LBB254_18
; %bb.20:                               ;   in Loop: Header=BB254_19 Depth=2
	v_add_f32_e32 v18, v18, v19
	global_store_dword v[8:9], v6, off offset:12
	s_branch .LBB254_18
.LBB254_21:
	v_mov_b32_e32 v18, v5
	s_branch .LBB254_30
.LBB254_22:
	v_mov_b32_e32 v18, v5
.LBB254_23:
	s_and_b32 s14, s16, 3
	s_cmp_eq_u32 s14, 0
	s_mov_b32 s9, 0
	s_cbranch_scc1 .LBB254_30
; %bb.24:
	s_mov_b32 s15, s9
	s_branch .LBB254_26
.LBB254_25:                             ;   in Loop: Header=BB254_26 Depth=1
	s_or_b64 exec, exec, s[6:7]
	s_add_i32 s8, s8, 1
	s_add_i32 s15, s15, 1
	s_cmp_lg_u32 s15, s14
	s_cbranch_scc0 .LBB254_30
.LBB254_26:                             ; =>This Loop Header: Depth=1
                                        ;     Child Loop BB254_28 Depth 2
	v_lshl_add_u64 v[6:7], s[8:9], 2, v[2:3]
	global_load_dword v1, v[6:7], off
	v_add_u32_e32 v6, s8, v0
	v_ashrrev_i32_e32 v7, 31, v6
	s_mov_b32 s17, 0
	s_waitcnt lgkmcnt(0)
	v_lshl_add_u64 v[6:7], v[6:7], 2, s[4:5]
	s_mov_b64 s[6:7], 0
	s_waitcnt vmcnt(0)
	v_cmp_eq_u32_e32 vcc, 1, v1
	s_nop 1
	v_cndmask_b32_e32 v9, v11, v10, vcc
	v_cmp_eq_u32_e32 vcc, 2, v1
	v_min_u32_e32 v8, 7, v1
	v_add_u32_e32 v8, 1, v8
	v_cndmask_b32_e32 v9, v9, v13, vcc
	v_cmp_eq_u32_e32 vcc, 3, v1
	s_nop 1
	v_cndmask_b32_e32 v9, v9, v12, vcc
	v_cmp_eq_u32_e32 vcc, 4, v1
	s_nop 1
	v_cndmask_b32_e32 v9, v9, v15, vcc
	v_cmp_eq_u32_e32 vcc, 5, v1
	s_nop 1
	v_cndmask_b32_e32 v9, v9, v14, vcc
	v_cmp_eq_u32_e32 vcc, 6, v1
	s_nop 1
	v_cndmask_b32_e32 v9, v9, v17, vcc
	v_cmp_eq_u32_e32 vcc, 7, v1
	s_nop 1
	v_cndmask_b32_e32 v9, v9, v16, vcc
	s_branch .LBB254_28
.LBB254_27:                             ;   in Loop: Header=BB254_28 Depth=2
	s_or_b64 exec, exec, s[12:13]
	s_add_i32 s17, s17, 1
	v_cmp_eq_u32_e32 vcc, s17, v8
	s_or_b64 s[6:7], vcc, s[6:7]
	s_andn2_b64 exec, exec, s[6:7]
	s_cbranch_execz .LBB254_25
.LBB254_28:                             ;   Parent Loop BB254_26 Depth=1
                                        ; =>  This Inner Loop Header: Depth=2
	v_cmp_eq_u32_e32 vcc, s17, v1
	s_and_saveexec_b64 s[12:13], vcc
	s_cbranch_execz .LBB254_27
; %bb.29:                               ;   in Loop: Header=BB254_28 Depth=2
	v_add_f32_e32 v18, v18, v9
	global_store_dword v[6:7], v1, off
	s_branch .LBB254_27
.LBB254_30:
	s_load_dword s6, s[0:1], 0x3c
	s_waitcnt lgkmcnt(0)
	s_load_dwordx2 s[4:5], s[0:1], 0x40
	s_bitcmp1_b32 s6, 0
	s_cselect_b64 s[6:7], -1, 0
	s_waitcnt lgkmcnt(0)
	v_cvt_f32_f64_e32 v19, s[4:5]
	s_and_b64 vcc, exec, s[6:7]
	s_cbranch_vccz .LBB254_32
; %bb.31:
	v_cmp_lt_f32_e32 vcc, 0, v18
	s_nop 1
	v_cndmask_b32_e32 v1, 1.0, v18, vcc
	v_div_scale_f32 v6, s[4:5], v1, v1, v19
	v_rcp_f32_e32 v7, v6
	s_nop 0
	v_fma_f32 v8, -v6, v7, 1.0
	v_fmac_f32_e32 v7, v8, v7
	v_div_scale_f32 v8, vcc, v19, v1, v19
	v_mul_f32_e32 v9, v8, v7
	v_fma_f32 v18, -v6, v9, v8
	v_fmac_f32_e32 v9, v18, v7
	v_fma_f32 v6, -v6, v9, v8
	v_div_fmas_f32 v6, v6, v7, v9
	v_div_fixup_f32 v19, v6, v1, v19
.LBB254_32:
	s_andn2_b64 vcc, exec, s[2:3]
	s_cbranch_vccnz .LBB254_57
; %bb.33:
	s_load_dwordx2 s[0:1], s[0:1], 0x10
	s_cmp_lt_u32 s16, 8
	s_mov_b32 s2, 0
	s_cbranch_scc1 .LBB254_52
; %bb.34:
	v_ashrrev_i32_e32 v1, 31, v0
	s_and_b32 s2, s16, 0x7ffffff8
	s_waitcnt lgkmcnt(0)
	v_lshl_add_u64 v[6:7], v[0:1], 2, s[0:1]
	s_mov_b32 s3, 0
	s_mov_b64 s[4:5], 0
	s_branch .LBB254_36
.LBB254_35:                             ;   in Loop: Header=BB254_36 Depth=1
	s_or_b64 exec, exec, s[6:7]
	s_add_i32 s3, s3, 8
	s_add_u32 s4, s4, 32
	s_addc_u32 s5, s5, 0
	s_cmp_eq_u32 s2, s3
	s_cbranch_scc1 .LBB254_52
.LBB254_36:                             ; =>This Inner Loop Header: Depth=1
	v_lshl_add_u64 v[8:9], v[2:3], 0, s[4:5]
	global_load_dword v1, v[8:9], off
	s_waitcnt vmcnt(0)
	v_cmp_gt_u32_e32 vcc, 8, v1
	s_and_saveexec_b64 s[6:7], vcc
	s_cbranch_execz .LBB254_38
; %bb.37:                               ;   in Loop: Header=BB254_36 Depth=1
	v_cmp_eq_u32_e32 vcc, 1, v1
	v_add_u32_e32 v20, s3, v0
	v_ashrrev_i32_e32 v21, 31, v20
	v_cndmask_b32_e32 v18, v11, v10, vcc
	v_cmp_eq_u32_e32 vcc, 2, v1
	v_lshl_add_u64 v[20:21], v[20:21], 2, s[0:1]
	s_nop 0
	v_cndmask_b32_e32 v18, v18, v13, vcc
	v_cmp_eq_u32_e32 vcc, 3, v1
	s_nop 1
	v_cndmask_b32_e32 v18, v18, v12, vcc
	v_cmp_eq_u32_e32 vcc, 4, v1
	;; [unrolled: 3-line block ×5, first 2 shown]
	s_nop 1
	v_cndmask_b32_e32 v1, v18, v16, vcc
	v_mul_f32_e32 v1, v19, v1
	global_store_dword v[20:21], v1, off
.LBB254_38:                             ;   in Loop: Header=BB254_36 Depth=1
	s_or_b64 exec, exec, s[6:7]
	global_load_dword v1, v[8:9], off offset:4
	s_waitcnt vmcnt(0)
	v_cmp_gt_u32_e32 vcc, 8, v1
	s_and_saveexec_b64 s[6:7], vcc
	s_cbranch_execz .LBB254_40
; %bb.39:                               ;   in Loop: Header=BB254_36 Depth=1
	v_cmp_eq_u32_e32 vcc, 1, v1
	v_lshl_add_u64 v[20:21], v[6:7], 0, s[4:5]
	s_nop 0
	v_cndmask_b32_e32 v18, v11, v10, vcc
	v_cmp_eq_u32_e32 vcc, 2, v1
	s_nop 1
	v_cndmask_b32_e32 v18, v18, v13, vcc
	v_cmp_eq_u32_e32 vcc, 3, v1
	s_nop 1
	v_cndmask_b32_e32 v18, v18, v12, vcc
	v_cmp_eq_u32_e32 vcc, 4, v1
	s_nop 1
	v_cndmask_b32_e32 v18, v18, v15, vcc
	v_cmp_eq_u32_e32 vcc, 5, v1
	s_nop 1
	v_cndmask_b32_e32 v18, v18, v14, vcc
	v_cmp_eq_u32_e32 vcc, 6, v1
	s_nop 1
	v_cndmask_b32_e32 v18, v18, v17, vcc
	v_cmp_eq_u32_e32 vcc, 7, v1
	s_nop 1
	v_cndmask_b32_e32 v1, v18, v16, vcc
	v_mul_f32_e32 v1, v19, v1
	global_store_dword v[20:21], v1, off offset:4
.LBB254_40:                             ;   in Loop: Header=BB254_36 Depth=1
	s_or_b64 exec, exec, s[6:7]
	global_load_dword v1, v[8:9], off offset:8
	s_waitcnt vmcnt(0)
	v_cmp_gt_u32_e32 vcc, 8, v1
	s_and_saveexec_b64 s[6:7], vcc
	s_cbranch_execz .LBB254_42
; %bb.41:                               ;   in Loop: Header=BB254_36 Depth=1
	v_cmp_eq_u32_e32 vcc, 1, v1
	v_lshl_add_u64 v[20:21], v[6:7], 0, s[4:5]
	s_nop 0
	v_cndmask_b32_e32 v18, v11, v10, vcc
	v_cmp_eq_u32_e32 vcc, 2, v1
	s_nop 1
	v_cndmask_b32_e32 v18, v18, v13, vcc
	v_cmp_eq_u32_e32 vcc, 3, v1
	s_nop 1
	v_cndmask_b32_e32 v18, v18, v12, vcc
	v_cmp_eq_u32_e32 vcc, 4, v1
	s_nop 1
	v_cndmask_b32_e32 v18, v18, v15, vcc
	v_cmp_eq_u32_e32 vcc, 5, v1
	s_nop 1
	v_cndmask_b32_e32 v18, v18, v14, vcc
	v_cmp_eq_u32_e32 vcc, 6, v1
	s_nop 1
	v_cndmask_b32_e32 v18, v18, v17, vcc
	v_cmp_eq_u32_e32 vcc, 7, v1
	s_nop 1
	v_cndmask_b32_e32 v1, v18, v16, vcc
	v_mul_f32_e32 v1, v19, v1
	global_store_dword v[20:21], v1, off offset:8
.LBB254_42:                             ;   in Loop: Header=BB254_36 Depth=1
	;; [unrolled: 32-line block ×6, first 2 shown]
	s_or_b64 exec, exec, s[6:7]
	global_load_dword v1, v[8:9], off offset:28
	s_waitcnt vmcnt(0)
	v_cmp_gt_u32_e32 vcc, 8, v1
	s_and_saveexec_b64 s[6:7], vcc
	s_cbranch_execz .LBB254_35
; %bb.51:                               ;   in Loop: Header=BB254_36 Depth=1
	v_cmp_eq_u32_e32 vcc, 1, v1
	s_nop 1
	v_cndmask_b32_e32 v8, v11, v10, vcc
	v_cmp_eq_u32_e32 vcc, 2, v1
	s_nop 1
	v_cndmask_b32_e32 v8, v8, v13, vcc
	;; [unrolled: 3-line block ×7, first 2 shown]
	v_mul_f32_e32 v1, v19, v1
	v_lshl_add_u64 v[8:9], v[6:7], 0, s[4:5]
	global_store_dword v[8:9], v1, off offset:28
	s_branch .LBB254_35
.LBB254_52:
	s_and_b32 s4, s16, 7
	s_cmp_eq_u32 s4, 0
	s_mov_b32 s3, 0
	s_cbranch_scc1 .LBB254_57
; %bb.53:
	v_add_u32_e32 v0, s2, v0
	s_lshl_b64 s[2:3], s[2:3], 2
	s_add_u32 s2, s10, s2
	s_addc_u32 s3, s11, s3
	v_lshl_add_u64 v[2:3], v[4:5], 2, s[2:3]
	s_branch .LBB254_55
.LBB254_54:                             ;   in Loop: Header=BB254_55 Depth=1
	s_or_b64 exec, exec, s[2:3]
	s_add_i32 s4, s4, -1
	v_add_u32_e32 v0, 1, v0
	s_cmp_eq_u32 s4, 0
	v_lshl_add_u64 v[2:3], v[2:3], 0, 4
	s_cbranch_scc1 .LBB254_57
.LBB254_55:                             ; =>This Inner Loop Header: Depth=1
	global_load_dword v1, v[2:3], off
	s_waitcnt vmcnt(0)
	v_cmp_gt_u32_e32 vcc, 8, v1
	s_and_saveexec_b64 s[2:3], vcc
	s_cbranch_execz .LBB254_54
; %bb.56:                               ;   in Loop: Header=BB254_55 Depth=1
	v_cmp_eq_u32_e32 vcc, 1, v1
	s_nop 1
	v_cndmask_b32_e32 v4, v11, v10, vcc
	v_cmp_eq_u32_e32 vcc, 2, v1
	s_nop 1
	v_cndmask_b32_e32 v4, v4, v13, vcc
	;; [unrolled: 3-line block ×7, first 2 shown]
	v_mul_f32_e32 v6, v19, v1
	v_ashrrev_i32_e32 v1, 31, v0
	s_waitcnt lgkmcnt(0)
	v_lshl_add_u64 v[4:5], v[0:1], 2, s[0:1]
	global_store_dword v[4:5], v6, off
	s_branch .LBB254_54
.LBB254_57:
	s_endpgm
	.section	.rodata,"a",@progbits
	.p2align	6, 0x0
	.amdhsa_kernel _ZN4vllm3moe22topkGatingSoftplusSqrtILi8ELi8ELi4ELi16ELi32ELb1Ej6__halfEEvPKT6_PKbPfiPT5_PiiiibdPKfPKS9_SF_
		.amdhsa_group_segment_fixed_size 0
		.amdhsa_private_segment_fixed_size 0
		.amdhsa_kernarg_size 96
		.amdhsa_user_sgpr_count 2
		.amdhsa_user_sgpr_dispatch_ptr 0
		.amdhsa_user_sgpr_queue_ptr 0
		.amdhsa_user_sgpr_kernarg_segment_ptr 1
		.amdhsa_user_sgpr_dispatch_id 0
		.amdhsa_user_sgpr_kernarg_preload_length 0
		.amdhsa_user_sgpr_kernarg_preload_offset 0
		.amdhsa_user_sgpr_private_segment_size 0
		.amdhsa_uses_dynamic_stack 0
		.amdhsa_enable_private_segment 0
		.amdhsa_system_sgpr_workgroup_id_x 1
		.amdhsa_system_sgpr_workgroup_id_y 0
		.amdhsa_system_sgpr_workgroup_id_z 0
		.amdhsa_system_sgpr_workgroup_info 0
		.amdhsa_system_vgpr_workitem_id 1
		.amdhsa_next_free_vgpr 26
		.amdhsa_next_free_sgpr 18
		.amdhsa_accum_offset 28
		.amdhsa_reserve_vcc 1
		.amdhsa_float_round_mode_32 0
		.amdhsa_float_round_mode_16_64 0
		.amdhsa_float_denorm_mode_32 3
		.amdhsa_float_denorm_mode_16_64 3
		.amdhsa_dx10_clamp 1
		.amdhsa_ieee_mode 1
		.amdhsa_fp16_overflow 0
		.amdhsa_tg_split 0
		.amdhsa_exception_fp_ieee_invalid_op 0
		.amdhsa_exception_fp_denorm_src 0
		.amdhsa_exception_fp_ieee_div_zero 0
		.amdhsa_exception_fp_ieee_overflow 0
		.amdhsa_exception_fp_ieee_underflow 0
		.amdhsa_exception_fp_ieee_inexact 0
		.amdhsa_exception_int_div_zero 0
	.end_amdhsa_kernel
	.section	.text._ZN4vllm3moe22topkGatingSoftplusSqrtILi8ELi8ELi4ELi16ELi32ELb1Ej6__halfEEvPKT6_PKbPfiPT5_PiiiibdPKfPKS9_SF_,"axG",@progbits,_ZN4vllm3moe22topkGatingSoftplusSqrtILi8ELi8ELi4ELi16ELi32ELb1Ej6__halfEEvPKT6_PKbPfiPT5_PiiiibdPKfPKS9_SF_,comdat
.Lfunc_end254:
	.size	_ZN4vllm3moe22topkGatingSoftplusSqrtILi8ELi8ELi4ELi16ELi32ELb1Ej6__halfEEvPKT6_PKbPfiPT5_PiiiibdPKfPKS9_SF_, .Lfunc_end254-_ZN4vllm3moe22topkGatingSoftplusSqrtILi8ELi8ELi4ELi16ELi32ELb1Ej6__halfEEvPKT6_PKbPfiPT5_PiiiibdPKfPKS9_SF_
                                        ; -- End function
	.section	.AMDGPU.csdata,"",@progbits
; Kernel info:
; codeLenInByte = 4544
; NumSgprs: 24
; NumVgprs: 26
; NumAgprs: 0
; TotalNumVgprs: 26
; ScratchSize: 0
; MemoryBound: 0
; FloatMode: 240
; IeeeMode: 1
; LDSByteSize: 0 bytes/workgroup (compile time only)
; SGPRBlocks: 2
; VGPRBlocks: 3
; NumSGPRsForWavesPerEU: 24
; NumVGPRsForWavesPerEU: 26
; AccumOffset: 28
; Occupancy: 8
; WaveLimiterHint : 1
; COMPUTE_PGM_RSRC2:SCRATCH_EN: 0
; COMPUTE_PGM_RSRC2:USER_SGPR: 2
; COMPUTE_PGM_RSRC2:TRAP_HANDLER: 0
; COMPUTE_PGM_RSRC2:TGID_X_EN: 1
; COMPUTE_PGM_RSRC2:TGID_Y_EN: 0
; COMPUTE_PGM_RSRC2:TGID_Z_EN: 0
; COMPUTE_PGM_RSRC2:TIDIG_COMP_CNT: 1
; COMPUTE_PGM_RSRC3_GFX90A:ACCUM_OFFSET: 6
; COMPUTE_PGM_RSRC3_GFX90A:TG_SPLIT: 0
	.section	.text._ZN4vllm3moe22topkGatingSoftplusSqrtILi8ELi8ELi4ELi16ELi32ELb0Ej6__halfEEvPKT6_PKbPfiPT5_PiiiibdPKfPKS9_SF_,"axG",@progbits,_ZN4vllm3moe22topkGatingSoftplusSqrtILi8ELi8ELi4ELi16ELi32ELb0Ej6__halfEEvPKT6_PKbPfiPT5_PiiiibdPKfPKS9_SF_,comdat
	.protected	_ZN4vllm3moe22topkGatingSoftplusSqrtILi8ELi8ELi4ELi16ELi32ELb0Ej6__halfEEvPKT6_PKbPfiPT5_PiiiibdPKfPKS9_SF_ ; -- Begin function _ZN4vllm3moe22topkGatingSoftplusSqrtILi8ELi8ELi4ELi16ELi32ELb0Ej6__halfEEvPKT6_PKbPfiPT5_PiiiibdPKfPKS9_SF_
	.globl	_ZN4vllm3moe22topkGatingSoftplusSqrtILi8ELi8ELi4ELi16ELi32ELb0Ej6__halfEEvPKT6_PKbPfiPT5_PiiiibdPKfPKS9_SF_
	.p2align	8
	.type	_ZN4vllm3moe22topkGatingSoftplusSqrtILi8ELi8ELi4ELi16ELi32ELb0Ej6__halfEEvPKT6_PKbPfiPT5_PiiiibdPKfPKS9_SF_,@function
_ZN4vllm3moe22topkGatingSoftplusSqrtILi8ELi8ELi4ELi16ELi32ELb0Ej6__halfEEvPKT6_PKbPfiPT5_PiiiibdPKfPKS9_SF_: ; @_ZN4vllm3moe22topkGatingSoftplusSqrtILi8ELi8ELi4ELi16ELi32ELb0Ej6__halfEEvPKT6_PKbPfiPT5_PiiiibdPKfPKS9_SF_
; %bb.0:
	s_load_dword s24, s[0:1], 0x18
	v_bfe_u32 v1, v0, 10, 10
	s_lshl_b32 s2, s2, 7
	v_lshlrev_b32_e32 v1, 5, v1
	v_and_b32_e32 v0, 0x3ff, v0
	v_add3_u32 v8, v1, v0, s2
	s_waitcnt lgkmcnt(0)
	v_cmp_gt_i32_e32 vcc, s24, v8
	s_and_saveexec_b64 s[2:3], vcc
	s_cbranch_execz .LBB255_40
; %bb.1:
	s_load_dwordx4 s[4:7], s[0:1], 0x0
	s_load_dwordx2 s[20:21], s[0:1], 0x10
	s_waitcnt lgkmcnt(0)
	s_cmp_eq_u64 s[6:7], 0
	s_cbranch_scc1 .LBB255_3
; %bb.2:
	v_ashrrev_i32_e32 v9, 31, v8
	v_lshl_add_u64 v[0:1], s[6:7], 0, v[8:9]
	global_load_ubyte v0, v[0:1], off
	s_waitcnt vmcnt(0)
	v_and_b32_e32 v0, 1, v0
	v_cmp_eq_u32_e32 vcc, 1, v0
	s_xor_b64 s[2:3], vcc, -1
	s_orn2_b64 s[22:23], s[2:3], exec
	s_branch .LBB255_4
.LBB255_3:
	s_mov_b64 s[22:23], -1
.LBB255_4:
	v_lshlrev_b32_e32 v2, 3, v8
	v_mov_b32_e32 v0, s4
	v_mov_b32_e32 v1, s5
	v_ashrrev_i32_e32 v3, 31, v2
	v_lshl_add_u64 v[0:1], v[2:3], 1, v[0:1]
	global_load_dwordx4 v[4:7], v[0:1], off
	s_mov_b32 s15, 0x800000
	v_mov_b32_e32 v2, 0x4f800000
	s_mov_b32 s13, 0x3f317217
	s_mov_b32 s14, 0x7f800000
	v_mov_b32_e32 v3, 0x41b17218
	s_movk_i32 s12, 0x4d00
	s_mov_b32 s16, 0xf800000
	s_load_dwordx4 s[8:11], s[0:1], 0x40
	s_waitcnt lgkmcnt(0)
	s_cmp_lg_u64 s[10:11], 0
	s_cselect_b64 s[6:7], -1, 0
	s_and_b64 s[2:3], exec, s[6:7]
	s_waitcnt vmcnt(0)
	v_cvt_f32_f16_e32 v0, v4
	v_mul_f32_e32 v1, 0x3fb8aa3b, v0
	v_exp_f32_e32 v1, v1
	s_nop 0
	v_add_f32_e32 v1, 1.0, v1
	v_cmp_gt_f32_e32 vcc, s15, v1
	s_nop 1
	v_cndmask_b32_e32 v9, 1.0, v2, vcc
	v_mul_f32_e32 v1, v1, v9
	v_log_f32_e32 v9, v1
	v_cndmask_b32_e32 v10, 0, v3, vcc
	v_mov_b32_e32 v1, 0x260
	v_mul_f32_e32 v11, 0x3f317217, v9
	v_fma_f32 v11, v9, s13, -v11
	v_fmac_f32_e32 v11, 0x3377d1cf, v9
	v_fmac_f32_e32 v11, 0x3f317217, v9
	v_cmp_lt_f32_e64 vcc, |v9|, s14
	s_nop 1
	v_cndmask_b32_e32 v9, v9, v11, vcc
	v_sub_f32_e32 v9, v9, v10
	v_cmp_lt_f16_e32 vcc, s12, v4
	s_nop 1
	v_cndmask_b32_e32 v0, v9, v0, vcc
	v_mul_f32_e32 v9, 0x4f800000, v0
	v_cmp_gt_f32_e32 vcc, s16, v0
	s_nop 1
	v_cndmask_b32_e32 v0, v0, v9, vcc
	v_sqrt_f32_e32 v9, v0
	s_nop 0
	v_add_u32_e32 v10, -1, v9
	v_add_u32_e32 v11, 1, v9
	v_fma_f32 v12, -v10, v9, v0
	v_fma_f32 v13, -v11, v9, v0
	v_cmp_ge_f32_e64 s[4:5], 0, v12
	s_nop 1
	v_cndmask_b32_e64 v9, v9, v10, s[4:5]
	v_cmp_lt_f32_e64 s[4:5], 0, v13
	s_nop 1
	v_cndmask_b32_e64 v9, v9, v11, s[4:5]
	v_mul_f32_e32 v10, 0x37800000, v9
	v_cndmask_b32_e32 v9, v9, v10, vcc
	v_cmp_class_f32_e32 vcc, v0, v1
	s_nop 1
	v_cndmask_b32_e32 v0, v9, v0, vcc
	s_mov_b64 vcc, s[2:3]
	s_cbranch_vccz .LBB255_6
; %bb.5:
	s_load_dword s2, s[10:11], 0x0
	s_waitcnt lgkmcnt(0)
	v_add_f32_e32 v0, s2, v0
.LBB255_6:
	v_cvt_f32_f16_sdwa v9, v4 dst_sel:DWORD dst_unused:UNUSED_PAD src0_sel:WORD_1
	v_mul_f32_e32 v10, 0x3fb8aa3b, v9
	v_exp_f32_e32 v10, v10
	s_nop 0
	v_add_f32_e32 v10, 1.0, v10
	v_cmp_gt_f32_e32 vcc, s15, v10
	s_nop 1
	v_cndmask_b32_e32 v2, 1.0, v2, vcc
	v_mul_f32_e32 v2, v10, v2
	v_log_f32_e32 v2, v2
	v_cndmask_b32_e32 v3, 0, v3, vcc
	v_mul_f32_e32 v10, 0x3f317217, v2
	v_fma_f32 v10, v2, s13, -v10
	v_fmac_f32_e32 v10, 0x3377d1cf, v2
	v_fmac_f32_e32 v10, 0x3f317217, v2
	v_cmp_lt_f32_e64 vcc, |v2|, s14
	s_nop 1
	v_cndmask_b32_e32 v2, v2, v10, vcc
	v_sub_f32_e32 v2, v2, v3
	v_cmp_gt_f16_sdwa vcc, v4, s12 src0_sel:WORD_1 src1_sel:DWORD
	v_cndmask_b32_e64 v4, 0, 1, s[6:7]
	v_cmp_ne_u32_e64 s[2:3], 1, v4
	v_cndmask_b32_e32 v2, v2, v9, vcc
	v_mul_f32_e32 v3, 0x4f800000, v2
	v_cmp_gt_f32_e64 s[4:5], s16, v2
	s_andn2_b64 vcc, exec, s[6:7]
	s_nop 0
	v_cndmask_b32_e64 v2, v2, v3, s[4:5]
	v_sqrt_f32_e32 v3, v2
	s_nop 0
	v_add_u32_e32 v4, -1, v3
	v_add_u32_e32 v9, 1, v3
	v_fma_f32 v10, -v4, v3, v2
	v_fma_f32 v11, -v9, v3, v2
	v_cmp_ge_f32_e64 s[6:7], 0, v10
	s_nop 1
	v_cndmask_b32_e64 v3, v3, v4, s[6:7]
	v_cmp_lt_f32_e64 s[6:7], 0, v11
	s_nop 1
	v_cndmask_b32_e64 v3, v3, v9, s[6:7]
	v_mul_f32_e32 v4, 0x37800000, v3
	v_cndmask_b32_e64 v3, v3, v4, s[4:5]
	v_cmp_class_f32_e64 s[4:5], v2, v1
	s_nop 1
	v_cndmask_b32_e64 v1, v3, v2, s[4:5]
	s_cbranch_vccnz .LBB255_8
; %bb.7:
	s_load_dword s4, s[10:11], 0x4
	s_waitcnt lgkmcnt(0)
	v_add_f32_e32 v1, s4, v1
.LBB255_8:
	v_cvt_f32_f16_e32 v2, v5
	s_mov_b32 s12, 0x800000
	v_mov_b32_e32 v4, 0x4f800000
	s_mov_b32 s7, 0x3f317217
	v_mul_f32_e32 v3, 0x3fb8aa3b, v2
	v_exp_f32_e32 v3, v3
	s_mov_b32 s13, 0x7f800000
	s_movk_i32 s6, 0x4d00
	s_mov_b32 s14, 0xf800000
	v_add_f32_e32 v3, 1.0, v3
	v_cmp_gt_f32_e32 vcc, s12, v3
	s_nop 1
	v_cndmask_b32_e32 v9, 1.0, v4, vcc
	v_mul_f32_e32 v3, v3, v9
	v_log_f32_e32 v3, v3
	v_mov_b32_e32 v9, 0x41b17218
	v_cndmask_b32_e32 v10, 0, v9, vcc
	v_mul_f32_e32 v11, 0x3f317217, v3
	v_fma_f32 v11, v3, s7, -v11
	v_fmac_f32_e32 v11, 0x3377d1cf, v3
	v_fmac_f32_e32 v11, 0x3f317217, v3
	v_cmp_lt_f32_e64 vcc, |v3|, s13
	s_nop 1
	v_cndmask_b32_e32 v3, v3, v11, vcc
	v_sub_f32_e32 v3, v3, v10
	v_cmp_lt_f16_e32 vcc, s6, v5
	s_nop 1
	v_cndmask_b32_e32 v2, v3, v2, vcc
	v_mul_f32_e32 v3, 0x4f800000, v2
	v_cmp_gt_f32_e32 vcc, s14, v2
	s_nop 1
	v_cndmask_b32_e32 v2, v2, v3, vcc
	v_sqrt_f32_e32 v3, v2
	s_nop 0
	v_add_u32_e32 v10, -1, v3
	v_fma_f32 v11, -v10, v3, v2
	v_cmp_ge_f32_e64 s[4:5], 0, v11
	v_add_u32_e32 v11, 1, v3
	s_nop 0
	v_cndmask_b32_e64 v10, v3, v10, s[4:5]
	v_fma_f32 v3, -v11, v3, v2
	v_cmp_lt_f32_e64 s[4:5], 0, v3
	s_nop 1
	v_cndmask_b32_e64 v3, v10, v11, s[4:5]
	v_mul_f32_e32 v10, 0x37800000, v3
	v_cndmask_b32_e32 v10, v3, v10, vcc
	v_mov_b32_e32 v3, 0x260
	v_cmp_class_f32_e64 s[4:5], v2, v3
	s_and_b64 vcc, exec, s[2:3]
	s_nop 0
	v_cndmask_b32_e64 v2, v10, v2, s[4:5]
	s_cbranch_vccnz .LBB255_10
; %bb.9:
	s_load_dword s4, s[10:11], 0x8
	s_waitcnt lgkmcnt(0)
	v_add_f32_e32 v2, s4, v2
.LBB255_10:
	v_cvt_f32_f16_sdwa v10, v5 dst_sel:DWORD dst_unused:UNUSED_PAD src0_sel:WORD_1
	v_mul_f32_e32 v11, 0x3fb8aa3b, v10
	v_exp_f32_e32 v11, v11
	s_nop 0
	v_add_f32_e32 v11, 1.0, v11
	v_cmp_gt_f32_e32 vcc, s12, v11
	s_nop 1
	v_cndmask_b32_e32 v4, 1.0, v4, vcc
	v_mul_f32_e32 v4, v11, v4
	v_log_f32_e32 v4, v4
	v_cndmask_b32_e32 v9, 0, v9, vcc
	v_mul_f32_e32 v11, 0x3f317217, v4
	v_fma_f32 v11, v4, s7, -v11
	v_fmac_f32_e32 v11, 0x3377d1cf, v4
	v_fmac_f32_e32 v11, 0x3f317217, v4
	v_cmp_lt_f32_e64 vcc, |v4|, s13
	s_nop 1
	v_cndmask_b32_e32 v4, v4, v11, vcc
	v_sub_f32_e32 v4, v4, v9
	v_cmp_gt_f16_sdwa vcc, v5, s6 src0_sel:WORD_1 src1_sel:DWORD
	s_nop 1
	v_cndmask_b32_e32 v4, v4, v10, vcc
	v_mul_f32_e32 v5, 0x4f800000, v4
	v_cmp_gt_f32_e64 s[4:5], s14, v4
	s_and_b64 vcc, exec, s[2:3]
	s_nop 0
	v_cndmask_b32_e64 v4, v4, v5, s[4:5]
	v_sqrt_f32_e32 v5, v4
	s_nop 0
	v_add_u32_e32 v9, -1, v5
	v_add_u32_e32 v10, 1, v5
	v_fma_f32 v11, -v9, v5, v4
	v_fma_f32 v12, -v10, v5, v4
	v_cmp_ge_f32_e64 s[6:7], 0, v11
	s_nop 1
	v_cndmask_b32_e64 v5, v5, v9, s[6:7]
	v_cmp_lt_f32_e64 s[6:7], 0, v12
	s_nop 1
	v_cndmask_b32_e64 v5, v5, v10, s[6:7]
	v_mul_f32_e32 v9, 0x37800000, v5
	v_cndmask_b32_e64 v5, v5, v9, s[4:5]
	v_cmp_class_f32_e64 s[4:5], v4, v3
	s_nop 1
	v_cndmask_b32_e64 v3, v5, v4, s[4:5]
	s_cbranch_vccnz .LBB255_12
; %bb.11:
	s_load_dword s4, s[10:11], 0xc
	s_waitcnt lgkmcnt(0)
	v_add_f32_e32 v3, s4, v3
.LBB255_12:
	v_cvt_f32_f16_e32 v4, v6
	v_mov_b32_e32 v9, 0x4f800000
	s_mov_b32 s7, 0x3f317217
	s_movk_i32 s6, 0x4d00
	v_mul_f32_e32 v5, 0x3fb8aa3b, v4
	v_exp_f32_e32 v5, v5
	s_nop 0
	v_add_f32_e32 v5, 1.0, v5
	v_cmp_gt_f32_e32 vcc, s12, v5
	s_nop 1
	v_cndmask_b32_e32 v10, 1.0, v9, vcc
	v_mul_f32_e32 v5, v5, v10
	v_log_f32_e32 v5, v5
	v_mov_b32_e32 v10, 0x41b17218
	v_cndmask_b32_e32 v11, 0, v10, vcc
	v_mul_f32_e32 v12, 0x3f317217, v5
	v_fma_f32 v12, v5, s7, -v12
	v_fmac_f32_e32 v12, 0x3377d1cf, v5
	v_fmac_f32_e32 v12, 0x3f317217, v5
	v_cmp_lt_f32_e64 vcc, |v5|, s13
	s_nop 1
	v_cndmask_b32_e32 v5, v5, v12, vcc
	v_sub_f32_e32 v5, v5, v11
	v_cmp_lt_f16_e32 vcc, s6, v6
	s_nop 1
	v_cndmask_b32_e32 v4, v5, v4, vcc
	v_mul_f32_e32 v5, 0x4f800000, v4
	v_cmp_gt_f32_e32 vcc, s14, v4
	s_nop 1
	v_cndmask_b32_e32 v4, v4, v5, vcc
	v_sqrt_f32_e32 v5, v4
	s_nop 0
	v_add_u32_e32 v11, -1, v5
	v_fma_f32 v12, -v11, v5, v4
	v_cmp_ge_f32_e64 s[4:5], 0, v12
	v_add_u32_e32 v12, 1, v5
	s_nop 0
	v_cndmask_b32_e64 v11, v5, v11, s[4:5]
	v_fma_f32 v5, -v12, v5, v4
	v_cmp_lt_f32_e64 s[4:5], 0, v5
	s_nop 1
	v_cndmask_b32_e64 v5, v11, v12, s[4:5]
	v_mul_f32_e32 v11, 0x37800000, v5
	v_cndmask_b32_e32 v11, v5, v11, vcc
	v_mov_b32_e32 v5, 0x260
	v_cmp_class_f32_e64 s[4:5], v4, v5
	s_and_b64 vcc, exec, s[2:3]
	s_nop 0
	v_cndmask_b32_e64 v4, v11, v4, s[4:5]
	s_cbranch_vccnz .LBB255_14
; %bb.13:
	s_load_dword s4, s[10:11], 0x10
	s_waitcnt lgkmcnt(0)
	v_add_f32_e32 v4, s4, v4
.LBB255_14:
	v_cvt_f32_f16_sdwa v11, v6 dst_sel:DWORD dst_unused:UNUSED_PAD src0_sel:WORD_1
	v_mul_f32_e32 v12, 0x3fb8aa3b, v11
	v_exp_f32_e32 v12, v12
	s_nop 0
	v_add_f32_e32 v12, 1.0, v12
	v_cmp_gt_f32_e32 vcc, s12, v12
	s_nop 1
	v_cndmask_b32_e32 v9, 1.0, v9, vcc
	v_mul_f32_e32 v9, v12, v9
	v_log_f32_e32 v9, v9
	v_cndmask_b32_e32 v10, 0, v10, vcc
	v_mul_f32_e32 v12, 0x3f317217, v9
	v_fma_f32 v12, v9, s7, -v12
	v_fmac_f32_e32 v12, 0x3377d1cf, v9
	v_fmac_f32_e32 v12, 0x3f317217, v9
	v_cmp_lt_f32_e64 vcc, |v9|, s13
	s_nop 1
	v_cndmask_b32_e32 v9, v9, v12, vcc
	v_sub_f32_e32 v9, v9, v10
	v_cmp_gt_f16_sdwa vcc, v6, s6 src0_sel:WORD_1 src1_sel:DWORD
	s_nop 1
	v_cndmask_b32_e32 v6, v9, v11, vcc
	v_mul_f32_e32 v9, 0x4f800000, v6
	v_cmp_gt_f32_e64 s[4:5], s14, v6
	s_and_b64 vcc, exec, s[2:3]
	s_nop 0
	v_cndmask_b32_e64 v6, v6, v9, s[4:5]
	v_sqrt_f32_e32 v9, v6
	s_nop 0
	v_add_u32_e32 v10, -1, v9
	v_add_u32_e32 v11, 1, v9
	v_fma_f32 v12, -v10, v9, v6
	v_fma_f32 v13, -v11, v9, v6
	v_cmp_ge_f32_e64 s[6:7], 0, v12
	s_nop 1
	v_cndmask_b32_e64 v9, v9, v10, s[6:7]
	v_cmp_lt_f32_e64 s[6:7], 0, v13
	s_nop 1
	v_cndmask_b32_e64 v9, v9, v11, s[6:7]
	v_mul_f32_e32 v10, 0x37800000, v9
	v_cndmask_b32_e64 v9, v9, v10, s[4:5]
	v_cmp_class_f32_e64 s[4:5], v6, v5
	s_nop 1
	v_cndmask_b32_e64 v5, v9, v6, s[4:5]
	s_cbranch_vccnz .LBB255_16
; %bb.15:
	s_load_dword s4, s[10:11], 0x14
	s_waitcnt lgkmcnt(0)
	v_add_f32_e32 v5, s4, v5
.LBB255_16:
	v_cvt_f32_f16_e32 v6, v7
	v_mov_b32_e32 v10, 0x4f800000
	s_mov_b32 s7, 0x3f317217
	s_movk_i32 s6, 0x4d00
	v_mul_f32_e32 v9, 0x3fb8aa3b, v6
	v_exp_f32_e32 v9, v9
	s_nop 0
	v_add_f32_e32 v9, 1.0, v9
	v_cmp_gt_f32_e32 vcc, s12, v9
	s_nop 1
	v_cndmask_b32_e32 v11, 1.0, v10, vcc
	v_mul_f32_e32 v9, v9, v11
	v_log_f32_e32 v9, v9
	v_mov_b32_e32 v11, 0x41b17218
	v_cndmask_b32_e32 v12, 0, v11, vcc
	v_mul_f32_e32 v13, 0x3f317217, v9
	v_fma_f32 v13, v9, s7, -v13
	v_fmac_f32_e32 v13, 0x3377d1cf, v9
	v_fmac_f32_e32 v13, 0x3f317217, v9
	v_cmp_lt_f32_e64 vcc, |v9|, s13
	s_nop 1
	v_cndmask_b32_e32 v9, v9, v13, vcc
	v_sub_f32_e32 v9, v9, v12
	v_cmp_lt_f16_e32 vcc, s6, v7
	s_nop 1
	v_cndmask_b32_e32 v6, v9, v6, vcc
	v_mul_f32_e32 v9, 0x4f800000, v6
	v_cmp_gt_f32_e32 vcc, s14, v6
	s_nop 1
	v_cndmask_b32_e32 v6, v6, v9, vcc
	v_sqrt_f32_e32 v9, v6
	s_nop 0
	v_add_u32_e32 v12, -1, v9
	v_fma_f32 v13, -v12, v9, v6
	v_cmp_ge_f32_e64 s[4:5], 0, v13
	v_add_u32_e32 v13, 1, v9
	s_nop 0
	v_cndmask_b32_e64 v12, v9, v12, s[4:5]
	v_fma_f32 v9, -v13, v9, v6
	v_cmp_lt_f32_e64 s[4:5], 0, v9
	s_nop 1
	v_cndmask_b32_e64 v9, v12, v13, s[4:5]
	v_mul_f32_e32 v12, 0x37800000, v9
	v_cndmask_b32_e32 v12, v9, v12, vcc
	v_mov_b32_e32 v9, 0x260
	v_cmp_class_f32_e64 s[4:5], v6, v9
	s_and_b64 vcc, exec, s[2:3]
	s_nop 0
	v_cndmask_b32_e64 v6, v12, v6, s[4:5]
	s_cbranch_vccnz .LBB255_18
; %bb.17:
	s_load_dword s4, s[10:11], 0x18
	s_waitcnt lgkmcnt(0)
	v_add_f32_e32 v6, s4, v6
.LBB255_18:
	v_cvt_f32_f16_sdwa v12, v7 dst_sel:DWORD dst_unused:UNUSED_PAD src0_sel:WORD_1
	v_mul_f32_e32 v13, 0x3fb8aa3b, v12
	v_exp_f32_e32 v13, v13
	s_nop 0
	v_add_f32_e32 v13, 1.0, v13
	v_cmp_gt_f32_e32 vcc, s12, v13
	s_nop 1
	v_cndmask_b32_e32 v10, 1.0, v10, vcc
	v_mul_f32_e32 v10, v13, v10
	v_log_f32_e32 v10, v10
	v_cndmask_b32_e32 v11, 0, v11, vcc
	v_mul_f32_e32 v13, 0x3f317217, v10
	v_fma_f32 v13, v10, s7, -v13
	v_fmac_f32_e32 v13, 0x3377d1cf, v10
	v_fmac_f32_e32 v13, 0x3f317217, v10
	v_cmp_lt_f32_e64 vcc, |v10|, s13
	s_nop 1
	v_cndmask_b32_e32 v10, v10, v13, vcc
	v_sub_f32_e32 v10, v10, v11
	v_cmp_gt_f16_sdwa vcc, v7, s6 src0_sel:WORD_1 src1_sel:DWORD
	s_nop 1
	v_cndmask_b32_e32 v7, v10, v12, vcc
	v_mul_f32_e32 v10, 0x4f800000, v7
	v_cmp_gt_f32_e64 s[4:5], s14, v7
	s_and_b64 vcc, exec, s[2:3]
	s_nop 0
	v_cndmask_b32_e64 v7, v7, v10, s[4:5]
	v_sqrt_f32_e32 v10, v7
	s_nop 0
	v_add_u32_e32 v11, -1, v10
	v_add_u32_e32 v12, 1, v10
	v_fma_f32 v13, -v11, v10, v7
	v_fma_f32 v14, -v12, v10, v7
	v_cmp_ge_f32_e64 s[6:7], 0, v13
	s_nop 1
	v_cndmask_b32_e64 v10, v10, v11, s[6:7]
	v_cmp_lt_f32_e64 s[6:7], 0, v14
	s_nop 1
	v_cndmask_b32_e64 v10, v10, v12, s[6:7]
	v_mul_f32_e32 v11, 0x37800000, v10
	v_cndmask_b32_e64 v10, v10, v11, s[4:5]
	v_cmp_class_f32_e64 s[4:5], v7, v9
	s_nop 1
	v_cndmask_b32_e64 v7, v10, v7, s[4:5]
	s_cbranch_vccnz .LBB255_20
; %bb.19:
	s_load_dword s4, s[10:11], 0x1c
	s_waitcnt lgkmcnt(0)
	v_add_f32_e32 v7, s4, v7
.LBB255_20:
	s_load_dwordx4 s[12:15], s[0:1], 0x30
	s_mov_b32 s25, 0
	s_waitcnt lgkmcnt(0)
	s_bitcmp1_b32 s15, 0
	s_cselect_b64 s[4:5], -1, 0
	s_cmp_gt_i32 s12, 0
	s_cselect_b64 s[6:7], -1, 0
	s_and_b64 vcc, exec, s[6:7]
	v_mul_lo_u32 v10, v8, s12
	s_cbranch_vccz .LBB255_27
; %bb.21:
	s_load_dwordx4 s[16:19], s[0:1], 0x20
	v_mov_b32_e32 v13, 0
	v_mov_b32_e32 v11, 0xc61c4000
	;; [unrolled: 1-line block ×3, first 2 shown]
	s_branch .LBB255_23
.LBB255_22:                             ;   in Loop: Header=BB255_23 Depth=1
	v_add_f32_e32 v12, v9, v14
	v_cndmask_b32_e64 v9, v9, v12, s[4:5]
	s_cmp_lg_u32 s12, s25
	v_add_u32_e32 v8, s24, v8
	s_cbranch_scc0 .LBB255_28
.LBB255_23:                             ; =>This Inner Loop Header: Depth=1
	v_cmp_gt_f32_e32 vcc, v1, v0
	s_nop 1
	v_cndmask_b32_e32 v14, v0, v1, vcc
	v_cndmask_b32_e64 v12, 0, 1, vcc
	v_cmp_gt_f32_e32 vcc, v2, v14
	s_nop 1
	v_cndmask_b32_e32 v14, v14, v2, vcc
	v_cndmask_b32_e64 v12, v12, 2, vcc
	v_cmp_gt_f32_e32 vcc, v3, v14
	s_nop 1
	v_cndmask_b32_e32 v14, v14, v3, vcc
	v_cndmask_b32_e64 v12, v12, 3, vcc
	v_cmp_gt_f32_e32 vcc, v4, v14
	s_nop 1
	v_cndmask_b32_e32 v14, v14, v4, vcc
	v_cndmask_b32_e64 v12, v12, 4, vcc
	v_cmp_gt_f32_e32 vcc, v5, v14
	s_nop 1
	v_cndmask_b32_e32 v14, v14, v5, vcc
	v_cndmask_b32_e64 v12, v12, 5, vcc
	v_cmp_gt_f32_e32 vcc, v6, v14
	s_nop 1
	v_cndmask_b32_e32 v14, v14, v6, vcc
	v_cndmask_b32_e64 v12, v12, 6, vcc
	v_cmp_gt_f32_e64 s[0:1], v7, v14
	s_and_b64 vcc, exec, s[2:3]
	s_nop 0
	v_cndmask_b32_e64 v12, v12, 7, s[0:1]
	v_cndmask_b32_e64 v14, v14, v7, s[0:1]
	s_cbranch_vccnz .LBB255_25
; %bb.24:                               ;   in Loop: Header=BB255_23 Depth=1
	v_lshl_add_u64 v[16:17], v[12:13], 2, s[10:11]
	global_load_dword v15, v[16:17], off
	s_waitcnt vmcnt(0)
	v_sub_f32_e32 v14, v14, v15
.LBB255_25:                             ;   in Loop: Header=BB255_23 Depth=1
	v_add_u32_e32 v16, s25, v10
	v_cmp_le_i32_e32 vcc, s13, v12
	v_cmp_gt_i32_e64 s[0:1], s14, v12
	v_ashrrev_i32_e32 v17, 31, v16
	s_and_b64 s[0:1], vcc, s[0:1]
	v_lshlrev_b64 v[16:17], 2, v[16:17]
	v_lshl_add_u64 v[18:19], s[20:21], 0, v[16:17]
	v_subrev_u32_e32 v15, s13, v12
	s_and_b64 vcc, s[22:23], s[0:1]
	s_add_i32 s25, s25, 1
	global_store_dword v[18:19], v14, off
	v_cndmask_b32_e32 v15, 8, v15, vcc
	s_waitcnt lgkmcnt(0)
	v_lshl_add_u64 v[18:19], s[16:17], 0, v[16:17]
	v_lshl_add_u64 v[16:17], s[18:19], 0, v[16:17]
	s_cmp_ge_i32 s25, s12
	global_store_dword v[18:19], v15, off
	global_store_dword v[16:17], v8, off
	s_cbranch_scc1 .LBB255_22
; %bb.26:                               ;   in Loop: Header=BB255_23 Depth=1
	v_cmp_ne_u32_e32 vcc, 7, v12
	s_nop 1
	v_cndmask_b32_e32 v7, v11, v7, vcc
	v_cmp_ne_u32_e32 vcc, 6, v12
	s_nop 1
	v_cndmask_b32_e32 v6, v11, v6, vcc
	;; [unrolled: 3-line block ×8, first 2 shown]
	s_branch .LBB255_22
.LBB255_27:
	v_mov_b32_e32 v9, 0
.LBB255_28:
	s_andn2_b64 vcc, exec, s[4:5]
	v_cvt_f32_f64_e32 v0, s[8:9]
	s_cbranch_vccnz .LBB255_30
; %bb.29:
	v_cmp_lt_f32_e32 vcc, 0, v9
	s_nop 1
	v_cndmask_b32_e32 v1, 1.0, v9, vcc
	v_div_scale_f32 v2, s[0:1], v1, v1, v0
	v_rcp_f32_e32 v3, v2
	s_nop 0
	v_fma_f32 v4, -v2, v3, 1.0
	v_fmac_f32_e32 v3, v4, v3
	v_div_scale_f32 v4, vcc, v0, v1, v0
	v_mul_f32_e32 v5, v4, v3
	v_fma_f32 v6, -v2, v5, v4
	v_fmac_f32_e32 v5, v6, v3
	v_fma_f32 v2, -v2, v5, v4
	v_div_fmas_f32 v2, v2, v3, v5
	v_div_fixup_f32 v0, v2, v1, v0
.LBB255_30:
	s_andn2_b64 vcc, exec, s[6:7]
	s_cbranch_vccnz .LBB255_40
; %bb.31:
	s_cmp_gt_u32 s12, 3
	v_ashrrev_i32_e32 v11, 31, v10
	s_cbranch_scc0 .LBB255_35
; %bb.32:
	s_and_b32 s0, s12, 0x7ffffffc
	v_lshl_add_u64 v[2:3], v[10:11], 2, s[20:21]
	v_mov_b32_e32 v1, v0
	v_lshl_add_u64 v[2:3], v[2:3], 0, 8
	s_mov_b32 s1, s0
.LBB255_33:                             ; =>This Inner Loop Header: Depth=1
	global_load_dwordx4 v[4:7], v[2:3], off offset:-8
	s_add_i32 s1, s1, -4
	s_cmp_lg_u32 s1, 0
	s_waitcnt vmcnt(0)
	v_pk_mul_f32 v[4:5], v[0:1], v[4:5]
	v_pk_mul_f32 v[6:7], v[0:1], v[6:7]
	global_store_dwordx4 v[2:3], v[4:7], off offset:-8
	v_lshl_add_u64 v[2:3], v[2:3], 0, 16
	s_cbranch_scc1 .LBB255_33
; %bb.34:
	s_cmp_lg_u32 s0, s12
	s_cselect_b64 s[2:3], -1, 0
	s_branch .LBB255_37
.LBB255_35:
	s_mov_b64 s[2:3], 0
                                        ; implicit-def: $sgpr0
	s_cbranch_execz .LBB255_37
; %bb.36:
	s_mov_b64 s[2:3], -1
	s_mov_b32 s0, 0
.LBB255_37:
	s_andn2_b64 vcc, exec, s[2:3]
	s_cbranch_vccnz .LBB255_40
; %bb.38:
	s_mov_b32 s1, 0
	v_lshl_add_u64 v[2:3], v[10:11], 0, s[0:1]
	s_sub_i32 s2, s12, s0
	v_lshl_add_u64 v[2:3], v[2:3], 2, s[20:21]
.LBB255_39:                             ; =>This Inner Loop Header: Depth=1
	global_load_dword v1, v[2:3], off
	s_add_i32 s2, s2, -1
	s_cmp_lg_u32 s2, 0
	s_waitcnt vmcnt(0)
	v_mul_f32_e32 v1, v0, v1
	global_store_dword v[2:3], v1, off
	v_lshl_add_u64 v[2:3], v[2:3], 0, 4
	s_cbranch_scc1 .LBB255_39
.LBB255_40:
	s_endpgm
	.section	.rodata,"a",@progbits
	.p2align	6, 0x0
	.amdhsa_kernel _ZN4vllm3moe22topkGatingSoftplusSqrtILi8ELi8ELi4ELi16ELi32ELb0Ej6__halfEEvPKT6_PKbPfiPT5_PiiiibdPKfPKS9_SF_
		.amdhsa_group_segment_fixed_size 0
		.amdhsa_private_segment_fixed_size 0
		.amdhsa_kernarg_size 96
		.amdhsa_user_sgpr_count 2
		.amdhsa_user_sgpr_dispatch_ptr 0
		.amdhsa_user_sgpr_queue_ptr 0
		.amdhsa_user_sgpr_kernarg_segment_ptr 1
		.amdhsa_user_sgpr_dispatch_id 0
		.amdhsa_user_sgpr_kernarg_preload_length 0
		.amdhsa_user_sgpr_kernarg_preload_offset 0
		.amdhsa_user_sgpr_private_segment_size 0
		.amdhsa_uses_dynamic_stack 0
		.amdhsa_enable_private_segment 0
		.amdhsa_system_sgpr_workgroup_id_x 1
		.amdhsa_system_sgpr_workgroup_id_y 0
		.amdhsa_system_sgpr_workgroup_id_z 0
		.amdhsa_system_sgpr_workgroup_info 0
		.amdhsa_system_vgpr_workitem_id 1
		.amdhsa_next_free_vgpr 20
		.amdhsa_next_free_sgpr 26
		.amdhsa_accum_offset 20
		.amdhsa_reserve_vcc 1
		.amdhsa_float_round_mode_32 0
		.amdhsa_float_round_mode_16_64 0
		.amdhsa_float_denorm_mode_32 3
		.amdhsa_float_denorm_mode_16_64 3
		.amdhsa_dx10_clamp 1
		.amdhsa_ieee_mode 1
		.amdhsa_fp16_overflow 0
		.amdhsa_tg_split 0
		.amdhsa_exception_fp_ieee_invalid_op 0
		.amdhsa_exception_fp_denorm_src 0
		.amdhsa_exception_fp_ieee_div_zero 0
		.amdhsa_exception_fp_ieee_overflow 0
		.amdhsa_exception_fp_ieee_underflow 0
		.amdhsa_exception_fp_ieee_inexact 0
		.amdhsa_exception_int_div_zero 0
	.end_amdhsa_kernel
	.section	.text._ZN4vllm3moe22topkGatingSoftplusSqrtILi8ELi8ELi4ELi16ELi32ELb0Ej6__halfEEvPKT6_PKbPfiPT5_PiiiibdPKfPKS9_SF_,"axG",@progbits,_ZN4vllm3moe22topkGatingSoftplusSqrtILi8ELi8ELi4ELi16ELi32ELb0Ej6__halfEEvPKT6_PKbPfiPT5_PiiiibdPKfPKS9_SF_,comdat
.Lfunc_end255:
	.size	_ZN4vllm3moe22topkGatingSoftplusSqrtILi8ELi8ELi4ELi16ELi32ELb0Ej6__halfEEvPKT6_PKbPfiPT5_PiiiibdPKfPKS9_SF_, .Lfunc_end255-_ZN4vllm3moe22topkGatingSoftplusSqrtILi8ELi8ELi4ELi16ELi32ELb0Ej6__halfEEvPKT6_PKbPfiPT5_PiiiibdPKfPKS9_SF_
                                        ; -- End function
	.section	.AMDGPU.csdata,"",@progbits
; Kernel info:
; codeLenInByte = 3352
; NumSgprs: 32
; NumVgprs: 20
; NumAgprs: 0
; TotalNumVgprs: 20
; ScratchSize: 0
; MemoryBound: 0
; FloatMode: 240
; IeeeMode: 1
; LDSByteSize: 0 bytes/workgroup (compile time only)
; SGPRBlocks: 3
; VGPRBlocks: 2
; NumSGPRsForWavesPerEU: 32
; NumVGPRsForWavesPerEU: 20
; AccumOffset: 20
; Occupancy: 8
; WaveLimiterHint : 0
; COMPUTE_PGM_RSRC2:SCRATCH_EN: 0
; COMPUTE_PGM_RSRC2:USER_SGPR: 2
; COMPUTE_PGM_RSRC2:TRAP_HANDLER: 0
; COMPUTE_PGM_RSRC2:TGID_X_EN: 1
; COMPUTE_PGM_RSRC2:TGID_Y_EN: 0
; COMPUTE_PGM_RSRC2:TGID_Z_EN: 0
; COMPUTE_PGM_RSRC2:TIDIG_COMP_CNT: 1
; COMPUTE_PGM_RSRC3_GFX90A:ACCUM_OFFSET: 4
; COMPUTE_PGM_RSRC3_GFX90A:TG_SPLIT: 0
	.section	.text._ZN4vllm3moe22topkGatingSoftplusSqrtILi8ELi16ELi4ELi16ELi64ELb1Ej6__halfEEvPKT6_PKbPfiPT5_PiiiibdPKfPKS9_SF_,"axG",@progbits,_ZN4vllm3moe22topkGatingSoftplusSqrtILi8ELi16ELi4ELi16ELi64ELb1Ej6__halfEEvPKT6_PKbPfiPT5_PiiiibdPKfPKS9_SF_,comdat
	.protected	_ZN4vllm3moe22topkGatingSoftplusSqrtILi8ELi16ELi4ELi16ELi64ELb1Ej6__halfEEvPKT6_PKbPfiPT5_PiiiibdPKfPKS9_SF_ ; -- Begin function _ZN4vllm3moe22topkGatingSoftplusSqrtILi8ELi16ELi4ELi16ELi64ELb1Ej6__halfEEvPKT6_PKbPfiPT5_PiiiibdPKfPKS9_SF_
	.globl	_ZN4vllm3moe22topkGatingSoftplusSqrtILi8ELi16ELi4ELi16ELi64ELb1Ej6__halfEEvPKT6_PKbPfiPT5_PiiiibdPKfPKS9_SF_
	.p2align	8
	.type	_ZN4vllm3moe22topkGatingSoftplusSqrtILi8ELi16ELi4ELi16ELi64ELb1Ej6__halfEEvPKT6_PKbPfiPT5_PiiiibdPKfPKS9_SF_,@function
_ZN4vllm3moe22topkGatingSoftplusSqrtILi8ELi16ELi4ELi16ELi64ELb1Ej6__halfEEvPKT6_PKbPfiPT5_PiiiibdPKfPKS9_SF_: ; @_ZN4vllm3moe22topkGatingSoftplusSqrtILi8ELi16ELi4ELi16ELi64ELb1Ej6__halfEEvPKT6_PKbPfiPT5_PiiiibdPKfPKS9_SF_
; %bb.0:
	s_load_dword s3, s[0:1], 0x18
	v_bfe_u32 v1, v0, 10, 10
	v_and_b32_e32 v8, 0x3ff, v0
	s_lshl_b32 s2, s2, 7
	v_lshlrev_b32_e32 v1, 5, v1
	v_lshrrev_b32_e32 v0, 1, v8
	v_add3_u32 v6, s2, v1, v0
	s_waitcnt lgkmcnt(0)
	v_cmp_gt_i32_e32 vcc, s3, v6
	s_and_saveexec_b64 s[2:3], vcc
	s_cbranch_execz .LBB256_32
; %bb.1:
	s_load_dwordx2 s[2:3], s[0:1], 0x0
	s_load_dword s33, s[0:1], 0x30
	v_lshlrev_b32_e32 v0, 4, v6
	v_lshlrev_b32_e32 v2, 3, v8
	v_ashrrev_i32_e32 v1, 31, v0
	v_and_b32_e32 v10, 8, v2
	s_waitcnt lgkmcnt(0)
	v_lshl_add_u64 v[0:1], v[0:1], 1, s[2:3]
	v_lshlrev_b32_e32 v4, 1, v10
	v_mov_b32_e32 v5, 0
	v_lshl_add_u64 v[0:1], v[0:1], 0, v[4:5]
	global_load_dwordx4 v[0:3], v[0:1], off
	s_load_dwordx4 s[8:11], s[0:1], 0x50
	v_ashrrev_i32_e32 v7, 31, v6
	s_mov_b32 s15, 0x800000
	s_mov_b32 s13, 0x3f317217
	;; [unrolled: 1-line block ×3, first 2 shown]
	s_waitcnt lgkmcnt(0)
	v_mov_b32_e32 v12, s8
	v_mov_b32_e32 v13, s9
	v_lshl_add_u64 v[12:13], v[6:7], 2, v[12:13]
	global_load_dword v4, v[12:13], off
	v_mov_b32_e32 v7, 0x4f800000
	v_mov_b32_e32 v9, 0x41b17218
	s_movk_i32 s9, 0x4d00
	s_mov_b32 s12, 0xf800000
	v_mov_b32_e32 v19, 0x260
	s_cmp_gt_i32 s33, 0
	s_mov_b32 s8, 0
	s_waitcnt vmcnt(1)
	v_cvt_f32_f16_e32 v11, v0
	v_cvt_f32_f16_sdwa v16, v0 dst_sel:DWORD dst_unused:UNUSED_PAD src0_sel:WORD_1
	v_cvt_f32_f16_e32 v17, v1
	v_cvt_f32_f16_sdwa v18, v1 dst_sel:DWORD dst_unused:UNUSED_PAD src0_sel:WORD_1
	v_mul_f32_e32 v12, 0x3fb8aa3b, v11
	v_mul_f32_e32 v13, 0x3fb8aa3b, v16
	v_exp_f32_e32 v12, v12
	v_exp_f32_e32 v13, v13
	v_mul_f32_e32 v14, 0x3fb8aa3b, v17
	v_mul_f32_e32 v15, 0x3fb8aa3b, v18
	v_exp_f32_e32 v14, v14
	v_exp_f32_e32 v15, v15
	v_pk_add_f32 v[12:13], v[12:13], 1.0 op_sel_hi:[1,0]
	s_waitcnt vmcnt(0)
	v_mul_lo_u32 v4, v4, s33
	v_cmp_gt_f32_e32 vcc, s15, v13
	v_pk_add_f32 v[14:15], v[14:15], 1.0 op_sel_hi:[1,0]
	v_cmp_gt_f32_e64 s[2:3], s15, v12
	v_cndmask_b32_e32 v20, 1.0, v7, vcc
	v_cmp_gt_f32_e64 s[4:5], s15, v15
	v_cndmask_b32_e64 v21, 1.0, v7, s[2:3]
	v_mul_f32_e32 v13, v13, v20
	v_cndmask_b32_e64 v22, 1.0, v7, s[4:5]
	v_cmp_gt_f32_e64 s[6:7], s15, v14
	v_mul_f32_e32 v12, v12, v21
	v_log_f32_e32 v13, v13
	v_cndmask_b32_e64 v23, 1.0, v7, s[6:7]
	v_mul_f32_e32 v15, v15, v22
	v_log_f32_e32 v12, v12
	v_mul_f32_e32 v14, v14, v23
	v_log_f32_e32 v15, v15
	v_log_f32_e32 v14, v14
	v_mul_f32_e32 v23, 0x3f317217, v13
	v_mul_f32_e32 v24, 0x3f317217, v12
	v_fma_f32 v23, v13, s13, -v23
	v_mul_f32_e32 v25, 0x3f317217, v15
	v_fma_f32 v24, v12, s13, -v24
	v_fmac_f32_e32 v23, 0x3377d1cf, v13
	v_cndmask_b32_e32 v20, 0, v9, vcc
	v_mul_f32_e32 v26, 0x3f317217, v14
	v_fma_f32 v25, v15, s13, -v25
	v_fmac_f32_e32 v24, 0x3377d1cf, v12
	v_fmac_f32_e32 v23, 0x3f317217, v13
	v_cmp_lt_f32_e64 vcc, |v13|, s14
	v_fma_f32 v26, v14, s13, -v26
	v_fmac_f32_e32 v25, 0x3377d1cf, v15
	v_fmac_f32_e32 v24, 0x3f317217, v12
	v_cndmask_b32_e32 v13, v13, v23, vcc
	v_cmp_lt_f32_e64 vcc, |v12|, s14
	v_fmac_f32_e32 v26, 0x3377d1cf, v14
	v_fmac_f32_e32 v25, 0x3f317217, v15
	v_cndmask_b32_e32 v12, v12, v24, vcc
	v_cmp_lt_f32_e64 vcc, |v15|, s14
	v_cndmask_b32_e64 v21, 0, v9, s[2:3]
	v_fmac_f32_e32 v26, 0x3f317217, v14
	v_cndmask_b32_e32 v15, v15, v25, vcc
	v_cmp_lt_f32_e64 vcc, |v14|, s14
	v_sub_f32_e32 v12, v12, v21
	v_sub_f32_e32 v13, v13, v20
	v_cndmask_b32_e32 v14, v14, v26, vcc
	v_cmp_lt_f16_e32 vcc, s9, v0
	v_cndmask_b32_e64 v22, 0, v9, s[4:5]
	v_sub_f32_e32 v15, v15, v22
	v_cndmask_b32_e32 v11, v12, v11, vcc
	v_cmp_gt_f16_sdwa vcc, v0, s9 src0_sel:WORD_1 src1_sel:DWORD
	v_cmp_gt_f32_e64 s[2:3], s12, v11
	s_nop 0
	v_cndmask_b32_e32 v0, v13, v16, vcc
	v_mul_f32_e32 v12, 0x4f800000, v0
	v_cmp_gt_f32_e32 vcc, s12, v0
	v_mul_f32_e32 v13, 0x4f800000, v11
	v_cndmask_b32_e64 v11, v11, v13, s[2:3]
	v_cndmask_b32_e32 v0, v0, v12, vcc
	v_sqrt_f32_e32 v12, v0
	v_sqrt_f32_e32 v13, v11
	v_add_u32_e32 v16, -1, v12
	v_add_u32_e32 v21, -1, v13
	v_fma_f32 v23, -v16, v12, v0
	v_add_u32_e32 v20, 1, v12
	v_fma_f32 v25, -v21, v13, v11
	v_cmp_ge_f32_e64 s[4:5], 0, v23
	v_add_u32_e32 v22, 1, v13
	v_fma_f32 v24, -v20, v12, v0
	v_cndmask_b32_e64 v12, v12, v16, s[4:5]
	v_cmp_ge_f32_e64 s[4:5], 0, v25
	v_fma_f32 v26, -v22, v13, v11
	s_nop 0
	v_cndmask_b32_e64 v13, v13, v21, s[4:5]
	v_cmp_lt_f32_e64 s[4:5], 0, v24
	s_nop 1
	v_cndmask_b32_e64 v12, v12, v20, s[4:5]
	v_cmp_lt_f32_e64 s[4:5], 0, v26
	v_mul_f32_e32 v16, 0x37800000, v12
	v_cndmask_b32_e32 v12, v12, v16, vcc
	v_cndmask_b32_e64 v13, v13, v22, s[4:5]
	v_mul_f32_e32 v20, 0x37800000, v13
	v_cmp_class_f32_e32 vcc, v0, v19
	v_cndmask_b32_e64 v16, v13, v20, s[2:3]
	v_cmp_lt_f16_e64 s[2:3], s9, v1
	v_cndmask_b32_e32 v13, v12, v0, vcc
	v_cmp_class_f32_e32 vcc, v11, v19
	v_cndmask_b32_e64 v0, 0, v9, s[6:7]
	v_sub_f32_e32 v0, v14, v0
	v_cndmask_b32_e32 v12, v16, v11, vcc
	v_cmp_gt_f16_sdwa vcc, v1, s9 src0_sel:WORD_1 src1_sel:DWORD
	v_cndmask_b32_e64 v0, v0, v17, s[2:3]
	v_cvt_f32_f16_e32 v17, v2
	v_cndmask_b32_e32 v11, v15, v18, vcc
	v_mul_f32_e32 v15, 0x4f800000, v11
	v_cmp_gt_f32_e32 vcc, s12, v11
	v_cvt_f32_f16_sdwa v18, v2 dst_sel:DWORD dst_unused:UNUSED_PAD src0_sel:WORD_1
	s_nop 0
	v_cndmask_b32_e32 v11, v11, v15, vcc
	v_sqrt_f32_e32 v15, v11
	s_nop 0
	v_add_u32_e32 v1, -1, v15
	v_fma_f32 v14, -v1, v15, v11
	v_cmp_ge_f32_e64 s[2:3], 0, v14
	v_add_u32_e32 v14, 1, v15
	s_nop 0
	v_cndmask_b32_e64 v1, v15, v1, s[2:3]
	v_fma_f32 v15, -v14, v15, v11
	v_cmp_lt_f32_e64 s[2:3], 0, v15
	v_mul_f32_e32 v15, 0x4f800000, v0
	s_nop 0
	v_cndmask_b32_e64 v1, v1, v14, s[2:3]
	v_cmp_gt_f32_e64 s[2:3], s12, v0
	v_mul_f32_e32 v14, 0x37800000, v1
	v_cndmask_b32_e32 v1, v1, v14, vcc
	v_cndmask_b32_e64 v16, v0, v15, s[2:3]
	v_sqrt_f32_e32 v0, v16
	v_cmp_class_f32_e32 vcc, v11, v19
	v_add_u32_e32 v14, 1, v0
	s_nop 0
	v_cndmask_b32_e32 v15, v1, v11, vcc
	v_add_u32_e32 v1, -1, v0
	v_fma_f32 v11, -v1, v0, v16
	v_cmp_ge_f32_e32 vcc, 0, v11
	v_fma_f32 v20, -v14, v0, v16
	s_nop 0
	v_cndmask_b32_e32 v11, v0, v1, vcc
	v_mul_f32_e32 v0, 0x3fb8aa3b, v17
	v_mul_f32_e32 v1, 0x3fb8aa3b, v18
	v_exp_f32_e32 v0, v0
	v_exp_f32_e32 v1, v1
	v_cmp_lt_f32_e32 vcc, 0, v20
	v_pk_add_f32 v[0:1], v[0:1], 1.0 op_sel_hi:[1,0]
	s_nop 0
	v_cndmask_b32_e32 v11, v11, v14, vcc
	v_mul_f32_e32 v14, 0x37800000, v11
	v_cmp_gt_f32_e32 vcc, s15, v1
	v_cndmask_b32_e64 v11, v11, v14, s[2:3]
	v_cmp_class_f32_e64 s[2:3], v16, v19
	v_cndmask_b32_e32 v14, 1.0, v7, vcc
	v_mul_f32_e32 v1, v1, v14
	v_log_f32_e32 v1, v1
	v_cndmask_b32_e64 v14, v11, v16, s[2:3]
	v_cmp_gt_f32_e64 s[2:3], s15, v0
	scratch_store_dwordx4 off, v[12:15], off
	v_mul_f32_e32 v11, 0x3f317217, v1
	v_fma_f32 v11, v1, s13, -v11
	v_cndmask_b32_e64 v12, 1.0, v7, s[2:3]
	v_mul_f32_e32 v0, v0, v12
	v_log_f32_e32 v0, v0
	v_fmac_f32_e32 v11, 0x3377d1cf, v1
	v_fmac_f32_e32 v11, 0x3f317217, v1
	v_cmp_lt_f32_e64 s[4:5], |v1|, s14
	v_cvt_f32_f16_sdwa v15, v3 dst_sel:DWORD dst_unused:UNUSED_PAD src0_sel:WORD_1
	v_mul_f32_e32 v13, 0x3fb8aa3b, v15
	v_cndmask_b32_e64 v1, v1, v11, s[4:5]
	v_cndmask_b32_e32 v11, 0, v9, vcc
	v_sub_f32_e32 v1, v1, v11
	v_mul_f32_e32 v11, 0x3f317217, v0
	v_fma_f32 v11, v0, s13, -v11
	v_fmac_f32_e32 v11, 0x3377d1cf, v0
	v_fmac_f32_e32 v11, 0x3f317217, v0
	v_cmp_lt_f32_e64 vcc, |v0|, s14
	v_exp_f32_e32 v13, v13
	s_nop 0
	v_cndmask_b32_e32 v0, v0, v11, vcc
	v_cmp_gt_f16_sdwa vcc, v2, s9 src0_sel:WORD_1 src1_sel:DWORD
	v_cndmask_b32_e64 v11, 0, v9, s[2:3]
	v_cmp_lt_f16_e64 s[2:3], s9, v2
	v_cndmask_b32_e32 v1, v1, v18, vcc
	v_mul_f32_e32 v12, 0x4f800000, v1
	v_cmp_gt_f32_e32 vcc, s12, v1
	v_sub_f32_e32 v0, v0, v11
	v_cndmask_b32_e64 v0, v0, v17, s[2:3]
	v_cndmask_b32_e32 v1, v1, v12, vcc
	v_sqrt_f32_e32 v12, v1
	s_nop 0
	v_add_u32_e32 v2, -1, v12
	v_fma_f32 v11, -v2, v12, v1
	v_cmp_ge_f32_e64 s[2:3], 0, v11
	v_add_u32_e32 v11, 1, v12
	s_nop 0
	v_cndmask_b32_e64 v2, v12, v2, s[2:3]
	v_fma_f32 v12, -v11, v12, v1
	v_cmp_lt_f32_e64 s[2:3], 0, v12
	v_mul_f32_e32 v12, 0x4f800000, v0
	s_nop 0
	v_cndmask_b32_e64 v2, v2, v11, s[2:3]
	v_cmp_gt_f32_e64 s[2:3], s12, v0
	v_mul_f32_e32 v11, 0x37800000, v2
	v_cndmask_b32_e32 v2, v2, v11, vcc
	v_cndmask_b32_e64 v0, v0, v12, s[2:3]
	v_sqrt_f32_e32 v12, v0
	v_cmp_class_f32_e32 vcc, v1, v19
	v_add_u32_e32 v14, 1, v12
	s_nop 0
	v_cndmask_b32_e32 v1, v2, v1, vcc
	v_add_u32_e32 v2, -1, v12
	v_fma_f32 v11, -v2, v12, v0
	v_cmp_ge_f32_e32 vcc, 0, v11
	v_cvt_f32_f16_e32 v11, v3
	v_fma_f32 v16, -v14, v12, v0
	v_cndmask_b32_e32 v2, v12, v2, vcc
	v_cmp_lt_f32_e32 vcc, 0, v16
	v_mul_f32_e32 v12, 0x3fb8aa3b, v11
	v_exp_f32_e32 v12, v12
	v_cndmask_b32_e32 v2, v2, v14, vcc
	v_mul_f32_e32 v14, 0x37800000, v2
	v_cndmask_b32_e64 v2, v2, v14, s[2:3]
	v_pk_add_f32 v[12:13], v[12:13], 1.0 op_sel_hi:[1,0]
	v_cmp_class_f32_e64 s[2:3], v0, v19
	v_cmp_gt_f32_e32 vcc, s15, v13
	s_nop 0
	v_cndmask_b32_e64 v0, v2, v0, s[2:3]
	v_cndmask_b32_e32 v16, 1.0, v7, vcc
	v_mul_f32_e32 v13, v13, v16
	v_log_f32_e32 v13, v13
	v_cmp_gt_f32_e64 s[2:3], s15, v12
	v_mul_f32_e32 v2, 0x3f317217, v13
	s_nop 0
	v_cndmask_b32_e64 v7, 1.0, v7, s[2:3]
	v_mul_f32_e32 v7, v12, v7
	v_fma_f32 v2, v13, s13, -v2
	v_log_f32_e32 v7, v7
	v_fmac_f32_e32 v2, 0x3377d1cf, v13
	v_fmac_f32_e32 v2, 0x3f317217, v13
	v_cmp_lt_f32_e64 s[4:5], |v13|, s14
	v_cndmask_b32_e32 v12, 0, v9, vcc
	v_cmp_lt_f32_e64 vcc, |v7|, s14
	v_cndmask_b32_e64 v2, v13, v2, s[4:5]
	v_sub_f32_e32 v2, v2, v12
	v_mul_f32_e32 v12, 0x3f317217, v7
	v_fma_f32 v12, v7, s13, -v12
	v_fmac_f32_e32 v12, 0x3377d1cf, v7
	v_fmac_f32_e32 v12, 0x3f317217, v7
	v_cndmask_b32_e32 v7, v7, v12, vcc
	v_cmp_gt_f16_sdwa vcc, v3, s9 src0_sel:WORD_1 src1_sel:DWORD
	v_cndmask_b32_e64 v9, 0, v9, s[2:3]
	v_sub_f32_e32 v7, v7, v9
	v_cndmask_b32_e32 v2, v2, v15, vcc
	v_mul_f32_e32 v12, 0x4f800000, v2
	v_cmp_gt_f32_e32 vcc, s12, v2
	v_cmp_lt_f16_e64 s[2:3], s9, v3
	s_cselect_b64 s[4:5], -1, 0
	v_cndmask_b32_e32 v2, v2, v12, vcc
	v_sqrt_f32_e32 v12, v2
	v_cndmask_b32_e64 v3, v7, v11, s[2:3]
	s_cmp_lt_i32 s33, 1
	v_add_u32_e32 v7, -1, v12
	v_fma_f32 v9, -v7, v12, v2
	v_cmp_ge_f32_e64 s[2:3], 0, v9
	v_add_u32_e32 v9, 1, v12
	v_fma_f32 v11, -v9, v12, v2
	v_cndmask_b32_e64 v7, v12, v7, s[2:3]
	v_cmp_lt_f32_e64 s[2:3], 0, v11
	v_mul_f32_e32 v11, 0x4f800000, v3
	s_nop 0
	v_cndmask_b32_e64 v7, v7, v9, s[2:3]
	v_cmp_gt_f32_e64 s[2:3], s12, v3
	v_mul_f32_e32 v9, 0x37800000, v7
	s_nop 0
	v_cndmask_b32_e64 v11, v3, v11, s[2:3]
	v_sqrt_f32_e32 v12, v11
	v_cndmask_b32_e32 v3, v7, v9, vcc
	v_cmp_class_f32_e32 vcc, v2, v19
	s_nop 1
	v_cndmask_b32_e32 v3, v3, v2, vcc
	v_add_u32_e32 v2, -1, v12
	v_fma_f32 v7, -v2, v12, v11
	v_cmp_ge_f32_e32 vcc, 0, v7
	v_add_u32_e32 v7, 1, v12
	v_fma_f32 v9, -v7, v12, v11
	v_cndmask_b32_e32 v2, v12, v2, vcc
	v_cmp_lt_f32_e32 vcc, 0, v9
	s_nop 1
	v_cndmask_b32_e32 v2, v2, v7, vcc
	v_mul_f32_e32 v7, 0x37800000, v2
	v_cndmask_b32_e64 v2, v2, v7, s[2:3]
	v_cmp_class_f32_e32 vcc, v11, v19
	s_nop 1
	v_cndmask_b32_e32 v2, v2, v11, vcc
	scratch_store_dwordx4 off, v[0:3], off offset:16
	s_nop 1
	v_lshl_add_u64 v[2:3], v[4:5], 2, s[10:11]
	v_mul_lo_u32 v0, v6, s33
	s_cbranch_scc1 .LBB256_29
; %bb.2:
	s_load_dwordx2 s[6:7], s[0:1], 0x20
	s_cmp_lt_u32 s33, 4
	v_and_b32_e32 v4, 1, v8
	s_cbranch_scc1 .LBB256_21
; %bb.3:
	v_lshlrev_b32_e32 v5, 3, v4
	s_mov_b32 s11, 0
	s_and_b32 s8, s33, 0x7ffffffc
	v_ashrrev_i32_e32 v1, 31, v0
	v_sub_u32_e32 v11, 0, v5
	v_mov_b32_e32 v5, 0
	s_mov_b32 s10, s11
	s_branch .LBB256_5
.LBB256_4:                              ;   in Loop: Header=BB256_5 Depth=1
	s_or_b64 exec, exec, s[12:13]
	s_add_i32 s10, s10, 4
	s_cmp_eq_u32 s10, s8
	s_cbranch_scc1 .LBB256_22
.LBB256_5:                              ; =>This Loop Header: Depth=1
                                        ;     Child Loop BB256_7 Depth 2
                                        ;     Child Loop BB256_11 Depth 2
	;; [unrolled: 1-line block ×4, first 2 shown]
	v_lshl_add_u64 v[6:7], s[10:11], 2, v[2:3]
	global_load_dword v12, v[6:7], off
	v_add_u32_e32 v8, s10, v0
	v_ashrrev_i32_e32 v9, 31, v8
	v_mov_b32_e32 v13, 0
	s_mov_b64 s[12:13], 0
	s_waitcnt lgkmcnt(0)
	v_lshl_add_u64 v[8:9], v[8:9], 2, s[6:7]
	s_mov_b32 s9, 0
	s_waitcnt vmcnt(0)
	v_add_u32_e32 v14, v11, v12
	s_branch .LBB256_7
.LBB256_6:                              ;   in Loop: Header=BB256_7 Depth=2
	s_or_b64 exec, exec, s[14:15]
	s_add_i32 s16, s9, 1
	s_cmp_gt_u32 s9, 6
	s_cselect_b64 s[2:3], -1, 0
	s_xor_b64 s[14:15], vcc, -1
	s_or_b64 s[2:3], s[14:15], s[2:3]
	s_and_b64 s[2:3], exec, s[2:3]
	v_add_u32_e32 v13, 4, v13
	s_or_b64 s[12:13], s[2:3], s[12:13]
	s_mov_b32 s9, s16
	s_andn2_b64 exec, exec, s[12:13]
	s_cbranch_execz .LBB256_9
.LBB256_7:                              ;   Parent Loop BB256_5 Depth=1
                                        ; =>  This Inner Loop Header: Depth=2
	v_cmp_ne_u32_e32 vcc, s9, v14
	v_cmp_eq_u32_e64 s[2:3], s9, v14
	s_and_saveexec_b64 s[14:15], s[2:3]
	s_cbranch_execz .LBB256_6
; %bb.8:                                ;   in Loop: Header=BB256_7 Depth=2
	scratch_load_dword v15, v13, off
	s_waitcnt vmcnt(0)
	v_add_f32_e32 v5, v5, v15
	global_store_dword v[8:9], v12, off
	s_branch .LBB256_6
.LBB256_9:                              ;   in Loop: Header=BB256_5 Depth=1
	s_or_b64 exec, exec, s[12:13]
	global_load_dword v12, v[6:7], off offset:4
	s_ashr_i32 s3, s10, 31
	s_mov_b32 s2, s10
	v_lshl_add_u64 v[8:9], s[2:3], 0, v[0:1]
	v_mov_b32_e32 v13, 0
	s_mov_b32 s9, 0
	v_lshl_add_u64 v[8:9], v[8:9], 2, s[6:7]
	s_mov_b64 s[12:13], 0
	s_waitcnt vmcnt(0)
	v_add_u32_e32 v14, v11, v12
	s_branch .LBB256_11
.LBB256_10:                             ;   in Loop: Header=BB256_11 Depth=2
	s_or_b64 exec, exec, s[14:15]
	s_add_i32 s16, s9, 1
	s_cmp_gt_u32 s9, 6
	s_cselect_b64 s[2:3], -1, 0
	s_xor_b64 s[14:15], vcc, -1
	s_or_b64 s[2:3], s[14:15], s[2:3]
	s_and_b64 s[2:3], exec, s[2:3]
	v_add_u32_e32 v13, 4, v13
	s_or_b64 s[12:13], s[2:3], s[12:13]
	s_mov_b32 s9, s16
	s_andn2_b64 exec, exec, s[12:13]
	s_cbranch_execz .LBB256_13
.LBB256_11:                             ;   Parent Loop BB256_5 Depth=1
                                        ; =>  This Inner Loop Header: Depth=2
	v_cmp_ne_u32_e32 vcc, s9, v14
	v_cmp_eq_u32_e64 s[2:3], s9, v14
	s_and_saveexec_b64 s[14:15], s[2:3]
	s_cbranch_execz .LBB256_10
; %bb.12:                               ;   in Loop: Header=BB256_11 Depth=2
	scratch_load_dword v15, v13, off
	s_waitcnt vmcnt(0)
	v_add_f32_e32 v5, v5, v15
	global_store_dword v[8:9], v12, off offset:4
	s_branch .LBB256_10
.LBB256_13:                             ;   in Loop: Header=BB256_5 Depth=1
	s_or_b64 exec, exec, s[12:13]
	global_load_dword v12, v[6:7], off offset:8
	v_mov_b32_e32 v13, 0
	s_mov_b32 s9, 0
	s_mov_b64 s[12:13], 0
	s_waitcnt vmcnt(0)
	v_add_u32_e32 v14, v11, v12
	s_branch .LBB256_15
.LBB256_14:                             ;   in Loop: Header=BB256_15 Depth=2
	s_or_b64 exec, exec, s[14:15]
	s_add_i32 s16, s9, 1
	s_cmp_gt_u32 s9, 6
	s_cselect_b64 s[2:3], -1, 0
	s_xor_b64 s[14:15], vcc, -1
	s_or_b64 s[2:3], s[14:15], s[2:3]
	s_and_b64 s[2:3], exec, s[2:3]
	v_add_u32_e32 v13, 4, v13
	s_or_b64 s[12:13], s[2:3], s[12:13]
	s_mov_b32 s9, s16
	s_andn2_b64 exec, exec, s[12:13]
	s_cbranch_execz .LBB256_17
.LBB256_15:                             ;   Parent Loop BB256_5 Depth=1
                                        ; =>  This Inner Loop Header: Depth=2
	v_cmp_ne_u32_e32 vcc, s9, v14
	v_cmp_eq_u32_e64 s[2:3], s9, v14
	s_and_saveexec_b64 s[14:15], s[2:3]
	s_cbranch_execz .LBB256_14
; %bb.16:                               ;   in Loop: Header=BB256_15 Depth=2
	scratch_load_dword v15, v13, off
	s_waitcnt vmcnt(0)
	v_add_f32_e32 v5, v5, v15
	global_store_dword v[8:9], v12, off offset:8
	s_branch .LBB256_14
.LBB256_17:                             ;   in Loop: Header=BB256_5 Depth=1
	s_or_b64 exec, exec, s[12:13]
	global_load_dword v6, v[6:7], off offset:12
	v_mov_b32_e32 v7, 0
	s_mov_b32 s9, 0
	s_mov_b64 s[12:13], 0
	s_waitcnt vmcnt(0)
	v_add_u32_e32 v12, v11, v6
	s_branch .LBB256_19
.LBB256_18:                             ;   in Loop: Header=BB256_19 Depth=2
	s_or_b64 exec, exec, s[14:15]
	s_add_i32 s16, s9, 1
	s_cmp_gt_u32 s9, 6
	s_cselect_b64 s[2:3], -1, 0
	s_xor_b64 s[14:15], vcc, -1
	s_or_b64 s[2:3], s[14:15], s[2:3]
	s_and_b64 s[2:3], exec, s[2:3]
	v_add_u32_e32 v7, 4, v7
	s_or_b64 s[12:13], s[2:3], s[12:13]
	s_mov_b32 s9, s16
	s_andn2_b64 exec, exec, s[12:13]
	s_cbranch_execz .LBB256_4
.LBB256_19:                             ;   Parent Loop BB256_5 Depth=1
                                        ; =>  This Inner Loop Header: Depth=2
	v_cmp_ne_u32_e32 vcc, s9, v12
	v_cmp_eq_u32_e64 s[2:3], s9, v12
	s_and_saveexec_b64 s[14:15], s[2:3]
	s_cbranch_execz .LBB256_18
; %bb.20:                               ;   in Loop: Header=BB256_19 Depth=2
	scratch_load_dword v13, v7, off
	s_waitcnt vmcnt(0)
	v_add_f32_e32 v5, v5, v13
	global_store_dword v[8:9], v6, off offset:12
	s_branch .LBB256_18
.LBB256_21:
	v_mov_b32_e32 v5, 0
.LBB256_22:
	s_and_b32 s14, s33, 3
	s_cmp_eq_u32 s14, 0
	s_mov_b32 s9, 0
	s_cbranch_scc1 .LBB256_29
; %bb.23:
	v_lshlrev_b32_e32 v1, 3, v4
	v_sub_u32_e32 v1, 0, v1
	s_mov_b32 s15, s9
	s_branch .LBB256_25
.LBB256_24:                             ;   in Loop: Header=BB256_25 Depth=1
	s_or_b64 exec, exec, s[10:11]
	s_add_i32 s8, s8, 1
	s_add_i32 s15, s15, 1
	s_cmp_lg_u32 s15, s14
	s_cbranch_scc0 .LBB256_29
.LBB256_25:                             ; =>This Loop Header: Depth=1
                                        ;     Child Loop BB256_27 Depth 2
	v_lshl_add_u64 v[6:7], s[8:9], 2, v[2:3]
	global_load_dword v4, v[6:7], off
	v_add_u32_e32 v6, s8, v0
	v_ashrrev_i32_e32 v7, 31, v6
	v_mov_b32_e32 v8, 0
	s_mov_b32 s16, 0
	s_waitcnt lgkmcnt(0)
	v_lshl_add_u64 v[6:7], v[6:7], 2, s[6:7]
	s_mov_b64 s[10:11], 0
	s_waitcnt vmcnt(0)
	v_add_u32_e32 v9, v1, v4
	s_branch .LBB256_27
.LBB256_26:                             ;   in Loop: Header=BB256_27 Depth=2
	s_or_b64 exec, exec, s[12:13]
	s_add_i32 s17, s16, 1
	s_cmp_gt_u32 s16, 6
	s_cselect_b64 s[2:3], -1, 0
	s_xor_b64 s[12:13], vcc, -1
	s_or_b64 s[2:3], s[12:13], s[2:3]
	s_and_b64 s[2:3], exec, s[2:3]
	v_add_u32_e32 v8, 4, v8
	s_or_b64 s[10:11], s[2:3], s[10:11]
	s_mov_b32 s16, s17
	s_andn2_b64 exec, exec, s[10:11]
	s_cbranch_execz .LBB256_24
.LBB256_27:                             ;   Parent Loop BB256_25 Depth=1
                                        ; =>  This Inner Loop Header: Depth=2
	v_cmp_ne_u32_e32 vcc, s16, v9
	v_cmp_eq_u32_e64 s[2:3], s16, v9
	s_and_saveexec_b64 s[12:13], s[2:3]
	s_cbranch_execz .LBB256_26
; %bb.28:                               ;   in Loop: Header=BB256_27 Depth=2
	scratch_load_dword v11, v8, off
	s_waitcnt vmcnt(0)
	v_add_f32_e32 v5, v5, v11
	global_store_dword v[6:7], v4, off
	s_branch .LBB256_26
.LBB256_29:
	s_waitcnt lgkmcnt(0)
	s_load_dword s6, s[0:1], 0x3c
	s_waitcnt lgkmcnt(0)
	s_bitcmp1_b32 s6, 0
	s_cselect_b64 s[2:3], -1, 0
	s_bitcmp0_b32 s6, 0
	s_cbranch_scc0 .LBB256_33
; %bb.30:
	s_load_dwordx2 s[6:7], s[0:1], 0x40
	s_andn2_b64 vcc, exec, s[2:3]
	s_waitcnt lgkmcnt(0)
	v_cvt_f32_f64_e32 v8, s[6:7]
	s_cbranch_vccz .LBB256_34
.LBB256_31:
	s_andn2_b64 vcc, exec, s[4:5]
	s_cbranch_vccz .LBB256_35
.LBB256_32:
	s_endpgm
.LBB256_33:
	v_mbcnt_lo_u32_b32 v1, -1, 0
	v_mbcnt_hi_u32_b32 v1, -1, v1
	v_and_b32_e32 v6, 0x7e, v1
	v_xor_b32_e32 v4, 1, v1
	v_add_u32_e32 v6, 2, v6
	v_cmp_lt_i32_e32 vcc, v4, v6
	s_nop 1
	v_cndmask_b32_e32 v1, v1, v4, vcc
	v_lshlrev_b32_e32 v1, 2, v1
	ds_bpermute_b32 v1, v1, v5
	s_waitcnt lgkmcnt(0)
	v_add_f32_e32 v5, v5, v1
	s_load_dwordx2 s[6:7], s[0:1], 0x40
	s_andn2_b64 vcc, exec, s[2:3]
	s_waitcnt lgkmcnt(0)
	v_cvt_f32_f64_e32 v8, s[6:7]
	s_cbranch_vccnz .LBB256_31
.LBB256_34:
	v_cmp_lt_f32_e32 vcc, 0, v5
	s_nop 1
	v_cndmask_b32_e32 v1, 1.0, v5, vcc
	v_div_scale_f32 v4, s[2:3], v1, v1, v8
	v_rcp_f32_e32 v5, v4
	s_nop 0
	v_fma_f32 v6, -v4, v5, 1.0
	v_fmac_f32_e32 v5, v6, v5
	v_div_scale_f32 v6, vcc, v8, v1, v8
	v_mul_f32_e32 v7, v6, v5
	v_fma_f32 v9, -v4, v7, v6
	v_fmac_f32_e32 v7, v9, v5
	v_fma_f32 v4, -v4, v7, v6
	v_div_fmas_f32 v4, v4, v5, v7
	v_div_fixup_f32 v8, v4, v1, v8
	s_andn2_b64 vcc, exec, s[4:5]
	s_cbranch_vccnz .LBB256_32
.LBB256_35:
	s_load_dwordx2 s[12:13], s[0:1], 0x10
	v_mov_b32_e32 v1, 0
	v_or_b32_e32 v20, 4, v1
	v_or_b32_e32 v18, 8, v1
	;; [unrolled: 1-line block ×3, first 2 shown]
	v_add_u32_e32 v14, 16, v1
	v_add_u32_e32 v12, 20, v1
	;; [unrolled: 1-line block ×4, first 2 shown]
	v_or_b32_e32 v23, 1, v10
	v_or_b32_e32 v22, 2, v10
	;; [unrolled: 1-line block ×7, first 2 shown]
	s_cmp_eq_u32 s33, 1
	s_mov_b32 s14, 0
	s_cbranch_scc1 .LBB256_70
; %bb.36:
	v_ashrrev_i32_e32 v1, 31, v0
	s_waitcnt lgkmcnt(0)
	v_lshl_add_u64 v[4:5], v[0:1], 2, s[12:13]
	s_and_b32 s14, s33, 0x7ffffffe
	v_lshl_add_u64 v[4:5], v[4:5], 0, 4
	v_lshl_add_u64 v[6:7], v[2:3], 0, 4
	s_mov_b32 s15, 0
	s_branch .LBB256_38
.LBB256_37:                             ;   in Loop: Header=BB256_38 Depth=1
	s_or_b64 exec, exec, s[0:1]
	s_add_i32 s15, s15, 2
	v_lshl_add_u64 v[4:5], v[4:5], 0, 8
	s_cmp_eq_u32 s14, s15
	v_lshl_add_u64 v[6:7], v[6:7], 0, 8
	s_cbranch_scc1 .LBB256_70
.LBB256_38:                             ; =>This Inner Loop Header: Depth=1
	global_load_dword v24, v[6:7], off offset:-4
	v_mov_b32_e32 v1, 0
	s_waitcnt vmcnt(0)
	v_cmp_eq_u32_e32 vcc, v24, v10
	v_cmp_ne_u32_e64 s[0:1], v24, v10
	s_and_saveexec_b64 s[16:17], s[0:1]
	s_cbranch_execz .LBB256_52
; %bb.39:                               ;   in Loop: Header=BB256_38 Depth=1
	v_cmp_eq_u32_e64 s[0:1], v24, v23
	v_cmp_ne_u32_e64 s[2:3], v24, v23
	v_mov_b32_e32 v1, v20
	s_and_saveexec_b64 s[18:19], s[2:3]
	s_cbranch_execz .LBB256_51
; %bb.40:                               ;   in Loop: Header=BB256_38 Depth=1
	v_cmp_eq_u32_e64 s[2:3], v24, v22
	v_cmp_ne_u32_e64 s[4:5], v24, v22
	v_mov_b32_e32 v1, v18
	;; [unrolled: 6-line block ×6, first 2 shown]
	s_and_saveexec_b64 s[30:31], s[10:11]
	s_xor_b64 s[30:31], exec, s[30:31]
; %bb.45:                               ;   in Loop: Header=BB256_38 Depth=1
	v_cmp_eq_u32_e64 s[10:11], v24, v13
	s_andn2_b64 s[28:29], s[28:29], exec
	s_and_b64 s[10:11], s[10:11], exec
	s_or_b64 s[28:29], s[28:29], s[10:11]
	v_mov_b32_e32 v1, v11
; %bb.46:                               ;   in Loop: Header=BB256_38 Depth=1
	s_or_b64 exec, exec, s[30:31]
	s_andn2_b64 s[8:9], s[8:9], exec
	s_and_b64 s[10:11], s[28:29], exec
	s_or_b64 s[8:9], s[8:9], s[10:11]
.LBB256_47:                             ;   in Loop: Header=BB256_38 Depth=1
	s_or_b64 exec, exec, s[26:27]
	s_andn2_b64 s[6:7], s[6:7], exec
	s_and_b64 s[8:9], s[8:9], exec
	s_or_b64 s[6:7], s[6:7], s[8:9]
.LBB256_48:                             ;   in Loop: Header=BB256_38 Depth=1
	s_or_b64 exec, exec, s[24:25]
	s_andn2_b64 s[4:5], s[4:5], exec
	s_and_b64 s[6:7], s[6:7], exec
	s_or_b64 s[4:5], s[4:5], s[6:7]
.LBB256_49:                             ;   in Loop: Header=BB256_38 Depth=1
	s_or_b64 exec, exec, s[22:23]
	s_andn2_b64 s[2:3], s[2:3], exec
	s_and_b64 s[4:5], s[4:5], exec
	s_or_b64 s[2:3], s[2:3], s[4:5]
.LBB256_50:                             ;   in Loop: Header=BB256_38 Depth=1
	s_or_b64 exec, exec, s[20:21]
	s_andn2_b64 s[0:1], s[0:1], exec
	s_and_b64 s[2:3], s[2:3], exec
	s_or_b64 s[0:1], s[0:1], s[2:3]
.LBB256_51:                             ;   in Loop: Header=BB256_38 Depth=1
	s_or_b64 exec, exec, s[18:19]
	s_andn2_b64 s[2:3], vcc, exec
	s_and_b64 s[0:1], s[0:1], exec
	s_or_b64 vcc, s[2:3], s[0:1]
.LBB256_52:                             ;   in Loop: Header=BB256_38 Depth=1
	s_or_b64 exec, exec, s[16:17]
	s_and_saveexec_b64 s[0:1], vcc
	s_cbranch_execz .LBB256_54
; %bb.53:                               ;   in Loop: Header=BB256_38 Depth=1
	scratch_load_dword v1, v1, off
	v_add_u32_e32 v24, s15, v0
	v_ashrrev_i32_e32 v25, 31, v24
	v_lshl_add_u64 v[24:25], v[24:25], 2, s[12:13]
	s_waitcnt vmcnt(0)
	v_mul_f32_e32 v1, v8, v1
	global_store_dword v[24:25], v1, off
.LBB256_54:                             ;   in Loop: Header=BB256_38 Depth=1
	s_or_b64 exec, exec, s[0:1]
	global_load_dword v24, v[6:7], off
	v_mov_b32_e32 v1, 0
	s_waitcnt vmcnt(0)
	v_cmp_eq_u32_e64 s[8:9], v24, v10
	v_cmp_ne_u32_e32 vcc, v24, v10
	s_and_saveexec_b64 s[10:11], vcc
	s_cbranch_execz .LBB256_68
; %bb.55:                               ;   in Loop: Header=BB256_38 Depth=1
	v_cmp_eq_u32_e32 vcc, v24, v23
	v_cmp_ne_u32_e64 s[0:1], v24, v23
	v_mov_b32_e32 v1, v20
	s_and_saveexec_b64 s[16:17], s[0:1]
	s_cbranch_execz .LBB256_67
; %bb.56:                               ;   in Loop: Header=BB256_38 Depth=1
	v_cmp_eq_u32_e64 s[0:1], v24, v22
	v_cmp_ne_u32_e64 s[2:3], v24, v22
	v_mov_b32_e32 v1, v18
	s_and_saveexec_b64 s[18:19], s[2:3]
	s_cbranch_execz .LBB256_66
; %bb.57:                               ;   in Loop: Header=BB256_38 Depth=1
	v_cmp_eq_u32_e64 s[2:3], v24, v21
	;; [unrolled: 6-line block ×5, first 2 shown]
	v_cmp_ne_u32_e64 s[6:7], v24, v15
	v_mov_b32_e32 v1, v9
	s_and_saveexec_b64 s[30:31], s[6:7]
; %bb.61:                               ;   in Loop: Header=BB256_38 Depth=1
	v_cmp_eq_u32_e64 s[6:7], v24, v13
	s_andn2_b64 s[28:29], s[28:29], exec
	s_and_b64 s[6:7], s[6:7], exec
	s_or_b64 s[28:29], s[28:29], s[6:7]
	v_mov_b32_e32 v1, v11
; %bb.62:                               ;   in Loop: Header=BB256_38 Depth=1
	s_or_b64 exec, exec, s[30:31]
	s_andn2_b64 s[6:7], s[24:25], exec
	s_and_b64 s[24:25], s[28:29], exec
	s_or_b64 s[24:25], s[6:7], s[24:25]
.LBB256_63:                             ;   in Loop: Header=BB256_38 Depth=1
	s_or_b64 exec, exec, s[26:27]
	s_andn2_b64 s[4:5], s[4:5], exec
	s_and_b64 s[6:7], s[24:25], exec
	s_or_b64 s[4:5], s[4:5], s[6:7]
.LBB256_64:                             ;   in Loop: Header=BB256_38 Depth=1
	s_or_b64 exec, exec, s[22:23]
	s_andn2_b64 s[2:3], s[2:3], exec
	s_and_b64 s[4:5], s[4:5], exec
	s_or_b64 s[2:3], s[2:3], s[4:5]
.LBB256_65:                             ;   in Loop: Header=BB256_38 Depth=1
	s_or_b64 exec, exec, s[20:21]
	s_andn2_b64 s[0:1], s[0:1], exec
	s_and_b64 s[2:3], s[2:3], exec
	s_or_b64 s[0:1], s[0:1], s[2:3]
.LBB256_66:                             ;   in Loop: Header=BB256_38 Depth=1
	s_or_b64 exec, exec, s[18:19]
	s_andn2_b64 s[2:3], vcc, exec
	s_and_b64 s[0:1], s[0:1], exec
	s_or_b64 vcc, s[2:3], s[0:1]
.LBB256_67:                             ;   in Loop: Header=BB256_38 Depth=1
	s_or_b64 exec, exec, s[16:17]
	s_andn2_b64 s[0:1], s[8:9], exec
	s_and_b64 s[2:3], vcc, exec
	s_or_b64 s[8:9], s[0:1], s[2:3]
.LBB256_68:                             ;   in Loop: Header=BB256_38 Depth=1
	s_or_b64 exec, exec, s[10:11]
	s_and_saveexec_b64 s[0:1], s[8:9]
	s_cbranch_execz .LBB256_37
; %bb.69:                               ;   in Loop: Header=BB256_38 Depth=1
	scratch_load_dword v1, v1, off
	s_waitcnt vmcnt(0)
	v_mul_f32_e32 v1, v8, v1
	global_store_dword v[4:5], v1, off
	s_branch .LBB256_37
.LBB256_70:
	s_bitcmp0_b32 s33, 0
	s_mov_b32 s15, 0
	s_cbranch_scc1 .LBB256_32
; %bb.71:
	v_lshl_add_u64 v[2:3], s[14:15], 2, v[2:3]
	global_load_dword v1, v[2:3], off
	v_mov_b32_e32 v2, 0
	s_waitcnt vmcnt(0)
	v_cmp_eq_u32_e64 s[8:9], v1, v10
	v_cmp_ne_u32_e32 vcc, v1, v10
	s_and_saveexec_b64 s[10:11], vcc
	s_cbranch_execz .LBB256_85
; %bb.72:
	v_cmp_eq_u32_e32 vcc, v1, v23
	v_cmp_ne_u32_e64 s[0:1], v1, v23
	s_and_saveexec_b64 s[16:17], s[0:1]
	s_cbranch_execz .LBB256_84
; %bb.73:
	v_cmp_eq_u32_e64 s[0:1], v1, v22
	v_cmp_ne_u32_e64 s[2:3], v1, v22
	s_and_saveexec_b64 s[18:19], s[2:3]
	s_cbranch_execz .LBB256_83
; %bb.74:
	v_cmp_eq_u32_e64 s[2:3], v1, v21
	;; [unrolled: 5-line block ×5, first 2 shown]
	v_cmp_ne_u32_e64 s[6:7], v1, v15
	s_and_saveexec_b64 s[30:31], s[6:7]
; %bb.78:
	v_cmp_eq_u32_e64 s[6:7], v1, v13
	s_andn2_b64 s[28:29], s[28:29], exec
	s_and_b64 s[6:7], s[6:7], exec
	s_or_b64 s[28:29], s[28:29], s[6:7]
	v_mov_b32_e32 v9, v11
; %bb.79:
	s_or_b64 exec, exec, s[30:31]
	s_andn2_b64 s[6:7], s[24:25], exec
	s_and_b64 s[24:25], s[28:29], exec
	s_or_b64 s[24:25], s[6:7], s[24:25]
	v_mov_b32_e32 v12, v9
.LBB256_80:
	s_or_b64 exec, exec, s[26:27]
	s_andn2_b64 s[4:5], s[4:5], exec
	s_and_b64 s[6:7], s[24:25], exec
	s_or_b64 s[4:5], s[4:5], s[6:7]
	v_mov_b32_e32 v14, v12
.LBB256_81:
	s_or_b64 exec, exec, s[22:23]
	s_andn2_b64 s[2:3], s[2:3], exec
	s_and_b64 s[4:5], s[4:5], exec
	s_or_b64 s[2:3], s[2:3], s[4:5]
	v_mov_b32_e32 v16, v14
.LBB256_82:
	s_or_b64 exec, exec, s[20:21]
	s_andn2_b64 s[0:1], s[0:1], exec
	s_and_b64 s[2:3], s[2:3], exec
	s_or_b64 s[0:1], s[0:1], s[2:3]
	v_mov_b32_e32 v18, v16
.LBB256_83:
	s_or_b64 exec, exec, s[18:19]
	s_andn2_b64 s[2:3], vcc, exec
	s_and_b64 s[0:1], s[0:1], exec
	s_or_b64 vcc, s[2:3], s[0:1]
	v_mov_b32_e32 v20, v18
.LBB256_84:
	s_or_b64 exec, exec, s[16:17]
	s_andn2_b64 s[0:1], s[8:9], exec
	s_and_b64 s[2:3], vcc, exec
	s_or_b64 s[8:9], s[0:1], s[2:3]
	v_mov_b32_e32 v2, v20
.LBB256_85:
	s_or_b64 exec, exec, s[10:11]
	s_and_b64 exec, exec, s[8:9]
	s_cbranch_execz .LBB256_32
; %bb.86:
	scratch_load_dword v2, v2, off
	v_add_u32_e32 v0, s14, v0
	v_ashrrev_i32_e32 v1, 31, v0
	s_waitcnt lgkmcnt(0)
	v_lshl_add_u64 v[0:1], v[0:1], 2, s[12:13]
	s_waitcnt vmcnt(0)
	v_mul_f32_e32 v2, v8, v2
	global_store_dword v[0:1], v2, off
	s_endpgm
	.section	.rodata,"a",@progbits
	.p2align	6, 0x0
	.amdhsa_kernel _ZN4vllm3moe22topkGatingSoftplusSqrtILi8ELi16ELi4ELi16ELi64ELb1Ej6__halfEEvPKT6_PKbPfiPT5_PiiiibdPKfPKS9_SF_
		.amdhsa_group_segment_fixed_size 0
		.amdhsa_private_segment_fixed_size 48
		.amdhsa_kernarg_size 96
		.amdhsa_user_sgpr_count 2
		.amdhsa_user_sgpr_dispatch_ptr 0
		.amdhsa_user_sgpr_queue_ptr 0
		.amdhsa_user_sgpr_kernarg_segment_ptr 1
		.amdhsa_user_sgpr_dispatch_id 0
		.amdhsa_user_sgpr_kernarg_preload_length 0
		.amdhsa_user_sgpr_kernarg_preload_offset 0
		.amdhsa_user_sgpr_private_segment_size 0
		.amdhsa_uses_dynamic_stack 0
		.amdhsa_enable_private_segment 1
		.amdhsa_system_sgpr_workgroup_id_x 1
		.amdhsa_system_sgpr_workgroup_id_y 0
		.amdhsa_system_sgpr_workgroup_id_z 0
		.amdhsa_system_sgpr_workgroup_info 0
		.amdhsa_system_vgpr_workitem_id 1
		.amdhsa_next_free_vgpr 27
		.amdhsa_next_free_sgpr 34
		.amdhsa_accum_offset 28
		.amdhsa_reserve_vcc 1
		.amdhsa_float_round_mode_32 0
		.amdhsa_float_round_mode_16_64 0
		.amdhsa_float_denorm_mode_32 3
		.amdhsa_float_denorm_mode_16_64 3
		.amdhsa_dx10_clamp 1
		.amdhsa_ieee_mode 1
		.amdhsa_fp16_overflow 0
		.amdhsa_tg_split 0
		.amdhsa_exception_fp_ieee_invalid_op 0
		.amdhsa_exception_fp_denorm_src 0
		.amdhsa_exception_fp_ieee_div_zero 0
		.amdhsa_exception_fp_ieee_overflow 0
		.amdhsa_exception_fp_ieee_underflow 0
		.amdhsa_exception_fp_ieee_inexact 0
		.amdhsa_exception_int_div_zero 0
	.end_amdhsa_kernel
	.section	.text._ZN4vllm3moe22topkGatingSoftplusSqrtILi8ELi16ELi4ELi16ELi64ELb1Ej6__halfEEvPKT6_PKbPfiPT5_PiiiibdPKfPKS9_SF_,"axG",@progbits,_ZN4vllm3moe22topkGatingSoftplusSqrtILi8ELi16ELi4ELi16ELi64ELb1Ej6__halfEEvPKT6_PKbPfiPT5_PiiiibdPKfPKS9_SF_,comdat
.Lfunc_end256:
	.size	_ZN4vllm3moe22topkGatingSoftplusSqrtILi8ELi16ELi4ELi16ELi64ELb1Ej6__halfEEvPKT6_PKbPfiPT5_PiiiibdPKfPKS9_SF_, .Lfunc_end256-_ZN4vllm3moe22topkGatingSoftplusSqrtILi8ELi16ELi4ELi16ELi64ELb1Ej6__halfEEvPKT6_PKbPfiPT5_PiiiibdPKfPKS9_SF_
                                        ; -- End function
	.section	.AMDGPU.csdata,"",@progbits
; Kernel info:
; codeLenInByte = 4468
; NumSgprs: 40
; NumVgprs: 27
; NumAgprs: 0
; TotalNumVgprs: 27
; ScratchSize: 48
; MemoryBound: 0
; FloatMode: 240
; IeeeMode: 1
; LDSByteSize: 0 bytes/workgroup (compile time only)
; SGPRBlocks: 4
; VGPRBlocks: 3
; NumSGPRsForWavesPerEU: 40
; NumVGPRsForWavesPerEU: 27
; AccumOffset: 28
; Occupancy: 8
; WaveLimiterHint : 1
; COMPUTE_PGM_RSRC2:SCRATCH_EN: 1
; COMPUTE_PGM_RSRC2:USER_SGPR: 2
; COMPUTE_PGM_RSRC2:TRAP_HANDLER: 0
; COMPUTE_PGM_RSRC2:TGID_X_EN: 1
; COMPUTE_PGM_RSRC2:TGID_Y_EN: 0
; COMPUTE_PGM_RSRC2:TGID_Z_EN: 0
; COMPUTE_PGM_RSRC2:TIDIG_COMP_CNT: 1
; COMPUTE_PGM_RSRC3_GFX90A:ACCUM_OFFSET: 6
; COMPUTE_PGM_RSRC3_GFX90A:TG_SPLIT: 0
	.section	.text._ZN4vllm3moe22topkGatingSoftplusSqrtILi8ELi16ELi4ELi16ELi64ELb0Ej6__halfEEvPKT6_PKbPfiPT5_PiiiibdPKfPKS9_SF_,"axG",@progbits,_ZN4vllm3moe22topkGatingSoftplusSqrtILi8ELi16ELi4ELi16ELi64ELb0Ej6__halfEEvPKT6_PKbPfiPT5_PiiiibdPKfPKS9_SF_,comdat
	.protected	_ZN4vllm3moe22topkGatingSoftplusSqrtILi8ELi16ELi4ELi16ELi64ELb0Ej6__halfEEvPKT6_PKbPfiPT5_PiiiibdPKfPKS9_SF_ ; -- Begin function _ZN4vllm3moe22topkGatingSoftplusSqrtILi8ELi16ELi4ELi16ELi64ELb0Ej6__halfEEvPKT6_PKbPfiPT5_PiiiibdPKfPKS9_SF_
	.globl	_ZN4vllm3moe22topkGatingSoftplusSqrtILi8ELi16ELi4ELi16ELi64ELb0Ej6__halfEEvPKT6_PKbPfiPT5_PiiiibdPKfPKS9_SF_
	.p2align	8
	.type	_ZN4vllm3moe22topkGatingSoftplusSqrtILi8ELi16ELi4ELi16ELi64ELb0Ej6__halfEEvPKT6_PKbPfiPT5_PiiiibdPKfPKS9_SF_,@function
_ZN4vllm3moe22topkGatingSoftplusSqrtILi8ELi16ELi4ELi16ELi64ELb0Ej6__halfEEvPKT6_PKbPfiPT5_PiiiibdPKfPKS9_SF_: ; @_ZN4vllm3moe22topkGatingSoftplusSqrtILi8ELi16ELi4ELi16ELi64ELb0Ej6__halfEEvPKT6_PKbPfiPT5_PiiiibdPKfPKS9_SF_
; %bb.0:
	s_load_dword s33, s[0:1], 0x18
	v_bfe_u32 v1, v0, 10, 10
	v_and_b32_e32 v0, 0x3ff, v0
	s_lshl_b32 s2, s2, 7
	v_lshlrev_b32_e32 v1, 5, v1
	v_lshrrev_b32_e32 v2, 1, v0
	v_add3_u32 v8, s2, v1, v2
	s_waitcnt lgkmcnt(0)
	v_cmp_gt_i32_e32 vcc, s33, v8
	s_and_saveexec_b64 s[2:3], vcc
	s_cbranch_execz .LBB257_49
; %bb.1:
	s_load_dwordx4 s[4:7], s[0:1], 0x0
	s_load_dwordx2 s[34:35], s[0:1], 0x10
	s_waitcnt lgkmcnt(0)
	s_cmp_eq_u64 s[6:7], 0
	s_cbranch_scc1 .LBB257_3
; %bb.2:
	v_ashrrev_i32_e32 v9, 31, v8
	v_lshl_add_u64 v[2:3], s[6:7], 0, v[8:9]
	global_load_ubyte v1, v[2:3], off
	s_waitcnt vmcnt(0)
	v_and_b32_e32 v1, 1, v1
	v_cmp_eq_u32_e32 vcc, 1, v1
	s_xor_b64 s[2:3], vcc, -1
	s_orn2_b64 s[36:37], s[2:3], exec
	s_branch .LBB257_4
.LBB257_3:
	s_mov_b64 s[36:37], -1
.LBB257_4:
	v_lshlrev_b32_e32 v4, 4, v8
	v_mov_b32_e32 v2, s4
	v_mov_b32_e32 v3, s5
	v_ashrrev_i32_e32 v5, 31, v4
	v_and_b32_e32 v9, 1, v0
	v_lshl_add_u64 v[2:3], v[4:5], 1, v[2:3]
	v_mov_b32_e32 v1, 0
	v_lshlrev_b32_e32 v0, 4, v9
	v_lshl_add_u64 v[0:1], v[2:3], 0, v[0:1]
	global_load_dwordx4 v[4:7], v[0:1], off
	s_mov_b32 s12, 0x800000
	v_mov_b32_e32 v2, 0x4f800000
	s_mov_b32 s9, 0x3f317217
	s_mov_b32 s10, 0x7f800000
	v_mov_b32_e32 v3, 0x41b17218
	s_movk_i32 s8, 0x4d00
	s_mov_b32 s11, 0xf800000
	s_load_dwordx4 s[20:23], s[0:1], 0x40
	v_lshlrev_b32_e32 v12, 3, v9
	s_waitcnt lgkmcnt(0)
	s_cmp_lg_u64 s[22:23], 0
	s_cselect_b64 s[6:7], -1, 0
	s_and_b64 s[2:3], exec, s[6:7]
	s_waitcnt vmcnt(0)
	v_cvt_f32_f16_e32 v0, v4
	v_mul_f32_e32 v1, 0x3fb8aa3b, v0
	v_exp_f32_e32 v10, v1
	v_mov_b32_e32 v1, 0x260
	v_add_f32_e32 v10, 1.0, v10
	v_cmp_gt_f32_e32 vcc, s12, v10
	s_nop 1
	v_cndmask_b32_e32 v11, 1.0, v2, vcc
	v_mul_f32_e32 v10, v10, v11
	v_log_f32_e32 v11, v10
	v_cndmask_b32_e32 v13, 0, v3, vcc
	v_lshlrev_b32_e32 v10, 2, v12
	v_mul_f32_e32 v14, 0x3f317217, v11
	v_fma_f32 v14, v11, s9, -v14
	v_fmac_f32_e32 v14, 0x3377d1cf, v11
	v_fmac_f32_e32 v14, 0x3f317217, v11
	v_cmp_lt_f32_e64 vcc, |v11|, s10
	s_nop 1
	v_cndmask_b32_e32 v11, v11, v14, vcc
	v_sub_f32_e32 v11, v11, v13
	v_cmp_lt_f16_e32 vcc, s8, v4
	s_nop 1
	v_cndmask_b32_e32 v0, v11, v0, vcc
	v_mul_f32_e32 v11, 0x4f800000, v0
	v_cmp_gt_f32_e32 vcc, s11, v0
	s_nop 1
	v_cndmask_b32_e32 v0, v0, v11, vcc
	v_sqrt_f32_e32 v11, v0
	s_nop 0
	v_add_u32_e32 v13, -1, v11
	v_add_u32_e32 v14, 1, v11
	v_fma_f32 v15, -v13, v11, v0
	v_fma_f32 v16, -v14, v11, v0
	v_cmp_ge_f32_e64 s[4:5], 0, v15
	s_nop 1
	v_cndmask_b32_e64 v11, v11, v13, s[4:5]
	v_cmp_lt_f32_e64 s[4:5], 0, v16
	s_nop 1
	v_cndmask_b32_e64 v11, v11, v14, s[4:5]
	v_mul_f32_e32 v13, 0x37800000, v11
	v_cndmask_b32_e32 v11, v11, v13, vcc
	v_cmp_class_f32_e32 vcc, v0, v1
	s_nop 1
	v_cndmask_b32_e32 v0, v11, v0, vcc
	s_mov_b64 vcc, s[2:3]
	s_cbranch_vccz .LBB257_6
; %bb.5:
	global_load_dword v11, v10, s[22:23]
	s_waitcnt vmcnt(0)
	v_add_f32_e32 v0, v0, v11
.LBB257_6:
	v_cvt_f32_f16_sdwa v11, v4 dst_sel:DWORD dst_unused:UNUSED_PAD src0_sel:WORD_1
	v_mul_f32_e32 v13, 0x3fb8aa3b, v11
	v_exp_f32_e32 v13, v13
	s_nop 0
	v_add_f32_e32 v13, 1.0, v13
	v_cmp_gt_f32_e32 vcc, s12, v13
	s_nop 1
	v_cndmask_b32_e32 v2, 1.0, v2, vcc
	v_mul_f32_e32 v2, v13, v2
	v_log_f32_e32 v2, v2
	v_cndmask_b32_e32 v3, 0, v3, vcc
	v_mul_f32_e32 v13, 0x3f317217, v2
	v_fma_f32 v13, v2, s9, -v13
	v_fmac_f32_e32 v13, 0x3377d1cf, v2
	v_fmac_f32_e32 v13, 0x3f317217, v2
	v_cmp_lt_f32_e64 vcc, |v2|, s10
	s_nop 1
	v_cndmask_b32_e32 v2, v2, v13, vcc
	v_sub_f32_e32 v2, v2, v3
	v_cmp_gt_f16_sdwa vcc, v4, s8 src0_sel:WORD_1 src1_sel:DWORD
	v_cndmask_b32_e64 v4, 0, 1, s[6:7]
	v_cmp_ne_u32_e64 s[2:3], 1, v4
	v_cndmask_b32_e32 v2, v2, v11, vcc
	v_mul_f32_e32 v3, 0x4f800000, v2
	v_cmp_gt_f32_e64 s[4:5], s11, v2
	s_andn2_b64 vcc, exec, s[6:7]
	s_nop 0
	v_cndmask_b32_e64 v2, v2, v3, s[4:5]
	v_sqrt_f32_e32 v3, v2
	s_nop 0
	v_add_u32_e32 v4, -1, v3
	v_add_u32_e32 v11, 1, v3
	v_fma_f32 v13, -v4, v3, v2
	v_fma_f32 v14, -v11, v3, v2
	v_cmp_ge_f32_e64 s[6:7], 0, v13
	s_nop 1
	v_cndmask_b32_e64 v3, v3, v4, s[6:7]
	v_cmp_lt_f32_e64 s[6:7], 0, v14
	s_nop 1
	v_cndmask_b32_e64 v3, v3, v11, s[6:7]
	v_mul_f32_e32 v4, 0x37800000, v3
	v_cndmask_b32_e64 v3, v3, v4, s[4:5]
	v_cmp_class_f32_e64 s[4:5], v2, v1
	s_nop 1
	v_cndmask_b32_e64 v1, v3, v2, s[4:5]
	s_cbranch_vccnz .LBB257_8
; %bb.7:
	global_load_dword v2, v10, s[22:23] offset:4
	s_waitcnt vmcnt(0)
	v_add_f32_e32 v1, v1, v2
.LBB257_8:
	v_cvt_f32_f16_e32 v2, v5
	s_mov_b32 s8, 0x800000
	v_mov_b32_e32 v4, 0x4f800000
	s_mov_b32 s7, 0x3f317217
	v_mul_f32_e32 v3, 0x3fb8aa3b, v2
	v_exp_f32_e32 v3, v3
	s_mov_b32 s9, 0x7f800000
	s_movk_i32 s6, 0x4d00
	s_mov_b32 s10, 0xf800000
	v_add_f32_e32 v3, 1.0, v3
	v_cmp_gt_f32_e32 vcc, s8, v3
	s_nop 1
	v_cndmask_b32_e32 v11, 1.0, v4, vcc
	v_mul_f32_e32 v3, v3, v11
	v_log_f32_e32 v3, v3
	v_mov_b32_e32 v11, 0x41b17218
	v_cndmask_b32_e32 v13, 0, v11, vcc
	v_mul_f32_e32 v14, 0x3f317217, v3
	v_fma_f32 v14, v3, s7, -v14
	v_fmac_f32_e32 v14, 0x3377d1cf, v3
	v_fmac_f32_e32 v14, 0x3f317217, v3
	v_cmp_lt_f32_e64 vcc, |v3|, s9
	s_nop 1
	v_cndmask_b32_e32 v3, v3, v14, vcc
	v_sub_f32_e32 v3, v3, v13
	v_cmp_lt_f16_e32 vcc, s6, v5
	s_nop 1
	v_cndmask_b32_e32 v2, v3, v2, vcc
	v_mul_f32_e32 v3, 0x4f800000, v2
	v_cmp_gt_f32_e32 vcc, s10, v2
	s_nop 1
	v_cndmask_b32_e32 v2, v2, v3, vcc
	v_sqrt_f32_e32 v3, v2
	s_nop 0
	v_add_u32_e32 v13, -1, v3
	v_fma_f32 v14, -v13, v3, v2
	v_cmp_ge_f32_e64 s[4:5], 0, v14
	v_add_u32_e32 v14, 1, v3
	s_nop 0
	v_cndmask_b32_e64 v13, v3, v13, s[4:5]
	v_fma_f32 v3, -v14, v3, v2
	v_cmp_lt_f32_e64 s[4:5], 0, v3
	s_nop 1
	v_cndmask_b32_e64 v3, v13, v14, s[4:5]
	v_mul_f32_e32 v13, 0x37800000, v3
	v_cndmask_b32_e32 v13, v3, v13, vcc
	v_mov_b32_e32 v3, 0x260
	v_cmp_class_f32_e64 s[4:5], v2, v3
	s_and_b64 vcc, exec, s[2:3]
	s_nop 0
	v_cndmask_b32_e64 v2, v13, v2, s[4:5]
	s_cbranch_vccnz .LBB257_10
; %bb.9:
	global_load_dword v13, v10, s[22:23] offset:8
	s_waitcnt vmcnt(0)
	v_add_f32_e32 v2, v2, v13
.LBB257_10:
	v_cvt_f32_f16_sdwa v13, v5 dst_sel:DWORD dst_unused:UNUSED_PAD src0_sel:WORD_1
	v_mul_f32_e32 v14, 0x3fb8aa3b, v13
	v_exp_f32_e32 v14, v14
	s_nop 0
	v_add_f32_e32 v14, 1.0, v14
	v_cmp_gt_f32_e32 vcc, s8, v14
	s_nop 1
	v_cndmask_b32_e32 v4, 1.0, v4, vcc
	v_mul_f32_e32 v4, v14, v4
	v_log_f32_e32 v4, v4
	v_cndmask_b32_e32 v11, 0, v11, vcc
	v_mul_f32_e32 v14, 0x3f317217, v4
	v_fma_f32 v14, v4, s7, -v14
	v_fmac_f32_e32 v14, 0x3377d1cf, v4
	v_fmac_f32_e32 v14, 0x3f317217, v4
	v_cmp_lt_f32_e64 vcc, |v4|, s9
	s_nop 1
	v_cndmask_b32_e32 v4, v4, v14, vcc
	v_sub_f32_e32 v4, v4, v11
	v_cmp_gt_f16_sdwa vcc, v5, s6 src0_sel:WORD_1 src1_sel:DWORD
	s_nop 1
	v_cndmask_b32_e32 v4, v4, v13, vcc
	v_mul_f32_e32 v5, 0x4f800000, v4
	v_cmp_gt_f32_e64 s[4:5], s10, v4
	s_and_b64 vcc, exec, s[2:3]
	s_nop 0
	v_cndmask_b32_e64 v4, v4, v5, s[4:5]
	v_sqrt_f32_e32 v5, v4
	s_nop 0
	v_add_u32_e32 v11, -1, v5
	v_add_u32_e32 v13, 1, v5
	v_fma_f32 v14, -v11, v5, v4
	v_fma_f32 v15, -v13, v5, v4
	v_cmp_ge_f32_e64 s[6:7], 0, v14
	s_nop 1
	v_cndmask_b32_e64 v5, v5, v11, s[6:7]
	v_cmp_lt_f32_e64 s[6:7], 0, v15
	s_nop 1
	v_cndmask_b32_e64 v5, v5, v13, s[6:7]
	v_mul_f32_e32 v11, 0x37800000, v5
	v_cndmask_b32_e64 v5, v5, v11, s[4:5]
	v_cmp_class_f32_e64 s[4:5], v4, v3
	s_nop 1
	v_cndmask_b32_e64 v3, v5, v4, s[4:5]
	s_cbranch_vccnz .LBB257_12
; %bb.11:
	global_load_dword v4, v10, s[22:23] offset:12
	s_waitcnt vmcnt(0)
	v_add_f32_e32 v3, v3, v4
.LBB257_12:
	v_cvt_f32_f16_e32 v4, v6
	v_mov_b32_e32 v11, 0x4f800000
	s_mov_b32 s7, 0x3f317217
	s_movk_i32 s6, 0x4d00
	v_mul_f32_e32 v5, 0x3fb8aa3b, v4
	v_exp_f32_e32 v5, v5
	s_nop 0
	v_add_f32_e32 v5, 1.0, v5
	v_cmp_gt_f32_e32 vcc, s8, v5
	s_nop 1
	v_cndmask_b32_e32 v13, 1.0, v11, vcc
	v_mul_f32_e32 v5, v5, v13
	v_log_f32_e32 v5, v5
	v_mov_b32_e32 v13, 0x41b17218
	v_cndmask_b32_e32 v14, 0, v13, vcc
	v_mul_f32_e32 v15, 0x3f317217, v5
	v_fma_f32 v15, v5, s7, -v15
	v_fmac_f32_e32 v15, 0x3377d1cf, v5
	v_fmac_f32_e32 v15, 0x3f317217, v5
	v_cmp_lt_f32_e64 vcc, |v5|, s9
	s_nop 1
	v_cndmask_b32_e32 v5, v5, v15, vcc
	v_sub_f32_e32 v5, v5, v14
	v_cmp_lt_f16_e32 vcc, s6, v6
	s_nop 1
	v_cndmask_b32_e32 v4, v5, v4, vcc
	v_mul_f32_e32 v5, 0x4f800000, v4
	v_cmp_gt_f32_e32 vcc, s10, v4
	s_nop 1
	v_cndmask_b32_e32 v4, v4, v5, vcc
	v_sqrt_f32_e32 v5, v4
	s_nop 0
	v_add_u32_e32 v14, -1, v5
	v_fma_f32 v15, -v14, v5, v4
	v_cmp_ge_f32_e64 s[4:5], 0, v15
	v_add_u32_e32 v15, 1, v5
	s_nop 0
	v_cndmask_b32_e64 v14, v5, v14, s[4:5]
	v_fma_f32 v5, -v15, v5, v4
	v_cmp_lt_f32_e64 s[4:5], 0, v5
	s_nop 1
	v_cndmask_b32_e64 v5, v14, v15, s[4:5]
	v_mul_f32_e32 v14, 0x37800000, v5
	v_cndmask_b32_e32 v14, v5, v14, vcc
	v_mov_b32_e32 v5, 0x260
	v_cmp_class_f32_e64 s[4:5], v4, v5
	s_and_b64 vcc, exec, s[2:3]
	s_nop 0
	v_cndmask_b32_e64 v4, v14, v4, s[4:5]
	s_cbranch_vccnz .LBB257_14
; %bb.13:
	global_load_dword v14, v10, s[22:23] offset:16
	s_waitcnt vmcnt(0)
	v_add_f32_e32 v4, v4, v14
.LBB257_14:
	v_cvt_f32_f16_sdwa v14, v6 dst_sel:DWORD dst_unused:UNUSED_PAD src0_sel:WORD_1
	v_mul_f32_e32 v15, 0x3fb8aa3b, v14
	v_exp_f32_e32 v15, v15
	s_nop 0
	v_add_f32_e32 v15, 1.0, v15
	v_cmp_gt_f32_e32 vcc, s8, v15
	s_nop 1
	v_cndmask_b32_e32 v11, 1.0, v11, vcc
	v_mul_f32_e32 v11, v15, v11
	v_log_f32_e32 v11, v11
	v_cndmask_b32_e32 v13, 0, v13, vcc
	v_mul_f32_e32 v15, 0x3f317217, v11
	v_fma_f32 v15, v11, s7, -v15
	v_fmac_f32_e32 v15, 0x3377d1cf, v11
	v_fmac_f32_e32 v15, 0x3f317217, v11
	v_cmp_lt_f32_e64 vcc, |v11|, s9
	s_nop 1
	v_cndmask_b32_e32 v11, v11, v15, vcc
	v_sub_f32_e32 v11, v11, v13
	v_cmp_gt_f16_sdwa vcc, v6, s6 src0_sel:WORD_1 src1_sel:DWORD
	s_nop 1
	v_cndmask_b32_e32 v6, v11, v14, vcc
	v_mul_f32_e32 v11, 0x4f800000, v6
	v_cmp_gt_f32_e64 s[4:5], s10, v6
	s_and_b64 vcc, exec, s[2:3]
	s_nop 0
	v_cndmask_b32_e64 v6, v6, v11, s[4:5]
	v_sqrt_f32_e32 v11, v6
	s_nop 0
	v_add_u32_e32 v13, -1, v11
	v_add_u32_e32 v14, 1, v11
	v_fma_f32 v15, -v13, v11, v6
	v_fma_f32 v16, -v14, v11, v6
	v_cmp_ge_f32_e64 s[6:7], 0, v15
	s_nop 1
	v_cndmask_b32_e64 v11, v11, v13, s[6:7]
	v_cmp_lt_f32_e64 s[6:7], 0, v16
	s_nop 1
	v_cndmask_b32_e64 v11, v11, v14, s[6:7]
	v_mul_f32_e32 v13, 0x37800000, v11
	v_cndmask_b32_e64 v11, v11, v13, s[4:5]
	v_cmp_class_f32_e64 s[4:5], v6, v5
	s_nop 1
	v_cndmask_b32_e64 v5, v11, v6, s[4:5]
	s_cbranch_vccnz .LBB257_16
; %bb.15:
	global_load_dword v6, v10, s[22:23] offset:20
	s_waitcnt vmcnt(0)
	v_add_f32_e32 v5, v5, v6
.LBB257_16:
	v_cvt_f32_f16_e32 v6, v7
	v_mov_b32_e32 v13, 0x4f800000
	s_mov_b32 s7, 0x3f317217
	s_movk_i32 s6, 0x4d00
	v_mul_f32_e32 v11, 0x3fb8aa3b, v6
	v_exp_f32_e32 v11, v11
	s_nop 0
	v_add_f32_e32 v11, 1.0, v11
	v_cmp_gt_f32_e32 vcc, s8, v11
	s_nop 1
	v_cndmask_b32_e32 v14, 1.0, v13, vcc
	v_mul_f32_e32 v11, v11, v14
	v_log_f32_e32 v11, v11
	v_mov_b32_e32 v14, 0x41b17218
	v_cndmask_b32_e32 v15, 0, v14, vcc
	v_mul_f32_e32 v16, 0x3f317217, v11
	v_fma_f32 v16, v11, s7, -v16
	v_fmac_f32_e32 v16, 0x3377d1cf, v11
	v_fmac_f32_e32 v16, 0x3f317217, v11
	v_cmp_lt_f32_e64 vcc, |v11|, s9
	s_nop 1
	v_cndmask_b32_e32 v11, v11, v16, vcc
	v_sub_f32_e32 v11, v11, v15
	v_cmp_lt_f16_e32 vcc, s6, v7
	s_nop 1
	v_cndmask_b32_e32 v6, v11, v6, vcc
	v_mul_f32_e32 v11, 0x4f800000, v6
	v_cmp_gt_f32_e32 vcc, s10, v6
	s_nop 1
	v_cndmask_b32_e32 v6, v6, v11, vcc
	v_sqrt_f32_e32 v11, v6
	s_nop 0
	v_add_u32_e32 v15, -1, v11
	v_fma_f32 v16, -v15, v11, v6
	v_cmp_ge_f32_e64 s[4:5], 0, v16
	v_add_u32_e32 v16, 1, v11
	s_nop 0
	v_cndmask_b32_e64 v15, v11, v15, s[4:5]
	v_fma_f32 v11, -v16, v11, v6
	v_cmp_lt_f32_e64 s[4:5], 0, v11
	s_nop 1
	v_cndmask_b32_e64 v11, v15, v16, s[4:5]
	v_mul_f32_e32 v15, 0x37800000, v11
	v_cndmask_b32_e32 v15, v11, v15, vcc
	v_mov_b32_e32 v11, 0x260
	v_cmp_class_f32_e64 s[4:5], v6, v11
	s_and_b64 vcc, exec, s[2:3]
	s_nop 0
	v_cndmask_b32_e64 v6, v15, v6, s[4:5]
	s_cbranch_vccnz .LBB257_18
; %bb.17:
	global_load_dword v15, v10, s[22:23] offset:24
	s_waitcnt vmcnt(0)
	v_add_f32_e32 v6, v6, v15
.LBB257_18:
	v_cvt_f32_f16_sdwa v15, v7 dst_sel:DWORD dst_unused:UNUSED_PAD src0_sel:WORD_1
	v_mul_f32_e32 v16, 0x3fb8aa3b, v15
	v_exp_f32_e32 v16, v16
	s_nop 0
	v_add_f32_e32 v16, 1.0, v16
	v_cmp_gt_f32_e32 vcc, s8, v16
	s_nop 1
	v_cndmask_b32_e32 v13, 1.0, v13, vcc
	v_mul_f32_e32 v13, v16, v13
	v_log_f32_e32 v13, v13
	v_cndmask_b32_e32 v14, 0, v14, vcc
	v_mul_f32_e32 v16, 0x3f317217, v13
	v_fma_f32 v16, v13, s7, -v16
	v_fmac_f32_e32 v16, 0x3377d1cf, v13
	v_fmac_f32_e32 v16, 0x3f317217, v13
	v_cmp_lt_f32_e64 vcc, |v13|, s9
	s_nop 1
	v_cndmask_b32_e32 v13, v13, v16, vcc
	v_sub_f32_e32 v13, v13, v14
	v_cmp_gt_f16_sdwa vcc, v7, s6 src0_sel:WORD_1 src1_sel:DWORD
	s_nop 1
	v_cndmask_b32_e32 v7, v13, v15, vcc
	v_mul_f32_e32 v13, 0x4f800000, v7
	v_cmp_gt_f32_e64 s[4:5], s10, v7
	s_and_b64 vcc, exec, s[2:3]
	s_nop 0
	v_cndmask_b32_e64 v7, v7, v13, s[4:5]
	v_sqrt_f32_e32 v13, v7
	s_nop 0
	v_add_u32_e32 v14, -1, v13
	v_add_u32_e32 v15, 1, v13
	v_fma_f32 v16, -v14, v13, v7
	v_fma_f32 v17, -v15, v13, v7
	v_cmp_ge_f32_e64 s[6:7], 0, v16
	s_nop 1
	v_cndmask_b32_e64 v13, v13, v14, s[6:7]
	v_cmp_lt_f32_e64 s[6:7], 0, v17
	s_nop 1
	v_cndmask_b32_e64 v13, v13, v15, s[6:7]
	v_mul_f32_e32 v14, 0x37800000, v13
	v_cndmask_b32_e64 v13, v13, v14, s[4:5]
	v_cmp_class_f32_e64 s[4:5], v7, v11
	s_nop 1
	v_cndmask_b32_e64 v7, v13, v7, s[4:5]
	s_cbranch_vccnz .LBB257_20
; %bb.19:
	global_load_dword v10, v10, s[22:23] offset:28
	s_waitcnt vmcnt(0)
	v_add_f32_e32 v7, v7, v10
.LBB257_20:
	s_load_dwordx4 s[24:27], s[0:1], 0x30
	s_mov_b32 s42, 0
	v_cmp_eq_u32_e64 s[6:7], 0, v9
	s_waitcnt lgkmcnt(0)
	s_bitcmp1_b32 s27, 0
	s_cselect_b64 s[4:5], -1, 0
	s_cmp_gt_i32 s24, 0
	s_cselect_b64 s[38:39], -1, 0
	s_and_b64 vcc, exec, s[38:39]
	s_cbranch_vccz .LBB257_35
; %bb.21:
	v_mbcnt_lo_u32_b32 v10, -1, 0
	v_mbcnt_hi_u32_b32 v10, -1, v10
	s_load_dwordx4 s[28:31], s[0:1], 0x20
	v_and_b32_e32 v13, 0x7e, v10
	v_xor_b32_e32 v11, 1, v10
	v_add_u32_e32 v13, 2, v13
	v_cmp_lt_i32_e32 vcc, v11, v13
	v_mul_lo_u32 v15, v8, s24
	v_mov_b32_e32 v13, 0
	v_cndmask_b32_e32 v10, v10, v11, vcc
	v_lshlrev_b32_e32 v14, 2, v10
	v_mov_b32_e32 v16, 0xc61c4000
	v_mov_b32_e32 v17, v8
	s_branch .LBB257_24
.LBB257_22:                             ;   in Loop: Header=BB257_24 Depth=1
	s_or_b64 exec, exec, s[40:41]
.LBB257_23:                             ;   in Loop: Header=BB257_24 Depth=1
	s_cmp_eq_u32 s24, s42
	v_add_u32_e32 v17, s33, v17
	s_cbranch_scc1 .LBB257_36
.LBB257_24:                             ; =>This Inner Loop Header: Depth=1
	v_cmp_gt_f32_e32 vcc, v1, v0
	s_nop 1
	v_cndmask_b32_e32 v11, v0, v1, vcc
	v_cndmask_b32_e64 v10, 0, 1, vcc
	v_cmp_gt_f32_e32 vcc, v2, v11
	s_nop 1
	v_cndmask_b32_e32 v11, v11, v2, vcc
	v_cndmask_b32_e64 v10, v10, 2, vcc
	;; [unrolled: 4-line block ×6, first 2 shown]
	v_cmp_gt_f32_e32 vcc, v7, v11
	s_nop 1
	v_cndmask_b32_e64 v10, v10, 7, vcc
	v_cndmask_b32_e32 v18, v11, v7, vcc
	ds_bpermute_b32 v11, v14, v18
	v_or_b32_e32 v10, v12, v10
	ds_bpermute_b32 v19, v14, v10
	s_waitcnt lgkmcnt(0)
	v_cmp_lt_f32_e64 s[8:9], v18, v11
	v_cmp_nlt_f32_e32 vcc, v18, v11
	s_and_saveexec_b64 s[10:11], vcc
	s_cbranch_execnz .LBB257_28
; %bb.25:                               ;   in Loop: Header=BB257_24 Depth=1
	s_or_b64 exec, exec, s[10:11]
	s_and_saveexec_b64 s[0:1], s[8:9]
	s_cbranch_execnz .LBB257_29
.LBB257_26:                             ;   in Loop: Header=BB257_24 Depth=1
	s_or_b64 exec, exec, s[0:1]
	s_and_saveexec_b64 s[8:9], s[6:7]
	s_cbranch_execnz .LBB257_30
.LBB257_27:                             ;   in Loop: Header=BB257_24 Depth=1
	s_or_b64 exec, exec, s[8:9]
	s_add_i32 s42, s42, 1
	s_cmp_ge_i32 s42, s24
	s_cbranch_scc1 .LBB257_23
	s_branch .LBB257_33
.LBB257_28:                             ;   in Loop: Header=BB257_24 Depth=1
	v_cmp_eq_f32_e32 vcc, v18, v11
	v_cmp_lt_i32_e64 s[0:1], v19, v10
	s_and_b64 s[0:1], vcc, s[0:1]
	s_andn2_b64 s[8:9], s[8:9], exec
	s_and_b64 s[0:1], s[0:1], exec
	s_or_b64 s[8:9], s[8:9], s[0:1]
	s_or_b64 exec, exec, s[10:11]
	s_and_saveexec_b64 s[0:1], s[8:9]
	s_cbranch_execz .LBB257_26
.LBB257_29:                             ;   in Loop: Header=BB257_24 Depth=1
	v_mov_b32_e32 v10, v19
	v_mov_b32_e32 v18, v11
	s_or_b64 exec, exec, s[0:1]
	s_and_saveexec_b64 s[8:9], s[6:7]
	s_cbranch_execz .LBB257_27
.LBB257_30:                             ;   in Loop: Header=BB257_24 Depth=1
	s_and_b64 vcc, exec, s[2:3]
	s_cbranch_vccnz .LBB257_32
; %bb.31:                               ;   in Loop: Header=BB257_24 Depth=1
	v_ashrrev_i32_e32 v11, 31, v10
	v_lshl_add_u64 v[20:21], v[10:11], 2, s[22:23]
	global_load_dword v11, v[20:21], off
	s_waitcnt vmcnt(0)
	v_sub_f32_e32 v18, v18, v11
.LBB257_32:                             ;   in Loop: Header=BB257_24 Depth=1
	v_add_u32_e32 v20, s42, v15
	v_cmp_le_i32_e32 vcc, s25, v10
	v_cmp_gt_i32_e64 s[0:1], s26, v10
	v_ashrrev_i32_e32 v21, 31, v20
	s_and_b64 s[0:1], vcc, s[0:1]
	v_lshlrev_b64 v[20:21], 2, v[20:21]
	v_lshl_add_u64 v[22:23], s[34:35], 0, v[20:21]
	v_subrev_u32_e32 v11, s25, v10
	s_and_b64 vcc, s[36:37], s[0:1]
	global_store_dword v[22:23], v18, off
	v_cndmask_b32_e32 v11, 16, v11, vcc
	v_lshl_add_u64 v[22:23], s[28:29], 0, v[20:21]
	global_store_dword v[22:23], v11, off
	v_add_f32_e32 v11, v13, v18
	v_lshl_add_u64 v[20:21], s[30:31], 0, v[20:21]
	v_cndmask_b32_e64 v13, v13, v11, s[4:5]
	global_store_dword v[20:21], v17, off
	s_or_b64 exec, exec, s[8:9]
	s_add_i32 s42, s42, 1
	s_cmp_ge_i32 s42, s24
	s_cbranch_scc1 .LBB257_23
.LBB257_33:                             ;   in Loop: Header=BB257_24 Depth=1
	v_ashrrev_i32_e32 v18, 31, v10
	v_lshrrev_b32_e32 v11, 29, v18
	v_add_u32_e32 v19, v10, v11
	v_ashrrev_i32_e32 v11, 3, v19
	v_lshrrev_b32_e32 v19, 31, v19
	v_add_u32_e32 v19, v11, v19
	v_and_b32_e32 v19, -2, v19
	v_sub_u32_e32 v19, v11, v19
	v_cmp_eq_u32_e32 vcc, v9, v19
	s_and_saveexec_b64 s[40:41], vcc
	s_cbranch_execz .LBB257_22
; %bb.34:                               ;   in Loop: Header=BB257_24 Depth=1
	v_lshrrev_b32_e32 v18, 28, v18
	v_add_u32_e32 v18, v10, v18
	v_lshlrev_b32_e32 v11, 3, v11
	v_sub_u32_e32 v10, v10, v11
	v_ashrrev_i32_e32 v11, 4, v18
	v_lshl_add_u32 v10, v11, 3, v10
	v_cmp_ne_u32_e32 vcc, 6, v10
	v_cmp_ne_u32_e64 s[0:1], 5, v10
	v_cmp_ne_u32_e64 s[8:9], 4, v10
	v_cmp_ne_u32_e64 s[10:11], 3, v10
	v_cmp_ne_u32_e64 s[12:13], 2, v10
	v_cmp_ne_u32_e64 s[14:15], 1, v10
	v_cmp_ne_u32_e64 s[16:17], 0, v10
	v_cmp_ne_u32_e64 s[18:19], 7, v10
	v_cndmask_b32_e32 v6, v16, v6, vcc
	v_cndmask_b32_e64 v5, v16, v5, s[0:1]
	v_cndmask_b32_e64 v7, v16, v7, s[18:19]
	v_cndmask_b32_e64 v4, v16, v4, s[8:9]
	v_cndmask_b32_e64 v3, v16, v3, s[10:11]
	v_cndmask_b32_e64 v2, v16, v2, s[12:13]
	v_cndmask_b32_e64 v1, v16, v1, s[14:15]
	v_cndmask_b32_e64 v0, v16, v0, s[16:17]
	s_branch .LBB257_22
.LBB257_35:
	v_mov_b32_e32 v13, 0
.LBB257_36:
	v_cmp_eq_u32_e32 vcc, 0, v9
	s_and_b64 exec, exec, vcc
	s_cbranch_execz .LBB257_49
; %bb.37:
	s_andn2_b64 vcc, exec, s[4:5]
	v_cvt_f32_f64_e32 v0, s[20:21]
	s_cbranch_vccnz .LBB257_39
; %bb.38:
	v_cmp_lt_f32_e32 vcc, 0, v13
	s_nop 1
	v_cndmask_b32_e32 v1, 1.0, v13, vcc
	v_div_scale_f32 v2, s[0:1], v1, v1, v0
	v_rcp_f32_e32 v3, v2
	s_nop 0
	v_fma_f32 v4, -v2, v3, 1.0
	v_fmac_f32_e32 v3, v4, v3
	v_div_scale_f32 v4, vcc, v0, v1, v0
	v_mul_f32_e32 v5, v4, v3
	v_fma_f32 v6, -v2, v5, v4
	v_fmac_f32_e32 v5, v6, v3
	v_fma_f32 v2, -v2, v5, v4
	v_div_fmas_f32 v2, v2, v3, v5
	v_div_fixup_f32 v0, v2, v1, v0
.LBB257_39:
	s_andn2_b64 vcc, exec, s[38:39]
	s_cbranch_vccnz .LBB257_49
; %bb.40:
	v_mul_lo_u32 v2, v8, s24
	s_cmp_gt_u32 s24, 3
	v_ashrrev_i32_e32 v3, 31, v2
	s_cbranch_scc0 .LBB257_44
; %bb.41:
	s_and_b32 s0, s24, 0x7ffffffc
	v_lshl_add_u64 v[4:5], v[2:3], 2, s[34:35]
	v_mov_b32_e32 v1, v0
	v_lshl_add_u64 v[4:5], v[4:5], 0, 8
	s_mov_b32 s1, s0
.LBB257_42:                             ; =>This Inner Loop Header: Depth=1
	global_load_dwordx4 v[6:9], v[4:5], off offset:-8
	s_add_i32 s1, s1, -4
	s_cmp_lg_u32 s1, 0
	s_waitcnt vmcnt(0)
	v_pk_mul_f32 v[6:7], v[0:1], v[6:7]
	v_pk_mul_f32 v[8:9], v[0:1], v[8:9]
	global_store_dwordx4 v[4:5], v[6:9], off offset:-8
	v_lshl_add_u64 v[4:5], v[4:5], 0, 16
	s_cbranch_scc1 .LBB257_42
; %bb.43:
	s_cmp_lg_u32 s0, s24
	s_cselect_b64 s[2:3], -1, 0
	s_branch .LBB257_46
.LBB257_44:
	s_mov_b64 s[2:3], 0
                                        ; implicit-def: $sgpr0
	s_cbranch_execz .LBB257_46
; %bb.45:
	s_mov_b64 s[2:3], -1
	s_mov_b32 s0, 0
.LBB257_46:
	s_andn2_b64 vcc, exec, s[2:3]
	s_cbranch_vccnz .LBB257_49
; %bb.47:
	s_mov_b32 s1, 0
	v_lshl_add_u64 v[2:3], v[2:3], 0, s[0:1]
	s_sub_i32 s2, s24, s0
	v_lshl_add_u64 v[2:3], v[2:3], 2, s[34:35]
.LBB257_48:                             ; =>This Inner Loop Header: Depth=1
	global_load_dword v1, v[2:3], off
	s_add_i32 s2, s2, -1
	s_cmp_lg_u32 s2, 0
	s_waitcnt vmcnt(0)
	v_mul_f32_e32 v1, v0, v1
	global_store_dword v[2:3], v1, off
	v_lshl_add_u64 v[2:3], v[2:3], 0, 4
	s_cbranch_scc1 .LBB257_48
.LBB257_49:
	s_endpgm
	.section	.rodata,"a",@progbits
	.p2align	6, 0x0
	.amdhsa_kernel _ZN4vllm3moe22topkGatingSoftplusSqrtILi8ELi16ELi4ELi16ELi64ELb0Ej6__halfEEvPKT6_PKbPfiPT5_PiiiibdPKfPKS9_SF_
		.amdhsa_group_segment_fixed_size 0
		.amdhsa_private_segment_fixed_size 0
		.amdhsa_kernarg_size 96
		.amdhsa_user_sgpr_count 2
		.amdhsa_user_sgpr_dispatch_ptr 0
		.amdhsa_user_sgpr_queue_ptr 0
		.amdhsa_user_sgpr_kernarg_segment_ptr 1
		.amdhsa_user_sgpr_dispatch_id 0
		.amdhsa_user_sgpr_kernarg_preload_length 0
		.amdhsa_user_sgpr_kernarg_preload_offset 0
		.amdhsa_user_sgpr_private_segment_size 0
		.amdhsa_uses_dynamic_stack 0
		.amdhsa_enable_private_segment 0
		.amdhsa_system_sgpr_workgroup_id_x 1
		.amdhsa_system_sgpr_workgroup_id_y 0
		.amdhsa_system_sgpr_workgroup_id_z 0
		.amdhsa_system_sgpr_workgroup_info 0
		.amdhsa_system_vgpr_workitem_id 1
		.amdhsa_next_free_vgpr 24
		.amdhsa_next_free_sgpr 43
		.amdhsa_accum_offset 24
		.amdhsa_reserve_vcc 1
		.amdhsa_float_round_mode_32 0
		.amdhsa_float_round_mode_16_64 0
		.amdhsa_float_denorm_mode_32 3
		.amdhsa_float_denorm_mode_16_64 3
		.amdhsa_dx10_clamp 1
		.amdhsa_ieee_mode 1
		.amdhsa_fp16_overflow 0
		.amdhsa_tg_split 0
		.amdhsa_exception_fp_ieee_invalid_op 0
		.amdhsa_exception_fp_denorm_src 0
		.amdhsa_exception_fp_ieee_div_zero 0
		.amdhsa_exception_fp_ieee_overflow 0
		.amdhsa_exception_fp_ieee_underflow 0
		.amdhsa_exception_fp_ieee_inexact 0
		.amdhsa_exception_int_div_zero 0
	.end_amdhsa_kernel
	.section	.text._ZN4vllm3moe22topkGatingSoftplusSqrtILi8ELi16ELi4ELi16ELi64ELb0Ej6__halfEEvPKT6_PKbPfiPT5_PiiiibdPKfPKS9_SF_,"axG",@progbits,_ZN4vllm3moe22topkGatingSoftplusSqrtILi8ELi16ELi4ELi16ELi64ELb0Ej6__halfEEvPKT6_PKbPfiPT5_PiiiibdPKfPKS9_SF_,comdat
.Lfunc_end257:
	.size	_ZN4vllm3moe22topkGatingSoftplusSqrtILi8ELi16ELi4ELi16ELi64ELb0Ej6__halfEEvPKT6_PKbPfiPT5_PiiiibdPKfPKS9_SF_, .Lfunc_end257-_ZN4vllm3moe22topkGatingSoftplusSqrtILi8ELi16ELi4ELi16ELi64ELb0Ej6__halfEEvPKT6_PKbPfiPT5_PiiiibdPKfPKS9_SF_
                                        ; -- End function
	.section	.AMDGPU.csdata,"",@progbits
; Kernel info:
; codeLenInByte = 3696
; NumSgprs: 49
; NumVgprs: 24
; NumAgprs: 0
; TotalNumVgprs: 24
; ScratchSize: 0
; MemoryBound: 0
; FloatMode: 240
; IeeeMode: 1
; LDSByteSize: 0 bytes/workgroup (compile time only)
; SGPRBlocks: 6
; VGPRBlocks: 2
; NumSGPRsForWavesPerEU: 49
; NumVGPRsForWavesPerEU: 24
; AccumOffset: 24
; Occupancy: 8
; WaveLimiterHint : 0
; COMPUTE_PGM_RSRC2:SCRATCH_EN: 0
; COMPUTE_PGM_RSRC2:USER_SGPR: 2
; COMPUTE_PGM_RSRC2:TRAP_HANDLER: 0
; COMPUTE_PGM_RSRC2:TGID_X_EN: 1
; COMPUTE_PGM_RSRC2:TGID_Y_EN: 0
; COMPUTE_PGM_RSRC2:TGID_Z_EN: 0
; COMPUTE_PGM_RSRC2:TIDIG_COMP_CNT: 1
; COMPUTE_PGM_RSRC3_GFX90A:ACCUM_OFFSET: 5
; COMPUTE_PGM_RSRC3_GFX90A:TG_SPLIT: 0
	.section	.text._ZN4vllm3moe22topkGatingSoftplusSqrtILi8ELi16ELi4ELi16ELi32ELb1Ej6__halfEEvPKT6_PKbPfiPT5_PiiiibdPKfPKS9_SF_,"axG",@progbits,_ZN4vllm3moe22topkGatingSoftplusSqrtILi8ELi16ELi4ELi16ELi32ELb1Ej6__halfEEvPKT6_PKbPfiPT5_PiiiibdPKfPKS9_SF_,comdat
	.protected	_ZN4vllm3moe22topkGatingSoftplusSqrtILi8ELi16ELi4ELi16ELi32ELb1Ej6__halfEEvPKT6_PKbPfiPT5_PiiiibdPKfPKS9_SF_ ; -- Begin function _ZN4vllm3moe22topkGatingSoftplusSqrtILi8ELi16ELi4ELi16ELi32ELb1Ej6__halfEEvPKT6_PKbPfiPT5_PiiiibdPKfPKS9_SF_
	.globl	_ZN4vllm3moe22topkGatingSoftplusSqrtILi8ELi16ELi4ELi16ELi32ELb1Ej6__halfEEvPKT6_PKbPfiPT5_PiiiibdPKfPKS9_SF_
	.p2align	8
	.type	_ZN4vllm3moe22topkGatingSoftplusSqrtILi8ELi16ELi4ELi16ELi32ELb1Ej6__halfEEvPKT6_PKbPfiPT5_PiiiibdPKfPKS9_SF_,@function
_ZN4vllm3moe22topkGatingSoftplusSqrtILi8ELi16ELi4ELi16ELi32ELb1Ej6__halfEEvPKT6_PKbPfiPT5_PiiiibdPKfPKS9_SF_: ; @_ZN4vllm3moe22topkGatingSoftplusSqrtILi8ELi16ELi4ELi16ELi32ELb1Ej6__halfEEvPKT6_PKbPfiPT5_PiiiibdPKfPKS9_SF_
; %bb.0:
	s_load_dword s3, s[0:1], 0x18
	v_bfe_u32 v1, v0, 10, 10
	v_and_b32_e32 v8, 0x3ff, v0
	s_lshl_b32 s2, s2, 6
	v_lshlrev_b32_e32 v1, 4, v1
	v_lshrrev_b32_e32 v0, 1, v8
	v_add3_u32 v6, s2, v1, v0
	s_waitcnt lgkmcnt(0)
	v_cmp_gt_i32_e32 vcc, s3, v6
	s_and_saveexec_b64 s[2:3], vcc
	s_cbranch_execz .LBB258_32
; %bb.1:
	s_load_dwordx2 s[2:3], s[0:1], 0x0
	s_load_dword s33, s[0:1], 0x30
	v_lshlrev_b32_e32 v0, 4, v6
	v_lshlrev_b32_e32 v2, 3, v8
	v_ashrrev_i32_e32 v1, 31, v0
	v_and_b32_e32 v10, 8, v2
	s_waitcnt lgkmcnt(0)
	v_lshl_add_u64 v[0:1], v[0:1], 1, s[2:3]
	v_lshlrev_b32_e32 v4, 1, v10
	v_mov_b32_e32 v5, 0
	v_lshl_add_u64 v[0:1], v[0:1], 0, v[4:5]
	global_load_dwordx4 v[0:3], v[0:1], off
	s_load_dwordx4 s[8:11], s[0:1], 0x50
	v_ashrrev_i32_e32 v7, 31, v6
	s_mov_b32 s15, 0x800000
	s_mov_b32 s13, 0x3f317217
	;; [unrolled: 1-line block ×3, first 2 shown]
	s_waitcnt lgkmcnt(0)
	v_mov_b32_e32 v12, s8
	v_mov_b32_e32 v13, s9
	v_lshl_add_u64 v[12:13], v[6:7], 2, v[12:13]
	global_load_dword v4, v[12:13], off
	v_mov_b32_e32 v7, 0x4f800000
	v_mov_b32_e32 v9, 0x41b17218
	s_movk_i32 s9, 0x4d00
	s_mov_b32 s12, 0xf800000
	v_mov_b32_e32 v19, 0x260
	s_cmp_gt_i32 s33, 0
	s_mov_b32 s8, 0
	s_waitcnt vmcnt(1)
	v_cvt_f32_f16_e32 v11, v0
	v_cvt_f32_f16_sdwa v16, v0 dst_sel:DWORD dst_unused:UNUSED_PAD src0_sel:WORD_1
	v_cvt_f32_f16_e32 v17, v1
	v_cvt_f32_f16_sdwa v18, v1 dst_sel:DWORD dst_unused:UNUSED_PAD src0_sel:WORD_1
	v_mul_f32_e32 v12, 0x3fb8aa3b, v11
	v_mul_f32_e32 v13, 0x3fb8aa3b, v16
	v_exp_f32_e32 v12, v12
	v_exp_f32_e32 v13, v13
	v_mul_f32_e32 v14, 0x3fb8aa3b, v17
	v_mul_f32_e32 v15, 0x3fb8aa3b, v18
	v_exp_f32_e32 v14, v14
	v_exp_f32_e32 v15, v15
	v_pk_add_f32 v[12:13], v[12:13], 1.0 op_sel_hi:[1,0]
	s_waitcnt vmcnt(0)
	v_mul_lo_u32 v4, v4, s33
	v_cmp_gt_f32_e32 vcc, s15, v13
	v_pk_add_f32 v[14:15], v[14:15], 1.0 op_sel_hi:[1,0]
	v_cmp_gt_f32_e64 s[2:3], s15, v12
	v_cndmask_b32_e32 v20, 1.0, v7, vcc
	v_cmp_gt_f32_e64 s[4:5], s15, v15
	v_cndmask_b32_e64 v21, 1.0, v7, s[2:3]
	v_mul_f32_e32 v13, v13, v20
	v_cndmask_b32_e64 v22, 1.0, v7, s[4:5]
	v_cmp_gt_f32_e64 s[6:7], s15, v14
	v_mul_f32_e32 v12, v12, v21
	v_log_f32_e32 v13, v13
	v_cndmask_b32_e64 v23, 1.0, v7, s[6:7]
	v_mul_f32_e32 v15, v15, v22
	v_log_f32_e32 v12, v12
	v_mul_f32_e32 v14, v14, v23
	v_log_f32_e32 v15, v15
	v_log_f32_e32 v14, v14
	v_mul_f32_e32 v23, 0x3f317217, v13
	v_mul_f32_e32 v24, 0x3f317217, v12
	v_fma_f32 v23, v13, s13, -v23
	v_mul_f32_e32 v25, 0x3f317217, v15
	v_fma_f32 v24, v12, s13, -v24
	v_fmac_f32_e32 v23, 0x3377d1cf, v13
	v_cndmask_b32_e32 v20, 0, v9, vcc
	v_mul_f32_e32 v26, 0x3f317217, v14
	v_fma_f32 v25, v15, s13, -v25
	v_fmac_f32_e32 v24, 0x3377d1cf, v12
	v_fmac_f32_e32 v23, 0x3f317217, v13
	v_cmp_lt_f32_e64 vcc, |v13|, s14
	v_fma_f32 v26, v14, s13, -v26
	v_fmac_f32_e32 v25, 0x3377d1cf, v15
	v_fmac_f32_e32 v24, 0x3f317217, v12
	v_cndmask_b32_e32 v13, v13, v23, vcc
	v_cmp_lt_f32_e64 vcc, |v12|, s14
	v_fmac_f32_e32 v26, 0x3377d1cf, v14
	v_fmac_f32_e32 v25, 0x3f317217, v15
	v_cndmask_b32_e32 v12, v12, v24, vcc
	v_cmp_lt_f32_e64 vcc, |v15|, s14
	v_cndmask_b32_e64 v21, 0, v9, s[2:3]
	v_fmac_f32_e32 v26, 0x3f317217, v14
	v_cndmask_b32_e32 v15, v15, v25, vcc
	v_cmp_lt_f32_e64 vcc, |v14|, s14
	v_sub_f32_e32 v12, v12, v21
	v_sub_f32_e32 v13, v13, v20
	v_cndmask_b32_e32 v14, v14, v26, vcc
	v_cmp_lt_f16_e32 vcc, s9, v0
	v_cndmask_b32_e64 v22, 0, v9, s[4:5]
	v_sub_f32_e32 v15, v15, v22
	v_cndmask_b32_e32 v11, v12, v11, vcc
	v_cmp_gt_f16_sdwa vcc, v0, s9 src0_sel:WORD_1 src1_sel:DWORD
	v_cmp_gt_f32_e64 s[2:3], s12, v11
	s_nop 0
	v_cndmask_b32_e32 v0, v13, v16, vcc
	v_mul_f32_e32 v12, 0x4f800000, v0
	v_cmp_gt_f32_e32 vcc, s12, v0
	v_mul_f32_e32 v13, 0x4f800000, v11
	v_cndmask_b32_e64 v11, v11, v13, s[2:3]
	v_cndmask_b32_e32 v0, v0, v12, vcc
	v_sqrt_f32_e32 v12, v0
	v_sqrt_f32_e32 v13, v11
	v_add_u32_e32 v16, -1, v12
	v_add_u32_e32 v21, -1, v13
	v_fma_f32 v23, -v16, v12, v0
	v_add_u32_e32 v20, 1, v12
	v_fma_f32 v25, -v21, v13, v11
	v_cmp_ge_f32_e64 s[4:5], 0, v23
	v_add_u32_e32 v22, 1, v13
	v_fma_f32 v24, -v20, v12, v0
	v_cndmask_b32_e64 v12, v12, v16, s[4:5]
	v_cmp_ge_f32_e64 s[4:5], 0, v25
	v_fma_f32 v26, -v22, v13, v11
	s_nop 0
	v_cndmask_b32_e64 v13, v13, v21, s[4:5]
	v_cmp_lt_f32_e64 s[4:5], 0, v24
	s_nop 1
	v_cndmask_b32_e64 v12, v12, v20, s[4:5]
	v_cmp_lt_f32_e64 s[4:5], 0, v26
	v_mul_f32_e32 v16, 0x37800000, v12
	v_cndmask_b32_e32 v12, v12, v16, vcc
	v_cndmask_b32_e64 v13, v13, v22, s[4:5]
	v_mul_f32_e32 v20, 0x37800000, v13
	v_cmp_class_f32_e32 vcc, v0, v19
	v_cndmask_b32_e64 v16, v13, v20, s[2:3]
	v_cmp_lt_f16_e64 s[2:3], s9, v1
	v_cndmask_b32_e32 v13, v12, v0, vcc
	v_cmp_class_f32_e32 vcc, v11, v19
	v_cndmask_b32_e64 v0, 0, v9, s[6:7]
	v_sub_f32_e32 v0, v14, v0
	v_cndmask_b32_e32 v12, v16, v11, vcc
	v_cmp_gt_f16_sdwa vcc, v1, s9 src0_sel:WORD_1 src1_sel:DWORD
	v_cndmask_b32_e64 v0, v0, v17, s[2:3]
	v_cvt_f32_f16_e32 v17, v2
	v_cndmask_b32_e32 v11, v15, v18, vcc
	v_mul_f32_e32 v15, 0x4f800000, v11
	v_cmp_gt_f32_e32 vcc, s12, v11
	v_cvt_f32_f16_sdwa v18, v2 dst_sel:DWORD dst_unused:UNUSED_PAD src0_sel:WORD_1
	s_nop 0
	v_cndmask_b32_e32 v11, v11, v15, vcc
	v_sqrt_f32_e32 v15, v11
	s_nop 0
	v_add_u32_e32 v1, -1, v15
	v_fma_f32 v14, -v1, v15, v11
	v_cmp_ge_f32_e64 s[2:3], 0, v14
	v_add_u32_e32 v14, 1, v15
	s_nop 0
	v_cndmask_b32_e64 v1, v15, v1, s[2:3]
	v_fma_f32 v15, -v14, v15, v11
	v_cmp_lt_f32_e64 s[2:3], 0, v15
	v_mul_f32_e32 v15, 0x4f800000, v0
	s_nop 0
	v_cndmask_b32_e64 v1, v1, v14, s[2:3]
	v_cmp_gt_f32_e64 s[2:3], s12, v0
	v_mul_f32_e32 v14, 0x37800000, v1
	v_cndmask_b32_e32 v1, v1, v14, vcc
	v_cndmask_b32_e64 v16, v0, v15, s[2:3]
	v_sqrt_f32_e32 v0, v16
	v_cmp_class_f32_e32 vcc, v11, v19
	v_add_u32_e32 v14, 1, v0
	s_nop 0
	v_cndmask_b32_e32 v15, v1, v11, vcc
	v_add_u32_e32 v1, -1, v0
	v_fma_f32 v11, -v1, v0, v16
	v_cmp_ge_f32_e32 vcc, 0, v11
	v_fma_f32 v20, -v14, v0, v16
	s_nop 0
	v_cndmask_b32_e32 v11, v0, v1, vcc
	v_mul_f32_e32 v0, 0x3fb8aa3b, v17
	v_mul_f32_e32 v1, 0x3fb8aa3b, v18
	v_exp_f32_e32 v0, v0
	v_exp_f32_e32 v1, v1
	v_cmp_lt_f32_e32 vcc, 0, v20
	v_pk_add_f32 v[0:1], v[0:1], 1.0 op_sel_hi:[1,0]
	s_nop 0
	v_cndmask_b32_e32 v11, v11, v14, vcc
	v_mul_f32_e32 v14, 0x37800000, v11
	v_cmp_gt_f32_e32 vcc, s15, v1
	v_cndmask_b32_e64 v11, v11, v14, s[2:3]
	v_cmp_class_f32_e64 s[2:3], v16, v19
	v_cndmask_b32_e32 v14, 1.0, v7, vcc
	v_mul_f32_e32 v1, v1, v14
	v_log_f32_e32 v1, v1
	v_cndmask_b32_e64 v14, v11, v16, s[2:3]
	v_cmp_gt_f32_e64 s[2:3], s15, v0
	scratch_store_dwordx4 off, v[12:15], off
	v_mul_f32_e32 v11, 0x3f317217, v1
	v_fma_f32 v11, v1, s13, -v11
	v_cndmask_b32_e64 v12, 1.0, v7, s[2:3]
	v_mul_f32_e32 v0, v0, v12
	v_log_f32_e32 v0, v0
	v_fmac_f32_e32 v11, 0x3377d1cf, v1
	v_fmac_f32_e32 v11, 0x3f317217, v1
	v_cmp_lt_f32_e64 s[4:5], |v1|, s14
	v_cvt_f32_f16_sdwa v15, v3 dst_sel:DWORD dst_unused:UNUSED_PAD src0_sel:WORD_1
	v_mul_f32_e32 v13, 0x3fb8aa3b, v15
	v_cndmask_b32_e64 v1, v1, v11, s[4:5]
	v_cndmask_b32_e32 v11, 0, v9, vcc
	v_sub_f32_e32 v1, v1, v11
	v_mul_f32_e32 v11, 0x3f317217, v0
	v_fma_f32 v11, v0, s13, -v11
	v_fmac_f32_e32 v11, 0x3377d1cf, v0
	v_fmac_f32_e32 v11, 0x3f317217, v0
	v_cmp_lt_f32_e64 vcc, |v0|, s14
	v_exp_f32_e32 v13, v13
	s_nop 0
	v_cndmask_b32_e32 v0, v0, v11, vcc
	v_cmp_gt_f16_sdwa vcc, v2, s9 src0_sel:WORD_1 src1_sel:DWORD
	v_cndmask_b32_e64 v11, 0, v9, s[2:3]
	v_cmp_lt_f16_e64 s[2:3], s9, v2
	v_cndmask_b32_e32 v1, v1, v18, vcc
	v_mul_f32_e32 v12, 0x4f800000, v1
	v_cmp_gt_f32_e32 vcc, s12, v1
	v_sub_f32_e32 v0, v0, v11
	v_cndmask_b32_e64 v0, v0, v17, s[2:3]
	v_cndmask_b32_e32 v1, v1, v12, vcc
	v_sqrt_f32_e32 v12, v1
	s_nop 0
	v_add_u32_e32 v2, -1, v12
	v_fma_f32 v11, -v2, v12, v1
	v_cmp_ge_f32_e64 s[2:3], 0, v11
	v_add_u32_e32 v11, 1, v12
	s_nop 0
	v_cndmask_b32_e64 v2, v12, v2, s[2:3]
	v_fma_f32 v12, -v11, v12, v1
	v_cmp_lt_f32_e64 s[2:3], 0, v12
	v_mul_f32_e32 v12, 0x4f800000, v0
	s_nop 0
	v_cndmask_b32_e64 v2, v2, v11, s[2:3]
	v_cmp_gt_f32_e64 s[2:3], s12, v0
	v_mul_f32_e32 v11, 0x37800000, v2
	v_cndmask_b32_e32 v2, v2, v11, vcc
	v_cndmask_b32_e64 v0, v0, v12, s[2:3]
	v_sqrt_f32_e32 v12, v0
	v_cmp_class_f32_e32 vcc, v1, v19
	v_add_u32_e32 v14, 1, v12
	s_nop 0
	v_cndmask_b32_e32 v1, v2, v1, vcc
	v_add_u32_e32 v2, -1, v12
	v_fma_f32 v11, -v2, v12, v0
	v_cmp_ge_f32_e32 vcc, 0, v11
	v_cvt_f32_f16_e32 v11, v3
	v_fma_f32 v16, -v14, v12, v0
	v_cndmask_b32_e32 v2, v12, v2, vcc
	v_cmp_lt_f32_e32 vcc, 0, v16
	v_mul_f32_e32 v12, 0x3fb8aa3b, v11
	v_exp_f32_e32 v12, v12
	v_cndmask_b32_e32 v2, v2, v14, vcc
	v_mul_f32_e32 v14, 0x37800000, v2
	v_cndmask_b32_e64 v2, v2, v14, s[2:3]
	v_pk_add_f32 v[12:13], v[12:13], 1.0 op_sel_hi:[1,0]
	v_cmp_class_f32_e64 s[2:3], v0, v19
	v_cmp_gt_f32_e32 vcc, s15, v13
	s_nop 0
	v_cndmask_b32_e64 v0, v2, v0, s[2:3]
	v_cndmask_b32_e32 v16, 1.0, v7, vcc
	v_mul_f32_e32 v13, v13, v16
	v_log_f32_e32 v13, v13
	v_cmp_gt_f32_e64 s[2:3], s15, v12
	v_mul_f32_e32 v2, 0x3f317217, v13
	s_nop 0
	v_cndmask_b32_e64 v7, 1.0, v7, s[2:3]
	v_mul_f32_e32 v7, v12, v7
	v_fma_f32 v2, v13, s13, -v2
	v_log_f32_e32 v7, v7
	v_fmac_f32_e32 v2, 0x3377d1cf, v13
	v_fmac_f32_e32 v2, 0x3f317217, v13
	v_cmp_lt_f32_e64 s[4:5], |v13|, s14
	v_cndmask_b32_e32 v12, 0, v9, vcc
	v_cmp_lt_f32_e64 vcc, |v7|, s14
	v_cndmask_b32_e64 v2, v13, v2, s[4:5]
	v_sub_f32_e32 v2, v2, v12
	v_mul_f32_e32 v12, 0x3f317217, v7
	v_fma_f32 v12, v7, s13, -v12
	v_fmac_f32_e32 v12, 0x3377d1cf, v7
	v_fmac_f32_e32 v12, 0x3f317217, v7
	v_cndmask_b32_e32 v7, v7, v12, vcc
	v_cmp_gt_f16_sdwa vcc, v3, s9 src0_sel:WORD_1 src1_sel:DWORD
	v_cndmask_b32_e64 v9, 0, v9, s[2:3]
	v_sub_f32_e32 v7, v7, v9
	v_cndmask_b32_e32 v2, v2, v15, vcc
	v_mul_f32_e32 v12, 0x4f800000, v2
	v_cmp_gt_f32_e32 vcc, s12, v2
	v_cmp_lt_f16_e64 s[2:3], s9, v3
	s_cselect_b64 s[4:5], -1, 0
	v_cndmask_b32_e32 v2, v2, v12, vcc
	v_sqrt_f32_e32 v12, v2
	v_cndmask_b32_e64 v3, v7, v11, s[2:3]
	s_cmp_lt_i32 s33, 1
	v_add_u32_e32 v7, -1, v12
	v_fma_f32 v9, -v7, v12, v2
	v_cmp_ge_f32_e64 s[2:3], 0, v9
	v_add_u32_e32 v9, 1, v12
	v_fma_f32 v11, -v9, v12, v2
	v_cndmask_b32_e64 v7, v12, v7, s[2:3]
	v_cmp_lt_f32_e64 s[2:3], 0, v11
	v_mul_f32_e32 v11, 0x4f800000, v3
	s_nop 0
	v_cndmask_b32_e64 v7, v7, v9, s[2:3]
	v_cmp_gt_f32_e64 s[2:3], s12, v3
	v_mul_f32_e32 v9, 0x37800000, v7
	s_nop 0
	v_cndmask_b32_e64 v11, v3, v11, s[2:3]
	v_sqrt_f32_e32 v12, v11
	v_cndmask_b32_e32 v3, v7, v9, vcc
	v_cmp_class_f32_e32 vcc, v2, v19
	s_nop 1
	v_cndmask_b32_e32 v3, v3, v2, vcc
	v_add_u32_e32 v2, -1, v12
	v_fma_f32 v7, -v2, v12, v11
	v_cmp_ge_f32_e32 vcc, 0, v7
	v_add_u32_e32 v7, 1, v12
	v_fma_f32 v9, -v7, v12, v11
	v_cndmask_b32_e32 v2, v12, v2, vcc
	v_cmp_lt_f32_e32 vcc, 0, v9
	s_nop 1
	v_cndmask_b32_e32 v2, v2, v7, vcc
	v_mul_f32_e32 v7, 0x37800000, v2
	v_cndmask_b32_e64 v2, v2, v7, s[2:3]
	v_cmp_class_f32_e32 vcc, v11, v19
	s_nop 1
	v_cndmask_b32_e32 v2, v2, v11, vcc
	scratch_store_dwordx4 off, v[0:3], off offset:16
	s_nop 1
	v_lshl_add_u64 v[2:3], v[4:5], 2, s[10:11]
	v_mul_lo_u32 v0, v6, s33
	s_cbranch_scc1 .LBB258_29
; %bb.2:
	s_load_dwordx2 s[6:7], s[0:1], 0x20
	s_cmp_lt_u32 s33, 4
	v_and_b32_e32 v4, 1, v8
	s_cbranch_scc1 .LBB258_21
; %bb.3:
	v_lshlrev_b32_e32 v5, 3, v4
	s_mov_b32 s11, 0
	s_and_b32 s8, s33, 0x7ffffffc
	v_ashrrev_i32_e32 v1, 31, v0
	v_sub_u32_e32 v11, 0, v5
	v_mov_b32_e32 v5, 0
	s_mov_b32 s10, s11
	s_branch .LBB258_5
.LBB258_4:                              ;   in Loop: Header=BB258_5 Depth=1
	s_or_b64 exec, exec, s[12:13]
	s_add_i32 s10, s10, 4
	s_cmp_eq_u32 s10, s8
	s_cbranch_scc1 .LBB258_22
.LBB258_5:                              ; =>This Loop Header: Depth=1
                                        ;     Child Loop BB258_7 Depth 2
                                        ;     Child Loop BB258_11 Depth 2
	;; [unrolled: 1-line block ×4, first 2 shown]
	v_lshl_add_u64 v[6:7], s[10:11], 2, v[2:3]
	global_load_dword v12, v[6:7], off
	v_add_u32_e32 v8, s10, v0
	v_ashrrev_i32_e32 v9, 31, v8
	v_mov_b32_e32 v13, 0
	s_mov_b64 s[12:13], 0
	s_waitcnt lgkmcnt(0)
	v_lshl_add_u64 v[8:9], v[8:9], 2, s[6:7]
	s_mov_b32 s9, 0
	s_waitcnt vmcnt(0)
	v_add_u32_e32 v14, v11, v12
	s_branch .LBB258_7
.LBB258_6:                              ;   in Loop: Header=BB258_7 Depth=2
	s_or_b64 exec, exec, s[14:15]
	s_add_i32 s16, s9, 1
	s_cmp_gt_u32 s9, 6
	s_cselect_b64 s[2:3], -1, 0
	s_xor_b64 s[14:15], vcc, -1
	s_or_b64 s[2:3], s[14:15], s[2:3]
	s_and_b64 s[2:3], exec, s[2:3]
	v_add_u32_e32 v13, 4, v13
	s_or_b64 s[12:13], s[2:3], s[12:13]
	s_mov_b32 s9, s16
	s_andn2_b64 exec, exec, s[12:13]
	s_cbranch_execz .LBB258_9
.LBB258_7:                              ;   Parent Loop BB258_5 Depth=1
                                        ; =>  This Inner Loop Header: Depth=2
	v_cmp_ne_u32_e32 vcc, s9, v14
	v_cmp_eq_u32_e64 s[2:3], s9, v14
	s_and_saveexec_b64 s[14:15], s[2:3]
	s_cbranch_execz .LBB258_6
; %bb.8:                                ;   in Loop: Header=BB258_7 Depth=2
	scratch_load_dword v15, v13, off
	s_waitcnt vmcnt(0)
	v_add_f32_e32 v5, v5, v15
	global_store_dword v[8:9], v12, off
	s_branch .LBB258_6
.LBB258_9:                              ;   in Loop: Header=BB258_5 Depth=1
	s_or_b64 exec, exec, s[12:13]
	global_load_dword v12, v[6:7], off offset:4
	s_ashr_i32 s3, s10, 31
	s_mov_b32 s2, s10
	v_lshl_add_u64 v[8:9], s[2:3], 0, v[0:1]
	v_mov_b32_e32 v13, 0
	s_mov_b32 s9, 0
	v_lshl_add_u64 v[8:9], v[8:9], 2, s[6:7]
	s_mov_b64 s[12:13], 0
	s_waitcnt vmcnt(0)
	v_add_u32_e32 v14, v11, v12
	s_branch .LBB258_11
.LBB258_10:                             ;   in Loop: Header=BB258_11 Depth=2
	s_or_b64 exec, exec, s[14:15]
	s_add_i32 s16, s9, 1
	s_cmp_gt_u32 s9, 6
	s_cselect_b64 s[2:3], -1, 0
	s_xor_b64 s[14:15], vcc, -1
	s_or_b64 s[2:3], s[14:15], s[2:3]
	s_and_b64 s[2:3], exec, s[2:3]
	v_add_u32_e32 v13, 4, v13
	s_or_b64 s[12:13], s[2:3], s[12:13]
	s_mov_b32 s9, s16
	s_andn2_b64 exec, exec, s[12:13]
	s_cbranch_execz .LBB258_13
.LBB258_11:                             ;   Parent Loop BB258_5 Depth=1
                                        ; =>  This Inner Loop Header: Depth=2
	v_cmp_ne_u32_e32 vcc, s9, v14
	v_cmp_eq_u32_e64 s[2:3], s9, v14
	s_and_saveexec_b64 s[14:15], s[2:3]
	s_cbranch_execz .LBB258_10
; %bb.12:                               ;   in Loop: Header=BB258_11 Depth=2
	scratch_load_dword v15, v13, off
	s_waitcnt vmcnt(0)
	v_add_f32_e32 v5, v5, v15
	global_store_dword v[8:9], v12, off offset:4
	s_branch .LBB258_10
.LBB258_13:                             ;   in Loop: Header=BB258_5 Depth=1
	s_or_b64 exec, exec, s[12:13]
	global_load_dword v12, v[6:7], off offset:8
	v_mov_b32_e32 v13, 0
	s_mov_b32 s9, 0
	s_mov_b64 s[12:13], 0
	s_waitcnt vmcnt(0)
	v_add_u32_e32 v14, v11, v12
	s_branch .LBB258_15
.LBB258_14:                             ;   in Loop: Header=BB258_15 Depth=2
	s_or_b64 exec, exec, s[14:15]
	s_add_i32 s16, s9, 1
	s_cmp_gt_u32 s9, 6
	s_cselect_b64 s[2:3], -1, 0
	s_xor_b64 s[14:15], vcc, -1
	s_or_b64 s[2:3], s[14:15], s[2:3]
	s_and_b64 s[2:3], exec, s[2:3]
	v_add_u32_e32 v13, 4, v13
	s_or_b64 s[12:13], s[2:3], s[12:13]
	s_mov_b32 s9, s16
	s_andn2_b64 exec, exec, s[12:13]
	s_cbranch_execz .LBB258_17
.LBB258_15:                             ;   Parent Loop BB258_5 Depth=1
                                        ; =>  This Inner Loop Header: Depth=2
	v_cmp_ne_u32_e32 vcc, s9, v14
	v_cmp_eq_u32_e64 s[2:3], s9, v14
	s_and_saveexec_b64 s[14:15], s[2:3]
	s_cbranch_execz .LBB258_14
; %bb.16:                               ;   in Loop: Header=BB258_15 Depth=2
	scratch_load_dword v15, v13, off
	s_waitcnt vmcnt(0)
	v_add_f32_e32 v5, v5, v15
	global_store_dword v[8:9], v12, off offset:8
	s_branch .LBB258_14
.LBB258_17:                             ;   in Loop: Header=BB258_5 Depth=1
	s_or_b64 exec, exec, s[12:13]
	global_load_dword v6, v[6:7], off offset:12
	v_mov_b32_e32 v7, 0
	s_mov_b32 s9, 0
	s_mov_b64 s[12:13], 0
	s_waitcnt vmcnt(0)
	v_add_u32_e32 v12, v11, v6
	s_branch .LBB258_19
.LBB258_18:                             ;   in Loop: Header=BB258_19 Depth=2
	s_or_b64 exec, exec, s[14:15]
	s_add_i32 s16, s9, 1
	s_cmp_gt_u32 s9, 6
	s_cselect_b64 s[2:3], -1, 0
	s_xor_b64 s[14:15], vcc, -1
	s_or_b64 s[2:3], s[14:15], s[2:3]
	s_and_b64 s[2:3], exec, s[2:3]
	v_add_u32_e32 v7, 4, v7
	s_or_b64 s[12:13], s[2:3], s[12:13]
	s_mov_b32 s9, s16
	s_andn2_b64 exec, exec, s[12:13]
	s_cbranch_execz .LBB258_4
.LBB258_19:                             ;   Parent Loop BB258_5 Depth=1
                                        ; =>  This Inner Loop Header: Depth=2
	v_cmp_ne_u32_e32 vcc, s9, v12
	v_cmp_eq_u32_e64 s[2:3], s9, v12
	s_and_saveexec_b64 s[14:15], s[2:3]
	s_cbranch_execz .LBB258_18
; %bb.20:                               ;   in Loop: Header=BB258_19 Depth=2
	scratch_load_dword v13, v7, off
	s_waitcnt vmcnt(0)
	v_add_f32_e32 v5, v5, v13
	global_store_dword v[8:9], v6, off offset:12
	s_branch .LBB258_18
.LBB258_21:
	v_mov_b32_e32 v5, 0
.LBB258_22:
	s_and_b32 s14, s33, 3
	s_cmp_eq_u32 s14, 0
	s_mov_b32 s9, 0
	s_cbranch_scc1 .LBB258_29
; %bb.23:
	v_lshlrev_b32_e32 v1, 3, v4
	v_sub_u32_e32 v1, 0, v1
	s_mov_b32 s15, s9
	s_branch .LBB258_25
.LBB258_24:                             ;   in Loop: Header=BB258_25 Depth=1
	s_or_b64 exec, exec, s[10:11]
	s_add_i32 s8, s8, 1
	s_add_i32 s15, s15, 1
	s_cmp_lg_u32 s15, s14
	s_cbranch_scc0 .LBB258_29
.LBB258_25:                             ; =>This Loop Header: Depth=1
                                        ;     Child Loop BB258_27 Depth 2
	v_lshl_add_u64 v[6:7], s[8:9], 2, v[2:3]
	global_load_dword v4, v[6:7], off
	v_add_u32_e32 v6, s8, v0
	v_ashrrev_i32_e32 v7, 31, v6
	v_mov_b32_e32 v8, 0
	s_mov_b32 s16, 0
	s_waitcnt lgkmcnt(0)
	v_lshl_add_u64 v[6:7], v[6:7], 2, s[6:7]
	s_mov_b64 s[10:11], 0
	s_waitcnt vmcnt(0)
	v_add_u32_e32 v9, v1, v4
	s_branch .LBB258_27
.LBB258_26:                             ;   in Loop: Header=BB258_27 Depth=2
	s_or_b64 exec, exec, s[12:13]
	s_add_i32 s17, s16, 1
	s_cmp_gt_u32 s16, 6
	s_cselect_b64 s[2:3], -1, 0
	s_xor_b64 s[12:13], vcc, -1
	s_or_b64 s[2:3], s[12:13], s[2:3]
	s_and_b64 s[2:3], exec, s[2:3]
	v_add_u32_e32 v8, 4, v8
	s_or_b64 s[10:11], s[2:3], s[10:11]
	s_mov_b32 s16, s17
	s_andn2_b64 exec, exec, s[10:11]
	s_cbranch_execz .LBB258_24
.LBB258_27:                             ;   Parent Loop BB258_25 Depth=1
                                        ; =>  This Inner Loop Header: Depth=2
	v_cmp_ne_u32_e32 vcc, s16, v9
	v_cmp_eq_u32_e64 s[2:3], s16, v9
	s_and_saveexec_b64 s[12:13], s[2:3]
	s_cbranch_execz .LBB258_26
; %bb.28:                               ;   in Loop: Header=BB258_27 Depth=2
	scratch_load_dword v11, v8, off
	s_waitcnt vmcnt(0)
	v_add_f32_e32 v5, v5, v11
	global_store_dword v[6:7], v4, off
	s_branch .LBB258_26
.LBB258_29:
	s_waitcnt lgkmcnt(0)
	s_load_dword s6, s[0:1], 0x3c
	s_waitcnt lgkmcnt(0)
	s_bitcmp1_b32 s6, 0
	s_cselect_b64 s[2:3], -1, 0
	s_bitcmp0_b32 s6, 0
	s_cbranch_scc0 .LBB258_33
; %bb.30:
	s_load_dwordx2 s[6:7], s[0:1], 0x40
	s_andn2_b64 vcc, exec, s[2:3]
	s_waitcnt lgkmcnt(0)
	v_cvt_f32_f64_e32 v8, s[6:7]
	s_cbranch_vccz .LBB258_34
.LBB258_31:
	s_andn2_b64 vcc, exec, s[4:5]
	s_cbranch_vccz .LBB258_35
.LBB258_32:
	s_endpgm
.LBB258_33:
	v_mbcnt_lo_u32_b32 v1, -1, 0
	v_mbcnt_hi_u32_b32 v1, -1, v1
	v_and_b32_e32 v6, 0x7e, v1
	v_xor_b32_e32 v4, 1, v1
	v_add_u32_e32 v6, 2, v6
	v_cmp_lt_i32_e32 vcc, v4, v6
	s_nop 1
	v_cndmask_b32_e32 v1, v1, v4, vcc
	v_lshlrev_b32_e32 v1, 2, v1
	ds_bpermute_b32 v1, v1, v5
	s_waitcnt lgkmcnt(0)
	v_add_f32_e32 v5, v5, v1
	s_load_dwordx2 s[6:7], s[0:1], 0x40
	s_andn2_b64 vcc, exec, s[2:3]
	s_waitcnt lgkmcnt(0)
	v_cvt_f32_f64_e32 v8, s[6:7]
	s_cbranch_vccnz .LBB258_31
.LBB258_34:
	v_cmp_lt_f32_e32 vcc, 0, v5
	s_nop 1
	v_cndmask_b32_e32 v1, 1.0, v5, vcc
	v_div_scale_f32 v4, s[2:3], v1, v1, v8
	v_rcp_f32_e32 v5, v4
	s_nop 0
	v_fma_f32 v6, -v4, v5, 1.0
	v_fmac_f32_e32 v5, v6, v5
	v_div_scale_f32 v6, vcc, v8, v1, v8
	v_mul_f32_e32 v7, v6, v5
	v_fma_f32 v9, -v4, v7, v6
	v_fmac_f32_e32 v7, v9, v5
	v_fma_f32 v4, -v4, v7, v6
	v_div_fmas_f32 v4, v4, v5, v7
	v_div_fixup_f32 v8, v4, v1, v8
	s_andn2_b64 vcc, exec, s[4:5]
	s_cbranch_vccnz .LBB258_32
.LBB258_35:
	s_load_dwordx2 s[12:13], s[0:1], 0x10
	v_mov_b32_e32 v1, 0
	v_or_b32_e32 v20, 4, v1
	v_or_b32_e32 v18, 8, v1
	;; [unrolled: 1-line block ×3, first 2 shown]
	v_add_u32_e32 v14, 16, v1
	v_add_u32_e32 v12, 20, v1
	;; [unrolled: 1-line block ×4, first 2 shown]
	v_or_b32_e32 v23, 1, v10
	v_or_b32_e32 v22, 2, v10
	;; [unrolled: 1-line block ×7, first 2 shown]
	s_cmp_eq_u32 s33, 1
	s_mov_b32 s14, 0
	s_cbranch_scc1 .LBB258_70
; %bb.36:
	v_ashrrev_i32_e32 v1, 31, v0
	s_waitcnt lgkmcnt(0)
	v_lshl_add_u64 v[4:5], v[0:1], 2, s[12:13]
	s_and_b32 s14, s33, 0x7ffffffe
	v_lshl_add_u64 v[4:5], v[4:5], 0, 4
	v_lshl_add_u64 v[6:7], v[2:3], 0, 4
	s_mov_b32 s15, 0
	s_branch .LBB258_38
.LBB258_37:                             ;   in Loop: Header=BB258_38 Depth=1
	s_or_b64 exec, exec, s[0:1]
	s_add_i32 s15, s15, 2
	v_lshl_add_u64 v[4:5], v[4:5], 0, 8
	s_cmp_eq_u32 s14, s15
	v_lshl_add_u64 v[6:7], v[6:7], 0, 8
	s_cbranch_scc1 .LBB258_70
.LBB258_38:                             ; =>This Inner Loop Header: Depth=1
	global_load_dword v24, v[6:7], off offset:-4
	v_mov_b32_e32 v1, 0
	s_waitcnt vmcnt(0)
	v_cmp_eq_u32_e32 vcc, v24, v10
	v_cmp_ne_u32_e64 s[0:1], v24, v10
	s_and_saveexec_b64 s[16:17], s[0:1]
	s_cbranch_execz .LBB258_52
; %bb.39:                               ;   in Loop: Header=BB258_38 Depth=1
	v_cmp_eq_u32_e64 s[0:1], v24, v23
	v_cmp_ne_u32_e64 s[2:3], v24, v23
	v_mov_b32_e32 v1, v20
	s_and_saveexec_b64 s[18:19], s[2:3]
	s_cbranch_execz .LBB258_51
; %bb.40:                               ;   in Loop: Header=BB258_38 Depth=1
	v_cmp_eq_u32_e64 s[2:3], v24, v22
	v_cmp_ne_u32_e64 s[4:5], v24, v22
	v_mov_b32_e32 v1, v18
	;; [unrolled: 6-line block ×6, first 2 shown]
	s_and_saveexec_b64 s[30:31], s[10:11]
	s_xor_b64 s[30:31], exec, s[30:31]
; %bb.45:                               ;   in Loop: Header=BB258_38 Depth=1
	v_cmp_eq_u32_e64 s[10:11], v24, v13
	s_andn2_b64 s[28:29], s[28:29], exec
	s_and_b64 s[10:11], s[10:11], exec
	s_or_b64 s[28:29], s[28:29], s[10:11]
	v_mov_b32_e32 v1, v11
; %bb.46:                               ;   in Loop: Header=BB258_38 Depth=1
	s_or_b64 exec, exec, s[30:31]
	s_andn2_b64 s[8:9], s[8:9], exec
	s_and_b64 s[10:11], s[28:29], exec
	s_or_b64 s[8:9], s[8:9], s[10:11]
.LBB258_47:                             ;   in Loop: Header=BB258_38 Depth=1
	s_or_b64 exec, exec, s[26:27]
	s_andn2_b64 s[6:7], s[6:7], exec
	s_and_b64 s[8:9], s[8:9], exec
	s_or_b64 s[6:7], s[6:7], s[8:9]
.LBB258_48:                             ;   in Loop: Header=BB258_38 Depth=1
	s_or_b64 exec, exec, s[24:25]
	s_andn2_b64 s[4:5], s[4:5], exec
	s_and_b64 s[6:7], s[6:7], exec
	s_or_b64 s[4:5], s[4:5], s[6:7]
.LBB258_49:                             ;   in Loop: Header=BB258_38 Depth=1
	s_or_b64 exec, exec, s[22:23]
	s_andn2_b64 s[2:3], s[2:3], exec
	s_and_b64 s[4:5], s[4:5], exec
	s_or_b64 s[2:3], s[2:3], s[4:5]
.LBB258_50:                             ;   in Loop: Header=BB258_38 Depth=1
	s_or_b64 exec, exec, s[20:21]
	s_andn2_b64 s[0:1], s[0:1], exec
	s_and_b64 s[2:3], s[2:3], exec
	s_or_b64 s[0:1], s[0:1], s[2:3]
.LBB258_51:                             ;   in Loop: Header=BB258_38 Depth=1
	s_or_b64 exec, exec, s[18:19]
	s_andn2_b64 s[2:3], vcc, exec
	s_and_b64 s[0:1], s[0:1], exec
	s_or_b64 vcc, s[2:3], s[0:1]
.LBB258_52:                             ;   in Loop: Header=BB258_38 Depth=1
	s_or_b64 exec, exec, s[16:17]
	s_and_saveexec_b64 s[0:1], vcc
	s_cbranch_execz .LBB258_54
; %bb.53:                               ;   in Loop: Header=BB258_38 Depth=1
	scratch_load_dword v1, v1, off
	v_add_u32_e32 v24, s15, v0
	v_ashrrev_i32_e32 v25, 31, v24
	v_lshl_add_u64 v[24:25], v[24:25], 2, s[12:13]
	s_waitcnt vmcnt(0)
	v_mul_f32_e32 v1, v8, v1
	global_store_dword v[24:25], v1, off
.LBB258_54:                             ;   in Loop: Header=BB258_38 Depth=1
	s_or_b64 exec, exec, s[0:1]
	global_load_dword v24, v[6:7], off
	v_mov_b32_e32 v1, 0
	s_waitcnt vmcnt(0)
	v_cmp_eq_u32_e64 s[8:9], v24, v10
	v_cmp_ne_u32_e32 vcc, v24, v10
	s_and_saveexec_b64 s[10:11], vcc
	s_cbranch_execz .LBB258_68
; %bb.55:                               ;   in Loop: Header=BB258_38 Depth=1
	v_cmp_eq_u32_e32 vcc, v24, v23
	v_cmp_ne_u32_e64 s[0:1], v24, v23
	v_mov_b32_e32 v1, v20
	s_and_saveexec_b64 s[16:17], s[0:1]
	s_cbranch_execz .LBB258_67
; %bb.56:                               ;   in Loop: Header=BB258_38 Depth=1
	v_cmp_eq_u32_e64 s[0:1], v24, v22
	v_cmp_ne_u32_e64 s[2:3], v24, v22
	v_mov_b32_e32 v1, v18
	s_and_saveexec_b64 s[18:19], s[2:3]
	s_cbranch_execz .LBB258_66
; %bb.57:                               ;   in Loop: Header=BB258_38 Depth=1
	v_cmp_eq_u32_e64 s[2:3], v24, v21
	;; [unrolled: 6-line block ×5, first 2 shown]
	v_cmp_ne_u32_e64 s[6:7], v24, v15
	v_mov_b32_e32 v1, v9
	s_and_saveexec_b64 s[30:31], s[6:7]
; %bb.61:                               ;   in Loop: Header=BB258_38 Depth=1
	v_cmp_eq_u32_e64 s[6:7], v24, v13
	s_andn2_b64 s[28:29], s[28:29], exec
	s_and_b64 s[6:7], s[6:7], exec
	s_or_b64 s[28:29], s[28:29], s[6:7]
	v_mov_b32_e32 v1, v11
; %bb.62:                               ;   in Loop: Header=BB258_38 Depth=1
	s_or_b64 exec, exec, s[30:31]
	s_andn2_b64 s[6:7], s[24:25], exec
	s_and_b64 s[24:25], s[28:29], exec
	s_or_b64 s[24:25], s[6:7], s[24:25]
.LBB258_63:                             ;   in Loop: Header=BB258_38 Depth=1
	s_or_b64 exec, exec, s[26:27]
	s_andn2_b64 s[4:5], s[4:5], exec
	s_and_b64 s[6:7], s[24:25], exec
	s_or_b64 s[4:5], s[4:5], s[6:7]
.LBB258_64:                             ;   in Loop: Header=BB258_38 Depth=1
	s_or_b64 exec, exec, s[22:23]
	s_andn2_b64 s[2:3], s[2:3], exec
	s_and_b64 s[4:5], s[4:5], exec
	s_or_b64 s[2:3], s[2:3], s[4:5]
.LBB258_65:                             ;   in Loop: Header=BB258_38 Depth=1
	s_or_b64 exec, exec, s[20:21]
	s_andn2_b64 s[0:1], s[0:1], exec
	s_and_b64 s[2:3], s[2:3], exec
	s_or_b64 s[0:1], s[0:1], s[2:3]
.LBB258_66:                             ;   in Loop: Header=BB258_38 Depth=1
	s_or_b64 exec, exec, s[18:19]
	s_andn2_b64 s[2:3], vcc, exec
	s_and_b64 s[0:1], s[0:1], exec
	s_or_b64 vcc, s[2:3], s[0:1]
.LBB258_67:                             ;   in Loop: Header=BB258_38 Depth=1
	s_or_b64 exec, exec, s[16:17]
	s_andn2_b64 s[0:1], s[8:9], exec
	s_and_b64 s[2:3], vcc, exec
	s_or_b64 s[8:9], s[0:1], s[2:3]
.LBB258_68:                             ;   in Loop: Header=BB258_38 Depth=1
	s_or_b64 exec, exec, s[10:11]
	s_and_saveexec_b64 s[0:1], s[8:9]
	s_cbranch_execz .LBB258_37
; %bb.69:                               ;   in Loop: Header=BB258_38 Depth=1
	scratch_load_dword v1, v1, off
	s_waitcnt vmcnt(0)
	v_mul_f32_e32 v1, v8, v1
	global_store_dword v[4:5], v1, off
	s_branch .LBB258_37
.LBB258_70:
	s_bitcmp0_b32 s33, 0
	s_mov_b32 s15, 0
	s_cbranch_scc1 .LBB258_32
; %bb.71:
	v_lshl_add_u64 v[2:3], s[14:15], 2, v[2:3]
	global_load_dword v1, v[2:3], off
	v_mov_b32_e32 v2, 0
	s_waitcnt vmcnt(0)
	v_cmp_eq_u32_e64 s[8:9], v1, v10
	v_cmp_ne_u32_e32 vcc, v1, v10
	s_and_saveexec_b64 s[10:11], vcc
	s_cbranch_execz .LBB258_85
; %bb.72:
	v_cmp_eq_u32_e32 vcc, v1, v23
	v_cmp_ne_u32_e64 s[0:1], v1, v23
	s_and_saveexec_b64 s[16:17], s[0:1]
	s_cbranch_execz .LBB258_84
; %bb.73:
	v_cmp_eq_u32_e64 s[0:1], v1, v22
	v_cmp_ne_u32_e64 s[2:3], v1, v22
	s_and_saveexec_b64 s[18:19], s[2:3]
	s_cbranch_execz .LBB258_83
; %bb.74:
	v_cmp_eq_u32_e64 s[2:3], v1, v21
	;; [unrolled: 5-line block ×5, first 2 shown]
	v_cmp_ne_u32_e64 s[6:7], v1, v15
	s_and_saveexec_b64 s[30:31], s[6:7]
; %bb.78:
	v_cmp_eq_u32_e64 s[6:7], v1, v13
	s_andn2_b64 s[28:29], s[28:29], exec
	s_and_b64 s[6:7], s[6:7], exec
	s_or_b64 s[28:29], s[28:29], s[6:7]
	v_mov_b32_e32 v9, v11
; %bb.79:
	s_or_b64 exec, exec, s[30:31]
	s_andn2_b64 s[6:7], s[24:25], exec
	s_and_b64 s[24:25], s[28:29], exec
	s_or_b64 s[24:25], s[6:7], s[24:25]
	v_mov_b32_e32 v12, v9
.LBB258_80:
	s_or_b64 exec, exec, s[26:27]
	s_andn2_b64 s[4:5], s[4:5], exec
	s_and_b64 s[6:7], s[24:25], exec
	s_or_b64 s[4:5], s[4:5], s[6:7]
	v_mov_b32_e32 v14, v12
.LBB258_81:
	s_or_b64 exec, exec, s[22:23]
	s_andn2_b64 s[2:3], s[2:3], exec
	s_and_b64 s[4:5], s[4:5], exec
	s_or_b64 s[2:3], s[2:3], s[4:5]
	v_mov_b32_e32 v16, v14
.LBB258_82:
	s_or_b64 exec, exec, s[20:21]
	s_andn2_b64 s[0:1], s[0:1], exec
	s_and_b64 s[2:3], s[2:3], exec
	s_or_b64 s[0:1], s[0:1], s[2:3]
	v_mov_b32_e32 v18, v16
.LBB258_83:
	s_or_b64 exec, exec, s[18:19]
	s_andn2_b64 s[2:3], vcc, exec
	s_and_b64 s[0:1], s[0:1], exec
	s_or_b64 vcc, s[2:3], s[0:1]
	v_mov_b32_e32 v20, v18
.LBB258_84:
	s_or_b64 exec, exec, s[16:17]
	s_andn2_b64 s[0:1], s[8:9], exec
	s_and_b64 s[2:3], vcc, exec
	s_or_b64 s[8:9], s[0:1], s[2:3]
	v_mov_b32_e32 v2, v20
.LBB258_85:
	s_or_b64 exec, exec, s[10:11]
	s_and_b64 exec, exec, s[8:9]
	s_cbranch_execz .LBB258_32
; %bb.86:
	scratch_load_dword v2, v2, off
	v_add_u32_e32 v0, s14, v0
	v_ashrrev_i32_e32 v1, 31, v0
	s_waitcnt lgkmcnt(0)
	v_lshl_add_u64 v[0:1], v[0:1], 2, s[12:13]
	s_waitcnt vmcnt(0)
	v_mul_f32_e32 v2, v8, v2
	global_store_dword v[0:1], v2, off
	s_endpgm
	.section	.rodata,"a",@progbits
	.p2align	6, 0x0
	.amdhsa_kernel _ZN4vllm3moe22topkGatingSoftplusSqrtILi8ELi16ELi4ELi16ELi32ELb1Ej6__halfEEvPKT6_PKbPfiPT5_PiiiibdPKfPKS9_SF_
		.amdhsa_group_segment_fixed_size 0
		.amdhsa_private_segment_fixed_size 48
		.amdhsa_kernarg_size 96
		.amdhsa_user_sgpr_count 2
		.amdhsa_user_sgpr_dispatch_ptr 0
		.amdhsa_user_sgpr_queue_ptr 0
		.amdhsa_user_sgpr_kernarg_segment_ptr 1
		.amdhsa_user_sgpr_dispatch_id 0
		.amdhsa_user_sgpr_kernarg_preload_length 0
		.amdhsa_user_sgpr_kernarg_preload_offset 0
		.amdhsa_user_sgpr_private_segment_size 0
		.amdhsa_uses_dynamic_stack 0
		.amdhsa_enable_private_segment 1
		.amdhsa_system_sgpr_workgroup_id_x 1
		.amdhsa_system_sgpr_workgroup_id_y 0
		.amdhsa_system_sgpr_workgroup_id_z 0
		.amdhsa_system_sgpr_workgroup_info 0
		.amdhsa_system_vgpr_workitem_id 1
		.amdhsa_next_free_vgpr 27
		.amdhsa_next_free_sgpr 34
		.amdhsa_accum_offset 28
		.amdhsa_reserve_vcc 1
		.amdhsa_float_round_mode_32 0
		.amdhsa_float_round_mode_16_64 0
		.amdhsa_float_denorm_mode_32 3
		.amdhsa_float_denorm_mode_16_64 3
		.amdhsa_dx10_clamp 1
		.amdhsa_ieee_mode 1
		.amdhsa_fp16_overflow 0
		.amdhsa_tg_split 0
		.amdhsa_exception_fp_ieee_invalid_op 0
		.amdhsa_exception_fp_denorm_src 0
		.amdhsa_exception_fp_ieee_div_zero 0
		.amdhsa_exception_fp_ieee_overflow 0
		.amdhsa_exception_fp_ieee_underflow 0
		.amdhsa_exception_fp_ieee_inexact 0
		.amdhsa_exception_int_div_zero 0
	.end_amdhsa_kernel
	.section	.text._ZN4vllm3moe22topkGatingSoftplusSqrtILi8ELi16ELi4ELi16ELi32ELb1Ej6__halfEEvPKT6_PKbPfiPT5_PiiiibdPKfPKS9_SF_,"axG",@progbits,_ZN4vllm3moe22topkGatingSoftplusSqrtILi8ELi16ELi4ELi16ELi32ELb1Ej6__halfEEvPKT6_PKbPfiPT5_PiiiibdPKfPKS9_SF_,comdat
.Lfunc_end258:
	.size	_ZN4vllm3moe22topkGatingSoftplusSqrtILi8ELi16ELi4ELi16ELi32ELb1Ej6__halfEEvPKT6_PKbPfiPT5_PiiiibdPKfPKS9_SF_, .Lfunc_end258-_ZN4vllm3moe22topkGatingSoftplusSqrtILi8ELi16ELi4ELi16ELi32ELb1Ej6__halfEEvPKT6_PKbPfiPT5_PiiiibdPKfPKS9_SF_
                                        ; -- End function
	.section	.AMDGPU.csdata,"",@progbits
; Kernel info:
; codeLenInByte = 4468
; NumSgprs: 40
; NumVgprs: 27
; NumAgprs: 0
; TotalNumVgprs: 27
; ScratchSize: 48
; MemoryBound: 0
; FloatMode: 240
; IeeeMode: 1
; LDSByteSize: 0 bytes/workgroup (compile time only)
; SGPRBlocks: 4
; VGPRBlocks: 3
; NumSGPRsForWavesPerEU: 40
; NumVGPRsForWavesPerEU: 27
; AccumOffset: 28
; Occupancy: 8
; WaveLimiterHint : 1
; COMPUTE_PGM_RSRC2:SCRATCH_EN: 1
; COMPUTE_PGM_RSRC2:USER_SGPR: 2
; COMPUTE_PGM_RSRC2:TRAP_HANDLER: 0
; COMPUTE_PGM_RSRC2:TGID_X_EN: 1
; COMPUTE_PGM_RSRC2:TGID_Y_EN: 0
; COMPUTE_PGM_RSRC2:TGID_Z_EN: 0
; COMPUTE_PGM_RSRC2:TIDIG_COMP_CNT: 1
; COMPUTE_PGM_RSRC3_GFX90A:ACCUM_OFFSET: 6
; COMPUTE_PGM_RSRC3_GFX90A:TG_SPLIT: 0
	.section	.text._ZN4vllm3moe22topkGatingSoftplusSqrtILi8ELi16ELi4ELi16ELi32ELb0Ej6__halfEEvPKT6_PKbPfiPT5_PiiiibdPKfPKS9_SF_,"axG",@progbits,_ZN4vllm3moe22topkGatingSoftplusSqrtILi8ELi16ELi4ELi16ELi32ELb0Ej6__halfEEvPKT6_PKbPfiPT5_PiiiibdPKfPKS9_SF_,comdat
	.protected	_ZN4vllm3moe22topkGatingSoftplusSqrtILi8ELi16ELi4ELi16ELi32ELb0Ej6__halfEEvPKT6_PKbPfiPT5_PiiiibdPKfPKS9_SF_ ; -- Begin function _ZN4vllm3moe22topkGatingSoftplusSqrtILi8ELi16ELi4ELi16ELi32ELb0Ej6__halfEEvPKT6_PKbPfiPT5_PiiiibdPKfPKS9_SF_
	.globl	_ZN4vllm3moe22topkGatingSoftplusSqrtILi8ELi16ELi4ELi16ELi32ELb0Ej6__halfEEvPKT6_PKbPfiPT5_PiiiibdPKfPKS9_SF_
	.p2align	8
	.type	_ZN4vllm3moe22topkGatingSoftplusSqrtILi8ELi16ELi4ELi16ELi32ELb0Ej6__halfEEvPKT6_PKbPfiPT5_PiiiibdPKfPKS9_SF_,@function
_ZN4vllm3moe22topkGatingSoftplusSqrtILi8ELi16ELi4ELi16ELi32ELb0Ej6__halfEEvPKT6_PKbPfiPT5_PiiiibdPKfPKS9_SF_: ; @_ZN4vllm3moe22topkGatingSoftplusSqrtILi8ELi16ELi4ELi16ELi32ELb0Ej6__halfEEvPKT6_PKbPfiPT5_PiiiibdPKfPKS9_SF_
; %bb.0:
	s_load_dword s33, s[0:1], 0x18
	v_bfe_u32 v1, v0, 10, 10
	v_and_b32_e32 v0, 0x3ff, v0
	s_lshl_b32 s2, s2, 6
	v_lshlrev_b32_e32 v1, 4, v1
	v_lshrrev_b32_e32 v2, 1, v0
	v_add3_u32 v8, s2, v1, v2
	s_waitcnt lgkmcnt(0)
	v_cmp_gt_i32_e32 vcc, s33, v8
	s_and_saveexec_b64 s[2:3], vcc
	s_cbranch_execz .LBB259_49
; %bb.1:
	s_load_dwordx4 s[4:7], s[0:1], 0x0
	s_load_dwordx2 s[34:35], s[0:1], 0x10
	s_waitcnt lgkmcnt(0)
	s_cmp_eq_u64 s[6:7], 0
	s_cbranch_scc1 .LBB259_3
; %bb.2:
	v_ashrrev_i32_e32 v9, 31, v8
	v_lshl_add_u64 v[2:3], s[6:7], 0, v[8:9]
	global_load_ubyte v1, v[2:3], off
	s_waitcnt vmcnt(0)
	v_and_b32_e32 v1, 1, v1
	v_cmp_eq_u32_e32 vcc, 1, v1
	s_xor_b64 s[2:3], vcc, -1
	s_orn2_b64 s[36:37], s[2:3], exec
	s_branch .LBB259_4
.LBB259_3:
	s_mov_b64 s[36:37], -1
.LBB259_4:
	v_lshlrev_b32_e32 v4, 4, v8
	v_mov_b32_e32 v2, s4
	v_mov_b32_e32 v3, s5
	v_ashrrev_i32_e32 v5, 31, v4
	v_and_b32_e32 v9, 1, v0
	v_lshl_add_u64 v[2:3], v[4:5], 1, v[2:3]
	v_mov_b32_e32 v1, 0
	v_lshlrev_b32_e32 v0, 4, v9
	v_lshl_add_u64 v[0:1], v[2:3], 0, v[0:1]
	global_load_dwordx4 v[4:7], v[0:1], off
	s_mov_b32 s12, 0x800000
	v_mov_b32_e32 v2, 0x4f800000
	s_mov_b32 s9, 0x3f317217
	s_mov_b32 s10, 0x7f800000
	v_mov_b32_e32 v3, 0x41b17218
	s_movk_i32 s8, 0x4d00
	s_mov_b32 s11, 0xf800000
	s_load_dwordx4 s[20:23], s[0:1], 0x40
	v_lshlrev_b32_e32 v12, 3, v9
	s_waitcnt lgkmcnt(0)
	s_cmp_lg_u64 s[22:23], 0
	s_cselect_b64 s[6:7], -1, 0
	s_and_b64 s[2:3], exec, s[6:7]
	s_waitcnt vmcnt(0)
	v_cvt_f32_f16_e32 v0, v4
	v_mul_f32_e32 v1, 0x3fb8aa3b, v0
	v_exp_f32_e32 v10, v1
	v_mov_b32_e32 v1, 0x260
	v_add_f32_e32 v10, 1.0, v10
	v_cmp_gt_f32_e32 vcc, s12, v10
	s_nop 1
	v_cndmask_b32_e32 v11, 1.0, v2, vcc
	v_mul_f32_e32 v10, v10, v11
	v_log_f32_e32 v11, v10
	v_cndmask_b32_e32 v13, 0, v3, vcc
	v_lshlrev_b32_e32 v10, 2, v12
	v_mul_f32_e32 v14, 0x3f317217, v11
	v_fma_f32 v14, v11, s9, -v14
	v_fmac_f32_e32 v14, 0x3377d1cf, v11
	v_fmac_f32_e32 v14, 0x3f317217, v11
	v_cmp_lt_f32_e64 vcc, |v11|, s10
	s_nop 1
	v_cndmask_b32_e32 v11, v11, v14, vcc
	v_sub_f32_e32 v11, v11, v13
	v_cmp_lt_f16_e32 vcc, s8, v4
	s_nop 1
	v_cndmask_b32_e32 v0, v11, v0, vcc
	v_mul_f32_e32 v11, 0x4f800000, v0
	v_cmp_gt_f32_e32 vcc, s11, v0
	s_nop 1
	v_cndmask_b32_e32 v0, v0, v11, vcc
	v_sqrt_f32_e32 v11, v0
	s_nop 0
	v_add_u32_e32 v13, -1, v11
	v_add_u32_e32 v14, 1, v11
	v_fma_f32 v15, -v13, v11, v0
	v_fma_f32 v16, -v14, v11, v0
	v_cmp_ge_f32_e64 s[4:5], 0, v15
	s_nop 1
	v_cndmask_b32_e64 v11, v11, v13, s[4:5]
	v_cmp_lt_f32_e64 s[4:5], 0, v16
	s_nop 1
	v_cndmask_b32_e64 v11, v11, v14, s[4:5]
	v_mul_f32_e32 v13, 0x37800000, v11
	v_cndmask_b32_e32 v11, v11, v13, vcc
	v_cmp_class_f32_e32 vcc, v0, v1
	s_nop 1
	v_cndmask_b32_e32 v0, v11, v0, vcc
	s_mov_b64 vcc, s[2:3]
	s_cbranch_vccz .LBB259_6
; %bb.5:
	global_load_dword v11, v10, s[22:23]
	s_waitcnt vmcnt(0)
	v_add_f32_e32 v0, v0, v11
.LBB259_6:
	v_cvt_f32_f16_sdwa v11, v4 dst_sel:DWORD dst_unused:UNUSED_PAD src0_sel:WORD_1
	v_mul_f32_e32 v13, 0x3fb8aa3b, v11
	v_exp_f32_e32 v13, v13
	s_nop 0
	v_add_f32_e32 v13, 1.0, v13
	v_cmp_gt_f32_e32 vcc, s12, v13
	s_nop 1
	v_cndmask_b32_e32 v2, 1.0, v2, vcc
	v_mul_f32_e32 v2, v13, v2
	v_log_f32_e32 v2, v2
	v_cndmask_b32_e32 v3, 0, v3, vcc
	v_mul_f32_e32 v13, 0x3f317217, v2
	v_fma_f32 v13, v2, s9, -v13
	v_fmac_f32_e32 v13, 0x3377d1cf, v2
	v_fmac_f32_e32 v13, 0x3f317217, v2
	v_cmp_lt_f32_e64 vcc, |v2|, s10
	s_nop 1
	v_cndmask_b32_e32 v2, v2, v13, vcc
	v_sub_f32_e32 v2, v2, v3
	v_cmp_gt_f16_sdwa vcc, v4, s8 src0_sel:WORD_1 src1_sel:DWORD
	v_cndmask_b32_e64 v4, 0, 1, s[6:7]
	v_cmp_ne_u32_e64 s[2:3], 1, v4
	v_cndmask_b32_e32 v2, v2, v11, vcc
	v_mul_f32_e32 v3, 0x4f800000, v2
	v_cmp_gt_f32_e64 s[4:5], s11, v2
	s_andn2_b64 vcc, exec, s[6:7]
	s_nop 0
	v_cndmask_b32_e64 v2, v2, v3, s[4:5]
	v_sqrt_f32_e32 v3, v2
	s_nop 0
	v_add_u32_e32 v4, -1, v3
	v_add_u32_e32 v11, 1, v3
	v_fma_f32 v13, -v4, v3, v2
	v_fma_f32 v14, -v11, v3, v2
	v_cmp_ge_f32_e64 s[6:7], 0, v13
	s_nop 1
	v_cndmask_b32_e64 v3, v3, v4, s[6:7]
	v_cmp_lt_f32_e64 s[6:7], 0, v14
	s_nop 1
	v_cndmask_b32_e64 v3, v3, v11, s[6:7]
	v_mul_f32_e32 v4, 0x37800000, v3
	v_cndmask_b32_e64 v3, v3, v4, s[4:5]
	v_cmp_class_f32_e64 s[4:5], v2, v1
	s_nop 1
	v_cndmask_b32_e64 v1, v3, v2, s[4:5]
	s_cbranch_vccnz .LBB259_8
; %bb.7:
	global_load_dword v2, v10, s[22:23] offset:4
	s_waitcnt vmcnt(0)
	v_add_f32_e32 v1, v1, v2
.LBB259_8:
	v_cvt_f32_f16_e32 v2, v5
	s_mov_b32 s8, 0x800000
	v_mov_b32_e32 v4, 0x4f800000
	s_mov_b32 s7, 0x3f317217
	v_mul_f32_e32 v3, 0x3fb8aa3b, v2
	v_exp_f32_e32 v3, v3
	s_mov_b32 s9, 0x7f800000
	s_movk_i32 s6, 0x4d00
	s_mov_b32 s10, 0xf800000
	v_add_f32_e32 v3, 1.0, v3
	v_cmp_gt_f32_e32 vcc, s8, v3
	s_nop 1
	v_cndmask_b32_e32 v11, 1.0, v4, vcc
	v_mul_f32_e32 v3, v3, v11
	v_log_f32_e32 v3, v3
	v_mov_b32_e32 v11, 0x41b17218
	v_cndmask_b32_e32 v13, 0, v11, vcc
	v_mul_f32_e32 v14, 0x3f317217, v3
	v_fma_f32 v14, v3, s7, -v14
	v_fmac_f32_e32 v14, 0x3377d1cf, v3
	v_fmac_f32_e32 v14, 0x3f317217, v3
	v_cmp_lt_f32_e64 vcc, |v3|, s9
	s_nop 1
	v_cndmask_b32_e32 v3, v3, v14, vcc
	v_sub_f32_e32 v3, v3, v13
	v_cmp_lt_f16_e32 vcc, s6, v5
	s_nop 1
	v_cndmask_b32_e32 v2, v3, v2, vcc
	v_mul_f32_e32 v3, 0x4f800000, v2
	v_cmp_gt_f32_e32 vcc, s10, v2
	s_nop 1
	v_cndmask_b32_e32 v2, v2, v3, vcc
	v_sqrt_f32_e32 v3, v2
	s_nop 0
	v_add_u32_e32 v13, -1, v3
	v_fma_f32 v14, -v13, v3, v2
	v_cmp_ge_f32_e64 s[4:5], 0, v14
	v_add_u32_e32 v14, 1, v3
	s_nop 0
	v_cndmask_b32_e64 v13, v3, v13, s[4:5]
	v_fma_f32 v3, -v14, v3, v2
	v_cmp_lt_f32_e64 s[4:5], 0, v3
	s_nop 1
	v_cndmask_b32_e64 v3, v13, v14, s[4:5]
	v_mul_f32_e32 v13, 0x37800000, v3
	v_cndmask_b32_e32 v13, v3, v13, vcc
	v_mov_b32_e32 v3, 0x260
	v_cmp_class_f32_e64 s[4:5], v2, v3
	s_and_b64 vcc, exec, s[2:3]
	s_nop 0
	v_cndmask_b32_e64 v2, v13, v2, s[4:5]
	s_cbranch_vccnz .LBB259_10
; %bb.9:
	global_load_dword v13, v10, s[22:23] offset:8
	s_waitcnt vmcnt(0)
	v_add_f32_e32 v2, v2, v13
.LBB259_10:
	v_cvt_f32_f16_sdwa v13, v5 dst_sel:DWORD dst_unused:UNUSED_PAD src0_sel:WORD_1
	v_mul_f32_e32 v14, 0x3fb8aa3b, v13
	v_exp_f32_e32 v14, v14
	s_nop 0
	v_add_f32_e32 v14, 1.0, v14
	v_cmp_gt_f32_e32 vcc, s8, v14
	s_nop 1
	v_cndmask_b32_e32 v4, 1.0, v4, vcc
	v_mul_f32_e32 v4, v14, v4
	v_log_f32_e32 v4, v4
	v_cndmask_b32_e32 v11, 0, v11, vcc
	v_mul_f32_e32 v14, 0x3f317217, v4
	v_fma_f32 v14, v4, s7, -v14
	v_fmac_f32_e32 v14, 0x3377d1cf, v4
	v_fmac_f32_e32 v14, 0x3f317217, v4
	v_cmp_lt_f32_e64 vcc, |v4|, s9
	s_nop 1
	v_cndmask_b32_e32 v4, v4, v14, vcc
	v_sub_f32_e32 v4, v4, v11
	v_cmp_gt_f16_sdwa vcc, v5, s6 src0_sel:WORD_1 src1_sel:DWORD
	s_nop 1
	v_cndmask_b32_e32 v4, v4, v13, vcc
	v_mul_f32_e32 v5, 0x4f800000, v4
	v_cmp_gt_f32_e64 s[4:5], s10, v4
	s_and_b64 vcc, exec, s[2:3]
	s_nop 0
	v_cndmask_b32_e64 v4, v4, v5, s[4:5]
	v_sqrt_f32_e32 v5, v4
	s_nop 0
	v_add_u32_e32 v11, -1, v5
	v_add_u32_e32 v13, 1, v5
	v_fma_f32 v14, -v11, v5, v4
	v_fma_f32 v15, -v13, v5, v4
	v_cmp_ge_f32_e64 s[6:7], 0, v14
	s_nop 1
	v_cndmask_b32_e64 v5, v5, v11, s[6:7]
	v_cmp_lt_f32_e64 s[6:7], 0, v15
	s_nop 1
	v_cndmask_b32_e64 v5, v5, v13, s[6:7]
	v_mul_f32_e32 v11, 0x37800000, v5
	v_cndmask_b32_e64 v5, v5, v11, s[4:5]
	v_cmp_class_f32_e64 s[4:5], v4, v3
	s_nop 1
	v_cndmask_b32_e64 v3, v5, v4, s[4:5]
	s_cbranch_vccnz .LBB259_12
; %bb.11:
	global_load_dword v4, v10, s[22:23] offset:12
	s_waitcnt vmcnt(0)
	v_add_f32_e32 v3, v3, v4
.LBB259_12:
	v_cvt_f32_f16_e32 v4, v6
	v_mov_b32_e32 v11, 0x4f800000
	s_mov_b32 s7, 0x3f317217
	s_movk_i32 s6, 0x4d00
	v_mul_f32_e32 v5, 0x3fb8aa3b, v4
	v_exp_f32_e32 v5, v5
	s_nop 0
	v_add_f32_e32 v5, 1.0, v5
	v_cmp_gt_f32_e32 vcc, s8, v5
	s_nop 1
	v_cndmask_b32_e32 v13, 1.0, v11, vcc
	v_mul_f32_e32 v5, v5, v13
	v_log_f32_e32 v5, v5
	v_mov_b32_e32 v13, 0x41b17218
	v_cndmask_b32_e32 v14, 0, v13, vcc
	v_mul_f32_e32 v15, 0x3f317217, v5
	v_fma_f32 v15, v5, s7, -v15
	v_fmac_f32_e32 v15, 0x3377d1cf, v5
	v_fmac_f32_e32 v15, 0x3f317217, v5
	v_cmp_lt_f32_e64 vcc, |v5|, s9
	s_nop 1
	v_cndmask_b32_e32 v5, v5, v15, vcc
	v_sub_f32_e32 v5, v5, v14
	v_cmp_lt_f16_e32 vcc, s6, v6
	s_nop 1
	v_cndmask_b32_e32 v4, v5, v4, vcc
	v_mul_f32_e32 v5, 0x4f800000, v4
	v_cmp_gt_f32_e32 vcc, s10, v4
	s_nop 1
	v_cndmask_b32_e32 v4, v4, v5, vcc
	v_sqrt_f32_e32 v5, v4
	s_nop 0
	v_add_u32_e32 v14, -1, v5
	v_fma_f32 v15, -v14, v5, v4
	v_cmp_ge_f32_e64 s[4:5], 0, v15
	v_add_u32_e32 v15, 1, v5
	s_nop 0
	v_cndmask_b32_e64 v14, v5, v14, s[4:5]
	v_fma_f32 v5, -v15, v5, v4
	v_cmp_lt_f32_e64 s[4:5], 0, v5
	s_nop 1
	v_cndmask_b32_e64 v5, v14, v15, s[4:5]
	v_mul_f32_e32 v14, 0x37800000, v5
	v_cndmask_b32_e32 v14, v5, v14, vcc
	v_mov_b32_e32 v5, 0x260
	v_cmp_class_f32_e64 s[4:5], v4, v5
	s_and_b64 vcc, exec, s[2:3]
	s_nop 0
	v_cndmask_b32_e64 v4, v14, v4, s[4:5]
	s_cbranch_vccnz .LBB259_14
; %bb.13:
	global_load_dword v14, v10, s[22:23] offset:16
	s_waitcnt vmcnt(0)
	v_add_f32_e32 v4, v4, v14
.LBB259_14:
	v_cvt_f32_f16_sdwa v14, v6 dst_sel:DWORD dst_unused:UNUSED_PAD src0_sel:WORD_1
	v_mul_f32_e32 v15, 0x3fb8aa3b, v14
	v_exp_f32_e32 v15, v15
	s_nop 0
	v_add_f32_e32 v15, 1.0, v15
	v_cmp_gt_f32_e32 vcc, s8, v15
	s_nop 1
	v_cndmask_b32_e32 v11, 1.0, v11, vcc
	v_mul_f32_e32 v11, v15, v11
	v_log_f32_e32 v11, v11
	v_cndmask_b32_e32 v13, 0, v13, vcc
	v_mul_f32_e32 v15, 0x3f317217, v11
	v_fma_f32 v15, v11, s7, -v15
	v_fmac_f32_e32 v15, 0x3377d1cf, v11
	v_fmac_f32_e32 v15, 0x3f317217, v11
	v_cmp_lt_f32_e64 vcc, |v11|, s9
	s_nop 1
	v_cndmask_b32_e32 v11, v11, v15, vcc
	v_sub_f32_e32 v11, v11, v13
	v_cmp_gt_f16_sdwa vcc, v6, s6 src0_sel:WORD_1 src1_sel:DWORD
	s_nop 1
	v_cndmask_b32_e32 v6, v11, v14, vcc
	v_mul_f32_e32 v11, 0x4f800000, v6
	v_cmp_gt_f32_e64 s[4:5], s10, v6
	s_and_b64 vcc, exec, s[2:3]
	s_nop 0
	v_cndmask_b32_e64 v6, v6, v11, s[4:5]
	v_sqrt_f32_e32 v11, v6
	s_nop 0
	v_add_u32_e32 v13, -1, v11
	v_add_u32_e32 v14, 1, v11
	v_fma_f32 v15, -v13, v11, v6
	v_fma_f32 v16, -v14, v11, v6
	v_cmp_ge_f32_e64 s[6:7], 0, v15
	s_nop 1
	v_cndmask_b32_e64 v11, v11, v13, s[6:7]
	v_cmp_lt_f32_e64 s[6:7], 0, v16
	s_nop 1
	v_cndmask_b32_e64 v11, v11, v14, s[6:7]
	v_mul_f32_e32 v13, 0x37800000, v11
	v_cndmask_b32_e64 v11, v11, v13, s[4:5]
	v_cmp_class_f32_e64 s[4:5], v6, v5
	s_nop 1
	v_cndmask_b32_e64 v5, v11, v6, s[4:5]
	s_cbranch_vccnz .LBB259_16
; %bb.15:
	global_load_dword v6, v10, s[22:23] offset:20
	s_waitcnt vmcnt(0)
	v_add_f32_e32 v5, v5, v6
.LBB259_16:
	v_cvt_f32_f16_e32 v6, v7
	v_mov_b32_e32 v13, 0x4f800000
	s_mov_b32 s7, 0x3f317217
	s_movk_i32 s6, 0x4d00
	v_mul_f32_e32 v11, 0x3fb8aa3b, v6
	v_exp_f32_e32 v11, v11
	s_nop 0
	v_add_f32_e32 v11, 1.0, v11
	v_cmp_gt_f32_e32 vcc, s8, v11
	s_nop 1
	v_cndmask_b32_e32 v14, 1.0, v13, vcc
	v_mul_f32_e32 v11, v11, v14
	v_log_f32_e32 v11, v11
	v_mov_b32_e32 v14, 0x41b17218
	v_cndmask_b32_e32 v15, 0, v14, vcc
	v_mul_f32_e32 v16, 0x3f317217, v11
	v_fma_f32 v16, v11, s7, -v16
	v_fmac_f32_e32 v16, 0x3377d1cf, v11
	v_fmac_f32_e32 v16, 0x3f317217, v11
	v_cmp_lt_f32_e64 vcc, |v11|, s9
	s_nop 1
	v_cndmask_b32_e32 v11, v11, v16, vcc
	v_sub_f32_e32 v11, v11, v15
	v_cmp_lt_f16_e32 vcc, s6, v7
	s_nop 1
	v_cndmask_b32_e32 v6, v11, v6, vcc
	v_mul_f32_e32 v11, 0x4f800000, v6
	v_cmp_gt_f32_e32 vcc, s10, v6
	s_nop 1
	v_cndmask_b32_e32 v6, v6, v11, vcc
	v_sqrt_f32_e32 v11, v6
	s_nop 0
	v_add_u32_e32 v15, -1, v11
	v_fma_f32 v16, -v15, v11, v6
	v_cmp_ge_f32_e64 s[4:5], 0, v16
	v_add_u32_e32 v16, 1, v11
	s_nop 0
	v_cndmask_b32_e64 v15, v11, v15, s[4:5]
	v_fma_f32 v11, -v16, v11, v6
	v_cmp_lt_f32_e64 s[4:5], 0, v11
	s_nop 1
	v_cndmask_b32_e64 v11, v15, v16, s[4:5]
	v_mul_f32_e32 v15, 0x37800000, v11
	v_cndmask_b32_e32 v15, v11, v15, vcc
	v_mov_b32_e32 v11, 0x260
	v_cmp_class_f32_e64 s[4:5], v6, v11
	s_and_b64 vcc, exec, s[2:3]
	s_nop 0
	v_cndmask_b32_e64 v6, v15, v6, s[4:5]
	s_cbranch_vccnz .LBB259_18
; %bb.17:
	global_load_dword v15, v10, s[22:23] offset:24
	s_waitcnt vmcnt(0)
	v_add_f32_e32 v6, v6, v15
.LBB259_18:
	v_cvt_f32_f16_sdwa v15, v7 dst_sel:DWORD dst_unused:UNUSED_PAD src0_sel:WORD_1
	v_mul_f32_e32 v16, 0x3fb8aa3b, v15
	v_exp_f32_e32 v16, v16
	s_nop 0
	v_add_f32_e32 v16, 1.0, v16
	v_cmp_gt_f32_e32 vcc, s8, v16
	s_nop 1
	v_cndmask_b32_e32 v13, 1.0, v13, vcc
	v_mul_f32_e32 v13, v16, v13
	v_log_f32_e32 v13, v13
	v_cndmask_b32_e32 v14, 0, v14, vcc
	v_mul_f32_e32 v16, 0x3f317217, v13
	v_fma_f32 v16, v13, s7, -v16
	v_fmac_f32_e32 v16, 0x3377d1cf, v13
	v_fmac_f32_e32 v16, 0x3f317217, v13
	v_cmp_lt_f32_e64 vcc, |v13|, s9
	s_nop 1
	v_cndmask_b32_e32 v13, v13, v16, vcc
	v_sub_f32_e32 v13, v13, v14
	v_cmp_gt_f16_sdwa vcc, v7, s6 src0_sel:WORD_1 src1_sel:DWORD
	s_nop 1
	v_cndmask_b32_e32 v7, v13, v15, vcc
	v_mul_f32_e32 v13, 0x4f800000, v7
	v_cmp_gt_f32_e64 s[4:5], s10, v7
	s_and_b64 vcc, exec, s[2:3]
	s_nop 0
	v_cndmask_b32_e64 v7, v7, v13, s[4:5]
	v_sqrt_f32_e32 v13, v7
	s_nop 0
	v_add_u32_e32 v14, -1, v13
	v_add_u32_e32 v15, 1, v13
	v_fma_f32 v16, -v14, v13, v7
	v_fma_f32 v17, -v15, v13, v7
	v_cmp_ge_f32_e64 s[6:7], 0, v16
	s_nop 1
	v_cndmask_b32_e64 v13, v13, v14, s[6:7]
	v_cmp_lt_f32_e64 s[6:7], 0, v17
	s_nop 1
	v_cndmask_b32_e64 v13, v13, v15, s[6:7]
	v_mul_f32_e32 v14, 0x37800000, v13
	v_cndmask_b32_e64 v13, v13, v14, s[4:5]
	v_cmp_class_f32_e64 s[4:5], v7, v11
	s_nop 1
	v_cndmask_b32_e64 v7, v13, v7, s[4:5]
	s_cbranch_vccnz .LBB259_20
; %bb.19:
	global_load_dword v10, v10, s[22:23] offset:28
	s_waitcnt vmcnt(0)
	v_add_f32_e32 v7, v7, v10
.LBB259_20:
	s_load_dwordx4 s[24:27], s[0:1], 0x30
	s_mov_b32 s42, 0
	v_cmp_eq_u32_e64 s[6:7], 0, v9
	s_waitcnt lgkmcnt(0)
	s_bitcmp1_b32 s27, 0
	s_cselect_b64 s[4:5], -1, 0
	s_cmp_gt_i32 s24, 0
	s_cselect_b64 s[38:39], -1, 0
	s_and_b64 vcc, exec, s[38:39]
	s_cbranch_vccz .LBB259_35
; %bb.21:
	v_mbcnt_lo_u32_b32 v10, -1, 0
	v_mbcnt_hi_u32_b32 v10, -1, v10
	s_load_dwordx4 s[28:31], s[0:1], 0x20
	v_and_b32_e32 v13, 0x7e, v10
	v_xor_b32_e32 v11, 1, v10
	v_add_u32_e32 v13, 2, v13
	v_cmp_lt_i32_e32 vcc, v11, v13
	v_mul_lo_u32 v15, v8, s24
	v_mov_b32_e32 v13, 0
	v_cndmask_b32_e32 v10, v10, v11, vcc
	v_lshlrev_b32_e32 v14, 2, v10
	v_mov_b32_e32 v16, 0xc61c4000
	v_mov_b32_e32 v17, v8
	s_branch .LBB259_24
.LBB259_22:                             ;   in Loop: Header=BB259_24 Depth=1
	s_or_b64 exec, exec, s[40:41]
.LBB259_23:                             ;   in Loop: Header=BB259_24 Depth=1
	s_cmp_eq_u32 s24, s42
	v_add_u32_e32 v17, s33, v17
	s_cbranch_scc1 .LBB259_36
.LBB259_24:                             ; =>This Inner Loop Header: Depth=1
	v_cmp_gt_f32_e32 vcc, v1, v0
	s_nop 1
	v_cndmask_b32_e32 v11, v0, v1, vcc
	v_cndmask_b32_e64 v10, 0, 1, vcc
	v_cmp_gt_f32_e32 vcc, v2, v11
	s_nop 1
	v_cndmask_b32_e32 v11, v11, v2, vcc
	v_cndmask_b32_e64 v10, v10, 2, vcc
	;; [unrolled: 4-line block ×6, first 2 shown]
	v_cmp_gt_f32_e32 vcc, v7, v11
	s_nop 1
	v_cndmask_b32_e64 v10, v10, 7, vcc
	v_cndmask_b32_e32 v18, v11, v7, vcc
	ds_bpermute_b32 v11, v14, v18
	v_or_b32_e32 v10, v12, v10
	ds_bpermute_b32 v19, v14, v10
	s_waitcnt lgkmcnt(0)
	v_cmp_lt_f32_e64 s[8:9], v18, v11
	v_cmp_nlt_f32_e32 vcc, v18, v11
	s_and_saveexec_b64 s[10:11], vcc
	s_cbranch_execnz .LBB259_28
; %bb.25:                               ;   in Loop: Header=BB259_24 Depth=1
	s_or_b64 exec, exec, s[10:11]
	s_and_saveexec_b64 s[0:1], s[8:9]
	s_cbranch_execnz .LBB259_29
.LBB259_26:                             ;   in Loop: Header=BB259_24 Depth=1
	s_or_b64 exec, exec, s[0:1]
	s_and_saveexec_b64 s[8:9], s[6:7]
	s_cbranch_execnz .LBB259_30
.LBB259_27:                             ;   in Loop: Header=BB259_24 Depth=1
	s_or_b64 exec, exec, s[8:9]
	s_add_i32 s42, s42, 1
	s_cmp_ge_i32 s42, s24
	s_cbranch_scc1 .LBB259_23
	s_branch .LBB259_33
.LBB259_28:                             ;   in Loop: Header=BB259_24 Depth=1
	v_cmp_eq_f32_e32 vcc, v18, v11
	v_cmp_lt_i32_e64 s[0:1], v19, v10
	s_and_b64 s[0:1], vcc, s[0:1]
	s_andn2_b64 s[8:9], s[8:9], exec
	s_and_b64 s[0:1], s[0:1], exec
	s_or_b64 s[8:9], s[8:9], s[0:1]
	s_or_b64 exec, exec, s[10:11]
	s_and_saveexec_b64 s[0:1], s[8:9]
	s_cbranch_execz .LBB259_26
.LBB259_29:                             ;   in Loop: Header=BB259_24 Depth=1
	v_mov_b32_e32 v10, v19
	v_mov_b32_e32 v18, v11
	s_or_b64 exec, exec, s[0:1]
	s_and_saveexec_b64 s[8:9], s[6:7]
	s_cbranch_execz .LBB259_27
.LBB259_30:                             ;   in Loop: Header=BB259_24 Depth=1
	s_and_b64 vcc, exec, s[2:3]
	s_cbranch_vccnz .LBB259_32
; %bb.31:                               ;   in Loop: Header=BB259_24 Depth=1
	v_ashrrev_i32_e32 v11, 31, v10
	v_lshl_add_u64 v[20:21], v[10:11], 2, s[22:23]
	global_load_dword v11, v[20:21], off
	s_waitcnt vmcnt(0)
	v_sub_f32_e32 v18, v18, v11
.LBB259_32:                             ;   in Loop: Header=BB259_24 Depth=1
	v_add_u32_e32 v20, s42, v15
	v_cmp_le_i32_e32 vcc, s25, v10
	v_cmp_gt_i32_e64 s[0:1], s26, v10
	v_ashrrev_i32_e32 v21, 31, v20
	s_and_b64 s[0:1], vcc, s[0:1]
	v_lshlrev_b64 v[20:21], 2, v[20:21]
	v_lshl_add_u64 v[22:23], s[34:35], 0, v[20:21]
	v_subrev_u32_e32 v11, s25, v10
	s_and_b64 vcc, s[36:37], s[0:1]
	global_store_dword v[22:23], v18, off
	v_cndmask_b32_e32 v11, 16, v11, vcc
	v_lshl_add_u64 v[22:23], s[28:29], 0, v[20:21]
	global_store_dword v[22:23], v11, off
	v_add_f32_e32 v11, v13, v18
	v_lshl_add_u64 v[20:21], s[30:31], 0, v[20:21]
	v_cndmask_b32_e64 v13, v13, v11, s[4:5]
	global_store_dword v[20:21], v17, off
	s_or_b64 exec, exec, s[8:9]
	s_add_i32 s42, s42, 1
	s_cmp_ge_i32 s42, s24
	s_cbranch_scc1 .LBB259_23
.LBB259_33:                             ;   in Loop: Header=BB259_24 Depth=1
	v_ashrrev_i32_e32 v18, 31, v10
	v_lshrrev_b32_e32 v11, 29, v18
	v_add_u32_e32 v19, v10, v11
	v_ashrrev_i32_e32 v11, 3, v19
	v_lshrrev_b32_e32 v19, 31, v19
	v_add_u32_e32 v19, v11, v19
	v_and_b32_e32 v19, -2, v19
	v_sub_u32_e32 v19, v11, v19
	v_cmp_eq_u32_e32 vcc, v9, v19
	s_and_saveexec_b64 s[40:41], vcc
	s_cbranch_execz .LBB259_22
; %bb.34:                               ;   in Loop: Header=BB259_24 Depth=1
	v_lshrrev_b32_e32 v18, 28, v18
	v_add_u32_e32 v18, v10, v18
	v_lshlrev_b32_e32 v11, 3, v11
	v_sub_u32_e32 v10, v10, v11
	v_ashrrev_i32_e32 v11, 4, v18
	v_lshl_add_u32 v10, v11, 3, v10
	v_cmp_ne_u32_e32 vcc, 6, v10
	v_cmp_ne_u32_e64 s[0:1], 5, v10
	v_cmp_ne_u32_e64 s[8:9], 4, v10
	;; [unrolled: 1-line block ×7, first 2 shown]
	v_cndmask_b32_e32 v6, v16, v6, vcc
	v_cndmask_b32_e64 v5, v16, v5, s[0:1]
	v_cndmask_b32_e64 v7, v16, v7, s[18:19]
	v_cndmask_b32_e64 v4, v16, v4, s[8:9]
	v_cndmask_b32_e64 v3, v16, v3, s[10:11]
	v_cndmask_b32_e64 v2, v16, v2, s[12:13]
	v_cndmask_b32_e64 v1, v16, v1, s[14:15]
	v_cndmask_b32_e64 v0, v16, v0, s[16:17]
	s_branch .LBB259_22
.LBB259_35:
	v_mov_b32_e32 v13, 0
.LBB259_36:
	v_cmp_eq_u32_e32 vcc, 0, v9
	s_and_b64 exec, exec, vcc
	s_cbranch_execz .LBB259_49
; %bb.37:
	s_andn2_b64 vcc, exec, s[4:5]
	v_cvt_f32_f64_e32 v0, s[20:21]
	s_cbranch_vccnz .LBB259_39
; %bb.38:
	v_cmp_lt_f32_e32 vcc, 0, v13
	s_nop 1
	v_cndmask_b32_e32 v1, 1.0, v13, vcc
	v_div_scale_f32 v2, s[0:1], v1, v1, v0
	v_rcp_f32_e32 v3, v2
	s_nop 0
	v_fma_f32 v4, -v2, v3, 1.0
	v_fmac_f32_e32 v3, v4, v3
	v_div_scale_f32 v4, vcc, v0, v1, v0
	v_mul_f32_e32 v5, v4, v3
	v_fma_f32 v6, -v2, v5, v4
	v_fmac_f32_e32 v5, v6, v3
	v_fma_f32 v2, -v2, v5, v4
	v_div_fmas_f32 v2, v2, v3, v5
	v_div_fixup_f32 v0, v2, v1, v0
.LBB259_39:
	s_andn2_b64 vcc, exec, s[38:39]
	s_cbranch_vccnz .LBB259_49
; %bb.40:
	v_mul_lo_u32 v2, v8, s24
	s_cmp_gt_u32 s24, 3
	v_ashrrev_i32_e32 v3, 31, v2
	s_cbranch_scc0 .LBB259_44
; %bb.41:
	s_and_b32 s0, s24, 0x7ffffffc
	v_lshl_add_u64 v[4:5], v[2:3], 2, s[34:35]
	v_mov_b32_e32 v1, v0
	v_lshl_add_u64 v[4:5], v[4:5], 0, 8
	s_mov_b32 s1, s0
.LBB259_42:                             ; =>This Inner Loop Header: Depth=1
	global_load_dwordx4 v[6:9], v[4:5], off offset:-8
	s_add_i32 s1, s1, -4
	s_cmp_lg_u32 s1, 0
	s_waitcnt vmcnt(0)
	v_pk_mul_f32 v[6:7], v[0:1], v[6:7]
	v_pk_mul_f32 v[8:9], v[0:1], v[8:9]
	global_store_dwordx4 v[4:5], v[6:9], off offset:-8
	v_lshl_add_u64 v[4:5], v[4:5], 0, 16
	s_cbranch_scc1 .LBB259_42
; %bb.43:
	s_cmp_lg_u32 s0, s24
	s_cselect_b64 s[2:3], -1, 0
	s_branch .LBB259_46
.LBB259_44:
	s_mov_b64 s[2:3], 0
                                        ; implicit-def: $sgpr0
	s_cbranch_execz .LBB259_46
; %bb.45:
	s_mov_b64 s[2:3], -1
	s_mov_b32 s0, 0
.LBB259_46:
	s_andn2_b64 vcc, exec, s[2:3]
	s_cbranch_vccnz .LBB259_49
; %bb.47:
	s_mov_b32 s1, 0
	v_lshl_add_u64 v[2:3], v[2:3], 0, s[0:1]
	s_sub_i32 s2, s24, s0
	v_lshl_add_u64 v[2:3], v[2:3], 2, s[34:35]
.LBB259_48:                             ; =>This Inner Loop Header: Depth=1
	global_load_dword v1, v[2:3], off
	s_add_i32 s2, s2, -1
	s_cmp_lg_u32 s2, 0
	s_waitcnt vmcnt(0)
	v_mul_f32_e32 v1, v0, v1
	global_store_dword v[2:3], v1, off
	v_lshl_add_u64 v[2:3], v[2:3], 0, 4
	s_cbranch_scc1 .LBB259_48
.LBB259_49:
	s_endpgm
	.section	.rodata,"a",@progbits
	.p2align	6, 0x0
	.amdhsa_kernel _ZN4vllm3moe22topkGatingSoftplusSqrtILi8ELi16ELi4ELi16ELi32ELb0Ej6__halfEEvPKT6_PKbPfiPT5_PiiiibdPKfPKS9_SF_
		.amdhsa_group_segment_fixed_size 0
		.amdhsa_private_segment_fixed_size 0
		.amdhsa_kernarg_size 96
		.amdhsa_user_sgpr_count 2
		.amdhsa_user_sgpr_dispatch_ptr 0
		.amdhsa_user_sgpr_queue_ptr 0
		.amdhsa_user_sgpr_kernarg_segment_ptr 1
		.amdhsa_user_sgpr_dispatch_id 0
		.amdhsa_user_sgpr_kernarg_preload_length 0
		.amdhsa_user_sgpr_kernarg_preload_offset 0
		.amdhsa_user_sgpr_private_segment_size 0
		.amdhsa_uses_dynamic_stack 0
		.amdhsa_enable_private_segment 0
		.amdhsa_system_sgpr_workgroup_id_x 1
		.amdhsa_system_sgpr_workgroup_id_y 0
		.amdhsa_system_sgpr_workgroup_id_z 0
		.amdhsa_system_sgpr_workgroup_info 0
		.amdhsa_system_vgpr_workitem_id 1
		.amdhsa_next_free_vgpr 24
		.amdhsa_next_free_sgpr 43
		.amdhsa_accum_offset 24
		.amdhsa_reserve_vcc 1
		.amdhsa_float_round_mode_32 0
		.amdhsa_float_round_mode_16_64 0
		.amdhsa_float_denorm_mode_32 3
		.amdhsa_float_denorm_mode_16_64 3
		.amdhsa_dx10_clamp 1
		.amdhsa_ieee_mode 1
		.amdhsa_fp16_overflow 0
		.amdhsa_tg_split 0
		.amdhsa_exception_fp_ieee_invalid_op 0
		.amdhsa_exception_fp_denorm_src 0
		.amdhsa_exception_fp_ieee_div_zero 0
		.amdhsa_exception_fp_ieee_overflow 0
		.amdhsa_exception_fp_ieee_underflow 0
		.amdhsa_exception_fp_ieee_inexact 0
		.amdhsa_exception_int_div_zero 0
	.end_amdhsa_kernel
	.section	.text._ZN4vllm3moe22topkGatingSoftplusSqrtILi8ELi16ELi4ELi16ELi32ELb0Ej6__halfEEvPKT6_PKbPfiPT5_PiiiibdPKfPKS9_SF_,"axG",@progbits,_ZN4vllm3moe22topkGatingSoftplusSqrtILi8ELi16ELi4ELi16ELi32ELb0Ej6__halfEEvPKT6_PKbPfiPT5_PiiiibdPKfPKS9_SF_,comdat
.Lfunc_end259:
	.size	_ZN4vllm3moe22topkGatingSoftplusSqrtILi8ELi16ELi4ELi16ELi32ELb0Ej6__halfEEvPKT6_PKbPfiPT5_PiiiibdPKfPKS9_SF_, .Lfunc_end259-_ZN4vllm3moe22topkGatingSoftplusSqrtILi8ELi16ELi4ELi16ELi32ELb0Ej6__halfEEvPKT6_PKbPfiPT5_PiiiibdPKfPKS9_SF_
                                        ; -- End function
	.section	.AMDGPU.csdata,"",@progbits
; Kernel info:
; codeLenInByte = 3696
; NumSgprs: 49
; NumVgprs: 24
; NumAgprs: 0
; TotalNumVgprs: 24
; ScratchSize: 0
; MemoryBound: 0
; FloatMode: 240
; IeeeMode: 1
; LDSByteSize: 0 bytes/workgroup (compile time only)
; SGPRBlocks: 6
; VGPRBlocks: 2
; NumSGPRsForWavesPerEU: 49
; NumVGPRsForWavesPerEU: 24
; AccumOffset: 24
; Occupancy: 8
; WaveLimiterHint : 0
; COMPUTE_PGM_RSRC2:SCRATCH_EN: 0
; COMPUTE_PGM_RSRC2:USER_SGPR: 2
; COMPUTE_PGM_RSRC2:TRAP_HANDLER: 0
; COMPUTE_PGM_RSRC2:TGID_X_EN: 1
; COMPUTE_PGM_RSRC2:TGID_Y_EN: 0
; COMPUTE_PGM_RSRC2:TGID_Z_EN: 0
; COMPUTE_PGM_RSRC2:TIDIG_COMP_CNT: 1
; COMPUTE_PGM_RSRC3_GFX90A:ACCUM_OFFSET: 5
; COMPUTE_PGM_RSRC3_GFX90A:TG_SPLIT: 0
	.section	.text._ZN4vllm3moe22topkGatingSoftplusSqrtILi8ELi32ELi4ELi16ELi64ELb1Ej6__halfEEvPKT6_PKbPfiPT5_PiiiibdPKfPKS9_SF_,"axG",@progbits,_ZN4vllm3moe22topkGatingSoftplusSqrtILi8ELi32ELi4ELi16ELi64ELb1Ej6__halfEEvPKT6_PKbPfiPT5_PiiiibdPKfPKS9_SF_,comdat
	.protected	_ZN4vllm3moe22topkGatingSoftplusSqrtILi8ELi32ELi4ELi16ELi64ELb1Ej6__halfEEvPKT6_PKbPfiPT5_PiiiibdPKfPKS9_SF_ ; -- Begin function _ZN4vllm3moe22topkGatingSoftplusSqrtILi8ELi32ELi4ELi16ELi64ELb1Ej6__halfEEvPKT6_PKbPfiPT5_PiiiibdPKfPKS9_SF_
	.globl	_ZN4vllm3moe22topkGatingSoftplusSqrtILi8ELi32ELi4ELi16ELi64ELb1Ej6__halfEEvPKT6_PKbPfiPT5_PiiiibdPKfPKS9_SF_
	.p2align	8
	.type	_ZN4vllm3moe22topkGatingSoftplusSqrtILi8ELi32ELi4ELi16ELi64ELb1Ej6__halfEEvPKT6_PKbPfiPT5_PiiiibdPKfPKS9_SF_,@function
_ZN4vllm3moe22topkGatingSoftplusSqrtILi8ELi32ELi4ELi16ELi64ELb1Ej6__halfEEvPKT6_PKbPfiPT5_PiiiibdPKfPKS9_SF_: ; @_ZN4vllm3moe22topkGatingSoftplusSqrtILi8ELi32ELi4ELi16ELi64ELb1Ej6__halfEEvPKT6_PKbPfiPT5_PiiiibdPKfPKS9_SF_
; %bb.0:
	s_load_dword s3, s[0:1], 0x18
	v_bfe_u32 v1, v0, 10, 10
	v_and_b32_e32 v8, 0x3ff, v0
	s_lshl_b32 s2, s2, 6
	v_lshlrev_b32_e32 v1, 4, v1
	v_lshrrev_b32_e32 v0, 2, v8
	v_add3_u32 v6, s2, v1, v0
	s_waitcnt lgkmcnt(0)
	v_cmp_gt_i32_e32 vcc, s3, v6
	s_and_saveexec_b64 s[2:3], vcc
	s_cbranch_execz .LBB260_32
; %bb.1:
	s_load_dwordx2 s[2:3], s[0:1], 0x0
	s_load_dword s33, s[0:1], 0x30
	v_lshlrev_b32_e32 v0, 5, v6
	v_lshlrev_b32_e32 v2, 3, v8
	v_ashrrev_i32_e32 v1, 31, v0
	v_and_b32_e32 v10, 24, v2
	s_waitcnt lgkmcnt(0)
	v_lshl_add_u64 v[0:1], v[0:1], 1, s[2:3]
	v_lshlrev_b32_e32 v4, 1, v10
	v_mov_b32_e32 v5, 0
	v_lshl_add_u64 v[0:1], v[0:1], 0, v[4:5]
	global_load_dwordx4 v[0:3], v[0:1], off
	s_load_dwordx4 s[8:11], s[0:1], 0x50
	v_ashrrev_i32_e32 v7, 31, v6
	s_mov_b32 s15, 0x800000
	s_mov_b32 s13, 0x3f317217
	;; [unrolled: 1-line block ×3, first 2 shown]
	s_waitcnt lgkmcnt(0)
	v_mov_b32_e32 v12, s8
	v_mov_b32_e32 v13, s9
	v_lshl_add_u64 v[12:13], v[6:7], 2, v[12:13]
	global_load_dword v4, v[12:13], off
	v_mov_b32_e32 v7, 0x4f800000
	v_mov_b32_e32 v9, 0x41b17218
	s_movk_i32 s9, 0x4d00
	s_mov_b32 s12, 0xf800000
	v_mov_b32_e32 v19, 0x260
	s_cmp_gt_i32 s33, 0
	s_mov_b32 s8, 0
	s_waitcnt vmcnt(1)
	v_cvt_f32_f16_e32 v11, v0
	v_cvt_f32_f16_sdwa v16, v0 dst_sel:DWORD dst_unused:UNUSED_PAD src0_sel:WORD_1
	v_cvt_f32_f16_e32 v17, v1
	v_cvt_f32_f16_sdwa v18, v1 dst_sel:DWORD dst_unused:UNUSED_PAD src0_sel:WORD_1
	v_mul_f32_e32 v12, 0x3fb8aa3b, v11
	v_mul_f32_e32 v13, 0x3fb8aa3b, v16
	v_exp_f32_e32 v12, v12
	v_exp_f32_e32 v13, v13
	v_mul_f32_e32 v14, 0x3fb8aa3b, v17
	v_mul_f32_e32 v15, 0x3fb8aa3b, v18
	v_exp_f32_e32 v14, v14
	v_exp_f32_e32 v15, v15
	v_pk_add_f32 v[12:13], v[12:13], 1.0 op_sel_hi:[1,0]
	s_waitcnt vmcnt(0)
	v_mul_lo_u32 v4, v4, s33
	v_cmp_gt_f32_e32 vcc, s15, v13
	v_pk_add_f32 v[14:15], v[14:15], 1.0 op_sel_hi:[1,0]
	v_cmp_gt_f32_e64 s[2:3], s15, v12
	v_cndmask_b32_e32 v20, 1.0, v7, vcc
	v_cmp_gt_f32_e64 s[4:5], s15, v15
	v_cndmask_b32_e64 v21, 1.0, v7, s[2:3]
	v_mul_f32_e32 v13, v13, v20
	v_cndmask_b32_e64 v22, 1.0, v7, s[4:5]
	v_cmp_gt_f32_e64 s[6:7], s15, v14
	v_mul_f32_e32 v12, v12, v21
	v_log_f32_e32 v13, v13
	v_cndmask_b32_e64 v23, 1.0, v7, s[6:7]
	v_mul_f32_e32 v15, v15, v22
	v_log_f32_e32 v12, v12
	v_mul_f32_e32 v14, v14, v23
	v_log_f32_e32 v15, v15
	v_log_f32_e32 v14, v14
	v_mul_f32_e32 v23, 0x3f317217, v13
	v_mul_f32_e32 v24, 0x3f317217, v12
	v_fma_f32 v23, v13, s13, -v23
	v_mul_f32_e32 v25, 0x3f317217, v15
	v_fma_f32 v24, v12, s13, -v24
	v_fmac_f32_e32 v23, 0x3377d1cf, v13
	v_cndmask_b32_e32 v20, 0, v9, vcc
	v_mul_f32_e32 v26, 0x3f317217, v14
	v_fma_f32 v25, v15, s13, -v25
	v_fmac_f32_e32 v24, 0x3377d1cf, v12
	v_fmac_f32_e32 v23, 0x3f317217, v13
	v_cmp_lt_f32_e64 vcc, |v13|, s14
	v_fma_f32 v26, v14, s13, -v26
	v_fmac_f32_e32 v25, 0x3377d1cf, v15
	v_fmac_f32_e32 v24, 0x3f317217, v12
	v_cndmask_b32_e32 v13, v13, v23, vcc
	v_cmp_lt_f32_e64 vcc, |v12|, s14
	v_fmac_f32_e32 v26, 0x3377d1cf, v14
	v_fmac_f32_e32 v25, 0x3f317217, v15
	v_cndmask_b32_e32 v12, v12, v24, vcc
	v_cmp_lt_f32_e64 vcc, |v15|, s14
	v_cndmask_b32_e64 v21, 0, v9, s[2:3]
	v_fmac_f32_e32 v26, 0x3f317217, v14
	v_cndmask_b32_e32 v15, v15, v25, vcc
	v_cmp_lt_f32_e64 vcc, |v14|, s14
	v_sub_f32_e32 v12, v12, v21
	v_sub_f32_e32 v13, v13, v20
	v_cndmask_b32_e32 v14, v14, v26, vcc
	v_cmp_lt_f16_e32 vcc, s9, v0
	v_cndmask_b32_e64 v22, 0, v9, s[4:5]
	v_sub_f32_e32 v15, v15, v22
	v_cndmask_b32_e32 v11, v12, v11, vcc
	v_cmp_gt_f16_sdwa vcc, v0, s9 src0_sel:WORD_1 src1_sel:DWORD
	v_cmp_gt_f32_e64 s[2:3], s12, v11
	s_nop 0
	v_cndmask_b32_e32 v0, v13, v16, vcc
	v_mul_f32_e32 v12, 0x4f800000, v0
	v_cmp_gt_f32_e32 vcc, s12, v0
	v_mul_f32_e32 v13, 0x4f800000, v11
	v_cndmask_b32_e64 v11, v11, v13, s[2:3]
	v_cndmask_b32_e32 v0, v0, v12, vcc
	v_sqrt_f32_e32 v12, v0
	v_sqrt_f32_e32 v13, v11
	v_add_u32_e32 v16, -1, v12
	v_add_u32_e32 v21, -1, v13
	v_fma_f32 v23, -v16, v12, v0
	v_add_u32_e32 v20, 1, v12
	v_fma_f32 v25, -v21, v13, v11
	v_cmp_ge_f32_e64 s[4:5], 0, v23
	v_add_u32_e32 v22, 1, v13
	v_fma_f32 v24, -v20, v12, v0
	v_cndmask_b32_e64 v12, v12, v16, s[4:5]
	v_cmp_ge_f32_e64 s[4:5], 0, v25
	v_fma_f32 v26, -v22, v13, v11
	s_nop 0
	v_cndmask_b32_e64 v13, v13, v21, s[4:5]
	v_cmp_lt_f32_e64 s[4:5], 0, v24
	s_nop 1
	v_cndmask_b32_e64 v12, v12, v20, s[4:5]
	v_cmp_lt_f32_e64 s[4:5], 0, v26
	v_mul_f32_e32 v16, 0x37800000, v12
	v_cndmask_b32_e32 v12, v12, v16, vcc
	v_cndmask_b32_e64 v13, v13, v22, s[4:5]
	v_mul_f32_e32 v20, 0x37800000, v13
	v_cmp_class_f32_e32 vcc, v0, v19
	v_cndmask_b32_e64 v16, v13, v20, s[2:3]
	v_cmp_lt_f16_e64 s[2:3], s9, v1
	v_cndmask_b32_e32 v13, v12, v0, vcc
	v_cmp_class_f32_e32 vcc, v11, v19
	v_cndmask_b32_e64 v0, 0, v9, s[6:7]
	v_sub_f32_e32 v0, v14, v0
	v_cndmask_b32_e32 v12, v16, v11, vcc
	v_cmp_gt_f16_sdwa vcc, v1, s9 src0_sel:WORD_1 src1_sel:DWORD
	v_cndmask_b32_e64 v0, v0, v17, s[2:3]
	v_cvt_f32_f16_e32 v17, v2
	v_cndmask_b32_e32 v11, v15, v18, vcc
	v_mul_f32_e32 v15, 0x4f800000, v11
	v_cmp_gt_f32_e32 vcc, s12, v11
	v_cvt_f32_f16_sdwa v18, v2 dst_sel:DWORD dst_unused:UNUSED_PAD src0_sel:WORD_1
	s_nop 0
	v_cndmask_b32_e32 v11, v11, v15, vcc
	v_sqrt_f32_e32 v15, v11
	s_nop 0
	v_add_u32_e32 v1, -1, v15
	v_fma_f32 v14, -v1, v15, v11
	v_cmp_ge_f32_e64 s[2:3], 0, v14
	v_add_u32_e32 v14, 1, v15
	s_nop 0
	v_cndmask_b32_e64 v1, v15, v1, s[2:3]
	v_fma_f32 v15, -v14, v15, v11
	v_cmp_lt_f32_e64 s[2:3], 0, v15
	v_mul_f32_e32 v15, 0x4f800000, v0
	s_nop 0
	v_cndmask_b32_e64 v1, v1, v14, s[2:3]
	v_cmp_gt_f32_e64 s[2:3], s12, v0
	v_mul_f32_e32 v14, 0x37800000, v1
	v_cndmask_b32_e32 v1, v1, v14, vcc
	v_cndmask_b32_e64 v16, v0, v15, s[2:3]
	v_sqrt_f32_e32 v0, v16
	v_cmp_class_f32_e32 vcc, v11, v19
	v_add_u32_e32 v14, 1, v0
	s_nop 0
	v_cndmask_b32_e32 v15, v1, v11, vcc
	v_add_u32_e32 v1, -1, v0
	v_fma_f32 v11, -v1, v0, v16
	v_cmp_ge_f32_e32 vcc, 0, v11
	v_fma_f32 v20, -v14, v0, v16
	s_nop 0
	v_cndmask_b32_e32 v11, v0, v1, vcc
	v_mul_f32_e32 v0, 0x3fb8aa3b, v17
	v_mul_f32_e32 v1, 0x3fb8aa3b, v18
	v_exp_f32_e32 v0, v0
	v_exp_f32_e32 v1, v1
	v_cmp_lt_f32_e32 vcc, 0, v20
	v_pk_add_f32 v[0:1], v[0:1], 1.0 op_sel_hi:[1,0]
	s_nop 0
	v_cndmask_b32_e32 v11, v11, v14, vcc
	v_mul_f32_e32 v14, 0x37800000, v11
	v_cmp_gt_f32_e32 vcc, s15, v1
	v_cndmask_b32_e64 v11, v11, v14, s[2:3]
	v_cmp_class_f32_e64 s[2:3], v16, v19
	v_cndmask_b32_e32 v14, 1.0, v7, vcc
	v_mul_f32_e32 v1, v1, v14
	v_log_f32_e32 v1, v1
	v_cndmask_b32_e64 v14, v11, v16, s[2:3]
	v_cmp_gt_f32_e64 s[2:3], s15, v0
	scratch_store_dwordx4 off, v[12:15], off
	v_mul_f32_e32 v11, 0x3f317217, v1
	v_fma_f32 v11, v1, s13, -v11
	v_cndmask_b32_e64 v12, 1.0, v7, s[2:3]
	v_mul_f32_e32 v0, v0, v12
	v_log_f32_e32 v0, v0
	v_fmac_f32_e32 v11, 0x3377d1cf, v1
	v_fmac_f32_e32 v11, 0x3f317217, v1
	v_cmp_lt_f32_e64 s[4:5], |v1|, s14
	v_cvt_f32_f16_sdwa v15, v3 dst_sel:DWORD dst_unused:UNUSED_PAD src0_sel:WORD_1
	v_mul_f32_e32 v13, 0x3fb8aa3b, v15
	v_cndmask_b32_e64 v1, v1, v11, s[4:5]
	v_cndmask_b32_e32 v11, 0, v9, vcc
	v_sub_f32_e32 v1, v1, v11
	v_mul_f32_e32 v11, 0x3f317217, v0
	v_fma_f32 v11, v0, s13, -v11
	v_fmac_f32_e32 v11, 0x3377d1cf, v0
	v_fmac_f32_e32 v11, 0x3f317217, v0
	v_cmp_lt_f32_e64 vcc, |v0|, s14
	v_exp_f32_e32 v13, v13
	s_nop 0
	v_cndmask_b32_e32 v0, v0, v11, vcc
	v_cmp_gt_f16_sdwa vcc, v2, s9 src0_sel:WORD_1 src1_sel:DWORD
	v_cndmask_b32_e64 v11, 0, v9, s[2:3]
	v_cmp_lt_f16_e64 s[2:3], s9, v2
	v_cndmask_b32_e32 v1, v1, v18, vcc
	v_mul_f32_e32 v12, 0x4f800000, v1
	v_cmp_gt_f32_e32 vcc, s12, v1
	v_sub_f32_e32 v0, v0, v11
	v_cndmask_b32_e64 v0, v0, v17, s[2:3]
	v_cndmask_b32_e32 v1, v1, v12, vcc
	v_sqrt_f32_e32 v12, v1
	s_nop 0
	v_add_u32_e32 v2, -1, v12
	v_fma_f32 v11, -v2, v12, v1
	v_cmp_ge_f32_e64 s[2:3], 0, v11
	v_add_u32_e32 v11, 1, v12
	s_nop 0
	v_cndmask_b32_e64 v2, v12, v2, s[2:3]
	v_fma_f32 v12, -v11, v12, v1
	v_cmp_lt_f32_e64 s[2:3], 0, v12
	v_mul_f32_e32 v12, 0x4f800000, v0
	s_nop 0
	v_cndmask_b32_e64 v2, v2, v11, s[2:3]
	v_cmp_gt_f32_e64 s[2:3], s12, v0
	v_mul_f32_e32 v11, 0x37800000, v2
	v_cndmask_b32_e32 v2, v2, v11, vcc
	v_cndmask_b32_e64 v0, v0, v12, s[2:3]
	v_sqrt_f32_e32 v12, v0
	v_cmp_class_f32_e32 vcc, v1, v19
	v_add_u32_e32 v14, 1, v12
	s_nop 0
	v_cndmask_b32_e32 v1, v2, v1, vcc
	v_add_u32_e32 v2, -1, v12
	v_fma_f32 v11, -v2, v12, v0
	v_cmp_ge_f32_e32 vcc, 0, v11
	v_cvt_f32_f16_e32 v11, v3
	v_fma_f32 v16, -v14, v12, v0
	v_cndmask_b32_e32 v2, v12, v2, vcc
	v_cmp_lt_f32_e32 vcc, 0, v16
	v_mul_f32_e32 v12, 0x3fb8aa3b, v11
	v_exp_f32_e32 v12, v12
	v_cndmask_b32_e32 v2, v2, v14, vcc
	v_mul_f32_e32 v14, 0x37800000, v2
	v_cndmask_b32_e64 v2, v2, v14, s[2:3]
	v_pk_add_f32 v[12:13], v[12:13], 1.0 op_sel_hi:[1,0]
	v_cmp_class_f32_e64 s[2:3], v0, v19
	v_cmp_gt_f32_e32 vcc, s15, v13
	s_nop 0
	v_cndmask_b32_e64 v0, v2, v0, s[2:3]
	v_cndmask_b32_e32 v16, 1.0, v7, vcc
	v_mul_f32_e32 v13, v13, v16
	v_log_f32_e32 v13, v13
	v_cmp_gt_f32_e64 s[2:3], s15, v12
	v_mul_f32_e32 v2, 0x3f317217, v13
	s_nop 0
	v_cndmask_b32_e64 v7, 1.0, v7, s[2:3]
	v_mul_f32_e32 v7, v12, v7
	v_fma_f32 v2, v13, s13, -v2
	v_log_f32_e32 v7, v7
	v_fmac_f32_e32 v2, 0x3377d1cf, v13
	v_fmac_f32_e32 v2, 0x3f317217, v13
	v_cmp_lt_f32_e64 s[4:5], |v13|, s14
	v_cndmask_b32_e32 v12, 0, v9, vcc
	v_cmp_lt_f32_e64 vcc, |v7|, s14
	v_cndmask_b32_e64 v2, v13, v2, s[4:5]
	v_sub_f32_e32 v2, v2, v12
	v_mul_f32_e32 v12, 0x3f317217, v7
	v_fma_f32 v12, v7, s13, -v12
	v_fmac_f32_e32 v12, 0x3377d1cf, v7
	v_fmac_f32_e32 v12, 0x3f317217, v7
	v_cndmask_b32_e32 v7, v7, v12, vcc
	v_cmp_gt_f16_sdwa vcc, v3, s9 src0_sel:WORD_1 src1_sel:DWORD
	v_cndmask_b32_e64 v9, 0, v9, s[2:3]
	v_sub_f32_e32 v7, v7, v9
	v_cndmask_b32_e32 v2, v2, v15, vcc
	v_mul_f32_e32 v12, 0x4f800000, v2
	v_cmp_gt_f32_e32 vcc, s12, v2
	v_cmp_lt_f16_e64 s[2:3], s9, v3
	s_cselect_b64 s[4:5], -1, 0
	v_cndmask_b32_e32 v2, v2, v12, vcc
	v_sqrt_f32_e32 v12, v2
	v_cndmask_b32_e64 v3, v7, v11, s[2:3]
	s_cmp_lt_i32 s33, 1
	v_add_u32_e32 v7, -1, v12
	v_fma_f32 v9, -v7, v12, v2
	v_cmp_ge_f32_e64 s[2:3], 0, v9
	v_add_u32_e32 v9, 1, v12
	v_fma_f32 v11, -v9, v12, v2
	v_cndmask_b32_e64 v7, v12, v7, s[2:3]
	v_cmp_lt_f32_e64 s[2:3], 0, v11
	v_mul_f32_e32 v11, 0x4f800000, v3
	s_nop 0
	v_cndmask_b32_e64 v7, v7, v9, s[2:3]
	v_cmp_gt_f32_e64 s[2:3], s12, v3
	v_mul_f32_e32 v9, 0x37800000, v7
	s_nop 0
	v_cndmask_b32_e64 v11, v3, v11, s[2:3]
	v_sqrt_f32_e32 v12, v11
	v_cndmask_b32_e32 v3, v7, v9, vcc
	v_cmp_class_f32_e32 vcc, v2, v19
	s_nop 1
	v_cndmask_b32_e32 v3, v3, v2, vcc
	v_add_u32_e32 v2, -1, v12
	v_fma_f32 v7, -v2, v12, v11
	v_cmp_ge_f32_e32 vcc, 0, v7
	v_add_u32_e32 v7, 1, v12
	v_fma_f32 v9, -v7, v12, v11
	v_cndmask_b32_e32 v2, v12, v2, vcc
	v_cmp_lt_f32_e32 vcc, 0, v9
	s_nop 1
	v_cndmask_b32_e32 v2, v2, v7, vcc
	v_mul_f32_e32 v7, 0x37800000, v2
	v_cndmask_b32_e64 v2, v2, v7, s[2:3]
	v_cmp_class_f32_e32 vcc, v11, v19
	s_nop 1
	v_cndmask_b32_e32 v2, v2, v11, vcc
	scratch_store_dwordx4 off, v[0:3], off offset:16
	s_nop 1
	v_lshl_add_u64 v[2:3], v[4:5], 2, s[10:11]
	v_mul_lo_u32 v0, v6, s33
	s_cbranch_scc1 .LBB260_29
; %bb.2:
	s_load_dwordx2 s[6:7], s[0:1], 0x20
	s_cmp_lt_u32 s33, 4
	v_and_b32_e32 v4, 3, v8
	s_cbranch_scc1 .LBB260_21
; %bb.3:
	v_lshlrev_b32_e32 v5, 3, v4
	s_mov_b32 s11, 0
	s_and_b32 s8, s33, 0x7ffffffc
	v_ashrrev_i32_e32 v1, 31, v0
	v_sub_u32_e32 v11, 0, v5
	v_mov_b32_e32 v5, 0
	s_mov_b32 s10, s11
	s_branch .LBB260_5
.LBB260_4:                              ;   in Loop: Header=BB260_5 Depth=1
	s_or_b64 exec, exec, s[12:13]
	s_add_i32 s10, s10, 4
	s_cmp_eq_u32 s10, s8
	s_cbranch_scc1 .LBB260_22
.LBB260_5:                              ; =>This Loop Header: Depth=1
                                        ;     Child Loop BB260_7 Depth 2
                                        ;     Child Loop BB260_11 Depth 2
	;; [unrolled: 1-line block ×4, first 2 shown]
	v_lshl_add_u64 v[6:7], s[10:11], 2, v[2:3]
	global_load_dword v12, v[6:7], off
	v_add_u32_e32 v8, s10, v0
	v_ashrrev_i32_e32 v9, 31, v8
	v_mov_b32_e32 v13, 0
	s_mov_b64 s[12:13], 0
	s_waitcnt lgkmcnt(0)
	v_lshl_add_u64 v[8:9], v[8:9], 2, s[6:7]
	s_mov_b32 s9, 0
	s_waitcnt vmcnt(0)
	v_add_u32_e32 v14, v11, v12
	s_branch .LBB260_7
.LBB260_6:                              ;   in Loop: Header=BB260_7 Depth=2
	s_or_b64 exec, exec, s[14:15]
	s_add_i32 s16, s9, 1
	s_cmp_gt_u32 s9, 6
	s_cselect_b64 s[2:3], -1, 0
	s_xor_b64 s[14:15], vcc, -1
	s_or_b64 s[2:3], s[14:15], s[2:3]
	s_and_b64 s[2:3], exec, s[2:3]
	v_add_u32_e32 v13, 4, v13
	s_or_b64 s[12:13], s[2:3], s[12:13]
	s_mov_b32 s9, s16
	s_andn2_b64 exec, exec, s[12:13]
	s_cbranch_execz .LBB260_9
.LBB260_7:                              ;   Parent Loop BB260_5 Depth=1
                                        ; =>  This Inner Loop Header: Depth=2
	v_cmp_ne_u32_e32 vcc, s9, v14
	v_cmp_eq_u32_e64 s[2:3], s9, v14
	s_and_saveexec_b64 s[14:15], s[2:3]
	s_cbranch_execz .LBB260_6
; %bb.8:                                ;   in Loop: Header=BB260_7 Depth=2
	scratch_load_dword v15, v13, off
	s_waitcnt vmcnt(0)
	v_add_f32_e32 v5, v5, v15
	global_store_dword v[8:9], v12, off
	s_branch .LBB260_6
.LBB260_9:                              ;   in Loop: Header=BB260_5 Depth=1
	s_or_b64 exec, exec, s[12:13]
	global_load_dword v12, v[6:7], off offset:4
	s_ashr_i32 s3, s10, 31
	s_mov_b32 s2, s10
	v_lshl_add_u64 v[8:9], s[2:3], 0, v[0:1]
	v_mov_b32_e32 v13, 0
	s_mov_b32 s9, 0
	v_lshl_add_u64 v[8:9], v[8:9], 2, s[6:7]
	s_mov_b64 s[12:13], 0
	s_waitcnt vmcnt(0)
	v_add_u32_e32 v14, v11, v12
	s_branch .LBB260_11
.LBB260_10:                             ;   in Loop: Header=BB260_11 Depth=2
	s_or_b64 exec, exec, s[14:15]
	s_add_i32 s16, s9, 1
	s_cmp_gt_u32 s9, 6
	s_cselect_b64 s[2:3], -1, 0
	s_xor_b64 s[14:15], vcc, -1
	s_or_b64 s[2:3], s[14:15], s[2:3]
	s_and_b64 s[2:3], exec, s[2:3]
	v_add_u32_e32 v13, 4, v13
	s_or_b64 s[12:13], s[2:3], s[12:13]
	s_mov_b32 s9, s16
	s_andn2_b64 exec, exec, s[12:13]
	s_cbranch_execz .LBB260_13
.LBB260_11:                             ;   Parent Loop BB260_5 Depth=1
                                        ; =>  This Inner Loop Header: Depth=2
	v_cmp_ne_u32_e32 vcc, s9, v14
	v_cmp_eq_u32_e64 s[2:3], s9, v14
	s_and_saveexec_b64 s[14:15], s[2:3]
	s_cbranch_execz .LBB260_10
; %bb.12:                               ;   in Loop: Header=BB260_11 Depth=2
	scratch_load_dword v15, v13, off
	s_waitcnt vmcnt(0)
	v_add_f32_e32 v5, v5, v15
	global_store_dword v[8:9], v12, off offset:4
	s_branch .LBB260_10
.LBB260_13:                             ;   in Loop: Header=BB260_5 Depth=1
	s_or_b64 exec, exec, s[12:13]
	global_load_dword v12, v[6:7], off offset:8
	v_mov_b32_e32 v13, 0
	s_mov_b32 s9, 0
	s_mov_b64 s[12:13], 0
	s_waitcnt vmcnt(0)
	v_add_u32_e32 v14, v11, v12
	s_branch .LBB260_15
.LBB260_14:                             ;   in Loop: Header=BB260_15 Depth=2
	s_or_b64 exec, exec, s[14:15]
	s_add_i32 s16, s9, 1
	s_cmp_gt_u32 s9, 6
	s_cselect_b64 s[2:3], -1, 0
	s_xor_b64 s[14:15], vcc, -1
	s_or_b64 s[2:3], s[14:15], s[2:3]
	s_and_b64 s[2:3], exec, s[2:3]
	v_add_u32_e32 v13, 4, v13
	s_or_b64 s[12:13], s[2:3], s[12:13]
	s_mov_b32 s9, s16
	s_andn2_b64 exec, exec, s[12:13]
	s_cbranch_execz .LBB260_17
.LBB260_15:                             ;   Parent Loop BB260_5 Depth=1
                                        ; =>  This Inner Loop Header: Depth=2
	v_cmp_ne_u32_e32 vcc, s9, v14
	v_cmp_eq_u32_e64 s[2:3], s9, v14
	s_and_saveexec_b64 s[14:15], s[2:3]
	s_cbranch_execz .LBB260_14
; %bb.16:                               ;   in Loop: Header=BB260_15 Depth=2
	scratch_load_dword v15, v13, off
	s_waitcnt vmcnt(0)
	v_add_f32_e32 v5, v5, v15
	global_store_dword v[8:9], v12, off offset:8
	s_branch .LBB260_14
.LBB260_17:                             ;   in Loop: Header=BB260_5 Depth=1
	s_or_b64 exec, exec, s[12:13]
	global_load_dword v6, v[6:7], off offset:12
	v_mov_b32_e32 v7, 0
	s_mov_b32 s9, 0
	s_mov_b64 s[12:13], 0
	s_waitcnt vmcnt(0)
	v_add_u32_e32 v12, v11, v6
	s_branch .LBB260_19
.LBB260_18:                             ;   in Loop: Header=BB260_19 Depth=2
	s_or_b64 exec, exec, s[14:15]
	s_add_i32 s16, s9, 1
	s_cmp_gt_u32 s9, 6
	s_cselect_b64 s[2:3], -1, 0
	s_xor_b64 s[14:15], vcc, -1
	s_or_b64 s[2:3], s[14:15], s[2:3]
	s_and_b64 s[2:3], exec, s[2:3]
	v_add_u32_e32 v7, 4, v7
	s_or_b64 s[12:13], s[2:3], s[12:13]
	s_mov_b32 s9, s16
	s_andn2_b64 exec, exec, s[12:13]
	s_cbranch_execz .LBB260_4
.LBB260_19:                             ;   Parent Loop BB260_5 Depth=1
                                        ; =>  This Inner Loop Header: Depth=2
	v_cmp_ne_u32_e32 vcc, s9, v12
	v_cmp_eq_u32_e64 s[2:3], s9, v12
	s_and_saveexec_b64 s[14:15], s[2:3]
	s_cbranch_execz .LBB260_18
; %bb.20:                               ;   in Loop: Header=BB260_19 Depth=2
	scratch_load_dword v13, v7, off
	s_waitcnt vmcnt(0)
	v_add_f32_e32 v5, v5, v13
	global_store_dword v[8:9], v6, off offset:12
	s_branch .LBB260_18
.LBB260_21:
	v_mov_b32_e32 v5, 0
.LBB260_22:
	s_and_b32 s14, s33, 3
	s_cmp_eq_u32 s14, 0
	s_mov_b32 s9, 0
	s_cbranch_scc1 .LBB260_29
; %bb.23:
	v_lshlrev_b32_e32 v1, 3, v4
	v_sub_u32_e32 v1, 0, v1
	s_mov_b32 s15, s9
	s_branch .LBB260_25
.LBB260_24:                             ;   in Loop: Header=BB260_25 Depth=1
	s_or_b64 exec, exec, s[10:11]
	s_add_i32 s8, s8, 1
	s_add_i32 s15, s15, 1
	s_cmp_lg_u32 s15, s14
	s_cbranch_scc0 .LBB260_29
.LBB260_25:                             ; =>This Loop Header: Depth=1
                                        ;     Child Loop BB260_27 Depth 2
	v_lshl_add_u64 v[6:7], s[8:9], 2, v[2:3]
	global_load_dword v4, v[6:7], off
	v_add_u32_e32 v6, s8, v0
	v_ashrrev_i32_e32 v7, 31, v6
	v_mov_b32_e32 v8, 0
	s_mov_b32 s16, 0
	s_waitcnt lgkmcnt(0)
	v_lshl_add_u64 v[6:7], v[6:7], 2, s[6:7]
	s_mov_b64 s[10:11], 0
	s_waitcnt vmcnt(0)
	v_add_u32_e32 v9, v1, v4
	s_branch .LBB260_27
.LBB260_26:                             ;   in Loop: Header=BB260_27 Depth=2
	s_or_b64 exec, exec, s[12:13]
	s_add_i32 s17, s16, 1
	s_cmp_gt_u32 s16, 6
	s_cselect_b64 s[2:3], -1, 0
	s_xor_b64 s[12:13], vcc, -1
	s_or_b64 s[2:3], s[12:13], s[2:3]
	s_and_b64 s[2:3], exec, s[2:3]
	v_add_u32_e32 v8, 4, v8
	s_or_b64 s[10:11], s[2:3], s[10:11]
	s_mov_b32 s16, s17
	s_andn2_b64 exec, exec, s[10:11]
	s_cbranch_execz .LBB260_24
.LBB260_27:                             ;   Parent Loop BB260_25 Depth=1
                                        ; =>  This Inner Loop Header: Depth=2
	v_cmp_ne_u32_e32 vcc, s16, v9
	v_cmp_eq_u32_e64 s[2:3], s16, v9
	s_and_saveexec_b64 s[12:13], s[2:3]
	s_cbranch_execz .LBB260_26
; %bb.28:                               ;   in Loop: Header=BB260_27 Depth=2
	scratch_load_dword v11, v8, off
	s_waitcnt vmcnt(0)
	v_add_f32_e32 v5, v5, v11
	global_store_dword v[6:7], v4, off
	s_branch .LBB260_26
.LBB260_29:
	s_waitcnt lgkmcnt(0)
	s_load_dword s6, s[0:1], 0x3c
	s_waitcnt lgkmcnt(0)
	s_bitcmp1_b32 s6, 0
	s_cselect_b64 s[2:3], -1, 0
	s_bitcmp0_b32 s6, 0
	s_cbranch_scc0 .LBB260_33
; %bb.30:
	s_load_dwordx2 s[6:7], s[0:1], 0x40
	s_andn2_b64 vcc, exec, s[2:3]
	s_waitcnt lgkmcnt(0)
	v_cvt_f32_f64_e32 v8, s[6:7]
	s_cbranch_vccz .LBB260_34
.LBB260_31:
	s_andn2_b64 vcc, exec, s[4:5]
	s_cbranch_vccz .LBB260_35
.LBB260_32:
	s_endpgm
.LBB260_33:
	v_mbcnt_lo_u32_b32 v1, -1, 0
	v_mbcnt_hi_u32_b32 v1, -1, v1
	v_and_b32_e32 v4, 0x7c, v1
	v_add_u32_e32 v4, 4, v4
	v_xor_b32_e32 v6, 2, v1
	v_cmp_lt_i32_e32 vcc, v6, v4
	v_xor_b32_e32 v7, 1, v1
	s_nop 0
	v_cndmask_b32_e32 v6, v1, v6, vcc
	v_lshlrev_b32_e32 v6, 2, v6
	ds_bpermute_b32 v6, v6, v5
	v_cmp_lt_i32_e32 vcc, v7, v4
	s_waitcnt lgkmcnt(0)
	v_add_f32_e32 v5, v5, v6
	v_cndmask_b32_e32 v1, v1, v7, vcc
	v_lshlrev_b32_e32 v1, 2, v1
	ds_bpermute_b32 v1, v1, v5
	s_waitcnt lgkmcnt(0)
	v_add_f32_e32 v5, v5, v1
	s_load_dwordx2 s[6:7], s[0:1], 0x40
	s_andn2_b64 vcc, exec, s[2:3]
	s_waitcnt lgkmcnt(0)
	v_cvt_f32_f64_e32 v8, s[6:7]
	s_cbranch_vccnz .LBB260_31
.LBB260_34:
	v_cmp_lt_f32_e32 vcc, 0, v5
	s_nop 1
	v_cndmask_b32_e32 v1, 1.0, v5, vcc
	v_div_scale_f32 v4, s[2:3], v1, v1, v8
	v_rcp_f32_e32 v5, v4
	s_nop 0
	v_fma_f32 v6, -v4, v5, 1.0
	v_fmac_f32_e32 v5, v6, v5
	v_div_scale_f32 v6, vcc, v8, v1, v8
	v_mul_f32_e32 v7, v6, v5
	v_fma_f32 v9, -v4, v7, v6
	v_fmac_f32_e32 v7, v9, v5
	v_fma_f32 v4, -v4, v7, v6
	v_div_fmas_f32 v4, v4, v5, v7
	v_div_fixup_f32 v8, v4, v1, v8
	s_andn2_b64 vcc, exec, s[4:5]
	s_cbranch_vccnz .LBB260_32
.LBB260_35:
	s_load_dwordx2 s[12:13], s[0:1], 0x10
	v_mov_b32_e32 v1, 0
	v_or_b32_e32 v20, 4, v1
	v_or_b32_e32 v18, 8, v1
	;; [unrolled: 1-line block ×3, first 2 shown]
	v_add_u32_e32 v14, 16, v1
	v_add_u32_e32 v12, 20, v1
	;; [unrolled: 1-line block ×4, first 2 shown]
	v_or_b32_e32 v23, 1, v10
	v_or_b32_e32 v22, 2, v10
	;; [unrolled: 1-line block ×7, first 2 shown]
	s_cmp_eq_u32 s33, 1
	s_mov_b32 s14, 0
	s_cbranch_scc1 .LBB260_70
; %bb.36:
	v_ashrrev_i32_e32 v1, 31, v0
	s_waitcnt lgkmcnt(0)
	v_lshl_add_u64 v[4:5], v[0:1], 2, s[12:13]
	s_and_b32 s14, s33, 0x7ffffffe
	v_lshl_add_u64 v[4:5], v[4:5], 0, 4
	v_lshl_add_u64 v[6:7], v[2:3], 0, 4
	s_mov_b32 s15, 0
	s_branch .LBB260_38
.LBB260_37:                             ;   in Loop: Header=BB260_38 Depth=1
	s_or_b64 exec, exec, s[0:1]
	s_add_i32 s15, s15, 2
	v_lshl_add_u64 v[4:5], v[4:5], 0, 8
	s_cmp_eq_u32 s14, s15
	v_lshl_add_u64 v[6:7], v[6:7], 0, 8
	s_cbranch_scc1 .LBB260_70
.LBB260_38:                             ; =>This Inner Loop Header: Depth=1
	global_load_dword v24, v[6:7], off offset:-4
	v_mov_b32_e32 v1, 0
	s_waitcnt vmcnt(0)
	v_cmp_eq_u32_e32 vcc, v24, v10
	v_cmp_ne_u32_e64 s[0:1], v24, v10
	s_and_saveexec_b64 s[16:17], s[0:1]
	s_cbranch_execz .LBB260_52
; %bb.39:                               ;   in Loop: Header=BB260_38 Depth=1
	v_cmp_eq_u32_e64 s[0:1], v24, v23
	v_cmp_ne_u32_e64 s[2:3], v24, v23
	v_mov_b32_e32 v1, v20
	s_and_saveexec_b64 s[18:19], s[2:3]
	s_cbranch_execz .LBB260_51
; %bb.40:                               ;   in Loop: Header=BB260_38 Depth=1
	v_cmp_eq_u32_e64 s[2:3], v24, v22
	v_cmp_ne_u32_e64 s[4:5], v24, v22
	v_mov_b32_e32 v1, v18
	s_and_saveexec_b64 s[20:21], s[4:5]
	s_cbranch_execz .LBB260_50
; %bb.41:                               ;   in Loop: Header=BB260_38 Depth=1
	v_cmp_eq_u32_e64 s[4:5], v24, v21
	v_cmp_ne_u32_e64 s[6:7], v24, v21
	v_mov_b32_e32 v1, v16
	s_and_saveexec_b64 s[22:23], s[6:7]
	s_cbranch_execz .LBB260_49
; %bb.42:                               ;   in Loop: Header=BB260_38 Depth=1
	v_cmp_eq_u32_e64 s[6:7], v24, v19
	v_cmp_ne_u32_e64 s[8:9], v24, v19
	v_mov_b32_e32 v1, v14
	s_and_saveexec_b64 s[24:25], s[8:9]
	s_cbranch_execz .LBB260_48
; %bb.43:                               ;   in Loop: Header=BB260_38 Depth=1
	v_cmp_eq_u32_e64 s[8:9], v24, v17
	v_cmp_ne_u32_e64 s[10:11], v24, v17
	v_mov_b32_e32 v1, v12
	s_and_saveexec_b64 s[26:27], s[10:11]
	s_cbranch_execz .LBB260_47
; %bb.44:                               ;   in Loop: Header=BB260_38 Depth=1
	v_cmp_eq_u32_e64 s[28:29], v24, v15
	v_cmp_ne_u32_e64 s[10:11], v24, v15
	v_mov_b32_e32 v1, v9
	s_and_saveexec_b64 s[30:31], s[10:11]
	s_xor_b64 s[30:31], exec, s[30:31]
; %bb.45:                               ;   in Loop: Header=BB260_38 Depth=1
	v_cmp_eq_u32_e64 s[10:11], v24, v13
	s_andn2_b64 s[28:29], s[28:29], exec
	s_and_b64 s[10:11], s[10:11], exec
	s_or_b64 s[28:29], s[28:29], s[10:11]
	v_mov_b32_e32 v1, v11
; %bb.46:                               ;   in Loop: Header=BB260_38 Depth=1
	s_or_b64 exec, exec, s[30:31]
	s_andn2_b64 s[8:9], s[8:9], exec
	s_and_b64 s[10:11], s[28:29], exec
	s_or_b64 s[8:9], s[8:9], s[10:11]
.LBB260_47:                             ;   in Loop: Header=BB260_38 Depth=1
	s_or_b64 exec, exec, s[26:27]
	s_andn2_b64 s[6:7], s[6:7], exec
	s_and_b64 s[8:9], s[8:9], exec
	s_or_b64 s[6:7], s[6:7], s[8:9]
.LBB260_48:                             ;   in Loop: Header=BB260_38 Depth=1
	s_or_b64 exec, exec, s[24:25]
	s_andn2_b64 s[4:5], s[4:5], exec
	s_and_b64 s[6:7], s[6:7], exec
	s_or_b64 s[4:5], s[4:5], s[6:7]
.LBB260_49:                             ;   in Loop: Header=BB260_38 Depth=1
	s_or_b64 exec, exec, s[22:23]
	s_andn2_b64 s[2:3], s[2:3], exec
	s_and_b64 s[4:5], s[4:5], exec
	s_or_b64 s[2:3], s[2:3], s[4:5]
.LBB260_50:                             ;   in Loop: Header=BB260_38 Depth=1
	s_or_b64 exec, exec, s[20:21]
	s_andn2_b64 s[0:1], s[0:1], exec
	s_and_b64 s[2:3], s[2:3], exec
	s_or_b64 s[0:1], s[0:1], s[2:3]
.LBB260_51:                             ;   in Loop: Header=BB260_38 Depth=1
	s_or_b64 exec, exec, s[18:19]
	s_andn2_b64 s[2:3], vcc, exec
	s_and_b64 s[0:1], s[0:1], exec
	s_or_b64 vcc, s[2:3], s[0:1]
.LBB260_52:                             ;   in Loop: Header=BB260_38 Depth=1
	s_or_b64 exec, exec, s[16:17]
	s_and_saveexec_b64 s[0:1], vcc
	s_cbranch_execz .LBB260_54
; %bb.53:                               ;   in Loop: Header=BB260_38 Depth=1
	scratch_load_dword v1, v1, off
	v_add_u32_e32 v24, s15, v0
	v_ashrrev_i32_e32 v25, 31, v24
	v_lshl_add_u64 v[24:25], v[24:25], 2, s[12:13]
	s_waitcnt vmcnt(0)
	v_mul_f32_e32 v1, v8, v1
	global_store_dword v[24:25], v1, off
.LBB260_54:                             ;   in Loop: Header=BB260_38 Depth=1
	s_or_b64 exec, exec, s[0:1]
	global_load_dword v24, v[6:7], off
	v_mov_b32_e32 v1, 0
	s_waitcnt vmcnt(0)
	v_cmp_eq_u32_e64 s[8:9], v24, v10
	v_cmp_ne_u32_e32 vcc, v24, v10
	s_and_saveexec_b64 s[10:11], vcc
	s_cbranch_execz .LBB260_68
; %bb.55:                               ;   in Loop: Header=BB260_38 Depth=1
	v_cmp_eq_u32_e32 vcc, v24, v23
	v_cmp_ne_u32_e64 s[0:1], v24, v23
	v_mov_b32_e32 v1, v20
	s_and_saveexec_b64 s[16:17], s[0:1]
	s_cbranch_execz .LBB260_67
; %bb.56:                               ;   in Loop: Header=BB260_38 Depth=1
	v_cmp_eq_u32_e64 s[0:1], v24, v22
	v_cmp_ne_u32_e64 s[2:3], v24, v22
	v_mov_b32_e32 v1, v18
	s_and_saveexec_b64 s[18:19], s[2:3]
	s_cbranch_execz .LBB260_66
; %bb.57:                               ;   in Loop: Header=BB260_38 Depth=1
	v_cmp_eq_u32_e64 s[2:3], v24, v21
	v_cmp_ne_u32_e64 s[4:5], v24, v21
	v_mov_b32_e32 v1, v16
	s_and_saveexec_b64 s[20:21], s[4:5]
	s_cbranch_execz .LBB260_65
; %bb.58:                               ;   in Loop: Header=BB260_38 Depth=1
	v_cmp_eq_u32_e64 s[4:5], v24, v19
	v_cmp_ne_u32_e64 s[6:7], v24, v19
	v_mov_b32_e32 v1, v14
	s_and_saveexec_b64 s[22:23], s[6:7]
	s_cbranch_execz .LBB260_64
; %bb.59:                               ;   in Loop: Header=BB260_38 Depth=1
	v_cmp_eq_u32_e64 s[24:25], v24, v17
	v_cmp_ne_u32_e64 s[6:7], v24, v17
	v_mov_b32_e32 v1, v12
	s_and_saveexec_b64 s[26:27], s[6:7]
	s_cbranch_execz .LBB260_63
; %bb.60:                               ;   in Loop: Header=BB260_38 Depth=1
	v_cmp_eq_u32_e64 s[28:29], v24, v15
	v_cmp_ne_u32_e64 s[6:7], v24, v15
	v_mov_b32_e32 v1, v9
	s_and_saveexec_b64 s[30:31], s[6:7]
; %bb.61:                               ;   in Loop: Header=BB260_38 Depth=1
	v_cmp_eq_u32_e64 s[6:7], v24, v13
	s_andn2_b64 s[28:29], s[28:29], exec
	s_and_b64 s[6:7], s[6:7], exec
	s_or_b64 s[28:29], s[28:29], s[6:7]
	v_mov_b32_e32 v1, v11
; %bb.62:                               ;   in Loop: Header=BB260_38 Depth=1
	s_or_b64 exec, exec, s[30:31]
	s_andn2_b64 s[6:7], s[24:25], exec
	s_and_b64 s[24:25], s[28:29], exec
	s_or_b64 s[24:25], s[6:7], s[24:25]
.LBB260_63:                             ;   in Loop: Header=BB260_38 Depth=1
	s_or_b64 exec, exec, s[26:27]
	s_andn2_b64 s[4:5], s[4:5], exec
	s_and_b64 s[6:7], s[24:25], exec
	s_or_b64 s[4:5], s[4:5], s[6:7]
.LBB260_64:                             ;   in Loop: Header=BB260_38 Depth=1
	s_or_b64 exec, exec, s[22:23]
	s_andn2_b64 s[2:3], s[2:3], exec
	s_and_b64 s[4:5], s[4:5], exec
	s_or_b64 s[2:3], s[2:3], s[4:5]
.LBB260_65:                             ;   in Loop: Header=BB260_38 Depth=1
	s_or_b64 exec, exec, s[20:21]
	s_andn2_b64 s[0:1], s[0:1], exec
	s_and_b64 s[2:3], s[2:3], exec
	s_or_b64 s[0:1], s[0:1], s[2:3]
.LBB260_66:                             ;   in Loop: Header=BB260_38 Depth=1
	s_or_b64 exec, exec, s[18:19]
	s_andn2_b64 s[2:3], vcc, exec
	s_and_b64 s[0:1], s[0:1], exec
	s_or_b64 vcc, s[2:3], s[0:1]
.LBB260_67:                             ;   in Loop: Header=BB260_38 Depth=1
	s_or_b64 exec, exec, s[16:17]
	s_andn2_b64 s[0:1], s[8:9], exec
	s_and_b64 s[2:3], vcc, exec
	s_or_b64 s[8:9], s[0:1], s[2:3]
.LBB260_68:                             ;   in Loop: Header=BB260_38 Depth=1
	s_or_b64 exec, exec, s[10:11]
	s_and_saveexec_b64 s[0:1], s[8:9]
	s_cbranch_execz .LBB260_37
; %bb.69:                               ;   in Loop: Header=BB260_38 Depth=1
	scratch_load_dword v1, v1, off
	s_waitcnt vmcnt(0)
	v_mul_f32_e32 v1, v8, v1
	global_store_dword v[4:5], v1, off
	s_branch .LBB260_37
.LBB260_70:
	s_bitcmp0_b32 s33, 0
	s_mov_b32 s15, 0
	s_cbranch_scc1 .LBB260_32
; %bb.71:
	v_lshl_add_u64 v[2:3], s[14:15], 2, v[2:3]
	global_load_dword v1, v[2:3], off
	v_mov_b32_e32 v2, 0
	s_waitcnt vmcnt(0)
	v_cmp_eq_u32_e64 s[8:9], v1, v10
	v_cmp_ne_u32_e32 vcc, v1, v10
	s_and_saveexec_b64 s[10:11], vcc
	s_cbranch_execz .LBB260_85
; %bb.72:
	v_cmp_eq_u32_e32 vcc, v1, v23
	v_cmp_ne_u32_e64 s[0:1], v1, v23
	s_and_saveexec_b64 s[16:17], s[0:1]
	s_cbranch_execz .LBB260_84
; %bb.73:
	v_cmp_eq_u32_e64 s[0:1], v1, v22
	v_cmp_ne_u32_e64 s[2:3], v1, v22
	s_and_saveexec_b64 s[18:19], s[2:3]
	s_cbranch_execz .LBB260_83
; %bb.74:
	v_cmp_eq_u32_e64 s[2:3], v1, v21
	v_cmp_ne_u32_e64 s[4:5], v1, v21
	s_and_saveexec_b64 s[20:21], s[4:5]
	s_cbranch_execz .LBB260_82
; %bb.75:
	v_cmp_eq_u32_e64 s[4:5], v1, v19
	v_cmp_ne_u32_e64 s[6:7], v1, v19
	s_and_saveexec_b64 s[22:23], s[6:7]
	s_cbranch_execz .LBB260_81
; %bb.76:
	v_cmp_eq_u32_e64 s[24:25], v1, v17
	v_cmp_ne_u32_e64 s[6:7], v1, v17
	s_and_saveexec_b64 s[26:27], s[6:7]
	s_cbranch_execz .LBB260_80
; %bb.77:
	v_cmp_eq_u32_e64 s[28:29], v1, v15
	v_cmp_ne_u32_e64 s[6:7], v1, v15
	s_and_saveexec_b64 s[30:31], s[6:7]
; %bb.78:
	v_cmp_eq_u32_e64 s[6:7], v1, v13
	s_andn2_b64 s[28:29], s[28:29], exec
	s_and_b64 s[6:7], s[6:7], exec
	s_or_b64 s[28:29], s[28:29], s[6:7]
	v_mov_b32_e32 v9, v11
; %bb.79:
	s_or_b64 exec, exec, s[30:31]
	s_andn2_b64 s[6:7], s[24:25], exec
	s_and_b64 s[24:25], s[28:29], exec
	s_or_b64 s[24:25], s[6:7], s[24:25]
	v_mov_b32_e32 v12, v9
.LBB260_80:
	s_or_b64 exec, exec, s[26:27]
	s_andn2_b64 s[4:5], s[4:5], exec
	s_and_b64 s[6:7], s[24:25], exec
	s_or_b64 s[4:5], s[4:5], s[6:7]
	v_mov_b32_e32 v14, v12
.LBB260_81:
	s_or_b64 exec, exec, s[22:23]
	s_andn2_b64 s[2:3], s[2:3], exec
	s_and_b64 s[4:5], s[4:5], exec
	s_or_b64 s[2:3], s[2:3], s[4:5]
	v_mov_b32_e32 v16, v14
.LBB260_82:
	s_or_b64 exec, exec, s[20:21]
	s_andn2_b64 s[0:1], s[0:1], exec
	s_and_b64 s[2:3], s[2:3], exec
	s_or_b64 s[0:1], s[0:1], s[2:3]
	v_mov_b32_e32 v18, v16
.LBB260_83:
	s_or_b64 exec, exec, s[18:19]
	s_andn2_b64 s[2:3], vcc, exec
	s_and_b64 s[0:1], s[0:1], exec
	s_or_b64 vcc, s[2:3], s[0:1]
	v_mov_b32_e32 v20, v18
.LBB260_84:
	s_or_b64 exec, exec, s[16:17]
	s_andn2_b64 s[0:1], s[8:9], exec
	s_and_b64 s[2:3], vcc, exec
	s_or_b64 s[8:9], s[0:1], s[2:3]
	v_mov_b32_e32 v2, v20
.LBB260_85:
	s_or_b64 exec, exec, s[10:11]
	s_and_b64 exec, exec, s[8:9]
	s_cbranch_execz .LBB260_32
; %bb.86:
	scratch_load_dword v2, v2, off
	v_add_u32_e32 v0, s14, v0
	v_ashrrev_i32_e32 v1, 31, v0
	s_waitcnt lgkmcnt(0)
	v_lshl_add_u64 v[0:1], v[0:1], 2, s[12:13]
	s_waitcnt vmcnt(0)
	v_mul_f32_e32 v2, v8, v2
	global_store_dword v[0:1], v2, off
	s_endpgm
	.section	.rodata,"a",@progbits
	.p2align	6, 0x0
	.amdhsa_kernel _ZN4vllm3moe22topkGatingSoftplusSqrtILi8ELi32ELi4ELi16ELi64ELb1Ej6__halfEEvPKT6_PKbPfiPT5_PiiiibdPKfPKS9_SF_
		.amdhsa_group_segment_fixed_size 0
		.amdhsa_private_segment_fixed_size 48
		.amdhsa_kernarg_size 96
		.amdhsa_user_sgpr_count 2
		.amdhsa_user_sgpr_dispatch_ptr 0
		.amdhsa_user_sgpr_queue_ptr 0
		.amdhsa_user_sgpr_kernarg_segment_ptr 1
		.amdhsa_user_sgpr_dispatch_id 0
		.amdhsa_user_sgpr_kernarg_preload_length 0
		.amdhsa_user_sgpr_kernarg_preload_offset 0
		.amdhsa_user_sgpr_private_segment_size 0
		.amdhsa_uses_dynamic_stack 0
		.amdhsa_enable_private_segment 1
		.amdhsa_system_sgpr_workgroup_id_x 1
		.amdhsa_system_sgpr_workgroup_id_y 0
		.amdhsa_system_sgpr_workgroup_id_z 0
		.amdhsa_system_sgpr_workgroup_info 0
		.amdhsa_system_vgpr_workitem_id 1
		.amdhsa_next_free_vgpr 27
		.amdhsa_next_free_sgpr 34
		.amdhsa_accum_offset 28
		.amdhsa_reserve_vcc 1
		.amdhsa_float_round_mode_32 0
		.amdhsa_float_round_mode_16_64 0
		.amdhsa_float_denorm_mode_32 3
		.amdhsa_float_denorm_mode_16_64 3
		.amdhsa_dx10_clamp 1
		.amdhsa_ieee_mode 1
		.amdhsa_fp16_overflow 0
		.amdhsa_tg_split 0
		.amdhsa_exception_fp_ieee_invalid_op 0
		.amdhsa_exception_fp_denorm_src 0
		.amdhsa_exception_fp_ieee_div_zero 0
		.amdhsa_exception_fp_ieee_overflow 0
		.amdhsa_exception_fp_ieee_underflow 0
		.amdhsa_exception_fp_ieee_inexact 0
		.amdhsa_exception_int_div_zero 0
	.end_amdhsa_kernel
	.section	.text._ZN4vllm3moe22topkGatingSoftplusSqrtILi8ELi32ELi4ELi16ELi64ELb1Ej6__halfEEvPKT6_PKbPfiPT5_PiiiibdPKfPKS9_SF_,"axG",@progbits,_ZN4vllm3moe22topkGatingSoftplusSqrtILi8ELi32ELi4ELi16ELi64ELb1Ej6__halfEEvPKT6_PKbPfiPT5_PiiiibdPKfPKS9_SF_,comdat
.Lfunc_end260:
	.size	_ZN4vllm3moe22topkGatingSoftplusSqrtILi8ELi32ELi4ELi16ELi64ELb1Ej6__halfEEvPKT6_PKbPfiPT5_PiiiibdPKfPKS9_SF_, .Lfunc_end260-_ZN4vllm3moe22topkGatingSoftplusSqrtILi8ELi32ELi4ELi16ELi64ELb1Ej6__halfEEvPKT6_PKbPfiPT5_PiiiibdPKfPKS9_SF_
                                        ; -- End function
	.section	.AMDGPU.csdata,"",@progbits
; Kernel info:
; codeLenInByte = 4500
; NumSgprs: 40
; NumVgprs: 27
; NumAgprs: 0
; TotalNumVgprs: 27
; ScratchSize: 48
; MemoryBound: 0
; FloatMode: 240
; IeeeMode: 1
; LDSByteSize: 0 bytes/workgroup (compile time only)
; SGPRBlocks: 4
; VGPRBlocks: 3
; NumSGPRsForWavesPerEU: 40
; NumVGPRsForWavesPerEU: 27
; AccumOffset: 28
; Occupancy: 8
; WaveLimiterHint : 1
; COMPUTE_PGM_RSRC2:SCRATCH_EN: 1
; COMPUTE_PGM_RSRC2:USER_SGPR: 2
; COMPUTE_PGM_RSRC2:TRAP_HANDLER: 0
; COMPUTE_PGM_RSRC2:TGID_X_EN: 1
; COMPUTE_PGM_RSRC2:TGID_Y_EN: 0
; COMPUTE_PGM_RSRC2:TGID_Z_EN: 0
; COMPUTE_PGM_RSRC2:TIDIG_COMP_CNT: 1
; COMPUTE_PGM_RSRC3_GFX90A:ACCUM_OFFSET: 6
; COMPUTE_PGM_RSRC3_GFX90A:TG_SPLIT: 0
	.section	.text._ZN4vllm3moe22topkGatingSoftplusSqrtILi8ELi32ELi4ELi16ELi64ELb0Ej6__halfEEvPKT6_PKbPfiPT5_PiiiibdPKfPKS9_SF_,"axG",@progbits,_ZN4vllm3moe22topkGatingSoftplusSqrtILi8ELi32ELi4ELi16ELi64ELb0Ej6__halfEEvPKT6_PKbPfiPT5_PiiiibdPKfPKS9_SF_,comdat
	.protected	_ZN4vllm3moe22topkGatingSoftplusSqrtILi8ELi32ELi4ELi16ELi64ELb0Ej6__halfEEvPKT6_PKbPfiPT5_PiiiibdPKfPKS9_SF_ ; -- Begin function _ZN4vllm3moe22topkGatingSoftplusSqrtILi8ELi32ELi4ELi16ELi64ELb0Ej6__halfEEvPKT6_PKbPfiPT5_PiiiibdPKfPKS9_SF_
	.globl	_ZN4vllm3moe22topkGatingSoftplusSqrtILi8ELi32ELi4ELi16ELi64ELb0Ej6__halfEEvPKT6_PKbPfiPT5_PiiiibdPKfPKS9_SF_
	.p2align	8
	.type	_ZN4vllm3moe22topkGatingSoftplusSqrtILi8ELi32ELi4ELi16ELi64ELb0Ej6__halfEEvPKT6_PKbPfiPT5_PiiiibdPKfPKS9_SF_,@function
_ZN4vllm3moe22topkGatingSoftplusSqrtILi8ELi32ELi4ELi16ELi64ELb0Ej6__halfEEvPKT6_PKbPfiPT5_PiiiibdPKfPKS9_SF_: ; @_ZN4vllm3moe22topkGatingSoftplusSqrtILi8ELi32ELi4ELi16ELi64ELb0Ej6__halfEEvPKT6_PKbPfiPT5_PiiiibdPKfPKS9_SF_
; %bb.0:
	s_load_dword s33, s[0:1], 0x18
	v_bfe_u32 v1, v0, 10, 10
	v_and_b32_e32 v0, 0x3ff, v0
	s_lshl_b32 s2, s2, 6
	v_lshlrev_b32_e32 v1, 4, v1
	v_lshrrev_b32_e32 v2, 2, v0
	v_add3_u32 v8, s2, v1, v2
	s_waitcnt lgkmcnt(0)
	v_cmp_gt_i32_e32 vcc, s33, v8
	s_and_saveexec_b64 s[2:3], vcc
	s_cbranch_execz .LBB261_53
; %bb.1:
	s_load_dwordx4 s[4:7], s[0:1], 0x0
	s_load_dwordx2 s[34:35], s[0:1], 0x10
	s_waitcnt lgkmcnt(0)
	s_cmp_eq_u64 s[6:7], 0
	s_cbranch_scc1 .LBB261_3
; %bb.2:
	v_ashrrev_i32_e32 v9, 31, v8
	v_lshl_add_u64 v[2:3], s[6:7], 0, v[8:9]
	global_load_ubyte v1, v[2:3], off
	s_waitcnt vmcnt(0)
	v_and_b32_e32 v1, 1, v1
	v_cmp_eq_u32_e32 vcc, 1, v1
	s_xor_b64 s[2:3], vcc, -1
	s_orn2_b64 s[36:37], s[2:3], exec
	s_branch .LBB261_4
.LBB261_3:
	s_mov_b64 s[36:37], -1
.LBB261_4:
	v_lshlrev_b32_e32 v4, 5, v8
	v_mov_b32_e32 v2, s4
	v_mov_b32_e32 v3, s5
	v_ashrrev_i32_e32 v5, 31, v4
	v_and_b32_e32 v9, 3, v0
	v_lshl_add_u64 v[2:3], v[4:5], 1, v[2:3]
	v_mov_b32_e32 v1, 0
	v_lshlrev_b32_e32 v0, 4, v9
	v_lshl_add_u64 v[0:1], v[2:3], 0, v[0:1]
	global_load_dwordx4 v[4:7], v[0:1], off
	s_mov_b32 s12, 0x800000
	v_mov_b32_e32 v2, 0x4f800000
	s_mov_b32 s9, 0x3f317217
	s_mov_b32 s10, 0x7f800000
	v_mov_b32_e32 v3, 0x41b17218
	s_movk_i32 s8, 0x4d00
	s_mov_b32 s11, 0xf800000
	s_load_dwordx4 s[20:23], s[0:1], 0x40
	v_lshlrev_b32_e32 v12, 3, v9
	s_waitcnt lgkmcnt(0)
	s_cmp_lg_u64 s[22:23], 0
	s_cselect_b64 s[6:7], -1, 0
	s_and_b64 s[2:3], exec, s[6:7]
	s_waitcnt vmcnt(0)
	v_cvt_f32_f16_e32 v0, v4
	v_mul_f32_e32 v1, 0x3fb8aa3b, v0
	v_exp_f32_e32 v10, v1
	v_mov_b32_e32 v1, 0x260
	v_add_f32_e32 v10, 1.0, v10
	v_cmp_gt_f32_e32 vcc, s12, v10
	s_nop 1
	v_cndmask_b32_e32 v11, 1.0, v2, vcc
	v_mul_f32_e32 v10, v10, v11
	v_log_f32_e32 v11, v10
	v_cndmask_b32_e32 v13, 0, v3, vcc
	v_lshlrev_b32_e32 v10, 2, v12
	v_mul_f32_e32 v14, 0x3f317217, v11
	v_fma_f32 v14, v11, s9, -v14
	v_fmac_f32_e32 v14, 0x3377d1cf, v11
	v_fmac_f32_e32 v14, 0x3f317217, v11
	v_cmp_lt_f32_e64 vcc, |v11|, s10
	s_nop 1
	v_cndmask_b32_e32 v11, v11, v14, vcc
	v_sub_f32_e32 v11, v11, v13
	v_cmp_lt_f16_e32 vcc, s8, v4
	s_nop 1
	v_cndmask_b32_e32 v0, v11, v0, vcc
	v_mul_f32_e32 v11, 0x4f800000, v0
	v_cmp_gt_f32_e32 vcc, s11, v0
	s_nop 1
	v_cndmask_b32_e32 v0, v0, v11, vcc
	v_sqrt_f32_e32 v11, v0
	s_nop 0
	v_add_u32_e32 v13, -1, v11
	v_add_u32_e32 v14, 1, v11
	v_fma_f32 v15, -v13, v11, v0
	v_fma_f32 v16, -v14, v11, v0
	v_cmp_ge_f32_e64 s[4:5], 0, v15
	s_nop 1
	v_cndmask_b32_e64 v11, v11, v13, s[4:5]
	v_cmp_lt_f32_e64 s[4:5], 0, v16
	s_nop 1
	v_cndmask_b32_e64 v11, v11, v14, s[4:5]
	v_mul_f32_e32 v13, 0x37800000, v11
	v_cndmask_b32_e32 v11, v11, v13, vcc
	v_cmp_class_f32_e32 vcc, v0, v1
	s_nop 1
	v_cndmask_b32_e32 v0, v11, v0, vcc
	s_mov_b64 vcc, s[2:3]
	s_cbranch_vccz .LBB261_6
; %bb.5:
	global_load_dword v11, v10, s[22:23]
	s_waitcnt vmcnt(0)
	v_add_f32_e32 v0, v0, v11
.LBB261_6:
	v_cvt_f32_f16_sdwa v11, v4 dst_sel:DWORD dst_unused:UNUSED_PAD src0_sel:WORD_1
	v_mul_f32_e32 v13, 0x3fb8aa3b, v11
	v_exp_f32_e32 v13, v13
	s_nop 0
	v_add_f32_e32 v13, 1.0, v13
	v_cmp_gt_f32_e32 vcc, s12, v13
	s_nop 1
	v_cndmask_b32_e32 v2, 1.0, v2, vcc
	v_mul_f32_e32 v2, v13, v2
	v_log_f32_e32 v2, v2
	v_cndmask_b32_e32 v3, 0, v3, vcc
	v_mul_f32_e32 v13, 0x3f317217, v2
	v_fma_f32 v13, v2, s9, -v13
	v_fmac_f32_e32 v13, 0x3377d1cf, v2
	v_fmac_f32_e32 v13, 0x3f317217, v2
	v_cmp_lt_f32_e64 vcc, |v2|, s10
	s_nop 1
	v_cndmask_b32_e32 v2, v2, v13, vcc
	v_sub_f32_e32 v2, v2, v3
	v_cmp_gt_f16_sdwa vcc, v4, s8 src0_sel:WORD_1 src1_sel:DWORD
	v_cndmask_b32_e64 v4, 0, 1, s[6:7]
	v_cmp_ne_u32_e64 s[2:3], 1, v4
	v_cndmask_b32_e32 v2, v2, v11, vcc
	v_mul_f32_e32 v3, 0x4f800000, v2
	v_cmp_gt_f32_e64 s[4:5], s11, v2
	s_andn2_b64 vcc, exec, s[6:7]
	s_nop 0
	v_cndmask_b32_e64 v2, v2, v3, s[4:5]
	v_sqrt_f32_e32 v3, v2
	s_nop 0
	v_add_u32_e32 v4, -1, v3
	v_add_u32_e32 v11, 1, v3
	v_fma_f32 v13, -v4, v3, v2
	v_fma_f32 v14, -v11, v3, v2
	v_cmp_ge_f32_e64 s[6:7], 0, v13
	s_nop 1
	v_cndmask_b32_e64 v3, v3, v4, s[6:7]
	v_cmp_lt_f32_e64 s[6:7], 0, v14
	s_nop 1
	v_cndmask_b32_e64 v3, v3, v11, s[6:7]
	v_mul_f32_e32 v4, 0x37800000, v3
	v_cndmask_b32_e64 v3, v3, v4, s[4:5]
	v_cmp_class_f32_e64 s[4:5], v2, v1
	s_nop 1
	v_cndmask_b32_e64 v1, v3, v2, s[4:5]
	s_cbranch_vccnz .LBB261_8
; %bb.7:
	global_load_dword v2, v10, s[22:23] offset:4
	s_waitcnt vmcnt(0)
	v_add_f32_e32 v1, v1, v2
.LBB261_8:
	v_cvt_f32_f16_e32 v2, v5
	s_mov_b32 s8, 0x800000
	v_mov_b32_e32 v4, 0x4f800000
	s_mov_b32 s7, 0x3f317217
	v_mul_f32_e32 v3, 0x3fb8aa3b, v2
	v_exp_f32_e32 v3, v3
	s_mov_b32 s9, 0x7f800000
	s_movk_i32 s6, 0x4d00
	s_mov_b32 s10, 0xf800000
	v_add_f32_e32 v3, 1.0, v3
	v_cmp_gt_f32_e32 vcc, s8, v3
	s_nop 1
	v_cndmask_b32_e32 v11, 1.0, v4, vcc
	v_mul_f32_e32 v3, v3, v11
	v_log_f32_e32 v3, v3
	v_mov_b32_e32 v11, 0x41b17218
	v_cndmask_b32_e32 v13, 0, v11, vcc
	v_mul_f32_e32 v14, 0x3f317217, v3
	v_fma_f32 v14, v3, s7, -v14
	v_fmac_f32_e32 v14, 0x3377d1cf, v3
	v_fmac_f32_e32 v14, 0x3f317217, v3
	v_cmp_lt_f32_e64 vcc, |v3|, s9
	s_nop 1
	v_cndmask_b32_e32 v3, v3, v14, vcc
	v_sub_f32_e32 v3, v3, v13
	v_cmp_lt_f16_e32 vcc, s6, v5
	s_nop 1
	v_cndmask_b32_e32 v2, v3, v2, vcc
	v_mul_f32_e32 v3, 0x4f800000, v2
	v_cmp_gt_f32_e32 vcc, s10, v2
	s_nop 1
	v_cndmask_b32_e32 v2, v2, v3, vcc
	v_sqrt_f32_e32 v3, v2
	s_nop 0
	v_add_u32_e32 v13, -1, v3
	v_fma_f32 v14, -v13, v3, v2
	v_cmp_ge_f32_e64 s[4:5], 0, v14
	v_add_u32_e32 v14, 1, v3
	s_nop 0
	v_cndmask_b32_e64 v13, v3, v13, s[4:5]
	v_fma_f32 v3, -v14, v3, v2
	v_cmp_lt_f32_e64 s[4:5], 0, v3
	s_nop 1
	v_cndmask_b32_e64 v3, v13, v14, s[4:5]
	v_mul_f32_e32 v13, 0x37800000, v3
	v_cndmask_b32_e32 v13, v3, v13, vcc
	v_mov_b32_e32 v3, 0x260
	v_cmp_class_f32_e64 s[4:5], v2, v3
	s_and_b64 vcc, exec, s[2:3]
	s_nop 0
	v_cndmask_b32_e64 v2, v13, v2, s[4:5]
	s_cbranch_vccnz .LBB261_10
; %bb.9:
	global_load_dword v13, v10, s[22:23] offset:8
	s_waitcnt vmcnt(0)
	v_add_f32_e32 v2, v2, v13
.LBB261_10:
	v_cvt_f32_f16_sdwa v13, v5 dst_sel:DWORD dst_unused:UNUSED_PAD src0_sel:WORD_1
	v_mul_f32_e32 v14, 0x3fb8aa3b, v13
	v_exp_f32_e32 v14, v14
	s_nop 0
	v_add_f32_e32 v14, 1.0, v14
	v_cmp_gt_f32_e32 vcc, s8, v14
	s_nop 1
	v_cndmask_b32_e32 v4, 1.0, v4, vcc
	v_mul_f32_e32 v4, v14, v4
	v_log_f32_e32 v4, v4
	v_cndmask_b32_e32 v11, 0, v11, vcc
	v_mul_f32_e32 v14, 0x3f317217, v4
	v_fma_f32 v14, v4, s7, -v14
	v_fmac_f32_e32 v14, 0x3377d1cf, v4
	v_fmac_f32_e32 v14, 0x3f317217, v4
	v_cmp_lt_f32_e64 vcc, |v4|, s9
	s_nop 1
	v_cndmask_b32_e32 v4, v4, v14, vcc
	v_sub_f32_e32 v4, v4, v11
	v_cmp_gt_f16_sdwa vcc, v5, s6 src0_sel:WORD_1 src1_sel:DWORD
	s_nop 1
	v_cndmask_b32_e32 v4, v4, v13, vcc
	v_mul_f32_e32 v5, 0x4f800000, v4
	v_cmp_gt_f32_e64 s[4:5], s10, v4
	s_and_b64 vcc, exec, s[2:3]
	s_nop 0
	v_cndmask_b32_e64 v4, v4, v5, s[4:5]
	v_sqrt_f32_e32 v5, v4
	s_nop 0
	v_add_u32_e32 v11, -1, v5
	v_add_u32_e32 v13, 1, v5
	v_fma_f32 v14, -v11, v5, v4
	v_fma_f32 v15, -v13, v5, v4
	v_cmp_ge_f32_e64 s[6:7], 0, v14
	s_nop 1
	v_cndmask_b32_e64 v5, v5, v11, s[6:7]
	v_cmp_lt_f32_e64 s[6:7], 0, v15
	s_nop 1
	v_cndmask_b32_e64 v5, v5, v13, s[6:7]
	v_mul_f32_e32 v11, 0x37800000, v5
	v_cndmask_b32_e64 v5, v5, v11, s[4:5]
	v_cmp_class_f32_e64 s[4:5], v4, v3
	s_nop 1
	v_cndmask_b32_e64 v3, v5, v4, s[4:5]
	s_cbranch_vccnz .LBB261_12
; %bb.11:
	global_load_dword v4, v10, s[22:23] offset:12
	s_waitcnt vmcnt(0)
	v_add_f32_e32 v3, v3, v4
.LBB261_12:
	v_cvt_f32_f16_e32 v4, v6
	v_mov_b32_e32 v11, 0x4f800000
	s_mov_b32 s7, 0x3f317217
	s_movk_i32 s6, 0x4d00
	v_mul_f32_e32 v5, 0x3fb8aa3b, v4
	v_exp_f32_e32 v5, v5
	s_nop 0
	v_add_f32_e32 v5, 1.0, v5
	v_cmp_gt_f32_e32 vcc, s8, v5
	s_nop 1
	v_cndmask_b32_e32 v13, 1.0, v11, vcc
	v_mul_f32_e32 v5, v5, v13
	v_log_f32_e32 v5, v5
	v_mov_b32_e32 v13, 0x41b17218
	v_cndmask_b32_e32 v14, 0, v13, vcc
	v_mul_f32_e32 v15, 0x3f317217, v5
	v_fma_f32 v15, v5, s7, -v15
	v_fmac_f32_e32 v15, 0x3377d1cf, v5
	v_fmac_f32_e32 v15, 0x3f317217, v5
	v_cmp_lt_f32_e64 vcc, |v5|, s9
	s_nop 1
	v_cndmask_b32_e32 v5, v5, v15, vcc
	v_sub_f32_e32 v5, v5, v14
	v_cmp_lt_f16_e32 vcc, s6, v6
	s_nop 1
	v_cndmask_b32_e32 v4, v5, v4, vcc
	v_mul_f32_e32 v5, 0x4f800000, v4
	v_cmp_gt_f32_e32 vcc, s10, v4
	s_nop 1
	v_cndmask_b32_e32 v4, v4, v5, vcc
	v_sqrt_f32_e32 v5, v4
	s_nop 0
	v_add_u32_e32 v14, -1, v5
	v_fma_f32 v15, -v14, v5, v4
	v_cmp_ge_f32_e64 s[4:5], 0, v15
	v_add_u32_e32 v15, 1, v5
	s_nop 0
	v_cndmask_b32_e64 v14, v5, v14, s[4:5]
	v_fma_f32 v5, -v15, v5, v4
	v_cmp_lt_f32_e64 s[4:5], 0, v5
	s_nop 1
	v_cndmask_b32_e64 v5, v14, v15, s[4:5]
	v_mul_f32_e32 v14, 0x37800000, v5
	v_cndmask_b32_e32 v14, v5, v14, vcc
	v_mov_b32_e32 v5, 0x260
	v_cmp_class_f32_e64 s[4:5], v4, v5
	s_and_b64 vcc, exec, s[2:3]
	s_nop 0
	v_cndmask_b32_e64 v4, v14, v4, s[4:5]
	s_cbranch_vccnz .LBB261_14
; %bb.13:
	global_load_dword v14, v10, s[22:23] offset:16
	s_waitcnt vmcnt(0)
	v_add_f32_e32 v4, v4, v14
.LBB261_14:
	v_cvt_f32_f16_sdwa v14, v6 dst_sel:DWORD dst_unused:UNUSED_PAD src0_sel:WORD_1
	v_mul_f32_e32 v15, 0x3fb8aa3b, v14
	v_exp_f32_e32 v15, v15
	s_nop 0
	v_add_f32_e32 v15, 1.0, v15
	v_cmp_gt_f32_e32 vcc, s8, v15
	s_nop 1
	v_cndmask_b32_e32 v11, 1.0, v11, vcc
	v_mul_f32_e32 v11, v15, v11
	v_log_f32_e32 v11, v11
	v_cndmask_b32_e32 v13, 0, v13, vcc
	v_mul_f32_e32 v15, 0x3f317217, v11
	v_fma_f32 v15, v11, s7, -v15
	v_fmac_f32_e32 v15, 0x3377d1cf, v11
	v_fmac_f32_e32 v15, 0x3f317217, v11
	v_cmp_lt_f32_e64 vcc, |v11|, s9
	s_nop 1
	v_cndmask_b32_e32 v11, v11, v15, vcc
	v_sub_f32_e32 v11, v11, v13
	v_cmp_gt_f16_sdwa vcc, v6, s6 src0_sel:WORD_1 src1_sel:DWORD
	s_nop 1
	v_cndmask_b32_e32 v6, v11, v14, vcc
	v_mul_f32_e32 v11, 0x4f800000, v6
	v_cmp_gt_f32_e64 s[4:5], s10, v6
	s_and_b64 vcc, exec, s[2:3]
	s_nop 0
	v_cndmask_b32_e64 v6, v6, v11, s[4:5]
	v_sqrt_f32_e32 v11, v6
	s_nop 0
	v_add_u32_e32 v13, -1, v11
	v_add_u32_e32 v14, 1, v11
	v_fma_f32 v15, -v13, v11, v6
	v_fma_f32 v16, -v14, v11, v6
	v_cmp_ge_f32_e64 s[6:7], 0, v15
	s_nop 1
	v_cndmask_b32_e64 v11, v11, v13, s[6:7]
	v_cmp_lt_f32_e64 s[6:7], 0, v16
	s_nop 1
	v_cndmask_b32_e64 v11, v11, v14, s[6:7]
	v_mul_f32_e32 v13, 0x37800000, v11
	v_cndmask_b32_e64 v11, v11, v13, s[4:5]
	v_cmp_class_f32_e64 s[4:5], v6, v5
	s_nop 1
	v_cndmask_b32_e64 v5, v11, v6, s[4:5]
	s_cbranch_vccnz .LBB261_16
; %bb.15:
	global_load_dword v6, v10, s[22:23] offset:20
	s_waitcnt vmcnt(0)
	v_add_f32_e32 v5, v5, v6
.LBB261_16:
	v_cvt_f32_f16_e32 v6, v7
	v_mov_b32_e32 v13, 0x4f800000
	s_mov_b32 s7, 0x3f317217
	s_movk_i32 s6, 0x4d00
	v_mul_f32_e32 v11, 0x3fb8aa3b, v6
	v_exp_f32_e32 v11, v11
	s_nop 0
	v_add_f32_e32 v11, 1.0, v11
	v_cmp_gt_f32_e32 vcc, s8, v11
	s_nop 1
	v_cndmask_b32_e32 v14, 1.0, v13, vcc
	v_mul_f32_e32 v11, v11, v14
	v_log_f32_e32 v11, v11
	v_mov_b32_e32 v14, 0x41b17218
	v_cndmask_b32_e32 v15, 0, v14, vcc
	v_mul_f32_e32 v16, 0x3f317217, v11
	v_fma_f32 v16, v11, s7, -v16
	v_fmac_f32_e32 v16, 0x3377d1cf, v11
	v_fmac_f32_e32 v16, 0x3f317217, v11
	v_cmp_lt_f32_e64 vcc, |v11|, s9
	s_nop 1
	v_cndmask_b32_e32 v11, v11, v16, vcc
	v_sub_f32_e32 v11, v11, v15
	v_cmp_lt_f16_e32 vcc, s6, v7
	s_nop 1
	v_cndmask_b32_e32 v6, v11, v6, vcc
	v_mul_f32_e32 v11, 0x4f800000, v6
	v_cmp_gt_f32_e32 vcc, s10, v6
	s_nop 1
	v_cndmask_b32_e32 v6, v6, v11, vcc
	v_sqrt_f32_e32 v11, v6
	s_nop 0
	v_add_u32_e32 v15, -1, v11
	v_fma_f32 v16, -v15, v11, v6
	v_cmp_ge_f32_e64 s[4:5], 0, v16
	v_add_u32_e32 v16, 1, v11
	s_nop 0
	v_cndmask_b32_e64 v15, v11, v15, s[4:5]
	v_fma_f32 v11, -v16, v11, v6
	v_cmp_lt_f32_e64 s[4:5], 0, v11
	s_nop 1
	v_cndmask_b32_e64 v11, v15, v16, s[4:5]
	v_mul_f32_e32 v15, 0x37800000, v11
	v_cndmask_b32_e32 v15, v11, v15, vcc
	v_mov_b32_e32 v11, 0x260
	v_cmp_class_f32_e64 s[4:5], v6, v11
	s_and_b64 vcc, exec, s[2:3]
	s_nop 0
	v_cndmask_b32_e64 v6, v15, v6, s[4:5]
	s_cbranch_vccnz .LBB261_18
; %bb.17:
	global_load_dword v15, v10, s[22:23] offset:24
	s_waitcnt vmcnt(0)
	v_add_f32_e32 v6, v6, v15
.LBB261_18:
	v_cvt_f32_f16_sdwa v15, v7 dst_sel:DWORD dst_unused:UNUSED_PAD src0_sel:WORD_1
	v_mul_f32_e32 v16, 0x3fb8aa3b, v15
	v_exp_f32_e32 v16, v16
	s_nop 0
	v_add_f32_e32 v16, 1.0, v16
	v_cmp_gt_f32_e32 vcc, s8, v16
	s_nop 1
	v_cndmask_b32_e32 v13, 1.0, v13, vcc
	v_mul_f32_e32 v13, v16, v13
	v_log_f32_e32 v13, v13
	v_cndmask_b32_e32 v14, 0, v14, vcc
	v_mul_f32_e32 v16, 0x3f317217, v13
	v_fma_f32 v16, v13, s7, -v16
	v_fmac_f32_e32 v16, 0x3377d1cf, v13
	v_fmac_f32_e32 v16, 0x3f317217, v13
	v_cmp_lt_f32_e64 vcc, |v13|, s9
	s_nop 1
	v_cndmask_b32_e32 v13, v13, v16, vcc
	v_sub_f32_e32 v13, v13, v14
	v_cmp_gt_f16_sdwa vcc, v7, s6 src0_sel:WORD_1 src1_sel:DWORD
	s_nop 1
	v_cndmask_b32_e32 v7, v13, v15, vcc
	v_mul_f32_e32 v13, 0x4f800000, v7
	v_cmp_gt_f32_e64 s[4:5], s10, v7
	s_and_b64 vcc, exec, s[2:3]
	s_nop 0
	v_cndmask_b32_e64 v7, v7, v13, s[4:5]
	v_sqrt_f32_e32 v13, v7
	s_nop 0
	v_add_u32_e32 v14, -1, v13
	v_add_u32_e32 v15, 1, v13
	v_fma_f32 v16, -v14, v13, v7
	v_fma_f32 v17, -v15, v13, v7
	v_cmp_ge_f32_e64 s[6:7], 0, v16
	s_nop 1
	v_cndmask_b32_e64 v13, v13, v14, s[6:7]
	v_cmp_lt_f32_e64 s[6:7], 0, v17
	s_nop 1
	v_cndmask_b32_e64 v13, v13, v15, s[6:7]
	v_mul_f32_e32 v14, 0x37800000, v13
	v_cndmask_b32_e64 v13, v13, v14, s[4:5]
	v_cmp_class_f32_e64 s[4:5], v7, v11
	s_nop 1
	v_cndmask_b32_e64 v7, v13, v7, s[4:5]
	s_cbranch_vccnz .LBB261_20
; %bb.19:
	global_load_dword v10, v10, s[22:23] offset:28
	s_waitcnt vmcnt(0)
	v_add_f32_e32 v7, v7, v10
.LBB261_20:
	s_load_dwordx4 s[24:27], s[0:1], 0x30
	s_mov_b32 s42, 0
	v_cmp_eq_u32_e64 s[6:7], 0, v9
	s_waitcnt lgkmcnt(0)
	s_bitcmp1_b32 s27, 0
	s_cselect_b64 s[4:5], -1, 0
	s_cmp_gt_i32 s24, 0
	s_cselect_b64 s[38:39], -1, 0
	s_and_b64 vcc, exec, s[38:39]
	s_cbranch_vccz .LBB261_39
; %bb.21:
	v_mbcnt_lo_u32_b32 v10, -1, 0
	v_mbcnt_hi_u32_b32 v10, -1, v10
	v_and_b32_e32 v11, 0x7c, v10
	v_add_u32_e32 v11, 4, v11
	v_xor_b32_e32 v13, 2, v10
	v_cmp_lt_i32_e32 vcc, v13, v11
	s_load_dwordx4 s[28:31], s[0:1], 0x20
	v_mul_lo_u32 v14, v8, s24
	v_cndmask_b32_e32 v13, v10, v13, vcc
	v_lshlrev_b32_e32 v15, 2, v13
	v_xor_b32_e32 v13, 1, v10
	v_cmp_lt_i32_e32 vcc, v13, v11
	v_mov_b32_e32 v17, 0xc61c4000
	v_mov_b32_e32 v18, v8
	v_cndmask_b32_e32 v10, v10, v13, vcc
	v_lshlrev_b32_e32 v16, 2, v10
	v_mov_b32_e32 v13, 0
	s_branch .LBB261_24
.LBB261_22:                             ;   in Loop: Header=BB261_24 Depth=1
	s_or_b64 exec, exec, s[40:41]
.LBB261_23:                             ;   in Loop: Header=BB261_24 Depth=1
	s_cmp_eq_u32 s24, s42
	v_add_u32_e32 v18, s33, v18
	s_cbranch_scc1 .LBB261_40
.LBB261_24:                             ; =>This Inner Loop Header: Depth=1
	v_cmp_gt_f32_e32 vcc, v1, v0
	s_nop 1
	v_cndmask_b32_e32 v11, v0, v1, vcc
	v_cndmask_b32_e64 v10, 0, 1, vcc
	v_cmp_gt_f32_e32 vcc, v2, v11
	s_nop 1
	v_cndmask_b32_e32 v11, v11, v2, vcc
	v_cndmask_b32_e64 v10, v10, 2, vcc
	;; [unrolled: 4-line block ×6, first 2 shown]
	v_cmp_gt_f32_e32 vcc, v7, v11
	s_nop 1
	v_cndmask_b32_e64 v10, v10, 7, vcc
	v_cndmask_b32_e32 v19, v11, v7, vcc
	ds_bpermute_b32 v11, v15, v19
	v_or_b32_e32 v10, v12, v10
	s_waitcnt lgkmcnt(0)
	ds_bpermute_b32 v20, v15, v10
	s_waitcnt lgkmcnt(0)
	v_cmp_lt_f32_e64 s[8:9], v19, v11
	v_cmp_nlt_f32_e32 vcc, v19, v11
	s_and_saveexec_b64 s[10:11], vcc
; %bb.25:                               ;   in Loop: Header=BB261_24 Depth=1
	v_cmp_eq_f32_e32 vcc, v19, v11
	v_cmp_lt_i32_e64 s[0:1], v20, v10
	s_and_b64 s[0:1], vcc, s[0:1]
	s_andn2_b64 s[8:9], s[8:9], exec
	s_and_b64 s[0:1], s[0:1], exec
	s_or_b64 s[8:9], s[8:9], s[0:1]
; %bb.26:                               ;   in Loop: Header=BB261_24 Depth=1
	s_or_b64 exec, exec, s[10:11]
	s_and_saveexec_b64 s[0:1], s[8:9]
; %bb.27:                               ;   in Loop: Header=BB261_24 Depth=1
	v_mov_b32_e32 v19, v11
	v_mov_b32_e32 v10, v20
; %bb.28:                               ;   in Loop: Header=BB261_24 Depth=1
	s_or_b64 exec, exec, s[0:1]
	ds_bpermute_b32 v11, v16, v19
	ds_bpermute_b32 v20, v16, v10
	s_waitcnt lgkmcnt(1)
	v_cmp_lt_f32_e64 s[8:9], v19, v11
	v_cmp_nlt_f32_e32 vcc, v19, v11
	s_and_saveexec_b64 s[10:11], vcc
	s_cbranch_execnz .LBB261_32
; %bb.29:                               ;   in Loop: Header=BB261_24 Depth=1
	s_or_b64 exec, exec, s[10:11]
	s_and_saveexec_b64 s[0:1], s[8:9]
	s_cbranch_execnz .LBB261_33
.LBB261_30:                             ;   in Loop: Header=BB261_24 Depth=1
	s_or_b64 exec, exec, s[0:1]
	s_and_saveexec_b64 s[8:9], s[6:7]
	s_cbranch_execnz .LBB261_34
.LBB261_31:                             ;   in Loop: Header=BB261_24 Depth=1
	s_or_b64 exec, exec, s[8:9]
	s_add_i32 s42, s42, 1
	s_cmp_ge_i32 s42, s24
	s_cbranch_scc1 .LBB261_23
	s_branch .LBB261_37
.LBB261_32:                             ;   in Loop: Header=BB261_24 Depth=1
	v_cmp_eq_f32_e32 vcc, v19, v11
	s_waitcnt lgkmcnt(0)
	v_cmp_lt_i32_e64 s[0:1], v20, v10
	s_and_b64 s[0:1], vcc, s[0:1]
	s_andn2_b64 s[8:9], s[8:9], exec
	s_and_b64 s[0:1], s[0:1], exec
	s_or_b64 s[8:9], s[8:9], s[0:1]
	s_or_b64 exec, exec, s[10:11]
	s_and_saveexec_b64 s[0:1], s[8:9]
	s_cbranch_execz .LBB261_30
.LBB261_33:                             ;   in Loop: Header=BB261_24 Depth=1
	s_waitcnt lgkmcnt(0)
	v_mov_b32_e32 v10, v20
	v_mov_b32_e32 v19, v11
	s_or_b64 exec, exec, s[0:1]
	s_and_saveexec_b64 s[8:9], s[6:7]
	s_cbranch_execz .LBB261_31
.LBB261_34:                             ;   in Loop: Header=BB261_24 Depth=1
	s_and_b64 vcc, exec, s[2:3]
	s_cbranch_vccnz .LBB261_36
; %bb.35:                               ;   in Loop: Header=BB261_24 Depth=1
	v_ashrrev_i32_e32 v11, 31, v10
	s_waitcnt lgkmcnt(0)
	v_lshl_add_u64 v[20:21], v[10:11], 2, s[22:23]
	global_load_dword v11, v[20:21], off
	s_waitcnt vmcnt(0)
	v_sub_f32_e32 v19, v19, v11
.LBB261_36:                             ;   in Loop: Header=BB261_24 Depth=1
	s_waitcnt lgkmcnt(0)
	v_add_u32_e32 v20, s42, v14
	v_cmp_le_i32_e32 vcc, s25, v10
	v_cmp_gt_i32_e64 s[0:1], s26, v10
	v_ashrrev_i32_e32 v21, 31, v20
	s_and_b64 s[0:1], vcc, s[0:1]
	v_lshlrev_b64 v[20:21], 2, v[20:21]
	v_lshl_add_u64 v[22:23], s[34:35], 0, v[20:21]
	v_subrev_u32_e32 v11, s25, v10
	s_and_b64 vcc, s[36:37], s[0:1]
	global_store_dword v[22:23], v19, off
	v_cndmask_b32_e32 v11, 32, v11, vcc
	v_lshl_add_u64 v[22:23], s[28:29], 0, v[20:21]
	global_store_dword v[22:23], v11, off
	v_add_f32_e32 v11, v13, v19
	v_lshl_add_u64 v[20:21], s[30:31], 0, v[20:21]
	v_cndmask_b32_e64 v13, v13, v11, s[4:5]
	global_store_dword v[20:21], v18, off
	s_or_b64 exec, exec, s[8:9]
	s_add_i32 s42, s42, 1
	s_cmp_ge_i32 s42, s24
	s_cbranch_scc1 .LBB261_23
.LBB261_37:                             ;   in Loop: Header=BB261_24 Depth=1
	v_ashrrev_i32_e32 v19, 31, v10
	v_lshrrev_b32_e32 v11, 29, v19
	v_add_u32_e32 v11, v10, v11
	v_ashrrev_i32_e32 v11, 3, v11
	s_waitcnt lgkmcnt(0)
	v_lshrrev_b32_e32 v20, 30, v11
	v_add_u32_e32 v20, v11, v20
	v_and_b32_e32 v20, -4, v20
	v_sub_u32_e32 v20, v11, v20
	v_cmp_eq_u32_e32 vcc, v9, v20
	s_and_saveexec_b64 s[40:41], vcc
	s_cbranch_execz .LBB261_22
; %bb.38:                               ;   in Loop: Header=BB261_24 Depth=1
	v_lshrrev_b32_e32 v19, 27, v19
	v_add_u32_e32 v19, v10, v19
	v_lshlrev_b32_e32 v11, 3, v11
	v_sub_u32_e32 v10, v10, v11
	v_ashrrev_i32_e32 v11, 5, v19
	v_lshl_add_u32 v10, v11, 3, v10
	v_cmp_ne_u32_e32 vcc, 6, v10
	v_cmp_ne_u32_e64 s[0:1], 5, v10
	v_cmp_ne_u32_e64 s[8:9], 4, v10
	;; [unrolled: 1-line block ×7, first 2 shown]
	v_cndmask_b32_e32 v6, v17, v6, vcc
	v_cndmask_b32_e64 v5, v17, v5, s[0:1]
	v_cndmask_b32_e64 v7, v17, v7, s[18:19]
	;; [unrolled: 1-line block ×7, first 2 shown]
	s_branch .LBB261_22
.LBB261_39:
	v_mov_b32_e32 v13, 0
.LBB261_40:
	v_cmp_eq_u32_e32 vcc, 0, v9
	s_and_b64 exec, exec, vcc
	s_cbranch_execz .LBB261_53
; %bb.41:
	s_andn2_b64 vcc, exec, s[4:5]
	v_cvt_f32_f64_e32 v0, s[20:21]
	s_cbranch_vccnz .LBB261_43
; %bb.42:
	v_cmp_lt_f32_e32 vcc, 0, v13
	s_nop 1
	v_cndmask_b32_e32 v1, 1.0, v13, vcc
	v_div_scale_f32 v2, s[0:1], v1, v1, v0
	v_rcp_f32_e32 v3, v2
	s_nop 0
	v_fma_f32 v4, -v2, v3, 1.0
	v_fmac_f32_e32 v3, v4, v3
	v_div_scale_f32 v4, vcc, v0, v1, v0
	v_mul_f32_e32 v5, v4, v3
	v_fma_f32 v6, -v2, v5, v4
	v_fmac_f32_e32 v5, v6, v3
	v_fma_f32 v2, -v2, v5, v4
	v_div_fmas_f32 v2, v2, v3, v5
	v_div_fixup_f32 v0, v2, v1, v0
.LBB261_43:
	s_andn2_b64 vcc, exec, s[38:39]
	s_cbranch_vccnz .LBB261_53
; %bb.44:
	v_mul_lo_u32 v2, v8, s24
	s_cmp_gt_u32 s24, 3
	v_ashrrev_i32_e32 v3, 31, v2
	s_cbranch_scc0 .LBB261_48
; %bb.45:
	s_and_b32 s0, s24, 0x7ffffffc
	v_lshl_add_u64 v[4:5], v[2:3], 2, s[34:35]
	v_mov_b32_e32 v1, v0
	v_lshl_add_u64 v[4:5], v[4:5], 0, 8
	s_mov_b32 s1, s0
.LBB261_46:                             ; =>This Inner Loop Header: Depth=1
	global_load_dwordx4 v[6:9], v[4:5], off offset:-8
	s_add_i32 s1, s1, -4
	s_cmp_lg_u32 s1, 0
	s_waitcnt vmcnt(0)
	v_pk_mul_f32 v[6:7], v[0:1], v[6:7]
	v_pk_mul_f32 v[8:9], v[0:1], v[8:9]
	global_store_dwordx4 v[4:5], v[6:9], off offset:-8
	v_lshl_add_u64 v[4:5], v[4:5], 0, 16
	s_cbranch_scc1 .LBB261_46
; %bb.47:
	s_cmp_lg_u32 s0, s24
	s_cselect_b64 s[2:3], -1, 0
	s_branch .LBB261_50
.LBB261_48:
	s_mov_b64 s[2:3], 0
                                        ; implicit-def: $sgpr0
	s_cbranch_execz .LBB261_50
; %bb.49:
	s_mov_b64 s[2:3], -1
	s_mov_b32 s0, 0
.LBB261_50:
	s_andn2_b64 vcc, exec, s[2:3]
	s_cbranch_vccnz .LBB261_53
; %bb.51:
	s_mov_b32 s1, 0
	v_lshl_add_u64 v[2:3], v[2:3], 0, s[0:1]
	s_sub_i32 s2, s24, s0
	v_lshl_add_u64 v[2:3], v[2:3], 2, s[34:35]
.LBB261_52:                             ; =>This Inner Loop Header: Depth=1
	global_load_dword v1, v[2:3], off
	s_add_i32 s2, s2, -1
	s_cmp_lg_u32 s2, 0
	s_waitcnt vmcnt(0)
	v_mul_f32_e32 v1, v0, v1
	global_store_dword v[2:3], v1, off
	v_lshl_add_u64 v[2:3], v[2:3], 0, 4
	s_cbranch_scc1 .LBB261_52
.LBB261_53:
	s_endpgm
	.section	.rodata,"a",@progbits
	.p2align	6, 0x0
	.amdhsa_kernel _ZN4vllm3moe22topkGatingSoftplusSqrtILi8ELi32ELi4ELi16ELi64ELb0Ej6__halfEEvPKT6_PKbPfiPT5_PiiiibdPKfPKS9_SF_
		.amdhsa_group_segment_fixed_size 0
		.amdhsa_private_segment_fixed_size 0
		.amdhsa_kernarg_size 96
		.amdhsa_user_sgpr_count 2
		.amdhsa_user_sgpr_dispatch_ptr 0
		.amdhsa_user_sgpr_queue_ptr 0
		.amdhsa_user_sgpr_kernarg_segment_ptr 1
		.amdhsa_user_sgpr_dispatch_id 0
		.amdhsa_user_sgpr_kernarg_preload_length 0
		.amdhsa_user_sgpr_kernarg_preload_offset 0
		.amdhsa_user_sgpr_private_segment_size 0
		.amdhsa_uses_dynamic_stack 0
		.amdhsa_enable_private_segment 0
		.amdhsa_system_sgpr_workgroup_id_x 1
		.amdhsa_system_sgpr_workgroup_id_y 0
		.amdhsa_system_sgpr_workgroup_id_z 0
		.amdhsa_system_sgpr_workgroup_info 0
		.amdhsa_system_vgpr_workitem_id 1
		.amdhsa_next_free_vgpr 24
		.amdhsa_next_free_sgpr 43
		.amdhsa_accum_offset 24
		.amdhsa_reserve_vcc 1
		.amdhsa_float_round_mode_32 0
		.amdhsa_float_round_mode_16_64 0
		.amdhsa_float_denorm_mode_32 3
		.amdhsa_float_denorm_mode_16_64 3
		.amdhsa_dx10_clamp 1
		.amdhsa_ieee_mode 1
		.amdhsa_fp16_overflow 0
		.amdhsa_tg_split 0
		.amdhsa_exception_fp_ieee_invalid_op 0
		.amdhsa_exception_fp_denorm_src 0
		.amdhsa_exception_fp_ieee_div_zero 0
		.amdhsa_exception_fp_ieee_overflow 0
		.amdhsa_exception_fp_ieee_underflow 0
		.amdhsa_exception_fp_ieee_inexact 0
		.amdhsa_exception_int_div_zero 0
	.end_amdhsa_kernel
	.section	.text._ZN4vllm3moe22topkGatingSoftplusSqrtILi8ELi32ELi4ELi16ELi64ELb0Ej6__halfEEvPKT6_PKbPfiPT5_PiiiibdPKfPKS9_SF_,"axG",@progbits,_ZN4vllm3moe22topkGatingSoftplusSqrtILi8ELi32ELi4ELi16ELi64ELb0Ej6__halfEEvPKT6_PKbPfiPT5_PiiiibdPKfPKS9_SF_,comdat
.Lfunc_end261:
	.size	_ZN4vllm3moe22topkGatingSoftplusSqrtILi8ELi32ELi4ELi16ELi64ELb0Ej6__halfEEvPKT6_PKbPfiPT5_PiiiibdPKfPKS9_SF_, .Lfunc_end261-_ZN4vllm3moe22topkGatingSoftplusSqrtILi8ELi32ELi4ELi16ELi64ELb0Ej6__halfEEvPKT6_PKbPfiPT5_PiiiibdPKfPKS9_SF_
                                        ; -- End function
	.section	.AMDGPU.csdata,"",@progbits
; Kernel info:
; codeLenInByte = 3820
; NumSgprs: 49
; NumVgprs: 24
; NumAgprs: 0
; TotalNumVgprs: 24
; ScratchSize: 0
; MemoryBound: 0
; FloatMode: 240
; IeeeMode: 1
; LDSByteSize: 0 bytes/workgroup (compile time only)
; SGPRBlocks: 6
; VGPRBlocks: 2
; NumSGPRsForWavesPerEU: 49
; NumVGPRsForWavesPerEU: 24
; AccumOffset: 24
; Occupancy: 8
; WaveLimiterHint : 0
; COMPUTE_PGM_RSRC2:SCRATCH_EN: 0
; COMPUTE_PGM_RSRC2:USER_SGPR: 2
; COMPUTE_PGM_RSRC2:TRAP_HANDLER: 0
; COMPUTE_PGM_RSRC2:TGID_X_EN: 1
; COMPUTE_PGM_RSRC2:TGID_Y_EN: 0
; COMPUTE_PGM_RSRC2:TGID_Z_EN: 0
; COMPUTE_PGM_RSRC2:TIDIG_COMP_CNT: 1
; COMPUTE_PGM_RSRC3_GFX90A:ACCUM_OFFSET: 5
; COMPUTE_PGM_RSRC3_GFX90A:TG_SPLIT: 0
	.section	.text._ZN4vllm3moe22topkGatingSoftplusSqrtILi8ELi32ELi4ELi16ELi32ELb1Ej6__halfEEvPKT6_PKbPfiPT5_PiiiibdPKfPKS9_SF_,"axG",@progbits,_ZN4vllm3moe22topkGatingSoftplusSqrtILi8ELi32ELi4ELi16ELi32ELb1Ej6__halfEEvPKT6_PKbPfiPT5_PiiiibdPKfPKS9_SF_,comdat
	.protected	_ZN4vllm3moe22topkGatingSoftplusSqrtILi8ELi32ELi4ELi16ELi32ELb1Ej6__halfEEvPKT6_PKbPfiPT5_PiiiibdPKfPKS9_SF_ ; -- Begin function _ZN4vllm3moe22topkGatingSoftplusSqrtILi8ELi32ELi4ELi16ELi32ELb1Ej6__halfEEvPKT6_PKbPfiPT5_PiiiibdPKfPKS9_SF_
	.globl	_ZN4vllm3moe22topkGatingSoftplusSqrtILi8ELi32ELi4ELi16ELi32ELb1Ej6__halfEEvPKT6_PKbPfiPT5_PiiiibdPKfPKS9_SF_
	.p2align	8
	.type	_ZN4vllm3moe22topkGatingSoftplusSqrtILi8ELi32ELi4ELi16ELi32ELb1Ej6__halfEEvPKT6_PKbPfiPT5_PiiiibdPKfPKS9_SF_,@function
_ZN4vllm3moe22topkGatingSoftplusSqrtILi8ELi32ELi4ELi16ELi32ELb1Ej6__halfEEvPKT6_PKbPfiPT5_PiiiibdPKfPKS9_SF_: ; @_ZN4vllm3moe22topkGatingSoftplusSqrtILi8ELi32ELi4ELi16ELi32ELb1Ej6__halfEEvPKT6_PKbPfiPT5_PiiiibdPKfPKS9_SF_
; %bb.0:
	s_load_dword s3, s[0:1], 0x18
	v_bfe_u32 v1, v0, 10, 10
	v_and_b32_e32 v8, 0x3ff, v0
	s_lshl_b32 s2, s2, 5
	v_lshlrev_b32_e32 v1, 3, v1
	v_lshrrev_b32_e32 v0, 2, v8
	v_add3_u32 v6, s2, v1, v0
	s_waitcnt lgkmcnt(0)
	v_cmp_gt_i32_e32 vcc, s3, v6
	s_and_saveexec_b64 s[2:3], vcc
	s_cbranch_execz .LBB262_32
; %bb.1:
	s_load_dwordx2 s[2:3], s[0:1], 0x0
	s_load_dword s33, s[0:1], 0x30
	v_lshlrev_b32_e32 v0, 5, v6
	v_lshlrev_b32_e32 v2, 3, v8
	v_ashrrev_i32_e32 v1, 31, v0
	v_and_b32_e32 v10, 24, v2
	s_waitcnt lgkmcnt(0)
	v_lshl_add_u64 v[0:1], v[0:1], 1, s[2:3]
	v_lshlrev_b32_e32 v4, 1, v10
	v_mov_b32_e32 v5, 0
	v_lshl_add_u64 v[0:1], v[0:1], 0, v[4:5]
	global_load_dwordx4 v[0:3], v[0:1], off
	s_load_dwordx4 s[8:11], s[0:1], 0x50
	v_ashrrev_i32_e32 v7, 31, v6
	s_mov_b32 s15, 0x800000
	s_mov_b32 s13, 0x3f317217
	;; [unrolled: 1-line block ×3, first 2 shown]
	s_waitcnt lgkmcnt(0)
	v_mov_b32_e32 v12, s8
	v_mov_b32_e32 v13, s9
	v_lshl_add_u64 v[12:13], v[6:7], 2, v[12:13]
	global_load_dword v4, v[12:13], off
	v_mov_b32_e32 v7, 0x4f800000
	v_mov_b32_e32 v9, 0x41b17218
	s_movk_i32 s9, 0x4d00
	s_mov_b32 s12, 0xf800000
	v_mov_b32_e32 v19, 0x260
	s_cmp_gt_i32 s33, 0
	s_mov_b32 s8, 0
	s_waitcnt vmcnt(1)
	v_cvt_f32_f16_e32 v11, v0
	v_cvt_f32_f16_sdwa v16, v0 dst_sel:DWORD dst_unused:UNUSED_PAD src0_sel:WORD_1
	v_cvt_f32_f16_e32 v17, v1
	v_cvt_f32_f16_sdwa v18, v1 dst_sel:DWORD dst_unused:UNUSED_PAD src0_sel:WORD_1
	v_mul_f32_e32 v12, 0x3fb8aa3b, v11
	v_mul_f32_e32 v13, 0x3fb8aa3b, v16
	v_exp_f32_e32 v12, v12
	v_exp_f32_e32 v13, v13
	v_mul_f32_e32 v14, 0x3fb8aa3b, v17
	v_mul_f32_e32 v15, 0x3fb8aa3b, v18
	v_exp_f32_e32 v14, v14
	v_exp_f32_e32 v15, v15
	v_pk_add_f32 v[12:13], v[12:13], 1.0 op_sel_hi:[1,0]
	s_waitcnt vmcnt(0)
	v_mul_lo_u32 v4, v4, s33
	v_cmp_gt_f32_e32 vcc, s15, v13
	v_pk_add_f32 v[14:15], v[14:15], 1.0 op_sel_hi:[1,0]
	v_cmp_gt_f32_e64 s[2:3], s15, v12
	v_cndmask_b32_e32 v20, 1.0, v7, vcc
	v_cmp_gt_f32_e64 s[4:5], s15, v15
	v_cndmask_b32_e64 v21, 1.0, v7, s[2:3]
	v_mul_f32_e32 v13, v13, v20
	v_cndmask_b32_e64 v22, 1.0, v7, s[4:5]
	v_cmp_gt_f32_e64 s[6:7], s15, v14
	v_mul_f32_e32 v12, v12, v21
	v_log_f32_e32 v13, v13
	v_cndmask_b32_e64 v23, 1.0, v7, s[6:7]
	v_mul_f32_e32 v15, v15, v22
	v_log_f32_e32 v12, v12
	v_mul_f32_e32 v14, v14, v23
	v_log_f32_e32 v15, v15
	v_log_f32_e32 v14, v14
	v_mul_f32_e32 v23, 0x3f317217, v13
	v_mul_f32_e32 v24, 0x3f317217, v12
	v_fma_f32 v23, v13, s13, -v23
	v_mul_f32_e32 v25, 0x3f317217, v15
	v_fma_f32 v24, v12, s13, -v24
	v_fmac_f32_e32 v23, 0x3377d1cf, v13
	v_cndmask_b32_e32 v20, 0, v9, vcc
	v_mul_f32_e32 v26, 0x3f317217, v14
	v_fma_f32 v25, v15, s13, -v25
	v_fmac_f32_e32 v24, 0x3377d1cf, v12
	v_fmac_f32_e32 v23, 0x3f317217, v13
	v_cmp_lt_f32_e64 vcc, |v13|, s14
	v_fma_f32 v26, v14, s13, -v26
	v_fmac_f32_e32 v25, 0x3377d1cf, v15
	v_fmac_f32_e32 v24, 0x3f317217, v12
	v_cndmask_b32_e32 v13, v13, v23, vcc
	v_cmp_lt_f32_e64 vcc, |v12|, s14
	v_fmac_f32_e32 v26, 0x3377d1cf, v14
	v_fmac_f32_e32 v25, 0x3f317217, v15
	v_cndmask_b32_e32 v12, v12, v24, vcc
	v_cmp_lt_f32_e64 vcc, |v15|, s14
	v_cndmask_b32_e64 v21, 0, v9, s[2:3]
	v_fmac_f32_e32 v26, 0x3f317217, v14
	v_cndmask_b32_e32 v15, v15, v25, vcc
	v_cmp_lt_f32_e64 vcc, |v14|, s14
	v_sub_f32_e32 v12, v12, v21
	v_sub_f32_e32 v13, v13, v20
	v_cndmask_b32_e32 v14, v14, v26, vcc
	v_cmp_lt_f16_e32 vcc, s9, v0
	v_cndmask_b32_e64 v22, 0, v9, s[4:5]
	v_sub_f32_e32 v15, v15, v22
	v_cndmask_b32_e32 v11, v12, v11, vcc
	v_cmp_gt_f16_sdwa vcc, v0, s9 src0_sel:WORD_1 src1_sel:DWORD
	v_cmp_gt_f32_e64 s[2:3], s12, v11
	s_nop 0
	v_cndmask_b32_e32 v0, v13, v16, vcc
	v_mul_f32_e32 v12, 0x4f800000, v0
	v_cmp_gt_f32_e32 vcc, s12, v0
	v_mul_f32_e32 v13, 0x4f800000, v11
	v_cndmask_b32_e64 v11, v11, v13, s[2:3]
	v_cndmask_b32_e32 v0, v0, v12, vcc
	v_sqrt_f32_e32 v12, v0
	v_sqrt_f32_e32 v13, v11
	v_add_u32_e32 v16, -1, v12
	v_add_u32_e32 v21, -1, v13
	v_fma_f32 v23, -v16, v12, v0
	v_add_u32_e32 v20, 1, v12
	v_fma_f32 v25, -v21, v13, v11
	v_cmp_ge_f32_e64 s[4:5], 0, v23
	v_add_u32_e32 v22, 1, v13
	v_fma_f32 v24, -v20, v12, v0
	v_cndmask_b32_e64 v12, v12, v16, s[4:5]
	v_cmp_ge_f32_e64 s[4:5], 0, v25
	v_fma_f32 v26, -v22, v13, v11
	s_nop 0
	v_cndmask_b32_e64 v13, v13, v21, s[4:5]
	v_cmp_lt_f32_e64 s[4:5], 0, v24
	s_nop 1
	v_cndmask_b32_e64 v12, v12, v20, s[4:5]
	v_cmp_lt_f32_e64 s[4:5], 0, v26
	v_mul_f32_e32 v16, 0x37800000, v12
	v_cndmask_b32_e32 v12, v12, v16, vcc
	v_cndmask_b32_e64 v13, v13, v22, s[4:5]
	v_mul_f32_e32 v20, 0x37800000, v13
	v_cmp_class_f32_e32 vcc, v0, v19
	v_cndmask_b32_e64 v16, v13, v20, s[2:3]
	v_cmp_lt_f16_e64 s[2:3], s9, v1
	v_cndmask_b32_e32 v13, v12, v0, vcc
	v_cmp_class_f32_e32 vcc, v11, v19
	v_cndmask_b32_e64 v0, 0, v9, s[6:7]
	v_sub_f32_e32 v0, v14, v0
	v_cndmask_b32_e32 v12, v16, v11, vcc
	v_cmp_gt_f16_sdwa vcc, v1, s9 src0_sel:WORD_1 src1_sel:DWORD
	v_cndmask_b32_e64 v0, v0, v17, s[2:3]
	v_cvt_f32_f16_e32 v17, v2
	v_cndmask_b32_e32 v11, v15, v18, vcc
	v_mul_f32_e32 v15, 0x4f800000, v11
	v_cmp_gt_f32_e32 vcc, s12, v11
	v_cvt_f32_f16_sdwa v18, v2 dst_sel:DWORD dst_unused:UNUSED_PAD src0_sel:WORD_1
	s_nop 0
	v_cndmask_b32_e32 v11, v11, v15, vcc
	v_sqrt_f32_e32 v15, v11
	s_nop 0
	v_add_u32_e32 v1, -1, v15
	v_fma_f32 v14, -v1, v15, v11
	v_cmp_ge_f32_e64 s[2:3], 0, v14
	v_add_u32_e32 v14, 1, v15
	s_nop 0
	v_cndmask_b32_e64 v1, v15, v1, s[2:3]
	v_fma_f32 v15, -v14, v15, v11
	v_cmp_lt_f32_e64 s[2:3], 0, v15
	v_mul_f32_e32 v15, 0x4f800000, v0
	s_nop 0
	v_cndmask_b32_e64 v1, v1, v14, s[2:3]
	v_cmp_gt_f32_e64 s[2:3], s12, v0
	v_mul_f32_e32 v14, 0x37800000, v1
	v_cndmask_b32_e32 v1, v1, v14, vcc
	v_cndmask_b32_e64 v16, v0, v15, s[2:3]
	v_sqrt_f32_e32 v0, v16
	v_cmp_class_f32_e32 vcc, v11, v19
	v_add_u32_e32 v14, 1, v0
	s_nop 0
	v_cndmask_b32_e32 v15, v1, v11, vcc
	v_add_u32_e32 v1, -1, v0
	v_fma_f32 v11, -v1, v0, v16
	v_cmp_ge_f32_e32 vcc, 0, v11
	v_fma_f32 v20, -v14, v0, v16
	s_nop 0
	v_cndmask_b32_e32 v11, v0, v1, vcc
	v_mul_f32_e32 v0, 0x3fb8aa3b, v17
	v_mul_f32_e32 v1, 0x3fb8aa3b, v18
	v_exp_f32_e32 v0, v0
	v_exp_f32_e32 v1, v1
	v_cmp_lt_f32_e32 vcc, 0, v20
	v_pk_add_f32 v[0:1], v[0:1], 1.0 op_sel_hi:[1,0]
	s_nop 0
	v_cndmask_b32_e32 v11, v11, v14, vcc
	v_mul_f32_e32 v14, 0x37800000, v11
	v_cmp_gt_f32_e32 vcc, s15, v1
	v_cndmask_b32_e64 v11, v11, v14, s[2:3]
	v_cmp_class_f32_e64 s[2:3], v16, v19
	v_cndmask_b32_e32 v14, 1.0, v7, vcc
	v_mul_f32_e32 v1, v1, v14
	v_log_f32_e32 v1, v1
	v_cndmask_b32_e64 v14, v11, v16, s[2:3]
	v_cmp_gt_f32_e64 s[2:3], s15, v0
	scratch_store_dwordx4 off, v[12:15], off
	v_mul_f32_e32 v11, 0x3f317217, v1
	v_fma_f32 v11, v1, s13, -v11
	v_cndmask_b32_e64 v12, 1.0, v7, s[2:3]
	v_mul_f32_e32 v0, v0, v12
	v_log_f32_e32 v0, v0
	v_fmac_f32_e32 v11, 0x3377d1cf, v1
	v_fmac_f32_e32 v11, 0x3f317217, v1
	v_cmp_lt_f32_e64 s[4:5], |v1|, s14
	v_cvt_f32_f16_sdwa v15, v3 dst_sel:DWORD dst_unused:UNUSED_PAD src0_sel:WORD_1
	v_mul_f32_e32 v13, 0x3fb8aa3b, v15
	v_cndmask_b32_e64 v1, v1, v11, s[4:5]
	v_cndmask_b32_e32 v11, 0, v9, vcc
	v_sub_f32_e32 v1, v1, v11
	v_mul_f32_e32 v11, 0x3f317217, v0
	v_fma_f32 v11, v0, s13, -v11
	v_fmac_f32_e32 v11, 0x3377d1cf, v0
	v_fmac_f32_e32 v11, 0x3f317217, v0
	v_cmp_lt_f32_e64 vcc, |v0|, s14
	v_exp_f32_e32 v13, v13
	s_nop 0
	v_cndmask_b32_e32 v0, v0, v11, vcc
	v_cmp_gt_f16_sdwa vcc, v2, s9 src0_sel:WORD_1 src1_sel:DWORD
	v_cndmask_b32_e64 v11, 0, v9, s[2:3]
	v_cmp_lt_f16_e64 s[2:3], s9, v2
	v_cndmask_b32_e32 v1, v1, v18, vcc
	v_mul_f32_e32 v12, 0x4f800000, v1
	v_cmp_gt_f32_e32 vcc, s12, v1
	v_sub_f32_e32 v0, v0, v11
	v_cndmask_b32_e64 v0, v0, v17, s[2:3]
	v_cndmask_b32_e32 v1, v1, v12, vcc
	v_sqrt_f32_e32 v12, v1
	s_nop 0
	v_add_u32_e32 v2, -1, v12
	v_fma_f32 v11, -v2, v12, v1
	v_cmp_ge_f32_e64 s[2:3], 0, v11
	v_add_u32_e32 v11, 1, v12
	s_nop 0
	v_cndmask_b32_e64 v2, v12, v2, s[2:3]
	v_fma_f32 v12, -v11, v12, v1
	v_cmp_lt_f32_e64 s[2:3], 0, v12
	v_mul_f32_e32 v12, 0x4f800000, v0
	s_nop 0
	v_cndmask_b32_e64 v2, v2, v11, s[2:3]
	v_cmp_gt_f32_e64 s[2:3], s12, v0
	v_mul_f32_e32 v11, 0x37800000, v2
	v_cndmask_b32_e32 v2, v2, v11, vcc
	v_cndmask_b32_e64 v0, v0, v12, s[2:3]
	v_sqrt_f32_e32 v12, v0
	v_cmp_class_f32_e32 vcc, v1, v19
	v_add_u32_e32 v14, 1, v12
	s_nop 0
	v_cndmask_b32_e32 v1, v2, v1, vcc
	v_add_u32_e32 v2, -1, v12
	v_fma_f32 v11, -v2, v12, v0
	v_cmp_ge_f32_e32 vcc, 0, v11
	v_cvt_f32_f16_e32 v11, v3
	v_fma_f32 v16, -v14, v12, v0
	v_cndmask_b32_e32 v2, v12, v2, vcc
	v_cmp_lt_f32_e32 vcc, 0, v16
	v_mul_f32_e32 v12, 0x3fb8aa3b, v11
	v_exp_f32_e32 v12, v12
	v_cndmask_b32_e32 v2, v2, v14, vcc
	v_mul_f32_e32 v14, 0x37800000, v2
	v_cndmask_b32_e64 v2, v2, v14, s[2:3]
	v_pk_add_f32 v[12:13], v[12:13], 1.0 op_sel_hi:[1,0]
	v_cmp_class_f32_e64 s[2:3], v0, v19
	v_cmp_gt_f32_e32 vcc, s15, v13
	s_nop 0
	v_cndmask_b32_e64 v0, v2, v0, s[2:3]
	v_cndmask_b32_e32 v16, 1.0, v7, vcc
	v_mul_f32_e32 v13, v13, v16
	v_log_f32_e32 v13, v13
	v_cmp_gt_f32_e64 s[2:3], s15, v12
	v_mul_f32_e32 v2, 0x3f317217, v13
	s_nop 0
	v_cndmask_b32_e64 v7, 1.0, v7, s[2:3]
	v_mul_f32_e32 v7, v12, v7
	v_fma_f32 v2, v13, s13, -v2
	v_log_f32_e32 v7, v7
	v_fmac_f32_e32 v2, 0x3377d1cf, v13
	v_fmac_f32_e32 v2, 0x3f317217, v13
	v_cmp_lt_f32_e64 s[4:5], |v13|, s14
	v_cndmask_b32_e32 v12, 0, v9, vcc
	v_cmp_lt_f32_e64 vcc, |v7|, s14
	v_cndmask_b32_e64 v2, v13, v2, s[4:5]
	v_sub_f32_e32 v2, v2, v12
	v_mul_f32_e32 v12, 0x3f317217, v7
	v_fma_f32 v12, v7, s13, -v12
	v_fmac_f32_e32 v12, 0x3377d1cf, v7
	v_fmac_f32_e32 v12, 0x3f317217, v7
	v_cndmask_b32_e32 v7, v7, v12, vcc
	v_cmp_gt_f16_sdwa vcc, v3, s9 src0_sel:WORD_1 src1_sel:DWORD
	v_cndmask_b32_e64 v9, 0, v9, s[2:3]
	v_sub_f32_e32 v7, v7, v9
	v_cndmask_b32_e32 v2, v2, v15, vcc
	v_mul_f32_e32 v12, 0x4f800000, v2
	v_cmp_gt_f32_e32 vcc, s12, v2
	v_cmp_lt_f16_e64 s[2:3], s9, v3
	s_cselect_b64 s[4:5], -1, 0
	v_cndmask_b32_e32 v2, v2, v12, vcc
	v_sqrt_f32_e32 v12, v2
	v_cndmask_b32_e64 v3, v7, v11, s[2:3]
	s_cmp_lt_i32 s33, 1
	v_add_u32_e32 v7, -1, v12
	v_fma_f32 v9, -v7, v12, v2
	v_cmp_ge_f32_e64 s[2:3], 0, v9
	v_add_u32_e32 v9, 1, v12
	v_fma_f32 v11, -v9, v12, v2
	v_cndmask_b32_e64 v7, v12, v7, s[2:3]
	v_cmp_lt_f32_e64 s[2:3], 0, v11
	v_mul_f32_e32 v11, 0x4f800000, v3
	s_nop 0
	v_cndmask_b32_e64 v7, v7, v9, s[2:3]
	v_cmp_gt_f32_e64 s[2:3], s12, v3
	v_mul_f32_e32 v9, 0x37800000, v7
	s_nop 0
	v_cndmask_b32_e64 v11, v3, v11, s[2:3]
	v_sqrt_f32_e32 v12, v11
	v_cndmask_b32_e32 v3, v7, v9, vcc
	v_cmp_class_f32_e32 vcc, v2, v19
	s_nop 1
	v_cndmask_b32_e32 v3, v3, v2, vcc
	v_add_u32_e32 v2, -1, v12
	v_fma_f32 v7, -v2, v12, v11
	v_cmp_ge_f32_e32 vcc, 0, v7
	v_add_u32_e32 v7, 1, v12
	v_fma_f32 v9, -v7, v12, v11
	v_cndmask_b32_e32 v2, v12, v2, vcc
	v_cmp_lt_f32_e32 vcc, 0, v9
	s_nop 1
	v_cndmask_b32_e32 v2, v2, v7, vcc
	v_mul_f32_e32 v7, 0x37800000, v2
	v_cndmask_b32_e64 v2, v2, v7, s[2:3]
	v_cmp_class_f32_e32 vcc, v11, v19
	s_nop 1
	v_cndmask_b32_e32 v2, v2, v11, vcc
	scratch_store_dwordx4 off, v[0:3], off offset:16
	s_nop 1
	v_lshl_add_u64 v[2:3], v[4:5], 2, s[10:11]
	v_mul_lo_u32 v0, v6, s33
	s_cbranch_scc1 .LBB262_29
; %bb.2:
	s_load_dwordx2 s[6:7], s[0:1], 0x20
	s_cmp_lt_u32 s33, 4
	v_and_b32_e32 v4, 3, v8
	s_cbranch_scc1 .LBB262_21
; %bb.3:
	v_lshlrev_b32_e32 v5, 3, v4
	s_mov_b32 s11, 0
	s_and_b32 s8, s33, 0x7ffffffc
	v_ashrrev_i32_e32 v1, 31, v0
	v_sub_u32_e32 v11, 0, v5
	v_mov_b32_e32 v5, 0
	s_mov_b32 s10, s11
	s_branch .LBB262_5
.LBB262_4:                              ;   in Loop: Header=BB262_5 Depth=1
	s_or_b64 exec, exec, s[12:13]
	s_add_i32 s10, s10, 4
	s_cmp_eq_u32 s10, s8
	s_cbranch_scc1 .LBB262_22
.LBB262_5:                              ; =>This Loop Header: Depth=1
                                        ;     Child Loop BB262_7 Depth 2
                                        ;     Child Loop BB262_11 Depth 2
	;; [unrolled: 1-line block ×4, first 2 shown]
	v_lshl_add_u64 v[6:7], s[10:11], 2, v[2:3]
	global_load_dword v12, v[6:7], off
	v_add_u32_e32 v8, s10, v0
	v_ashrrev_i32_e32 v9, 31, v8
	v_mov_b32_e32 v13, 0
	s_mov_b64 s[12:13], 0
	s_waitcnt lgkmcnt(0)
	v_lshl_add_u64 v[8:9], v[8:9], 2, s[6:7]
	s_mov_b32 s9, 0
	s_waitcnt vmcnt(0)
	v_add_u32_e32 v14, v11, v12
	s_branch .LBB262_7
.LBB262_6:                              ;   in Loop: Header=BB262_7 Depth=2
	s_or_b64 exec, exec, s[14:15]
	s_add_i32 s16, s9, 1
	s_cmp_gt_u32 s9, 6
	s_cselect_b64 s[2:3], -1, 0
	s_xor_b64 s[14:15], vcc, -1
	s_or_b64 s[2:3], s[14:15], s[2:3]
	s_and_b64 s[2:3], exec, s[2:3]
	v_add_u32_e32 v13, 4, v13
	s_or_b64 s[12:13], s[2:3], s[12:13]
	s_mov_b32 s9, s16
	s_andn2_b64 exec, exec, s[12:13]
	s_cbranch_execz .LBB262_9
.LBB262_7:                              ;   Parent Loop BB262_5 Depth=1
                                        ; =>  This Inner Loop Header: Depth=2
	v_cmp_ne_u32_e32 vcc, s9, v14
	v_cmp_eq_u32_e64 s[2:3], s9, v14
	s_and_saveexec_b64 s[14:15], s[2:3]
	s_cbranch_execz .LBB262_6
; %bb.8:                                ;   in Loop: Header=BB262_7 Depth=2
	scratch_load_dword v15, v13, off
	s_waitcnt vmcnt(0)
	v_add_f32_e32 v5, v5, v15
	global_store_dword v[8:9], v12, off
	s_branch .LBB262_6
.LBB262_9:                              ;   in Loop: Header=BB262_5 Depth=1
	s_or_b64 exec, exec, s[12:13]
	global_load_dword v12, v[6:7], off offset:4
	s_ashr_i32 s3, s10, 31
	s_mov_b32 s2, s10
	v_lshl_add_u64 v[8:9], s[2:3], 0, v[0:1]
	v_mov_b32_e32 v13, 0
	s_mov_b32 s9, 0
	v_lshl_add_u64 v[8:9], v[8:9], 2, s[6:7]
	s_mov_b64 s[12:13], 0
	s_waitcnt vmcnt(0)
	v_add_u32_e32 v14, v11, v12
	s_branch .LBB262_11
.LBB262_10:                             ;   in Loop: Header=BB262_11 Depth=2
	s_or_b64 exec, exec, s[14:15]
	s_add_i32 s16, s9, 1
	s_cmp_gt_u32 s9, 6
	s_cselect_b64 s[2:3], -1, 0
	s_xor_b64 s[14:15], vcc, -1
	s_or_b64 s[2:3], s[14:15], s[2:3]
	s_and_b64 s[2:3], exec, s[2:3]
	v_add_u32_e32 v13, 4, v13
	s_or_b64 s[12:13], s[2:3], s[12:13]
	s_mov_b32 s9, s16
	s_andn2_b64 exec, exec, s[12:13]
	s_cbranch_execz .LBB262_13
.LBB262_11:                             ;   Parent Loop BB262_5 Depth=1
                                        ; =>  This Inner Loop Header: Depth=2
	v_cmp_ne_u32_e32 vcc, s9, v14
	v_cmp_eq_u32_e64 s[2:3], s9, v14
	s_and_saveexec_b64 s[14:15], s[2:3]
	s_cbranch_execz .LBB262_10
; %bb.12:                               ;   in Loop: Header=BB262_11 Depth=2
	scratch_load_dword v15, v13, off
	s_waitcnt vmcnt(0)
	v_add_f32_e32 v5, v5, v15
	global_store_dword v[8:9], v12, off offset:4
	s_branch .LBB262_10
.LBB262_13:                             ;   in Loop: Header=BB262_5 Depth=1
	s_or_b64 exec, exec, s[12:13]
	global_load_dword v12, v[6:7], off offset:8
	v_mov_b32_e32 v13, 0
	s_mov_b32 s9, 0
	s_mov_b64 s[12:13], 0
	s_waitcnt vmcnt(0)
	v_add_u32_e32 v14, v11, v12
	s_branch .LBB262_15
.LBB262_14:                             ;   in Loop: Header=BB262_15 Depth=2
	s_or_b64 exec, exec, s[14:15]
	s_add_i32 s16, s9, 1
	s_cmp_gt_u32 s9, 6
	s_cselect_b64 s[2:3], -1, 0
	s_xor_b64 s[14:15], vcc, -1
	s_or_b64 s[2:3], s[14:15], s[2:3]
	s_and_b64 s[2:3], exec, s[2:3]
	v_add_u32_e32 v13, 4, v13
	s_or_b64 s[12:13], s[2:3], s[12:13]
	s_mov_b32 s9, s16
	s_andn2_b64 exec, exec, s[12:13]
	s_cbranch_execz .LBB262_17
.LBB262_15:                             ;   Parent Loop BB262_5 Depth=1
                                        ; =>  This Inner Loop Header: Depth=2
	v_cmp_ne_u32_e32 vcc, s9, v14
	v_cmp_eq_u32_e64 s[2:3], s9, v14
	s_and_saveexec_b64 s[14:15], s[2:3]
	s_cbranch_execz .LBB262_14
; %bb.16:                               ;   in Loop: Header=BB262_15 Depth=2
	scratch_load_dword v15, v13, off
	s_waitcnt vmcnt(0)
	v_add_f32_e32 v5, v5, v15
	global_store_dword v[8:9], v12, off offset:8
	s_branch .LBB262_14
.LBB262_17:                             ;   in Loop: Header=BB262_5 Depth=1
	s_or_b64 exec, exec, s[12:13]
	global_load_dword v6, v[6:7], off offset:12
	v_mov_b32_e32 v7, 0
	s_mov_b32 s9, 0
	s_mov_b64 s[12:13], 0
	s_waitcnt vmcnt(0)
	v_add_u32_e32 v12, v11, v6
	s_branch .LBB262_19
.LBB262_18:                             ;   in Loop: Header=BB262_19 Depth=2
	s_or_b64 exec, exec, s[14:15]
	s_add_i32 s16, s9, 1
	s_cmp_gt_u32 s9, 6
	s_cselect_b64 s[2:3], -1, 0
	s_xor_b64 s[14:15], vcc, -1
	s_or_b64 s[2:3], s[14:15], s[2:3]
	s_and_b64 s[2:3], exec, s[2:3]
	v_add_u32_e32 v7, 4, v7
	s_or_b64 s[12:13], s[2:3], s[12:13]
	s_mov_b32 s9, s16
	s_andn2_b64 exec, exec, s[12:13]
	s_cbranch_execz .LBB262_4
.LBB262_19:                             ;   Parent Loop BB262_5 Depth=1
                                        ; =>  This Inner Loop Header: Depth=2
	v_cmp_ne_u32_e32 vcc, s9, v12
	v_cmp_eq_u32_e64 s[2:3], s9, v12
	s_and_saveexec_b64 s[14:15], s[2:3]
	s_cbranch_execz .LBB262_18
; %bb.20:                               ;   in Loop: Header=BB262_19 Depth=2
	scratch_load_dword v13, v7, off
	s_waitcnt vmcnt(0)
	v_add_f32_e32 v5, v5, v13
	global_store_dword v[8:9], v6, off offset:12
	s_branch .LBB262_18
.LBB262_21:
	v_mov_b32_e32 v5, 0
.LBB262_22:
	s_and_b32 s14, s33, 3
	s_cmp_eq_u32 s14, 0
	s_mov_b32 s9, 0
	s_cbranch_scc1 .LBB262_29
; %bb.23:
	v_lshlrev_b32_e32 v1, 3, v4
	v_sub_u32_e32 v1, 0, v1
	s_mov_b32 s15, s9
	s_branch .LBB262_25
.LBB262_24:                             ;   in Loop: Header=BB262_25 Depth=1
	s_or_b64 exec, exec, s[10:11]
	s_add_i32 s8, s8, 1
	s_add_i32 s15, s15, 1
	s_cmp_lg_u32 s15, s14
	s_cbranch_scc0 .LBB262_29
.LBB262_25:                             ; =>This Loop Header: Depth=1
                                        ;     Child Loop BB262_27 Depth 2
	v_lshl_add_u64 v[6:7], s[8:9], 2, v[2:3]
	global_load_dword v4, v[6:7], off
	v_add_u32_e32 v6, s8, v0
	v_ashrrev_i32_e32 v7, 31, v6
	v_mov_b32_e32 v8, 0
	s_mov_b32 s16, 0
	s_waitcnt lgkmcnt(0)
	v_lshl_add_u64 v[6:7], v[6:7], 2, s[6:7]
	s_mov_b64 s[10:11], 0
	s_waitcnt vmcnt(0)
	v_add_u32_e32 v9, v1, v4
	s_branch .LBB262_27
.LBB262_26:                             ;   in Loop: Header=BB262_27 Depth=2
	s_or_b64 exec, exec, s[12:13]
	s_add_i32 s17, s16, 1
	s_cmp_gt_u32 s16, 6
	s_cselect_b64 s[2:3], -1, 0
	s_xor_b64 s[12:13], vcc, -1
	s_or_b64 s[2:3], s[12:13], s[2:3]
	s_and_b64 s[2:3], exec, s[2:3]
	v_add_u32_e32 v8, 4, v8
	s_or_b64 s[10:11], s[2:3], s[10:11]
	s_mov_b32 s16, s17
	s_andn2_b64 exec, exec, s[10:11]
	s_cbranch_execz .LBB262_24
.LBB262_27:                             ;   Parent Loop BB262_25 Depth=1
                                        ; =>  This Inner Loop Header: Depth=2
	v_cmp_ne_u32_e32 vcc, s16, v9
	v_cmp_eq_u32_e64 s[2:3], s16, v9
	s_and_saveexec_b64 s[12:13], s[2:3]
	s_cbranch_execz .LBB262_26
; %bb.28:                               ;   in Loop: Header=BB262_27 Depth=2
	scratch_load_dword v11, v8, off
	s_waitcnt vmcnt(0)
	v_add_f32_e32 v5, v5, v11
	global_store_dword v[6:7], v4, off
	s_branch .LBB262_26
.LBB262_29:
	s_waitcnt lgkmcnt(0)
	s_load_dword s6, s[0:1], 0x3c
	s_waitcnt lgkmcnt(0)
	s_bitcmp1_b32 s6, 0
	s_cselect_b64 s[2:3], -1, 0
	s_bitcmp0_b32 s6, 0
	s_cbranch_scc0 .LBB262_33
; %bb.30:
	s_load_dwordx2 s[6:7], s[0:1], 0x40
	s_andn2_b64 vcc, exec, s[2:3]
	s_waitcnt lgkmcnt(0)
	v_cvt_f32_f64_e32 v8, s[6:7]
	s_cbranch_vccz .LBB262_34
.LBB262_31:
	s_andn2_b64 vcc, exec, s[4:5]
	s_cbranch_vccz .LBB262_35
.LBB262_32:
	s_endpgm
.LBB262_33:
	v_mbcnt_lo_u32_b32 v1, -1, 0
	v_mbcnt_hi_u32_b32 v1, -1, v1
	v_and_b32_e32 v4, 0x7c, v1
	v_add_u32_e32 v4, 4, v4
	v_xor_b32_e32 v6, 2, v1
	v_cmp_lt_i32_e32 vcc, v6, v4
	v_xor_b32_e32 v7, 1, v1
	s_nop 0
	v_cndmask_b32_e32 v6, v1, v6, vcc
	v_lshlrev_b32_e32 v6, 2, v6
	ds_bpermute_b32 v6, v6, v5
	v_cmp_lt_i32_e32 vcc, v7, v4
	s_waitcnt lgkmcnt(0)
	v_add_f32_e32 v5, v5, v6
	v_cndmask_b32_e32 v1, v1, v7, vcc
	v_lshlrev_b32_e32 v1, 2, v1
	ds_bpermute_b32 v1, v1, v5
	s_waitcnt lgkmcnt(0)
	v_add_f32_e32 v5, v5, v1
	s_load_dwordx2 s[6:7], s[0:1], 0x40
	s_andn2_b64 vcc, exec, s[2:3]
	s_waitcnt lgkmcnt(0)
	v_cvt_f32_f64_e32 v8, s[6:7]
	s_cbranch_vccnz .LBB262_31
.LBB262_34:
	v_cmp_lt_f32_e32 vcc, 0, v5
	s_nop 1
	v_cndmask_b32_e32 v1, 1.0, v5, vcc
	v_div_scale_f32 v4, s[2:3], v1, v1, v8
	v_rcp_f32_e32 v5, v4
	s_nop 0
	v_fma_f32 v6, -v4, v5, 1.0
	v_fmac_f32_e32 v5, v6, v5
	v_div_scale_f32 v6, vcc, v8, v1, v8
	v_mul_f32_e32 v7, v6, v5
	v_fma_f32 v9, -v4, v7, v6
	v_fmac_f32_e32 v7, v9, v5
	v_fma_f32 v4, -v4, v7, v6
	v_div_fmas_f32 v4, v4, v5, v7
	v_div_fixup_f32 v8, v4, v1, v8
	s_andn2_b64 vcc, exec, s[4:5]
	s_cbranch_vccnz .LBB262_32
.LBB262_35:
	s_load_dwordx2 s[12:13], s[0:1], 0x10
	v_mov_b32_e32 v1, 0
	v_or_b32_e32 v20, 4, v1
	v_or_b32_e32 v18, 8, v1
	v_or_b32_e32 v16, 12, v1
	v_add_u32_e32 v14, 16, v1
	v_add_u32_e32 v12, 20, v1
	;; [unrolled: 1-line block ×4, first 2 shown]
	v_or_b32_e32 v23, 1, v10
	v_or_b32_e32 v22, 2, v10
	;; [unrolled: 1-line block ×7, first 2 shown]
	s_cmp_eq_u32 s33, 1
	s_mov_b32 s14, 0
	s_cbranch_scc1 .LBB262_70
; %bb.36:
	v_ashrrev_i32_e32 v1, 31, v0
	s_waitcnt lgkmcnt(0)
	v_lshl_add_u64 v[4:5], v[0:1], 2, s[12:13]
	s_and_b32 s14, s33, 0x7ffffffe
	v_lshl_add_u64 v[4:5], v[4:5], 0, 4
	v_lshl_add_u64 v[6:7], v[2:3], 0, 4
	s_mov_b32 s15, 0
	s_branch .LBB262_38
.LBB262_37:                             ;   in Loop: Header=BB262_38 Depth=1
	s_or_b64 exec, exec, s[0:1]
	s_add_i32 s15, s15, 2
	v_lshl_add_u64 v[4:5], v[4:5], 0, 8
	s_cmp_eq_u32 s14, s15
	v_lshl_add_u64 v[6:7], v[6:7], 0, 8
	s_cbranch_scc1 .LBB262_70
.LBB262_38:                             ; =>This Inner Loop Header: Depth=1
	global_load_dword v24, v[6:7], off offset:-4
	v_mov_b32_e32 v1, 0
	s_waitcnt vmcnt(0)
	v_cmp_eq_u32_e32 vcc, v24, v10
	v_cmp_ne_u32_e64 s[0:1], v24, v10
	s_and_saveexec_b64 s[16:17], s[0:1]
	s_cbranch_execz .LBB262_52
; %bb.39:                               ;   in Loop: Header=BB262_38 Depth=1
	v_cmp_eq_u32_e64 s[0:1], v24, v23
	v_cmp_ne_u32_e64 s[2:3], v24, v23
	v_mov_b32_e32 v1, v20
	s_and_saveexec_b64 s[18:19], s[2:3]
	s_cbranch_execz .LBB262_51
; %bb.40:                               ;   in Loop: Header=BB262_38 Depth=1
	v_cmp_eq_u32_e64 s[2:3], v24, v22
	v_cmp_ne_u32_e64 s[4:5], v24, v22
	v_mov_b32_e32 v1, v18
	;; [unrolled: 6-line block ×6, first 2 shown]
	s_and_saveexec_b64 s[30:31], s[10:11]
	s_xor_b64 s[30:31], exec, s[30:31]
; %bb.45:                               ;   in Loop: Header=BB262_38 Depth=1
	v_cmp_eq_u32_e64 s[10:11], v24, v13
	s_andn2_b64 s[28:29], s[28:29], exec
	s_and_b64 s[10:11], s[10:11], exec
	s_or_b64 s[28:29], s[28:29], s[10:11]
	v_mov_b32_e32 v1, v11
; %bb.46:                               ;   in Loop: Header=BB262_38 Depth=1
	s_or_b64 exec, exec, s[30:31]
	s_andn2_b64 s[8:9], s[8:9], exec
	s_and_b64 s[10:11], s[28:29], exec
	s_or_b64 s[8:9], s[8:9], s[10:11]
.LBB262_47:                             ;   in Loop: Header=BB262_38 Depth=1
	s_or_b64 exec, exec, s[26:27]
	s_andn2_b64 s[6:7], s[6:7], exec
	s_and_b64 s[8:9], s[8:9], exec
	s_or_b64 s[6:7], s[6:7], s[8:9]
.LBB262_48:                             ;   in Loop: Header=BB262_38 Depth=1
	s_or_b64 exec, exec, s[24:25]
	s_andn2_b64 s[4:5], s[4:5], exec
	s_and_b64 s[6:7], s[6:7], exec
	s_or_b64 s[4:5], s[4:5], s[6:7]
.LBB262_49:                             ;   in Loop: Header=BB262_38 Depth=1
	s_or_b64 exec, exec, s[22:23]
	s_andn2_b64 s[2:3], s[2:3], exec
	s_and_b64 s[4:5], s[4:5], exec
	s_or_b64 s[2:3], s[2:3], s[4:5]
.LBB262_50:                             ;   in Loop: Header=BB262_38 Depth=1
	s_or_b64 exec, exec, s[20:21]
	s_andn2_b64 s[0:1], s[0:1], exec
	s_and_b64 s[2:3], s[2:3], exec
	s_or_b64 s[0:1], s[0:1], s[2:3]
.LBB262_51:                             ;   in Loop: Header=BB262_38 Depth=1
	s_or_b64 exec, exec, s[18:19]
	s_andn2_b64 s[2:3], vcc, exec
	s_and_b64 s[0:1], s[0:1], exec
	s_or_b64 vcc, s[2:3], s[0:1]
.LBB262_52:                             ;   in Loop: Header=BB262_38 Depth=1
	s_or_b64 exec, exec, s[16:17]
	s_and_saveexec_b64 s[0:1], vcc
	s_cbranch_execz .LBB262_54
; %bb.53:                               ;   in Loop: Header=BB262_38 Depth=1
	scratch_load_dword v1, v1, off
	v_add_u32_e32 v24, s15, v0
	v_ashrrev_i32_e32 v25, 31, v24
	v_lshl_add_u64 v[24:25], v[24:25], 2, s[12:13]
	s_waitcnt vmcnt(0)
	v_mul_f32_e32 v1, v8, v1
	global_store_dword v[24:25], v1, off
.LBB262_54:                             ;   in Loop: Header=BB262_38 Depth=1
	s_or_b64 exec, exec, s[0:1]
	global_load_dword v24, v[6:7], off
	v_mov_b32_e32 v1, 0
	s_waitcnt vmcnt(0)
	v_cmp_eq_u32_e64 s[8:9], v24, v10
	v_cmp_ne_u32_e32 vcc, v24, v10
	s_and_saveexec_b64 s[10:11], vcc
	s_cbranch_execz .LBB262_68
; %bb.55:                               ;   in Loop: Header=BB262_38 Depth=1
	v_cmp_eq_u32_e32 vcc, v24, v23
	v_cmp_ne_u32_e64 s[0:1], v24, v23
	v_mov_b32_e32 v1, v20
	s_and_saveexec_b64 s[16:17], s[0:1]
	s_cbranch_execz .LBB262_67
; %bb.56:                               ;   in Loop: Header=BB262_38 Depth=1
	v_cmp_eq_u32_e64 s[0:1], v24, v22
	v_cmp_ne_u32_e64 s[2:3], v24, v22
	v_mov_b32_e32 v1, v18
	s_and_saveexec_b64 s[18:19], s[2:3]
	s_cbranch_execz .LBB262_66
; %bb.57:                               ;   in Loop: Header=BB262_38 Depth=1
	v_cmp_eq_u32_e64 s[2:3], v24, v21
	;; [unrolled: 6-line block ×5, first 2 shown]
	v_cmp_ne_u32_e64 s[6:7], v24, v15
	v_mov_b32_e32 v1, v9
	s_and_saveexec_b64 s[30:31], s[6:7]
; %bb.61:                               ;   in Loop: Header=BB262_38 Depth=1
	v_cmp_eq_u32_e64 s[6:7], v24, v13
	s_andn2_b64 s[28:29], s[28:29], exec
	s_and_b64 s[6:7], s[6:7], exec
	s_or_b64 s[28:29], s[28:29], s[6:7]
	v_mov_b32_e32 v1, v11
; %bb.62:                               ;   in Loop: Header=BB262_38 Depth=1
	s_or_b64 exec, exec, s[30:31]
	s_andn2_b64 s[6:7], s[24:25], exec
	s_and_b64 s[24:25], s[28:29], exec
	s_or_b64 s[24:25], s[6:7], s[24:25]
.LBB262_63:                             ;   in Loop: Header=BB262_38 Depth=1
	s_or_b64 exec, exec, s[26:27]
	s_andn2_b64 s[4:5], s[4:5], exec
	s_and_b64 s[6:7], s[24:25], exec
	s_or_b64 s[4:5], s[4:5], s[6:7]
.LBB262_64:                             ;   in Loop: Header=BB262_38 Depth=1
	s_or_b64 exec, exec, s[22:23]
	s_andn2_b64 s[2:3], s[2:3], exec
	s_and_b64 s[4:5], s[4:5], exec
	s_or_b64 s[2:3], s[2:3], s[4:5]
.LBB262_65:                             ;   in Loop: Header=BB262_38 Depth=1
	s_or_b64 exec, exec, s[20:21]
	s_andn2_b64 s[0:1], s[0:1], exec
	s_and_b64 s[2:3], s[2:3], exec
	s_or_b64 s[0:1], s[0:1], s[2:3]
.LBB262_66:                             ;   in Loop: Header=BB262_38 Depth=1
	s_or_b64 exec, exec, s[18:19]
	s_andn2_b64 s[2:3], vcc, exec
	s_and_b64 s[0:1], s[0:1], exec
	s_or_b64 vcc, s[2:3], s[0:1]
.LBB262_67:                             ;   in Loop: Header=BB262_38 Depth=1
	s_or_b64 exec, exec, s[16:17]
	s_andn2_b64 s[0:1], s[8:9], exec
	s_and_b64 s[2:3], vcc, exec
	s_or_b64 s[8:9], s[0:1], s[2:3]
.LBB262_68:                             ;   in Loop: Header=BB262_38 Depth=1
	s_or_b64 exec, exec, s[10:11]
	s_and_saveexec_b64 s[0:1], s[8:9]
	s_cbranch_execz .LBB262_37
; %bb.69:                               ;   in Loop: Header=BB262_38 Depth=1
	scratch_load_dword v1, v1, off
	s_waitcnt vmcnt(0)
	v_mul_f32_e32 v1, v8, v1
	global_store_dword v[4:5], v1, off
	s_branch .LBB262_37
.LBB262_70:
	s_bitcmp0_b32 s33, 0
	s_mov_b32 s15, 0
	s_cbranch_scc1 .LBB262_32
; %bb.71:
	v_lshl_add_u64 v[2:3], s[14:15], 2, v[2:3]
	global_load_dword v1, v[2:3], off
	v_mov_b32_e32 v2, 0
	s_waitcnt vmcnt(0)
	v_cmp_eq_u32_e64 s[8:9], v1, v10
	v_cmp_ne_u32_e32 vcc, v1, v10
	s_and_saveexec_b64 s[10:11], vcc
	s_cbranch_execz .LBB262_85
; %bb.72:
	v_cmp_eq_u32_e32 vcc, v1, v23
	v_cmp_ne_u32_e64 s[0:1], v1, v23
	s_and_saveexec_b64 s[16:17], s[0:1]
	s_cbranch_execz .LBB262_84
; %bb.73:
	v_cmp_eq_u32_e64 s[0:1], v1, v22
	v_cmp_ne_u32_e64 s[2:3], v1, v22
	s_and_saveexec_b64 s[18:19], s[2:3]
	s_cbranch_execz .LBB262_83
; %bb.74:
	v_cmp_eq_u32_e64 s[2:3], v1, v21
	;; [unrolled: 5-line block ×5, first 2 shown]
	v_cmp_ne_u32_e64 s[6:7], v1, v15
	s_and_saveexec_b64 s[30:31], s[6:7]
; %bb.78:
	v_cmp_eq_u32_e64 s[6:7], v1, v13
	s_andn2_b64 s[28:29], s[28:29], exec
	s_and_b64 s[6:7], s[6:7], exec
	s_or_b64 s[28:29], s[28:29], s[6:7]
	v_mov_b32_e32 v9, v11
; %bb.79:
	s_or_b64 exec, exec, s[30:31]
	s_andn2_b64 s[6:7], s[24:25], exec
	s_and_b64 s[24:25], s[28:29], exec
	s_or_b64 s[24:25], s[6:7], s[24:25]
	v_mov_b32_e32 v12, v9
.LBB262_80:
	s_or_b64 exec, exec, s[26:27]
	s_andn2_b64 s[4:5], s[4:5], exec
	s_and_b64 s[6:7], s[24:25], exec
	s_or_b64 s[4:5], s[4:5], s[6:7]
	v_mov_b32_e32 v14, v12
.LBB262_81:
	s_or_b64 exec, exec, s[22:23]
	s_andn2_b64 s[2:3], s[2:3], exec
	s_and_b64 s[4:5], s[4:5], exec
	s_or_b64 s[2:3], s[2:3], s[4:5]
	v_mov_b32_e32 v16, v14
.LBB262_82:
	s_or_b64 exec, exec, s[20:21]
	s_andn2_b64 s[0:1], s[0:1], exec
	s_and_b64 s[2:3], s[2:3], exec
	s_or_b64 s[0:1], s[0:1], s[2:3]
	v_mov_b32_e32 v18, v16
.LBB262_83:
	s_or_b64 exec, exec, s[18:19]
	s_andn2_b64 s[2:3], vcc, exec
	s_and_b64 s[0:1], s[0:1], exec
	s_or_b64 vcc, s[2:3], s[0:1]
	v_mov_b32_e32 v20, v18
.LBB262_84:
	s_or_b64 exec, exec, s[16:17]
	s_andn2_b64 s[0:1], s[8:9], exec
	s_and_b64 s[2:3], vcc, exec
	s_or_b64 s[8:9], s[0:1], s[2:3]
	v_mov_b32_e32 v2, v20
.LBB262_85:
	s_or_b64 exec, exec, s[10:11]
	s_and_b64 exec, exec, s[8:9]
	s_cbranch_execz .LBB262_32
; %bb.86:
	scratch_load_dword v2, v2, off
	v_add_u32_e32 v0, s14, v0
	v_ashrrev_i32_e32 v1, 31, v0
	s_waitcnt lgkmcnt(0)
	v_lshl_add_u64 v[0:1], v[0:1], 2, s[12:13]
	s_waitcnt vmcnt(0)
	v_mul_f32_e32 v2, v8, v2
	global_store_dword v[0:1], v2, off
	s_endpgm
	.section	.rodata,"a",@progbits
	.p2align	6, 0x0
	.amdhsa_kernel _ZN4vllm3moe22topkGatingSoftplusSqrtILi8ELi32ELi4ELi16ELi32ELb1Ej6__halfEEvPKT6_PKbPfiPT5_PiiiibdPKfPKS9_SF_
		.amdhsa_group_segment_fixed_size 0
		.amdhsa_private_segment_fixed_size 48
		.amdhsa_kernarg_size 96
		.amdhsa_user_sgpr_count 2
		.amdhsa_user_sgpr_dispatch_ptr 0
		.amdhsa_user_sgpr_queue_ptr 0
		.amdhsa_user_sgpr_kernarg_segment_ptr 1
		.amdhsa_user_sgpr_dispatch_id 0
		.amdhsa_user_sgpr_kernarg_preload_length 0
		.amdhsa_user_sgpr_kernarg_preload_offset 0
		.amdhsa_user_sgpr_private_segment_size 0
		.amdhsa_uses_dynamic_stack 0
		.amdhsa_enable_private_segment 1
		.amdhsa_system_sgpr_workgroup_id_x 1
		.amdhsa_system_sgpr_workgroup_id_y 0
		.amdhsa_system_sgpr_workgroup_id_z 0
		.amdhsa_system_sgpr_workgroup_info 0
		.amdhsa_system_vgpr_workitem_id 1
		.amdhsa_next_free_vgpr 27
		.amdhsa_next_free_sgpr 34
		.amdhsa_accum_offset 28
		.amdhsa_reserve_vcc 1
		.amdhsa_float_round_mode_32 0
		.amdhsa_float_round_mode_16_64 0
		.amdhsa_float_denorm_mode_32 3
		.amdhsa_float_denorm_mode_16_64 3
		.amdhsa_dx10_clamp 1
		.amdhsa_ieee_mode 1
		.amdhsa_fp16_overflow 0
		.amdhsa_tg_split 0
		.amdhsa_exception_fp_ieee_invalid_op 0
		.amdhsa_exception_fp_denorm_src 0
		.amdhsa_exception_fp_ieee_div_zero 0
		.amdhsa_exception_fp_ieee_overflow 0
		.amdhsa_exception_fp_ieee_underflow 0
		.amdhsa_exception_fp_ieee_inexact 0
		.amdhsa_exception_int_div_zero 0
	.end_amdhsa_kernel
	.section	.text._ZN4vllm3moe22topkGatingSoftplusSqrtILi8ELi32ELi4ELi16ELi32ELb1Ej6__halfEEvPKT6_PKbPfiPT5_PiiiibdPKfPKS9_SF_,"axG",@progbits,_ZN4vllm3moe22topkGatingSoftplusSqrtILi8ELi32ELi4ELi16ELi32ELb1Ej6__halfEEvPKT6_PKbPfiPT5_PiiiibdPKfPKS9_SF_,comdat
.Lfunc_end262:
	.size	_ZN4vllm3moe22topkGatingSoftplusSqrtILi8ELi32ELi4ELi16ELi32ELb1Ej6__halfEEvPKT6_PKbPfiPT5_PiiiibdPKfPKS9_SF_, .Lfunc_end262-_ZN4vllm3moe22topkGatingSoftplusSqrtILi8ELi32ELi4ELi16ELi32ELb1Ej6__halfEEvPKT6_PKbPfiPT5_PiiiibdPKfPKS9_SF_
                                        ; -- End function
	.section	.AMDGPU.csdata,"",@progbits
; Kernel info:
; codeLenInByte = 4500
; NumSgprs: 40
; NumVgprs: 27
; NumAgprs: 0
; TotalNumVgprs: 27
; ScratchSize: 48
; MemoryBound: 0
; FloatMode: 240
; IeeeMode: 1
; LDSByteSize: 0 bytes/workgroup (compile time only)
; SGPRBlocks: 4
; VGPRBlocks: 3
; NumSGPRsForWavesPerEU: 40
; NumVGPRsForWavesPerEU: 27
; AccumOffset: 28
; Occupancy: 8
; WaveLimiterHint : 1
; COMPUTE_PGM_RSRC2:SCRATCH_EN: 1
; COMPUTE_PGM_RSRC2:USER_SGPR: 2
; COMPUTE_PGM_RSRC2:TRAP_HANDLER: 0
; COMPUTE_PGM_RSRC2:TGID_X_EN: 1
; COMPUTE_PGM_RSRC2:TGID_Y_EN: 0
; COMPUTE_PGM_RSRC2:TGID_Z_EN: 0
; COMPUTE_PGM_RSRC2:TIDIG_COMP_CNT: 1
; COMPUTE_PGM_RSRC3_GFX90A:ACCUM_OFFSET: 6
; COMPUTE_PGM_RSRC3_GFX90A:TG_SPLIT: 0
	.section	.text._ZN4vllm3moe22topkGatingSoftplusSqrtILi8ELi32ELi4ELi16ELi32ELb0Ej6__halfEEvPKT6_PKbPfiPT5_PiiiibdPKfPKS9_SF_,"axG",@progbits,_ZN4vllm3moe22topkGatingSoftplusSqrtILi8ELi32ELi4ELi16ELi32ELb0Ej6__halfEEvPKT6_PKbPfiPT5_PiiiibdPKfPKS9_SF_,comdat
	.protected	_ZN4vllm3moe22topkGatingSoftplusSqrtILi8ELi32ELi4ELi16ELi32ELb0Ej6__halfEEvPKT6_PKbPfiPT5_PiiiibdPKfPKS9_SF_ ; -- Begin function _ZN4vllm3moe22topkGatingSoftplusSqrtILi8ELi32ELi4ELi16ELi32ELb0Ej6__halfEEvPKT6_PKbPfiPT5_PiiiibdPKfPKS9_SF_
	.globl	_ZN4vllm3moe22topkGatingSoftplusSqrtILi8ELi32ELi4ELi16ELi32ELb0Ej6__halfEEvPKT6_PKbPfiPT5_PiiiibdPKfPKS9_SF_
	.p2align	8
	.type	_ZN4vllm3moe22topkGatingSoftplusSqrtILi8ELi32ELi4ELi16ELi32ELb0Ej6__halfEEvPKT6_PKbPfiPT5_PiiiibdPKfPKS9_SF_,@function
_ZN4vllm3moe22topkGatingSoftplusSqrtILi8ELi32ELi4ELi16ELi32ELb0Ej6__halfEEvPKT6_PKbPfiPT5_PiiiibdPKfPKS9_SF_: ; @_ZN4vllm3moe22topkGatingSoftplusSqrtILi8ELi32ELi4ELi16ELi32ELb0Ej6__halfEEvPKT6_PKbPfiPT5_PiiiibdPKfPKS9_SF_
; %bb.0:
	s_load_dword s33, s[0:1], 0x18
	v_bfe_u32 v1, v0, 10, 10
	v_and_b32_e32 v0, 0x3ff, v0
	s_lshl_b32 s2, s2, 5
	v_lshlrev_b32_e32 v1, 3, v1
	v_lshrrev_b32_e32 v2, 2, v0
	v_add3_u32 v8, s2, v1, v2
	s_waitcnt lgkmcnt(0)
	v_cmp_gt_i32_e32 vcc, s33, v8
	s_and_saveexec_b64 s[2:3], vcc
	s_cbranch_execz .LBB263_53
; %bb.1:
	s_load_dwordx4 s[4:7], s[0:1], 0x0
	s_load_dwordx2 s[34:35], s[0:1], 0x10
	s_waitcnt lgkmcnt(0)
	s_cmp_eq_u64 s[6:7], 0
	s_cbranch_scc1 .LBB263_3
; %bb.2:
	v_ashrrev_i32_e32 v9, 31, v8
	v_lshl_add_u64 v[2:3], s[6:7], 0, v[8:9]
	global_load_ubyte v1, v[2:3], off
	s_waitcnt vmcnt(0)
	v_and_b32_e32 v1, 1, v1
	v_cmp_eq_u32_e32 vcc, 1, v1
	s_xor_b64 s[2:3], vcc, -1
	s_orn2_b64 s[36:37], s[2:3], exec
	s_branch .LBB263_4
.LBB263_3:
	s_mov_b64 s[36:37], -1
.LBB263_4:
	v_lshlrev_b32_e32 v4, 5, v8
	v_mov_b32_e32 v2, s4
	v_mov_b32_e32 v3, s5
	v_ashrrev_i32_e32 v5, 31, v4
	v_and_b32_e32 v9, 3, v0
	v_lshl_add_u64 v[2:3], v[4:5], 1, v[2:3]
	v_mov_b32_e32 v1, 0
	v_lshlrev_b32_e32 v0, 4, v9
	v_lshl_add_u64 v[0:1], v[2:3], 0, v[0:1]
	global_load_dwordx4 v[4:7], v[0:1], off
	s_mov_b32 s12, 0x800000
	v_mov_b32_e32 v2, 0x4f800000
	s_mov_b32 s9, 0x3f317217
	s_mov_b32 s10, 0x7f800000
	v_mov_b32_e32 v3, 0x41b17218
	s_movk_i32 s8, 0x4d00
	s_mov_b32 s11, 0xf800000
	s_load_dwordx4 s[20:23], s[0:1], 0x40
	v_lshlrev_b32_e32 v12, 3, v9
	s_waitcnt lgkmcnt(0)
	s_cmp_lg_u64 s[22:23], 0
	s_cselect_b64 s[6:7], -1, 0
	s_and_b64 s[2:3], exec, s[6:7]
	s_waitcnt vmcnt(0)
	v_cvt_f32_f16_e32 v0, v4
	v_mul_f32_e32 v1, 0x3fb8aa3b, v0
	v_exp_f32_e32 v10, v1
	v_mov_b32_e32 v1, 0x260
	v_add_f32_e32 v10, 1.0, v10
	v_cmp_gt_f32_e32 vcc, s12, v10
	s_nop 1
	v_cndmask_b32_e32 v11, 1.0, v2, vcc
	v_mul_f32_e32 v10, v10, v11
	v_log_f32_e32 v11, v10
	v_cndmask_b32_e32 v13, 0, v3, vcc
	v_lshlrev_b32_e32 v10, 2, v12
	v_mul_f32_e32 v14, 0x3f317217, v11
	v_fma_f32 v14, v11, s9, -v14
	v_fmac_f32_e32 v14, 0x3377d1cf, v11
	v_fmac_f32_e32 v14, 0x3f317217, v11
	v_cmp_lt_f32_e64 vcc, |v11|, s10
	s_nop 1
	v_cndmask_b32_e32 v11, v11, v14, vcc
	v_sub_f32_e32 v11, v11, v13
	v_cmp_lt_f16_e32 vcc, s8, v4
	s_nop 1
	v_cndmask_b32_e32 v0, v11, v0, vcc
	v_mul_f32_e32 v11, 0x4f800000, v0
	v_cmp_gt_f32_e32 vcc, s11, v0
	s_nop 1
	v_cndmask_b32_e32 v0, v0, v11, vcc
	v_sqrt_f32_e32 v11, v0
	s_nop 0
	v_add_u32_e32 v13, -1, v11
	v_add_u32_e32 v14, 1, v11
	v_fma_f32 v15, -v13, v11, v0
	v_fma_f32 v16, -v14, v11, v0
	v_cmp_ge_f32_e64 s[4:5], 0, v15
	s_nop 1
	v_cndmask_b32_e64 v11, v11, v13, s[4:5]
	v_cmp_lt_f32_e64 s[4:5], 0, v16
	s_nop 1
	v_cndmask_b32_e64 v11, v11, v14, s[4:5]
	v_mul_f32_e32 v13, 0x37800000, v11
	v_cndmask_b32_e32 v11, v11, v13, vcc
	v_cmp_class_f32_e32 vcc, v0, v1
	s_nop 1
	v_cndmask_b32_e32 v0, v11, v0, vcc
	s_mov_b64 vcc, s[2:3]
	s_cbranch_vccz .LBB263_6
; %bb.5:
	global_load_dword v11, v10, s[22:23]
	s_waitcnt vmcnt(0)
	v_add_f32_e32 v0, v0, v11
.LBB263_6:
	v_cvt_f32_f16_sdwa v11, v4 dst_sel:DWORD dst_unused:UNUSED_PAD src0_sel:WORD_1
	v_mul_f32_e32 v13, 0x3fb8aa3b, v11
	v_exp_f32_e32 v13, v13
	s_nop 0
	v_add_f32_e32 v13, 1.0, v13
	v_cmp_gt_f32_e32 vcc, s12, v13
	s_nop 1
	v_cndmask_b32_e32 v2, 1.0, v2, vcc
	v_mul_f32_e32 v2, v13, v2
	v_log_f32_e32 v2, v2
	v_cndmask_b32_e32 v3, 0, v3, vcc
	v_mul_f32_e32 v13, 0x3f317217, v2
	v_fma_f32 v13, v2, s9, -v13
	v_fmac_f32_e32 v13, 0x3377d1cf, v2
	v_fmac_f32_e32 v13, 0x3f317217, v2
	v_cmp_lt_f32_e64 vcc, |v2|, s10
	s_nop 1
	v_cndmask_b32_e32 v2, v2, v13, vcc
	v_sub_f32_e32 v2, v2, v3
	v_cmp_gt_f16_sdwa vcc, v4, s8 src0_sel:WORD_1 src1_sel:DWORD
	v_cndmask_b32_e64 v4, 0, 1, s[6:7]
	v_cmp_ne_u32_e64 s[2:3], 1, v4
	v_cndmask_b32_e32 v2, v2, v11, vcc
	v_mul_f32_e32 v3, 0x4f800000, v2
	v_cmp_gt_f32_e64 s[4:5], s11, v2
	s_andn2_b64 vcc, exec, s[6:7]
	s_nop 0
	v_cndmask_b32_e64 v2, v2, v3, s[4:5]
	v_sqrt_f32_e32 v3, v2
	s_nop 0
	v_add_u32_e32 v4, -1, v3
	v_add_u32_e32 v11, 1, v3
	v_fma_f32 v13, -v4, v3, v2
	v_fma_f32 v14, -v11, v3, v2
	v_cmp_ge_f32_e64 s[6:7], 0, v13
	s_nop 1
	v_cndmask_b32_e64 v3, v3, v4, s[6:7]
	v_cmp_lt_f32_e64 s[6:7], 0, v14
	s_nop 1
	v_cndmask_b32_e64 v3, v3, v11, s[6:7]
	v_mul_f32_e32 v4, 0x37800000, v3
	v_cndmask_b32_e64 v3, v3, v4, s[4:5]
	v_cmp_class_f32_e64 s[4:5], v2, v1
	s_nop 1
	v_cndmask_b32_e64 v1, v3, v2, s[4:5]
	s_cbranch_vccnz .LBB263_8
; %bb.7:
	global_load_dword v2, v10, s[22:23] offset:4
	s_waitcnt vmcnt(0)
	v_add_f32_e32 v1, v1, v2
.LBB263_8:
	v_cvt_f32_f16_e32 v2, v5
	s_mov_b32 s8, 0x800000
	v_mov_b32_e32 v4, 0x4f800000
	s_mov_b32 s7, 0x3f317217
	v_mul_f32_e32 v3, 0x3fb8aa3b, v2
	v_exp_f32_e32 v3, v3
	s_mov_b32 s9, 0x7f800000
	s_movk_i32 s6, 0x4d00
	s_mov_b32 s10, 0xf800000
	v_add_f32_e32 v3, 1.0, v3
	v_cmp_gt_f32_e32 vcc, s8, v3
	s_nop 1
	v_cndmask_b32_e32 v11, 1.0, v4, vcc
	v_mul_f32_e32 v3, v3, v11
	v_log_f32_e32 v3, v3
	v_mov_b32_e32 v11, 0x41b17218
	v_cndmask_b32_e32 v13, 0, v11, vcc
	v_mul_f32_e32 v14, 0x3f317217, v3
	v_fma_f32 v14, v3, s7, -v14
	v_fmac_f32_e32 v14, 0x3377d1cf, v3
	v_fmac_f32_e32 v14, 0x3f317217, v3
	v_cmp_lt_f32_e64 vcc, |v3|, s9
	s_nop 1
	v_cndmask_b32_e32 v3, v3, v14, vcc
	v_sub_f32_e32 v3, v3, v13
	v_cmp_lt_f16_e32 vcc, s6, v5
	s_nop 1
	v_cndmask_b32_e32 v2, v3, v2, vcc
	v_mul_f32_e32 v3, 0x4f800000, v2
	v_cmp_gt_f32_e32 vcc, s10, v2
	s_nop 1
	v_cndmask_b32_e32 v2, v2, v3, vcc
	v_sqrt_f32_e32 v3, v2
	s_nop 0
	v_add_u32_e32 v13, -1, v3
	v_fma_f32 v14, -v13, v3, v2
	v_cmp_ge_f32_e64 s[4:5], 0, v14
	v_add_u32_e32 v14, 1, v3
	s_nop 0
	v_cndmask_b32_e64 v13, v3, v13, s[4:5]
	v_fma_f32 v3, -v14, v3, v2
	v_cmp_lt_f32_e64 s[4:5], 0, v3
	s_nop 1
	v_cndmask_b32_e64 v3, v13, v14, s[4:5]
	v_mul_f32_e32 v13, 0x37800000, v3
	v_cndmask_b32_e32 v13, v3, v13, vcc
	v_mov_b32_e32 v3, 0x260
	v_cmp_class_f32_e64 s[4:5], v2, v3
	s_and_b64 vcc, exec, s[2:3]
	s_nop 0
	v_cndmask_b32_e64 v2, v13, v2, s[4:5]
	s_cbranch_vccnz .LBB263_10
; %bb.9:
	global_load_dword v13, v10, s[22:23] offset:8
	s_waitcnt vmcnt(0)
	v_add_f32_e32 v2, v2, v13
.LBB263_10:
	v_cvt_f32_f16_sdwa v13, v5 dst_sel:DWORD dst_unused:UNUSED_PAD src0_sel:WORD_1
	v_mul_f32_e32 v14, 0x3fb8aa3b, v13
	v_exp_f32_e32 v14, v14
	s_nop 0
	v_add_f32_e32 v14, 1.0, v14
	v_cmp_gt_f32_e32 vcc, s8, v14
	s_nop 1
	v_cndmask_b32_e32 v4, 1.0, v4, vcc
	v_mul_f32_e32 v4, v14, v4
	v_log_f32_e32 v4, v4
	v_cndmask_b32_e32 v11, 0, v11, vcc
	v_mul_f32_e32 v14, 0x3f317217, v4
	v_fma_f32 v14, v4, s7, -v14
	v_fmac_f32_e32 v14, 0x3377d1cf, v4
	v_fmac_f32_e32 v14, 0x3f317217, v4
	v_cmp_lt_f32_e64 vcc, |v4|, s9
	s_nop 1
	v_cndmask_b32_e32 v4, v4, v14, vcc
	v_sub_f32_e32 v4, v4, v11
	v_cmp_gt_f16_sdwa vcc, v5, s6 src0_sel:WORD_1 src1_sel:DWORD
	s_nop 1
	v_cndmask_b32_e32 v4, v4, v13, vcc
	v_mul_f32_e32 v5, 0x4f800000, v4
	v_cmp_gt_f32_e64 s[4:5], s10, v4
	s_and_b64 vcc, exec, s[2:3]
	s_nop 0
	v_cndmask_b32_e64 v4, v4, v5, s[4:5]
	v_sqrt_f32_e32 v5, v4
	s_nop 0
	v_add_u32_e32 v11, -1, v5
	v_add_u32_e32 v13, 1, v5
	v_fma_f32 v14, -v11, v5, v4
	v_fma_f32 v15, -v13, v5, v4
	v_cmp_ge_f32_e64 s[6:7], 0, v14
	s_nop 1
	v_cndmask_b32_e64 v5, v5, v11, s[6:7]
	v_cmp_lt_f32_e64 s[6:7], 0, v15
	s_nop 1
	v_cndmask_b32_e64 v5, v5, v13, s[6:7]
	v_mul_f32_e32 v11, 0x37800000, v5
	v_cndmask_b32_e64 v5, v5, v11, s[4:5]
	v_cmp_class_f32_e64 s[4:5], v4, v3
	s_nop 1
	v_cndmask_b32_e64 v3, v5, v4, s[4:5]
	s_cbranch_vccnz .LBB263_12
; %bb.11:
	global_load_dword v4, v10, s[22:23] offset:12
	s_waitcnt vmcnt(0)
	v_add_f32_e32 v3, v3, v4
.LBB263_12:
	v_cvt_f32_f16_e32 v4, v6
	v_mov_b32_e32 v11, 0x4f800000
	s_mov_b32 s7, 0x3f317217
	s_movk_i32 s6, 0x4d00
	v_mul_f32_e32 v5, 0x3fb8aa3b, v4
	v_exp_f32_e32 v5, v5
	s_nop 0
	v_add_f32_e32 v5, 1.0, v5
	v_cmp_gt_f32_e32 vcc, s8, v5
	s_nop 1
	v_cndmask_b32_e32 v13, 1.0, v11, vcc
	v_mul_f32_e32 v5, v5, v13
	v_log_f32_e32 v5, v5
	v_mov_b32_e32 v13, 0x41b17218
	v_cndmask_b32_e32 v14, 0, v13, vcc
	v_mul_f32_e32 v15, 0x3f317217, v5
	v_fma_f32 v15, v5, s7, -v15
	v_fmac_f32_e32 v15, 0x3377d1cf, v5
	v_fmac_f32_e32 v15, 0x3f317217, v5
	v_cmp_lt_f32_e64 vcc, |v5|, s9
	s_nop 1
	v_cndmask_b32_e32 v5, v5, v15, vcc
	v_sub_f32_e32 v5, v5, v14
	v_cmp_lt_f16_e32 vcc, s6, v6
	s_nop 1
	v_cndmask_b32_e32 v4, v5, v4, vcc
	v_mul_f32_e32 v5, 0x4f800000, v4
	v_cmp_gt_f32_e32 vcc, s10, v4
	s_nop 1
	v_cndmask_b32_e32 v4, v4, v5, vcc
	v_sqrt_f32_e32 v5, v4
	s_nop 0
	v_add_u32_e32 v14, -1, v5
	v_fma_f32 v15, -v14, v5, v4
	v_cmp_ge_f32_e64 s[4:5], 0, v15
	v_add_u32_e32 v15, 1, v5
	s_nop 0
	v_cndmask_b32_e64 v14, v5, v14, s[4:5]
	v_fma_f32 v5, -v15, v5, v4
	v_cmp_lt_f32_e64 s[4:5], 0, v5
	s_nop 1
	v_cndmask_b32_e64 v5, v14, v15, s[4:5]
	v_mul_f32_e32 v14, 0x37800000, v5
	v_cndmask_b32_e32 v14, v5, v14, vcc
	v_mov_b32_e32 v5, 0x260
	v_cmp_class_f32_e64 s[4:5], v4, v5
	s_and_b64 vcc, exec, s[2:3]
	s_nop 0
	v_cndmask_b32_e64 v4, v14, v4, s[4:5]
	s_cbranch_vccnz .LBB263_14
; %bb.13:
	global_load_dword v14, v10, s[22:23] offset:16
	s_waitcnt vmcnt(0)
	v_add_f32_e32 v4, v4, v14
.LBB263_14:
	v_cvt_f32_f16_sdwa v14, v6 dst_sel:DWORD dst_unused:UNUSED_PAD src0_sel:WORD_1
	v_mul_f32_e32 v15, 0x3fb8aa3b, v14
	v_exp_f32_e32 v15, v15
	s_nop 0
	v_add_f32_e32 v15, 1.0, v15
	v_cmp_gt_f32_e32 vcc, s8, v15
	s_nop 1
	v_cndmask_b32_e32 v11, 1.0, v11, vcc
	v_mul_f32_e32 v11, v15, v11
	v_log_f32_e32 v11, v11
	v_cndmask_b32_e32 v13, 0, v13, vcc
	v_mul_f32_e32 v15, 0x3f317217, v11
	v_fma_f32 v15, v11, s7, -v15
	v_fmac_f32_e32 v15, 0x3377d1cf, v11
	v_fmac_f32_e32 v15, 0x3f317217, v11
	v_cmp_lt_f32_e64 vcc, |v11|, s9
	s_nop 1
	v_cndmask_b32_e32 v11, v11, v15, vcc
	v_sub_f32_e32 v11, v11, v13
	v_cmp_gt_f16_sdwa vcc, v6, s6 src0_sel:WORD_1 src1_sel:DWORD
	s_nop 1
	v_cndmask_b32_e32 v6, v11, v14, vcc
	v_mul_f32_e32 v11, 0x4f800000, v6
	v_cmp_gt_f32_e64 s[4:5], s10, v6
	s_and_b64 vcc, exec, s[2:3]
	s_nop 0
	v_cndmask_b32_e64 v6, v6, v11, s[4:5]
	v_sqrt_f32_e32 v11, v6
	s_nop 0
	v_add_u32_e32 v13, -1, v11
	v_add_u32_e32 v14, 1, v11
	v_fma_f32 v15, -v13, v11, v6
	v_fma_f32 v16, -v14, v11, v6
	v_cmp_ge_f32_e64 s[6:7], 0, v15
	s_nop 1
	v_cndmask_b32_e64 v11, v11, v13, s[6:7]
	v_cmp_lt_f32_e64 s[6:7], 0, v16
	s_nop 1
	v_cndmask_b32_e64 v11, v11, v14, s[6:7]
	v_mul_f32_e32 v13, 0x37800000, v11
	v_cndmask_b32_e64 v11, v11, v13, s[4:5]
	v_cmp_class_f32_e64 s[4:5], v6, v5
	s_nop 1
	v_cndmask_b32_e64 v5, v11, v6, s[4:5]
	s_cbranch_vccnz .LBB263_16
; %bb.15:
	global_load_dword v6, v10, s[22:23] offset:20
	s_waitcnt vmcnt(0)
	v_add_f32_e32 v5, v5, v6
.LBB263_16:
	v_cvt_f32_f16_e32 v6, v7
	v_mov_b32_e32 v13, 0x4f800000
	s_mov_b32 s7, 0x3f317217
	s_movk_i32 s6, 0x4d00
	v_mul_f32_e32 v11, 0x3fb8aa3b, v6
	v_exp_f32_e32 v11, v11
	s_nop 0
	v_add_f32_e32 v11, 1.0, v11
	v_cmp_gt_f32_e32 vcc, s8, v11
	s_nop 1
	v_cndmask_b32_e32 v14, 1.0, v13, vcc
	v_mul_f32_e32 v11, v11, v14
	v_log_f32_e32 v11, v11
	v_mov_b32_e32 v14, 0x41b17218
	v_cndmask_b32_e32 v15, 0, v14, vcc
	v_mul_f32_e32 v16, 0x3f317217, v11
	v_fma_f32 v16, v11, s7, -v16
	v_fmac_f32_e32 v16, 0x3377d1cf, v11
	v_fmac_f32_e32 v16, 0x3f317217, v11
	v_cmp_lt_f32_e64 vcc, |v11|, s9
	s_nop 1
	v_cndmask_b32_e32 v11, v11, v16, vcc
	v_sub_f32_e32 v11, v11, v15
	v_cmp_lt_f16_e32 vcc, s6, v7
	s_nop 1
	v_cndmask_b32_e32 v6, v11, v6, vcc
	v_mul_f32_e32 v11, 0x4f800000, v6
	v_cmp_gt_f32_e32 vcc, s10, v6
	s_nop 1
	v_cndmask_b32_e32 v6, v6, v11, vcc
	v_sqrt_f32_e32 v11, v6
	s_nop 0
	v_add_u32_e32 v15, -1, v11
	v_fma_f32 v16, -v15, v11, v6
	v_cmp_ge_f32_e64 s[4:5], 0, v16
	v_add_u32_e32 v16, 1, v11
	s_nop 0
	v_cndmask_b32_e64 v15, v11, v15, s[4:5]
	v_fma_f32 v11, -v16, v11, v6
	v_cmp_lt_f32_e64 s[4:5], 0, v11
	s_nop 1
	v_cndmask_b32_e64 v11, v15, v16, s[4:5]
	v_mul_f32_e32 v15, 0x37800000, v11
	v_cndmask_b32_e32 v15, v11, v15, vcc
	v_mov_b32_e32 v11, 0x260
	v_cmp_class_f32_e64 s[4:5], v6, v11
	s_and_b64 vcc, exec, s[2:3]
	s_nop 0
	v_cndmask_b32_e64 v6, v15, v6, s[4:5]
	s_cbranch_vccnz .LBB263_18
; %bb.17:
	global_load_dword v15, v10, s[22:23] offset:24
	s_waitcnt vmcnt(0)
	v_add_f32_e32 v6, v6, v15
.LBB263_18:
	v_cvt_f32_f16_sdwa v15, v7 dst_sel:DWORD dst_unused:UNUSED_PAD src0_sel:WORD_1
	v_mul_f32_e32 v16, 0x3fb8aa3b, v15
	v_exp_f32_e32 v16, v16
	s_nop 0
	v_add_f32_e32 v16, 1.0, v16
	v_cmp_gt_f32_e32 vcc, s8, v16
	s_nop 1
	v_cndmask_b32_e32 v13, 1.0, v13, vcc
	v_mul_f32_e32 v13, v16, v13
	v_log_f32_e32 v13, v13
	v_cndmask_b32_e32 v14, 0, v14, vcc
	v_mul_f32_e32 v16, 0x3f317217, v13
	v_fma_f32 v16, v13, s7, -v16
	v_fmac_f32_e32 v16, 0x3377d1cf, v13
	v_fmac_f32_e32 v16, 0x3f317217, v13
	v_cmp_lt_f32_e64 vcc, |v13|, s9
	s_nop 1
	v_cndmask_b32_e32 v13, v13, v16, vcc
	v_sub_f32_e32 v13, v13, v14
	v_cmp_gt_f16_sdwa vcc, v7, s6 src0_sel:WORD_1 src1_sel:DWORD
	s_nop 1
	v_cndmask_b32_e32 v7, v13, v15, vcc
	v_mul_f32_e32 v13, 0x4f800000, v7
	v_cmp_gt_f32_e64 s[4:5], s10, v7
	s_and_b64 vcc, exec, s[2:3]
	s_nop 0
	v_cndmask_b32_e64 v7, v7, v13, s[4:5]
	v_sqrt_f32_e32 v13, v7
	s_nop 0
	v_add_u32_e32 v14, -1, v13
	v_add_u32_e32 v15, 1, v13
	v_fma_f32 v16, -v14, v13, v7
	v_fma_f32 v17, -v15, v13, v7
	v_cmp_ge_f32_e64 s[6:7], 0, v16
	s_nop 1
	v_cndmask_b32_e64 v13, v13, v14, s[6:7]
	v_cmp_lt_f32_e64 s[6:7], 0, v17
	s_nop 1
	v_cndmask_b32_e64 v13, v13, v15, s[6:7]
	v_mul_f32_e32 v14, 0x37800000, v13
	v_cndmask_b32_e64 v13, v13, v14, s[4:5]
	v_cmp_class_f32_e64 s[4:5], v7, v11
	s_nop 1
	v_cndmask_b32_e64 v7, v13, v7, s[4:5]
	s_cbranch_vccnz .LBB263_20
; %bb.19:
	global_load_dword v10, v10, s[22:23] offset:28
	s_waitcnt vmcnt(0)
	v_add_f32_e32 v7, v7, v10
.LBB263_20:
	s_load_dwordx4 s[24:27], s[0:1], 0x30
	s_mov_b32 s42, 0
	v_cmp_eq_u32_e64 s[6:7], 0, v9
	s_waitcnt lgkmcnt(0)
	s_bitcmp1_b32 s27, 0
	s_cselect_b64 s[4:5], -1, 0
	s_cmp_gt_i32 s24, 0
	s_cselect_b64 s[38:39], -1, 0
	s_and_b64 vcc, exec, s[38:39]
	s_cbranch_vccz .LBB263_39
; %bb.21:
	v_mbcnt_lo_u32_b32 v10, -1, 0
	v_mbcnt_hi_u32_b32 v10, -1, v10
	v_and_b32_e32 v11, 0x7c, v10
	v_add_u32_e32 v11, 4, v11
	v_xor_b32_e32 v13, 2, v10
	v_cmp_lt_i32_e32 vcc, v13, v11
	s_load_dwordx4 s[28:31], s[0:1], 0x20
	v_mul_lo_u32 v14, v8, s24
	v_cndmask_b32_e32 v13, v10, v13, vcc
	v_lshlrev_b32_e32 v15, 2, v13
	v_xor_b32_e32 v13, 1, v10
	v_cmp_lt_i32_e32 vcc, v13, v11
	v_mov_b32_e32 v17, 0xc61c4000
	v_mov_b32_e32 v18, v8
	v_cndmask_b32_e32 v10, v10, v13, vcc
	v_lshlrev_b32_e32 v16, 2, v10
	v_mov_b32_e32 v13, 0
	s_branch .LBB263_24
.LBB263_22:                             ;   in Loop: Header=BB263_24 Depth=1
	s_or_b64 exec, exec, s[40:41]
.LBB263_23:                             ;   in Loop: Header=BB263_24 Depth=1
	s_cmp_eq_u32 s24, s42
	v_add_u32_e32 v18, s33, v18
	s_cbranch_scc1 .LBB263_40
.LBB263_24:                             ; =>This Inner Loop Header: Depth=1
	v_cmp_gt_f32_e32 vcc, v1, v0
	s_nop 1
	v_cndmask_b32_e32 v11, v0, v1, vcc
	v_cndmask_b32_e64 v10, 0, 1, vcc
	v_cmp_gt_f32_e32 vcc, v2, v11
	s_nop 1
	v_cndmask_b32_e32 v11, v11, v2, vcc
	v_cndmask_b32_e64 v10, v10, 2, vcc
	;; [unrolled: 4-line block ×6, first 2 shown]
	v_cmp_gt_f32_e32 vcc, v7, v11
	s_nop 1
	v_cndmask_b32_e64 v10, v10, 7, vcc
	v_cndmask_b32_e32 v19, v11, v7, vcc
	ds_bpermute_b32 v11, v15, v19
	v_or_b32_e32 v10, v12, v10
	s_waitcnt lgkmcnt(0)
	ds_bpermute_b32 v20, v15, v10
	s_waitcnt lgkmcnt(0)
	v_cmp_lt_f32_e64 s[8:9], v19, v11
	v_cmp_nlt_f32_e32 vcc, v19, v11
	s_and_saveexec_b64 s[10:11], vcc
; %bb.25:                               ;   in Loop: Header=BB263_24 Depth=1
	v_cmp_eq_f32_e32 vcc, v19, v11
	v_cmp_lt_i32_e64 s[0:1], v20, v10
	s_and_b64 s[0:1], vcc, s[0:1]
	s_andn2_b64 s[8:9], s[8:9], exec
	s_and_b64 s[0:1], s[0:1], exec
	s_or_b64 s[8:9], s[8:9], s[0:1]
; %bb.26:                               ;   in Loop: Header=BB263_24 Depth=1
	s_or_b64 exec, exec, s[10:11]
	s_and_saveexec_b64 s[0:1], s[8:9]
; %bb.27:                               ;   in Loop: Header=BB263_24 Depth=1
	v_mov_b32_e32 v19, v11
	v_mov_b32_e32 v10, v20
; %bb.28:                               ;   in Loop: Header=BB263_24 Depth=1
	s_or_b64 exec, exec, s[0:1]
	ds_bpermute_b32 v11, v16, v19
	ds_bpermute_b32 v20, v16, v10
	s_waitcnt lgkmcnt(1)
	v_cmp_lt_f32_e64 s[8:9], v19, v11
	v_cmp_nlt_f32_e32 vcc, v19, v11
	s_and_saveexec_b64 s[10:11], vcc
	s_cbranch_execnz .LBB263_32
; %bb.29:                               ;   in Loop: Header=BB263_24 Depth=1
	s_or_b64 exec, exec, s[10:11]
	s_and_saveexec_b64 s[0:1], s[8:9]
	s_cbranch_execnz .LBB263_33
.LBB263_30:                             ;   in Loop: Header=BB263_24 Depth=1
	s_or_b64 exec, exec, s[0:1]
	s_and_saveexec_b64 s[8:9], s[6:7]
	s_cbranch_execnz .LBB263_34
.LBB263_31:                             ;   in Loop: Header=BB263_24 Depth=1
	s_or_b64 exec, exec, s[8:9]
	s_add_i32 s42, s42, 1
	s_cmp_ge_i32 s42, s24
	s_cbranch_scc1 .LBB263_23
	s_branch .LBB263_37
.LBB263_32:                             ;   in Loop: Header=BB263_24 Depth=1
	v_cmp_eq_f32_e32 vcc, v19, v11
	s_waitcnt lgkmcnt(0)
	v_cmp_lt_i32_e64 s[0:1], v20, v10
	s_and_b64 s[0:1], vcc, s[0:1]
	s_andn2_b64 s[8:9], s[8:9], exec
	s_and_b64 s[0:1], s[0:1], exec
	s_or_b64 s[8:9], s[8:9], s[0:1]
	s_or_b64 exec, exec, s[10:11]
	s_and_saveexec_b64 s[0:1], s[8:9]
	s_cbranch_execz .LBB263_30
.LBB263_33:                             ;   in Loop: Header=BB263_24 Depth=1
	s_waitcnt lgkmcnt(0)
	v_mov_b32_e32 v10, v20
	v_mov_b32_e32 v19, v11
	s_or_b64 exec, exec, s[0:1]
	s_and_saveexec_b64 s[8:9], s[6:7]
	s_cbranch_execz .LBB263_31
.LBB263_34:                             ;   in Loop: Header=BB263_24 Depth=1
	s_and_b64 vcc, exec, s[2:3]
	s_cbranch_vccnz .LBB263_36
; %bb.35:                               ;   in Loop: Header=BB263_24 Depth=1
	v_ashrrev_i32_e32 v11, 31, v10
	s_waitcnt lgkmcnt(0)
	v_lshl_add_u64 v[20:21], v[10:11], 2, s[22:23]
	global_load_dword v11, v[20:21], off
	s_waitcnt vmcnt(0)
	v_sub_f32_e32 v19, v19, v11
.LBB263_36:                             ;   in Loop: Header=BB263_24 Depth=1
	s_waitcnt lgkmcnt(0)
	v_add_u32_e32 v20, s42, v14
	v_cmp_le_i32_e32 vcc, s25, v10
	v_cmp_gt_i32_e64 s[0:1], s26, v10
	v_ashrrev_i32_e32 v21, 31, v20
	s_and_b64 s[0:1], vcc, s[0:1]
	v_lshlrev_b64 v[20:21], 2, v[20:21]
	v_lshl_add_u64 v[22:23], s[34:35], 0, v[20:21]
	v_subrev_u32_e32 v11, s25, v10
	s_and_b64 vcc, s[36:37], s[0:1]
	global_store_dword v[22:23], v19, off
	v_cndmask_b32_e32 v11, 32, v11, vcc
	v_lshl_add_u64 v[22:23], s[28:29], 0, v[20:21]
	global_store_dword v[22:23], v11, off
	v_add_f32_e32 v11, v13, v19
	v_lshl_add_u64 v[20:21], s[30:31], 0, v[20:21]
	v_cndmask_b32_e64 v13, v13, v11, s[4:5]
	global_store_dword v[20:21], v18, off
	s_or_b64 exec, exec, s[8:9]
	s_add_i32 s42, s42, 1
	s_cmp_ge_i32 s42, s24
	s_cbranch_scc1 .LBB263_23
.LBB263_37:                             ;   in Loop: Header=BB263_24 Depth=1
	v_ashrrev_i32_e32 v19, 31, v10
	v_lshrrev_b32_e32 v11, 29, v19
	v_add_u32_e32 v11, v10, v11
	v_ashrrev_i32_e32 v11, 3, v11
	s_waitcnt lgkmcnt(0)
	v_lshrrev_b32_e32 v20, 30, v11
	v_add_u32_e32 v20, v11, v20
	v_and_b32_e32 v20, -4, v20
	v_sub_u32_e32 v20, v11, v20
	v_cmp_eq_u32_e32 vcc, v9, v20
	s_and_saveexec_b64 s[40:41], vcc
	s_cbranch_execz .LBB263_22
; %bb.38:                               ;   in Loop: Header=BB263_24 Depth=1
	v_lshrrev_b32_e32 v19, 27, v19
	v_add_u32_e32 v19, v10, v19
	v_lshlrev_b32_e32 v11, 3, v11
	v_sub_u32_e32 v10, v10, v11
	v_ashrrev_i32_e32 v11, 5, v19
	v_lshl_add_u32 v10, v11, 3, v10
	v_cmp_ne_u32_e32 vcc, 6, v10
	v_cmp_ne_u32_e64 s[0:1], 5, v10
	v_cmp_ne_u32_e64 s[8:9], 4, v10
	;; [unrolled: 1-line block ×7, first 2 shown]
	v_cndmask_b32_e32 v6, v17, v6, vcc
	v_cndmask_b32_e64 v5, v17, v5, s[0:1]
	v_cndmask_b32_e64 v7, v17, v7, s[18:19]
	;; [unrolled: 1-line block ×7, first 2 shown]
	s_branch .LBB263_22
.LBB263_39:
	v_mov_b32_e32 v13, 0
.LBB263_40:
	v_cmp_eq_u32_e32 vcc, 0, v9
	s_and_b64 exec, exec, vcc
	s_cbranch_execz .LBB263_53
; %bb.41:
	s_andn2_b64 vcc, exec, s[4:5]
	v_cvt_f32_f64_e32 v0, s[20:21]
	s_cbranch_vccnz .LBB263_43
; %bb.42:
	v_cmp_lt_f32_e32 vcc, 0, v13
	s_nop 1
	v_cndmask_b32_e32 v1, 1.0, v13, vcc
	v_div_scale_f32 v2, s[0:1], v1, v1, v0
	v_rcp_f32_e32 v3, v2
	s_nop 0
	v_fma_f32 v4, -v2, v3, 1.0
	v_fmac_f32_e32 v3, v4, v3
	v_div_scale_f32 v4, vcc, v0, v1, v0
	v_mul_f32_e32 v5, v4, v3
	v_fma_f32 v6, -v2, v5, v4
	v_fmac_f32_e32 v5, v6, v3
	v_fma_f32 v2, -v2, v5, v4
	v_div_fmas_f32 v2, v2, v3, v5
	v_div_fixup_f32 v0, v2, v1, v0
.LBB263_43:
	s_andn2_b64 vcc, exec, s[38:39]
	s_cbranch_vccnz .LBB263_53
; %bb.44:
	v_mul_lo_u32 v2, v8, s24
	s_cmp_gt_u32 s24, 3
	v_ashrrev_i32_e32 v3, 31, v2
	s_cbranch_scc0 .LBB263_48
; %bb.45:
	s_and_b32 s0, s24, 0x7ffffffc
	v_lshl_add_u64 v[4:5], v[2:3], 2, s[34:35]
	v_mov_b32_e32 v1, v0
	v_lshl_add_u64 v[4:5], v[4:5], 0, 8
	s_mov_b32 s1, s0
.LBB263_46:                             ; =>This Inner Loop Header: Depth=1
	global_load_dwordx4 v[6:9], v[4:5], off offset:-8
	s_add_i32 s1, s1, -4
	s_cmp_lg_u32 s1, 0
	s_waitcnt vmcnt(0)
	v_pk_mul_f32 v[6:7], v[0:1], v[6:7]
	v_pk_mul_f32 v[8:9], v[0:1], v[8:9]
	global_store_dwordx4 v[4:5], v[6:9], off offset:-8
	v_lshl_add_u64 v[4:5], v[4:5], 0, 16
	s_cbranch_scc1 .LBB263_46
; %bb.47:
	s_cmp_lg_u32 s0, s24
	s_cselect_b64 s[2:3], -1, 0
	s_branch .LBB263_50
.LBB263_48:
	s_mov_b64 s[2:3], 0
                                        ; implicit-def: $sgpr0
	s_cbranch_execz .LBB263_50
; %bb.49:
	s_mov_b64 s[2:3], -1
	s_mov_b32 s0, 0
.LBB263_50:
	s_andn2_b64 vcc, exec, s[2:3]
	s_cbranch_vccnz .LBB263_53
; %bb.51:
	s_mov_b32 s1, 0
	v_lshl_add_u64 v[2:3], v[2:3], 0, s[0:1]
	s_sub_i32 s2, s24, s0
	v_lshl_add_u64 v[2:3], v[2:3], 2, s[34:35]
.LBB263_52:                             ; =>This Inner Loop Header: Depth=1
	global_load_dword v1, v[2:3], off
	s_add_i32 s2, s2, -1
	s_cmp_lg_u32 s2, 0
	s_waitcnt vmcnt(0)
	v_mul_f32_e32 v1, v0, v1
	global_store_dword v[2:3], v1, off
	v_lshl_add_u64 v[2:3], v[2:3], 0, 4
	s_cbranch_scc1 .LBB263_52
.LBB263_53:
	s_endpgm
	.section	.rodata,"a",@progbits
	.p2align	6, 0x0
	.amdhsa_kernel _ZN4vllm3moe22topkGatingSoftplusSqrtILi8ELi32ELi4ELi16ELi32ELb0Ej6__halfEEvPKT6_PKbPfiPT5_PiiiibdPKfPKS9_SF_
		.amdhsa_group_segment_fixed_size 0
		.amdhsa_private_segment_fixed_size 0
		.amdhsa_kernarg_size 96
		.amdhsa_user_sgpr_count 2
		.amdhsa_user_sgpr_dispatch_ptr 0
		.amdhsa_user_sgpr_queue_ptr 0
		.amdhsa_user_sgpr_kernarg_segment_ptr 1
		.amdhsa_user_sgpr_dispatch_id 0
		.amdhsa_user_sgpr_kernarg_preload_length 0
		.amdhsa_user_sgpr_kernarg_preload_offset 0
		.amdhsa_user_sgpr_private_segment_size 0
		.amdhsa_uses_dynamic_stack 0
		.amdhsa_enable_private_segment 0
		.amdhsa_system_sgpr_workgroup_id_x 1
		.amdhsa_system_sgpr_workgroup_id_y 0
		.amdhsa_system_sgpr_workgroup_id_z 0
		.amdhsa_system_sgpr_workgroup_info 0
		.amdhsa_system_vgpr_workitem_id 1
		.amdhsa_next_free_vgpr 24
		.amdhsa_next_free_sgpr 43
		.amdhsa_accum_offset 24
		.amdhsa_reserve_vcc 1
		.amdhsa_float_round_mode_32 0
		.amdhsa_float_round_mode_16_64 0
		.amdhsa_float_denorm_mode_32 3
		.amdhsa_float_denorm_mode_16_64 3
		.amdhsa_dx10_clamp 1
		.amdhsa_ieee_mode 1
		.amdhsa_fp16_overflow 0
		.amdhsa_tg_split 0
		.amdhsa_exception_fp_ieee_invalid_op 0
		.amdhsa_exception_fp_denorm_src 0
		.amdhsa_exception_fp_ieee_div_zero 0
		.amdhsa_exception_fp_ieee_overflow 0
		.amdhsa_exception_fp_ieee_underflow 0
		.amdhsa_exception_fp_ieee_inexact 0
		.amdhsa_exception_int_div_zero 0
	.end_amdhsa_kernel
	.section	.text._ZN4vllm3moe22topkGatingSoftplusSqrtILi8ELi32ELi4ELi16ELi32ELb0Ej6__halfEEvPKT6_PKbPfiPT5_PiiiibdPKfPKS9_SF_,"axG",@progbits,_ZN4vllm3moe22topkGatingSoftplusSqrtILi8ELi32ELi4ELi16ELi32ELb0Ej6__halfEEvPKT6_PKbPfiPT5_PiiiibdPKfPKS9_SF_,comdat
.Lfunc_end263:
	.size	_ZN4vllm3moe22topkGatingSoftplusSqrtILi8ELi32ELi4ELi16ELi32ELb0Ej6__halfEEvPKT6_PKbPfiPT5_PiiiibdPKfPKS9_SF_, .Lfunc_end263-_ZN4vllm3moe22topkGatingSoftplusSqrtILi8ELi32ELi4ELi16ELi32ELb0Ej6__halfEEvPKT6_PKbPfiPT5_PiiiibdPKfPKS9_SF_
                                        ; -- End function
	.section	.AMDGPU.csdata,"",@progbits
; Kernel info:
; codeLenInByte = 3820
; NumSgprs: 49
; NumVgprs: 24
; NumAgprs: 0
; TotalNumVgprs: 24
; ScratchSize: 0
; MemoryBound: 0
; FloatMode: 240
; IeeeMode: 1
; LDSByteSize: 0 bytes/workgroup (compile time only)
; SGPRBlocks: 6
; VGPRBlocks: 2
; NumSGPRsForWavesPerEU: 49
; NumVGPRsForWavesPerEU: 24
; AccumOffset: 24
; Occupancy: 8
; WaveLimiterHint : 0
; COMPUTE_PGM_RSRC2:SCRATCH_EN: 0
; COMPUTE_PGM_RSRC2:USER_SGPR: 2
; COMPUTE_PGM_RSRC2:TRAP_HANDLER: 0
; COMPUTE_PGM_RSRC2:TGID_X_EN: 1
; COMPUTE_PGM_RSRC2:TGID_Y_EN: 0
; COMPUTE_PGM_RSRC2:TGID_Z_EN: 0
; COMPUTE_PGM_RSRC2:TIDIG_COMP_CNT: 1
; COMPUTE_PGM_RSRC3_GFX90A:ACCUM_OFFSET: 5
; COMPUTE_PGM_RSRC3_GFX90A:TG_SPLIT: 0
	.section	.text._ZN4vllm3moe22topkGatingSoftplusSqrtILi8ELi64ELi4ELi16ELi64ELb1Ej6__halfEEvPKT6_PKbPfiPT5_PiiiibdPKfPKS9_SF_,"axG",@progbits,_ZN4vllm3moe22topkGatingSoftplusSqrtILi8ELi64ELi4ELi16ELi64ELb1Ej6__halfEEvPKT6_PKbPfiPT5_PiiiibdPKfPKS9_SF_,comdat
	.protected	_ZN4vllm3moe22topkGatingSoftplusSqrtILi8ELi64ELi4ELi16ELi64ELb1Ej6__halfEEvPKT6_PKbPfiPT5_PiiiibdPKfPKS9_SF_ ; -- Begin function _ZN4vllm3moe22topkGatingSoftplusSqrtILi8ELi64ELi4ELi16ELi64ELb1Ej6__halfEEvPKT6_PKbPfiPT5_PiiiibdPKfPKS9_SF_
	.globl	_ZN4vllm3moe22topkGatingSoftplusSqrtILi8ELi64ELi4ELi16ELi64ELb1Ej6__halfEEvPKT6_PKbPfiPT5_PiiiibdPKfPKS9_SF_
	.p2align	8
	.type	_ZN4vllm3moe22topkGatingSoftplusSqrtILi8ELi64ELi4ELi16ELi64ELb1Ej6__halfEEvPKT6_PKbPfiPT5_PiiiibdPKfPKS9_SF_,@function
_ZN4vllm3moe22topkGatingSoftplusSqrtILi8ELi64ELi4ELi16ELi64ELb1Ej6__halfEEvPKT6_PKbPfiPT5_PiiiibdPKfPKS9_SF_: ; @_ZN4vllm3moe22topkGatingSoftplusSqrtILi8ELi64ELi4ELi16ELi64ELb1Ej6__halfEEvPKT6_PKbPfiPT5_PiiiibdPKfPKS9_SF_
; %bb.0:
	s_load_dword s3, s[0:1], 0x18
	v_bfe_u32 v1, v0, 10, 10
	v_and_b32_e32 v8, 0x3ff, v0
	s_lshl_b32 s2, s2, 5
	v_lshlrev_b32_e32 v1, 3, v1
	v_lshrrev_b32_e32 v0, 3, v8
	v_add3_u32 v6, s2, v1, v0
	s_waitcnt lgkmcnt(0)
	v_cmp_gt_i32_e32 vcc, s3, v6
	s_and_saveexec_b64 s[2:3], vcc
	s_cbranch_execz .LBB264_32
; %bb.1:
	s_load_dwordx2 s[2:3], s[0:1], 0x0
	s_load_dword s33, s[0:1], 0x30
	v_lshlrev_b32_e32 v0, 6, v6
	v_lshlrev_b32_e32 v2, 3, v8
	v_ashrrev_i32_e32 v1, 31, v0
	v_and_b32_e32 v10, 56, v2
	s_waitcnt lgkmcnt(0)
	v_lshl_add_u64 v[0:1], v[0:1], 1, s[2:3]
	v_lshlrev_b32_e32 v4, 1, v10
	v_mov_b32_e32 v5, 0
	v_lshl_add_u64 v[0:1], v[0:1], 0, v[4:5]
	global_load_dwordx4 v[0:3], v[0:1], off
	s_load_dwordx4 s[8:11], s[0:1], 0x50
	v_ashrrev_i32_e32 v7, 31, v6
	s_mov_b32 s15, 0x800000
	s_mov_b32 s13, 0x3f317217
	s_mov_b32 s14, 0x7f800000
	s_waitcnt lgkmcnt(0)
	v_mov_b32_e32 v12, s8
	v_mov_b32_e32 v13, s9
	v_lshl_add_u64 v[12:13], v[6:7], 2, v[12:13]
	global_load_dword v4, v[12:13], off
	v_mov_b32_e32 v7, 0x4f800000
	v_mov_b32_e32 v9, 0x41b17218
	s_movk_i32 s9, 0x4d00
	s_mov_b32 s12, 0xf800000
	v_mov_b32_e32 v19, 0x260
	s_cmp_gt_i32 s33, 0
	s_mov_b32 s8, 0
	s_waitcnt vmcnt(1)
	v_cvt_f32_f16_e32 v11, v0
	v_cvt_f32_f16_sdwa v16, v0 dst_sel:DWORD dst_unused:UNUSED_PAD src0_sel:WORD_1
	v_cvt_f32_f16_e32 v17, v1
	v_cvt_f32_f16_sdwa v18, v1 dst_sel:DWORD dst_unused:UNUSED_PAD src0_sel:WORD_1
	v_mul_f32_e32 v12, 0x3fb8aa3b, v11
	v_mul_f32_e32 v13, 0x3fb8aa3b, v16
	v_exp_f32_e32 v12, v12
	v_exp_f32_e32 v13, v13
	v_mul_f32_e32 v14, 0x3fb8aa3b, v17
	v_mul_f32_e32 v15, 0x3fb8aa3b, v18
	v_exp_f32_e32 v14, v14
	v_exp_f32_e32 v15, v15
	v_pk_add_f32 v[12:13], v[12:13], 1.0 op_sel_hi:[1,0]
	s_waitcnt vmcnt(0)
	v_mul_lo_u32 v4, v4, s33
	v_cmp_gt_f32_e32 vcc, s15, v13
	v_pk_add_f32 v[14:15], v[14:15], 1.0 op_sel_hi:[1,0]
	v_cmp_gt_f32_e64 s[2:3], s15, v12
	v_cndmask_b32_e32 v20, 1.0, v7, vcc
	v_cmp_gt_f32_e64 s[4:5], s15, v15
	v_cndmask_b32_e64 v21, 1.0, v7, s[2:3]
	v_mul_f32_e32 v13, v13, v20
	v_cndmask_b32_e64 v22, 1.0, v7, s[4:5]
	v_cmp_gt_f32_e64 s[6:7], s15, v14
	v_mul_f32_e32 v12, v12, v21
	v_log_f32_e32 v13, v13
	v_cndmask_b32_e64 v23, 1.0, v7, s[6:7]
	v_mul_f32_e32 v15, v15, v22
	v_log_f32_e32 v12, v12
	v_mul_f32_e32 v14, v14, v23
	v_log_f32_e32 v15, v15
	v_log_f32_e32 v14, v14
	v_mul_f32_e32 v23, 0x3f317217, v13
	v_mul_f32_e32 v24, 0x3f317217, v12
	v_fma_f32 v23, v13, s13, -v23
	v_mul_f32_e32 v25, 0x3f317217, v15
	v_fma_f32 v24, v12, s13, -v24
	v_fmac_f32_e32 v23, 0x3377d1cf, v13
	v_cndmask_b32_e32 v20, 0, v9, vcc
	v_mul_f32_e32 v26, 0x3f317217, v14
	v_fma_f32 v25, v15, s13, -v25
	v_fmac_f32_e32 v24, 0x3377d1cf, v12
	v_fmac_f32_e32 v23, 0x3f317217, v13
	v_cmp_lt_f32_e64 vcc, |v13|, s14
	v_fma_f32 v26, v14, s13, -v26
	v_fmac_f32_e32 v25, 0x3377d1cf, v15
	v_fmac_f32_e32 v24, 0x3f317217, v12
	v_cndmask_b32_e32 v13, v13, v23, vcc
	v_cmp_lt_f32_e64 vcc, |v12|, s14
	v_fmac_f32_e32 v26, 0x3377d1cf, v14
	v_fmac_f32_e32 v25, 0x3f317217, v15
	v_cndmask_b32_e32 v12, v12, v24, vcc
	v_cmp_lt_f32_e64 vcc, |v15|, s14
	v_cndmask_b32_e64 v21, 0, v9, s[2:3]
	v_fmac_f32_e32 v26, 0x3f317217, v14
	v_cndmask_b32_e32 v15, v15, v25, vcc
	v_cmp_lt_f32_e64 vcc, |v14|, s14
	v_sub_f32_e32 v12, v12, v21
	v_sub_f32_e32 v13, v13, v20
	v_cndmask_b32_e32 v14, v14, v26, vcc
	v_cmp_lt_f16_e32 vcc, s9, v0
	v_cndmask_b32_e64 v22, 0, v9, s[4:5]
	v_sub_f32_e32 v15, v15, v22
	v_cndmask_b32_e32 v11, v12, v11, vcc
	v_cmp_gt_f16_sdwa vcc, v0, s9 src0_sel:WORD_1 src1_sel:DWORD
	v_cmp_gt_f32_e64 s[2:3], s12, v11
	s_nop 0
	v_cndmask_b32_e32 v0, v13, v16, vcc
	v_mul_f32_e32 v12, 0x4f800000, v0
	v_cmp_gt_f32_e32 vcc, s12, v0
	v_mul_f32_e32 v13, 0x4f800000, v11
	v_cndmask_b32_e64 v11, v11, v13, s[2:3]
	v_cndmask_b32_e32 v0, v0, v12, vcc
	v_sqrt_f32_e32 v12, v0
	v_sqrt_f32_e32 v13, v11
	v_add_u32_e32 v16, -1, v12
	v_add_u32_e32 v21, -1, v13
	v_fma_f32 v23, -v16, v12, v0
	v_add_u32_e32 v20, 1, v12
	v_fma_f32 v25, -v21, v13, v11
	v_cmp_ge_f32_e64 s[4:5], 0, v23
	v_add_u32_e32 v22, 1, v13
	v_fma_f32 v24, -v20, v12, v0
	v_cndmask_b32_e64 v12, v12, v16, s[4:5]
	v_cmp_ge_f32_e64 s[4:5], 0, v25
	v_fma_f32 v26, -v22, v13, v11
	s_nop 0
	v_cndmask_b32_e64 v13, v13, v21, s[4:5]
	v_cmp_lt_f32_e64 s[4:5], 0, v24
	s_nop 1
	v_cndmask_b32_e64 v12, v12, v20, s[4:5]
	v_cmp_lt_f32_e64 s[4:5], 0, v26
	v_mul_f32_e32 v16, 0x37800000, v12
	v_cndmask_b32_e32 v12, v12, v16, vcc
	v_cndmask_b32_e64 v13, v13, v22, s[4:5]
	v_mul_f32_e32 v20, 0x37800000, v13
	v_cmp_class_f32_e32 vcc, v0, v19
	v_cndmask_b32_e64 v16, v13, v20, s[2:3]
	v_cmp_lt_f16_e64 s[2:3], s9, v1
	v_cndmask_b32_e32 v13, v12, v0, vcc
	v_cmp_class_f32_e32 vcc, v11, v19
	v_cndmask_b32_e64 v0, 0, v9, s[6:7]
	v_sub_f32_e32 v0, v14, v0
	v_cndmask_b32_e32 v12, v16, v11, vcc
	v_cmp_gt_f16_sdwa vcc, v1, s9 src0_sel:WORD_1 src1_sel:DWORD
	v_cndmask_b32_e64 v0, v0, v17, s[2:3]
	v_cvt_f32_f16_e32 v17, v2
	v_cndmask_b32_e32 v11, v15, v18, vcc
	v_mul_f32_e32 v15, 0x4f800000, v11
	v_cmp_gt_f32_e32 vcc, s12, v11
	v_cvt_f32_f16_sdwa v18, v2 dst_sel:DWORD dst_unused:UNUSED_PAD src0_sel:WORD_1
	s_nop 0
	v_cndmask_b32_e32 v11, v11, v15, vcc
	v_sqrt_f32_e32 v15, v11
	s_nop 0
	v_add_u32_e32 v1, -1, v15
	v_fma_f32 v14, -v1, v15, v11
	v_cmp_ge_f32_e64 s[2:3], 0, v14
	v_add_u32_e32 v14, 1, v15
	s_nop 0
	v_cndmask_b32_e64 v1, v15, v1, s[2:3]
	v_fma_f32 v15, -v14, v15, v11
	v_cmp_lt_f32_e64 s[2:3], 0, v15
	v_mul_f32_e32 v15, 0x4f800000, v0
	s_nop 0
	v_cndmask_b32_e64 v1, v1, v14, s[2:3]
	v_cmp_gt_f32_e64 s[2:3], s12, v0
	v_mul_f32_e32 v14, 0x37800000, v1
	v_cndmask_b32_e32 v1, v1, v14, vcc
	v_cndmask_b32_e64 v16, v0, v15, s[2:3]
	v_sqrt_f32_e32 v0, v16
	v_cmp_class_f32_e32 vcc, v11, v19
	v_add_u32_e32 v14, 1, v0
	s_nop 0
	v_cndmask_b32_e32 v15, v1, v11, vcc
	v_add_u32_e32 v1, -1, v0
	v_fma_f32 v11, -v1, v0, v16
	v_cmp_ge_f32_e32 vcc, 0, v11
	v_fma_f32 v20, -v14, v0, v16
	s_nop 0
	v_cndmask_b32_e32 v11, v0, v1, vcc
	v_mul_f32_e32 v0, 0x3fb8aa3b, v17
	v_mul_f32_e32 v1, 0x3fb8aa3b, v18
	v_exp_f32_e32 v0, v0
	v_exp_f32_e32 v1, v1
	v_cmp_lt_f32_e32 vcc, 0, v20
	v_pk_add_f32 v[0:1], v[0:1], 1.0 op_sel_hi:[1,0]
	s_nop 0
	v_cndmask_b32_e32 v11, v11, v14, vcc
	v_mul_f32_e32 v14, 0x37800000, v11
	v_cmp_gt_f32_e32 vcc, s15, v1
	v_cndmask_b32_e64 v11, v11, v14, s[2:3]
	v_cmp_class_f32_e64 s[2:3], v16, v19
	v_cndmask_b32_e32 v14, 1.0, v7, vcc
	v_mul_f32_e32 v1, v1, v14
	v_log_f32_e32 v1, v1
	v_cndmask_b32_e64 v14, v11, v16, s[2:3]
	v_cmp_gt_f32_e64 s[2:3], s15, v0
	scratch_store_dwordx4 off, v[12:15], off
	v_mul_f32_e32 v11, 0x3f317217, v1
	v_fma_f32 v11, v1, s13, -v11
	v_cndmask_b32_e64 v12, 1.0, v7, s[2:3]
	v_mul_f32_e32 v0, v0, v12
	v_log_f32_e32 v0, v0
	v_fmac_f32_e32 v11, 0x3377d1cf, v1
	v_fmac_f32_e32 v11, 0x3f317217, v1
	v_cmp_lt_f32_e64 s[4:5], |v1|, s14
	v_cvt_f32_f16_sdwa v15, v3 dst_sel:DWORD dst_unused:UNUSED_PAD src0_sel:WORD_1
	v_mul_f32_e32 v13, 0x3fb8aa3b, v15
	v_cndmask_b32_e64 v1, v1, v11, s[4:5]
	v_cndmask_b32_e32 v11, 0, v9, vcc
	v_sub_f32_e32 v1, v1, v11
	v_mul_f32_e32 v11, 0x3f317217, v0
	v_fma_f32 v11, v0, s13, -v11
	v_fmac_f32_e32 v11, 0x3377d1cf, v0
	v_fmac_f32_e32 v11, 0x3f317217, v0
	v_cmp_lt_f32_e64 vcc, |v0|, s14
	v_exp_f32_e32 v13, v13
	s_nop 0
	v_cndmask_b32_e32 v0, v0, v11, vcc
	v_cmp_gt_f16_sdwa vcc, v2, s9 src0_sel:WORD_1 src1_sel:DWORD
	v_cndmask_b32_e64 v11, 0, v9, s[2:3]
	v_cmp_lt_f16_e64 s[2:3], s9, v2
	v_cndmask_b32_e32 v1, v1, v18, vcc
	v_mul_f32_e32 v12, 0x4f800000, v1
	v_cmp_gt_f32_e32 vcc, s12, v1
	v_sub_f32_e32 v0, v0, v11
	v_cndmask_b32_e64 v0, v0, v17, s[2:3]
	v_cndmask_b32_e32 v1, v1, v12, vcc
	v_sqrt_f32_e32 v12, v1
	s_nop 0
	v_add_u32_e32 v2, -1, v12
	v_fma_f32 v11, -v2, v12, v1
	v_cmp_ge_f32_e64 s[2:3], 0, v11
	v_add_u32_e32 v11, 1, v12
	s_nop 0
	v_cndmask_b32_e64 v2, v12, v2, s[2:3]
	v_fma_f32 v12, -v11, v12, v1
	v_cmp_lt_f32_e64 s[2:3], 0, v12
	v_mul_f32_e32 v12, 0x4f800000, v0
	s_nop 0
	v_cndmask_b32_e64 v2, v2, v11, s[2:3]
	v_cmp_gt_f32_e64 s[2:3], s12, v0
	v_mul_f32_e32 v11, 0x37800000, v2
	v_cndmask_b32_e32 v2, v2, v11, vcc
	v_cndmask_b32_e64 v0, v0, v12, s[2:3]
	v_sqrt_f32_e32 v12, v0
	v_cmp_class_f32_e32 vcc, v1, v19
	v_add_u32_e32 v14, 1, v12
	s_nop 0
	v_cndmask_b32_e32 v1, v2, v1, vcc
	v_add_u32_e32 v2, -1, v12
	v_fma_f32 v11, -v2, v12, v0
	v_cmp_ge_f32_e32 vcc, 0, v11
	v_cvt_f32_f16_e32 v11, v3
	v_fma_f32 v16, -v14, v12, v0
	v_cndmask_b32_e32 v2, v12, v2, vcc
	v_cmp_lt_f32_e32 vcc, 0, v16
	v_mul_f32_e32 v12, 0x3fb8aa3b, v11
	v_exp_f32_e32 v12, v12
	v_cndmask_b32_e32 v2, v2, v14, vcc
	v_mul_f32_e32 v14, 0x37800000, v2
	v_cndmask_b32_e64 v2, v2, v14, s[2:3]
	v_pk_add_f32 v[12:13], v[12:13], 1.0 op_sel_hi:[1,0]
	v_cmp_class_f32_e64 s[2:3], v0, v19
	v_cmp_gt_f32_e32 vcc, s15, v13
	s_nop 0
	v_cndmask_b32_e64 v0, v2, v0, s[2:3]
	v_cndmask_b32_e32 v16, 1.0, v7, vcc
	v_mul_f32_e32 v13, v13, v16
	v_log_f32_e32 v13, v13
	v_cmp_gt_f32_e64 s[2:3], s15, v12
	v_mul_f32_e32 v2, 0x3f317217, v13
	s_nop 0
	v_cndmask_b32_e64 v7, 1.0, v7, s[2:3]
	v_mul_f32_e32 v7, v12, v7
	v_fma_f32 v2, v13, s13, -v2
	v_log_f32_e32 v7, v7
	v_fmac_f32_e32 v2, 0x3377d1cf, v13
	v_fmac_f32_e32 v2, 0x3f317217, v13
	v_cmp_lt_f32_e64 s[4:5], |v13|, s14
	v_cndmask_b32_e32 v12, 0, v9, vcc
	v_cmp_lt_f32_e64 vcc, |v7|, s14
	v_cndmask_b32_e64 v2, v13, v2, s[4:5]
	v_sub_f32_e32 v2, v2, v12
	v_mul_f32_e32 v12, 0x3f317217, v7
	v_fma_f32 v12, v7, s13, -v12
	v_fmac_f32_e32 v12, 0x3377d1cf, v7
	v_fmac_f32_e32 v12, 0x3f317217, v7
	v_cndmask_b32_e32 v7, v7, v12, vcc
	v_cmp_gt_f16_sdwa vcc, v3, s9 src0_sel:WORD_1 src1_sel:DWORD
	v_cndmask_b32_e64 v9, 0, v9, s[2:3]
	v_sub_f32_e32 v7, v7, v9
	v_cndmask_b32_e32 v2, v2, v15, vcc
	v_mul_f32_e32 v12, 0x4f800000, v2
	v_cmp_gt_f32_e32 vcc, s12, v2
	v_cmp_lt_f16_e64 s[2:3], s9, v3
	s_cselect_b64 s[4:5], -1, 0
	v_cndmask_b32_e32 v2, v2, v12, vcc
	v_sqrt_f32_e32 v12, v2
	v_cndmask_b32_e64 v3, v7, v11, s[2:3]
	s_cmp_lt_i32 s33, 1
	v_add_u32_e32 v7, -1, v12
	v_fma_f32 v9, -v7, v12, v2
	v_cmp_ge_f32_e64 s[2:3], 0, v9
	v_add_u32_e32 v9, 1, v12
	v_fma_f32 v11, -v9, v12, v2
	v_cndmask_b32_e64 v7, v12, v7, s[2:3]
	v_cmp_lt_f32_e64 s[2:3], 0, v11
	v_mul_f32_e32 v11, 0x4f800000, v3
	s_nop 0
	v_cndmask_b32_e64 v7, v7, v9, s[2:3]
	v_cmp_gt_f32_e64 s[2:3], s12, v3
	v_mul_f32_e32 v9, 0x37800000, v7
	s_nop 0
	v_cndmask_b32_e64 v11, v3, v11, s[2:3]
	v_sqrt_f32_e32 v12, v11
	v_cndmask_b32_e32 v3, v7, v9, vcc
	v_cmp_class_f32_e32 vcc, v2, v19
	s_nop 1
	v_cndmask_b32_e32 v3, v3, v2, vcc
	v_add_u32_e32 v2, -1, v12
	v_fma_f32 v7, -v2, v12, v11
	v_cmp_ge_f32_e32 vcc, 0, v7
	v_add_u32_e32 v7, 1, v12
	v_fma_f32 v9, -v7, v12, v11
	v_cndmask_b32_e32 v2, v12, v2, vcc
	v_cmp_lt_f32_e32 vcc, 0, v9
	s_nop 1
	v_cndmask_b32_e32 v2, v2, v7, vcc
	v_mul_f32_e32 v7, 0x37800000, v2
	v_cndmask_b32_e64 v2, v2, v7, s[2:3]
	v_cmp_class_f32_e32 vcc, v11, v19
	s_nop 1
	v_cndmask_b32_e32 v2, v2, v11, vcc
	scratch_store_dwordx4 off, v[0:3], off offset:16
	s_nop 1
	v_lshl_add_u64 v[2:3], v[4:5], 2, s[10:11]
	v_mul_lo_u32 v0, v6, s33
	s_cbranch_scc1 .LBB264_29
; %bb.2:
	s_load_dwordx2 s[6:7], s[0:1], 0x20
	s_cmp_lt_u32 s33, 4
	v_and_b32_e32 v4, 7, v8
	s_cbranch_scc1 .LBB264_21
; %bb.3:
	v_lshlrev_b32_e32 v5, 3, v4
	s_mov_b32 s11, 0
	s_and_b32 s8, s33, 0x7ffffffc
	v_ashrrev_i32_e32 v1, 31, v0
	v_sub_u32_e32 v11, 0, v5
	v_mov_b32_e32 v5, 0
	s_mov_b32 s10, s11
	s_branch .LBB264_5
.LBB264_4:                              ;   in Loop: Header=BB264_5 Depth=1
	s_or_b64 exec, exec, s[12:13]
	s_add_i32 s10, s10, 4
	s_cmp_eq_u32 s10, s8
	s_cbranch_scc1 .LBB264_22
.LBB264_5:                              ; =>This Loop Header: Depth=1
                                        ;     Child Loop BB264_7 Depth 2
                                        ;     Child Loop BB264_11 Depth 2
	;; [unrolled: 1-line block ×4, first 2 shown]
	v_lshl_add_u64 v[6:7], s[10:11], 2, v[2:3]
	global_load_dword v12, v[6:7], off
	v_add_u32_e32 v8, s10, v0
	v_ashrrev_i32_e32 v9, 31, v8
	v_mov_b32_e32 v13, 0
	s_mov_b64 s[12:13], 0
	s_waitcnt lgkmcnt(0)
	v_lshl_add_u64 v[8:9], v[8:9], 2, s[6:7]
	s_mov_b32 s9, 0
	s_waitcnt vmcnt(0)
	v_add_u32_e32 v14, v11, v12
	s_branch .LBB264_7
.LBB264_6:                              ;   in Loop: Header=BB264_7 Depth=2
	s_or_b64 exec, exec, s[14:15]
	s_add_i32 s16, s9, 1
	s_cmp_gt_u32 s9, 6
	s_cselect_b64 s[2:3], -1, 0
	s_xor_b64 s[14:15], vcc, -1
	s_or_b64 s[2:3], s[14:15], s[2:3]
	s_and_b64 s[2:3], exec, s[2:3]
	v_add_u32_e32 v13, 4, v13
	s_or_b64 s[12:13], s[2:3], s[12:13]
	s_mov_b32 s9, s16
	s_andn2_b64 exec, exec, s[12:13]
	s_cbranch_execz .LBB264_9
.LBB264_7:                              ;   Parent Loop BB264_5 Depth=1
                                        ; =>  This Inner Loop Header: Depth=2
	v_cmp_ne_u32_e32 vcc, s9, v14
	v_cmp_eq_u32_e64 s[2:3], s9, v14
	s_and_saveexec_b64 s[14:15], s[2:3]
	s_cbranch_execz .LBB264_6
; %bb.8:                                ;   in Loop: Header=BB264_7 Depth=2
	scratch_load_dword v15, v13, off
	s_waitcnt vmcnt(0)
	v_add_f32_e32 v5, v5, v15
	global_store_dword v[8:9], v12, off
	s_branch .LBB264_6
.LBB264_9:                              ;   in Loop: Header=BB264_5 Depth=1
	s_or_b64 exec, exec, s[12:13]
	global_load_dword v12, v[6:7], off offset:4
	s_ashr_i32 s3, s10, 31
	s_mov_b32 s2, s10
	v_lshl_add_u64 v[8:9], s[2:3], 0, v[0:1]
	v_mov_b32_e32 v13, 0
	s_mov_b32 s9, 0
	v_lshl_add_u64 v[8:9], v[8:9], 2, s[6:7]
	s_mov_b64 s[12:13], 0
	s_waitcnt vmcnt(0)
	v_add_u32_e32 v14, v11, v12
	s_branch .LBB264_11
.LBB264_10:                             ;   in Loop: Header=BB264_11 Depth=2
	s_or_b64 exec, exec, s[14:15]
	s_add_i32 s16, s9, 1
	s_cmp_gt_u32 s9, 6
	s_cselect_b64 s[2:3], -1, 0
	s_xor_b64 s[14:15], vcc, -1
	s_or_b64 s[2:3], s[14:15], s[2:3]
	s_and_b64 s[2:3], exec, s[2:3]
	v_add_u32_e32 v13, 4, v13
	s_or_b64 s[12:13], s[2:3], s[12:13]
	s_mov_b32 s9, s16
	s_andn2_b64 exec, exec, s[12:13]
	s_cbranch_execz .LBB264_13
.LBB264_11:                             ;   Parent Loop BB264_5 Depth=1
                                        ; =>  This Inner Loop Header: Depth=2
	v_cmp_ne_u32_e32 vcc, s9, v14
	v_cmp_eq_u32_e64 s[2:3], s9, v14
	s_and_saveexec_b64 s[14:15], s[2:3]
	s_cbranch_execz .LBB264_10
; %bb.12:                               ;   in Loop: Header=BB264_11 Depth=2
	scratch_load_dword v15, v13, off
	s_waitcnt vmcnt(0)
	v_add_f32_e32 v5, v5, v15
	global_store_dword v[8:9], v12, off offset:4
	s_branch .LBB264_10
.LBB264_13:                             ;   in Loop: Header=BB264_5 Depth=1
	s_or_b64 exec, exec, s[12:13]
	global_load_dword v12, v[6:7], off offset:8
	v_mov_b32_e32 v13, 0
	s_mov_b32 s9, 0
	s_mov_b64 s[12:13], 0
	s_waitcnt vmcnt(0)
	v_add_u32_e32 v14, v11, v12
	s_branch .LBB264_15
.LBB264_14:                             ;   in Loop: Header=BB264_15 Depth=2
	s_or_b64 exec, exec, s[14:15]
	s_add_i32 s16, s9, 1
	s_cmp_gt_u32 s9, 6
	s_cselect_b64 s[2:3], -1, 0
	s_xor_b64 s[14:15], vcc, -1
	s_or_b64 s[2:3], s[14:15], s[2:3]
	s_and_b64 s[2:3], exec, s[2:3]
	v_add_u32_e32 v13, 4, v13
	s_or_b64 s[12:13], s[2:3], s[12:13]
	s_mov_b32 s9, s16
	s_andn2_b64 exec, exec, s[12:13]
	s_cbranch_execz .LBB264_17
.LBB264_15:                             ;   Parent Loop BB264_5 Depth=1
                                        ; =>  This Inner Loop Header: Depth=2
	v_cmp_ne_u32_e32 vcc, s9, v14
	v_cmp_eq_u32_e64 s[2:3], s9, v14
	s_and_saveexec_b64 s[14:15], s[2:3]
	s_cbranch_execz .LBB264_14
; %bb.16:                               ;   in Loop: Header=BB264_15 Depth=2
	scratch_load_dword v15, v13, off
	s_waitcnt vmcnt(0)
	v_add_f32_e32 v5, v5, v15
	global_store_dword v[8:9], v12, off offset:8
	s_branch .LBB264_14
.LBB264_17:                             ;   in Loop: Header=BB264_5 Depth=1
	s_or_b64 exec, exec, s[12:13]
	global_load_dword v6, v[6:7], off offset:12
	v_mov_b32_e32 v7, 0
	s_mov_b32 s9, 0
	s_mov_b64 s[12:13], 0
	s_waitcnt vmcnt(0)
	v_add_u32_e32 v12, v11, v6
	s_branch .LBB264_19
.LBB264_18:                             ;   in Loop: Header=BB264_19 Depth=2
	s_or_b64 exec, exec, s[14:15]
	s_add_i32 s16, s9, 1
	s_cmp_gt_u32 s9, 6
	s_cselect_b64 s[2:3], -1, 0
	s_xor_b64 s[14:15], vcc, -1
	s_or_b64 s[2:3], s[14:15], s[2:3]
	s_and_b64 s[2:3], exec, s[2:3]
	v_add_u32_e32 v7, 4, v7
	s_or_b64 s[12:13], s[2:3], s[12:13]
	s_mov_b32 s9, s16
	s_andn2_b64 exec, exec, s[12:13]
	s_cbranch_execz .LBB264_4
.LBB264_19:                             ;   Parent Loop BB264_5 Depth=1
                                        ; =>  This Inner Loop Header: Depth=2
	v_cmp_ne_u32_e32 vcc, s9, v12
	v_cmp_eq_u32_e64 s[2:3], s9, v12
	s_and_saveexec_b64 s[14:15], s[2:3]
	s_cbranch_execz .LBB264_18
; %bb.20:                               ;   in Loop: Header=BB264_19 Depth=2
	scratch_load_dword v13, v7, off
	s_waitcnt vmcnt(0)
	v_add_f32_e32 v5, v5, v13
	global_store_dword v[8:9], v6, off offset:12
	s_branch .LBB264_18
.LBB264_21:
	v_mov_b32_e32 v5, 0
.LBB264_22:
	s_and_b32 s14, s33, 3
	s_cmp_eq_u32 s14, 0
	s_mov_b32 s9, 0
	s_cbranch_scc1 .LBB264_29
; %bb.23:
	v_lshlrev_b32_e32 v1, 3, v4
	v_sub_u32_e32 v1, 0, v1
	s_mov_b32 s15, s9
	s_branch .LBB264_25
.LBB264_24:                             ;   in Loop: Header=BB264_25 Depth=1
	s_or_b64 exec, exec, s[10:11]
	s_add_i32 s8, s8, 1
	s_add_i32 s15, s15, 1
	s_cmp_lg_u32 s15, s14
	s_cbranch_scc0 .LBB264_29
.LBB264_25:                             ; =>This Loop Header: Depth=1
                                        ;     Child Loop BB264_27 Depth 2
	v_lshl_add_u64 v[6:7], s[8:9], 2, v[2:3]
	global_load_dword v4, v[6:7], off
	v_add_u32_e32 v6, s8, v0
	v_ashrrev_i32_e32 v7, 31, v6
	v_mov_b32_e32 v8, 0
	s_mov_b32 s16, 0
	s_waitcnt lgkmcnt(0)
	v_lshl_add_u64 v[6:7], v[6:7], 2, s[6:7]
	s_mov_b64 s[10:11], 0
	s_waitcnt vmcnt(0)
	v_add_u32_e32 v9, v1, v4
	s_branch .LBB264_27
.LBB264_26:                             ;   in Loop: Header=BB264_27 Depth=2
	s_or_b64 exec, exec, s[12:13]
	s_add_i32 s17, s16, 1
	s_cmp_gt_u32 s16, 6
	s_cselect_b64 s[2:3], -1, 0
	s_xor_b64 s[12:13], vcc, -1
	s_or_b64 s[2:3], s[12:13], s[2:3]
	s_and_b64 s[2:3], exec, s[2:3]
	v_add_u32_e32 v8, 4, v8
	s_or_b64 s[10:11], s[2:3], s[10:11]
	s_mov_b32 s16, s17
	s_andn2_b64 exec, exec, s[10:11]
	s_cbranch_execz .LBB264_24
.LBB264_27:                             ;   Parent Loop BB264_25 Depth=1
                                        ; =>  This Inner Loop Header: Depth=2
	v_cmp_ne_u32_e32 vcc, s16, v9
	v_cmp_eq_u32_e64 s[2:3], s16, v9
	s_and_saveexec_b64 s[12:13], s[2:3]
	s_cbranch_execz .LBB264_26
; %bb.28:                               ;   in Loop: Header=BB264_27 Depth=2
	scratch_load_dword v11, v8, off
	s_waitcnt vmcnt(0)
	v_add_f32_e32 v5, v5, v11
	global_store_dword v[6:7], v4, off
	s_branch .LBB264_26
.LBB264_29:
	s_waitcnt lgkmcnt(0)
	s_load_dword s6, s[0:1], 0x3c
	s_waitcnt lgkmcnt(0)
	s_bitcmp1_b32 s6, 0
	s_cselect_b64 s[2:3], -1, 0
	s_bitcmp0_b32 s6, 0
	s_cbranch_scc0 .LBB264_33
; %bb.30:
	s_load_dwordx2 s[6:7], s[0:1], 0x40
	s_andn2_b64 vcc, exec, s[2:3]
	s_waitcnt lgkmcnt(0)
	v_cvt_f32_f64_e32 v8, s[6:7]
	s_cbranch_vccz .LBB264_34
.LBB264_31:
	s_andn2_b64 vcc, exec, s[4:5]
	s_cbranch_vccz .LBB264_35
.LBB264_32:
	s_endpgm
.LBB264_33:
	v_mbcnt_lo_u32_b32 v1, -1, 0
	v_mbcnt_hi_u32_b32 v1, -1, v1
	v_and_b32_e32 v4, 0x78, v1
	v_add_u32_e32 v4, 8, v4
	v_xor_b32_e32 v6, 4, v1
	v_cmp_lt_i32_e32 vcc, v6, v4
	v_xor_b32_e32 v7, 2, v1
	s_nop 0
	v_cndmask_b32_e32 v6, v1, v6, vcc
	v_lshlrev_b32_e32 v6, 2, v6
	ds_bpermute_b32 v6, v6, v5
	v_cmp_lt_i32_e32 vcc, v7, v4
	s_waitcnt lgkmcnt(0)
	v_add_f32_e32 v5, v5, v6
	v_cndmask_b32_e32 v6, v1, v7, vcc
	v_lshlrev_b32_e32 v6, 2, v6
	ds_bpermute_b32 v6, v6, v5
	v_xor_b32_e32 v7, 1, v1
	v_cmp_lt_i32_e32 vcc, v7, v4
	s_waitcnt lgkmcnt(0)
	v_add_f32_e32 v5, v5, v6
	v_cndmask_b32_e32 v1, v1, v7, vcc
	v_lshlrev_b32_e32 v1, 2, v1
	ds_bpermute_b32 v1, v1, v5
	s_waitcnt lgkmcnt(0)
	v_add_f32_e32 v5, v5, v1
	s_load_dwordx2 s[6:7], s[0:1], 0x40
	s_andn2_b64 vcc, exec, s[2:3]
	s_waitcnt lgkmcnt(0)
	v_cvt_f32_f64_e32 v8, s[6:7]
	s_cbranch_vccnz .LBB264_31
.LBB264_34:
	v_cmp_lt_f32_e32 vcc, 0, v5
	s_nop 1
	v_cndmask_b32_e32 v1, 1.0, v5, vcc
	v_div_scale_f32 v4, s[2:3], v1, v1, v8
	v_rcp_f32_e32 v5, v4
	s_nop 0
	v_fma_f32 v6, -v4, v5, 1.0
	v_fmac_f32_e32 v5, v6, v5
	v_div_scale_f32 v6, vcc, v8, v1, v8
	v_mul_f32_e32 v7, v6, v5
	v_fma_f32 v9, -v4, v7, v6
	v_fmac_f32_e32 v7, v9, v5
	v_fma_f32 v4, -v4, v7, v6
	v_div_fmas_f32 v4, v4, v5, v7
	v_div_fixup_f32 v8, v4, v1, v8
	s_andn2_b64 vcc, exec, s[4:5]
	s_cbranch_vccnz .LBB264_32
.LBB264_35:
	s_load_dwordx2 s[12:13], s[0:1], 0x10
	v_mov_b32_e32 v1, 0
	v_or_b32_e32 v20, 4, v1
	v_or_b32_e32 v18, 8, v1
	;; [unrolled: 1-line block ×3, first 2 shown]
	v_add_u32_e32 v14, 16, v1
	v_add_u32_e32 v12, 20, v1
	;; [unrolled: 1-line block ×4, first 2 shown]
	v_or_b32_e32 v23, 1, v10
	v_or_b32_e32 v22, 2, v10
	;; [unrolled: 1-line block ×7, first 2 shown]
	s_cmp_eq_u32 s33, 1
	s_mov_b32 s14, 0
	s_cbranch_scc1 .LBB264_70
; %bb.36:
	v_ashrrev_i32_e32 v1, 31, v0
	s_waitcnt lgkmcnt(0)
	v_lshl_add_u64 v[4:5], v[0:1], 2, s[12:13]
	s_and_b32 s14, s33, 0x7ffffffe
	v_lshl_add_u64 v[4:5], v[4:5], 0, 4
	v_lshl_add_u64 v[6:7], v[2:3], 0, 4
	s_mov_b32 s15, 0
	s_branch .LBB264_38
.LBB264_37:                             ;   in Loop: Header=BB264_38 Depth=1
	s_or_b64 exec, exec, s[0:1]
	s_add_i32 s15, s15, 2
	v_lshl_add_u64 v[4:5], v[4:5], 0, 8
	s_cmp_eq_u32 s14, s15
	v_lshl_add_u64 v[6:7], v[6:7], 0, 8
	s_cbranch_scc1 .LBB264_70
.LBB264_38:                             ; =>This Inner Loop Header: Depth=1
	global_load_dword v24, v[6:7], off offset:-4
	v_mov_b32_e32 v1, 0
	s_waitcnt vmcnt(0)
	v_cmp_eq_u32_e32 vcc, v24, v10
	v_cmp_ne_u32_e64 s[0:1], v24, v10
	s_and_saveexec_b64 s[16:17], s[0:1]
	s_cbranch_execz .LBB264_52
; %bb.39:                               ;   in Loop: Header=BB264_38 Depth=1
	v_cmp_eq_u32_e64 s[0:1], v24, v23
	v_cmp_ne_u32_e64 s[2:3], v24, v23
	v_mov_b32_e32 v1, v20
	s_and_saveexec_b64 s[18:19], s[2:3]
	s_cbranch_execz .LBB264_51
; %bb.40:                               ;   in Loop: Header=BB264_38 Depth=1
	v_cmp_eq_u32_e64 s[2:3], v24, v22
	v_cmp_ne_u32_e64 s[4:5], v24, v22
	v_mov_b32_e32 v1, v18
	;; [unrolled: 6-line block ×6, first 2 shown]
	s_and_saveexec_b64 s[30:31], s[10:11]
	s_xor_b64 s[30:31], exec, s[30:31]
; %bb.45:                               ;   in Loop: Header=BB264_38 Depth=1
	v_cmp_eq_u32_e64 s[10:11], v24, v13
	s_andn2_b64 s[28:29], s[28:29], exec
	s_and_b64 s[10:11], s[10:11], exec
	s_or_b64 s[28:29], s[28:29], s[10:11]
	v_mov_b32_e32 v1, v11
; %bb.46:                               ;   in Loop: Header=BB264_38 Depth=1
	s_or_b64 exec, exec, s[30:31]
	s_andn2_b64 s[8:9], s[8:9], exec
	s_and_b64 s[10:11], s[28:29], exec
	s_or_b64 s[8:9], s[8:9], s[10:11]
.LBB264_47:                             ;   in Loop: Header=BB264_38 Depth=1
	s_or_b64 exec, exec, s[26:27]
	s_andn2_b64 s[6:7], s[6:7], exec
	s_and_b64 s[8:9], s[8:9], exec
	s_or_b64 s[6:7], s[6:7], s[8:9]
.LBB264_48:                             ;   in Loop: Header=BB264_38 Depth=1
	s_or_b64 exec, exec, s[24:25]
	s_andn2_b64 s[4:5], s[4:5], exec
	s_and_b64 s[6:7], s[6:7], exec
	s_or_b64 s[4:5], s[4:5], s[6:7]
.LBB264_49:                             ;   in Loop: Header=BB264_38 Depth=1
	s_or_b64 exec, exec, s[22:23]
	s_andn2_b64 s[2:3], s[2:3], exec
	s_and_b64 s[4:5], s[4:5], exec
	s_or_b64 s[2:3], s[2:3], s[4:5]
.LBB264_50:                             ;   in Loop: Header=BB264_38 Depth=1
	s_or_b64 exec, exec, s[20:21]
	s_andn2_b64 s[0:1], s[0:1], exec
	s_and_b64 s[2:3], s[2:3], exec
	s_or_b64 s[0:1], s[0:1], s[2:3]
.LBB264_51:                             ;   in Loop: Header=BB264_38 Depth=1
	s_or_b64 exec, exec, s[18:19]
	s_andn2_b64 s[2:3], vcc, exec
	s_and_b64 s[0:1], s[0:1], exec
	s_or_b64 vcc, s[2:3], s[0:1]
.LBB264_52:                             ;   in Loop: Header=BB264_38 Depth=1
	s_or_b64 exec, exec, s[16:17]
	s_and_saveexec_b64 s[0:1], vcc
	s_cbranch_execz .LBB264_54
; %bb.53:                               ;   in Loop: Header=BB264_38 Depth=1
	scratch_load_dword v1, v1, off
	v_add_u32_e32 v24, s15, v0
	v_ashrrev_i32_e32 v25, 31, v24
	v_lshl_add_u64 v[24:25], v[24:25], 2, s[12:13]
	s_waitcnt vmcnt(0)
	v_mul_f32_e32 v1, v8, v1
	global_store_dword v[24:25], v1, off
.LBB264_54:                             ;   in Loop: Header=BB264_38 Depth=1
	s_or_b64 exec, exec, s[0:1]
	global_load_dword v24, v[6:7], off
	v_mov_b32_e32 v1, 0
	s_waitcnt vmcnt(0)
	v_cmp_eq_u32_e64 s[8:9], v24, v10
	v_cmp_ne_u32_e32 vcc, v24, v10
	s_and_saveexec_b64 s[10:11], vcc
	s_cbranch_execz .LBB264_68
; %bb.55:                               ;   in Loop: Header=BB264_38 Depth=1
	v_cmp_eq_u32_e32 vcc, v24, v23
	v_cmp_ne_u32_e64 s[0:1], v24, v23
	v_mov_b32_e32 v1, v20
	s_and_saveexec_b64 s[16:17], s[0:1]
	s_cbranch_execz .LBB264_67
; %bb.56:                               ;   in Loop: Header=BB264_38 Depth=1
	v_cmp_eq_u32_e64 s[0:1], v24, v22
	v_cmp_ne_u32_e64 s[2:3], v24, v22
	v_mov_b32_e32 v1, v18
	s_and_saveexec_b64 s[18:19], s[2:3]
	s_cbranch_execz .LBB264_66
; %bb.57:                               ;   in Loop: Header=BB264_38 Depth=1
	v_cmp_eq_u32_e64 s[2:3], v24, v21
	;; [unrolled: 6-line block ×5, first 2 shown]
	v_cmp_ne_u32_e64 s[6:7], v24, v15
	v_mov_b32_e32 v1, v9
	s_and_saveexec_b64 s[30:31], s[6:7]
; %bb.61:                               ;   in Loop: Header=BB264_38 Depth=1
	v_cmp_eq_u32_e64 s[6:7], v24, v13
	s_andn2_b64 s[28:29], s[28:29], exec
	s_and_b64 s[6:7], s[6:7], exec
	s_or_b64 s[28:29], s[28:29], s[6:7]
	v_mov_b32_e32 v1, v11
; %bb.62:                               ;   in Loop: Header=BB264_38 Depth=1
	s_or_b64 exec, exec, s[30:31]
	s_andn2_b64 s[6:7], s[24:25], exec
	s_and_b64 s[24:25], s[28:29], exec
	s_or_b64 s[24:25], s[6:7], s[24:25]
.LBB264_63:                             ;   in Loop: Header=BB264_38 Depth=1
	s_or_b64 exec, exec, s[26:27]
	s_andn2_b64 s[4:5], s[4:5], exec
	s_and_b64 s[6:7], s[24:25], exec
	s_or_b64 s[4:5], s[4:5], s[6:7]
.LBB264_64:                             ;   in Loop: Header=BB264_38 Depth=1
	s_or_b64 exec, exec, s[22:23]
	s_andn2_b64 s[2:3], s[2:3], exec
	s_and_b64 s[4:5], s[4:5], exec
	s_or_b64 s[2:3], s[2:3], s[4:5]
.LBB264_65:                             ;   in Loop: Header=BB264_38 Depth=1
	s_or_b64 exec, exec, s[20:21]
	s_andn2_b64 s[0:1], s[0:1], exec
	s_and_b64 s[2:3], s[2:3], exec
	s_or_b64 s[0:1], s[0:1], s[2:3]
.LBB264_66:                             ;   in Loop: Header=BB264_38 Depth=1
	s_or_b64 exec, exec, s[18:19]
	s_andn2_b64 s[2:3], vcc, exec
	s_and_b64 s[0:1], s[0:1], exec
	s_or_b64 vcc, s[2:3], s[0:1]
.LBB264_67:                             ;   in Loop: Header=BB264_38 Depth=1
	s_or_b64 exec, exec, s[16:17]
	s_andn2_b64 s[0:1], s[8:9], exec
	s_and_b64 s[2:3], vcc, exec
	s_or_b64 s[8:9], s[0:1], s[2:3]
.LBB264_68:                             ;   in Loop: Header=BB264_38 Depth=1
	s_or_b64 exec, exec, s[10:11]
	s_and_saveexec_b64 s[0:1], s[8:9]
	s_cbranch_execz .LBB264_37
; %bb.69:                               ;   in Loop: Header=BB264_38 Depth=1
	scratch_load_dword v1, v1, off
	s_waitcnt vmcnt(0)
	v_mul_f32_e32 v1, v8, v1
	global_store_dword v[4:5], v1, off
	s_branch .LBB264_37
.LBB264_70:
	s_bitcmp0_b32 s33, 0
	s_mov_b32 s15, 0
	s_cbranch_scc1 .LBB264_32
; %bb.71:
	v_lshl_add_u64 v[2:3], s[14:15], 2, v[2:3]
	global_load_dword v1, v[2:3], off
	v_mov_b32_e32 v2, 0
	s_waitcnt vmcnt(0)
	v_cmp_eq_u32_e64 s[8:9], v1, v10
	v_cmp_ne_u32_e32 vcc, v1, v10
	s_and_saveexec_b64 s[10:11], vcc
	s_cbranch_execz .LBB264_85
; %bb.72:
	v_cmp_eq_u32_e32 vcc, v1, v23
	v_cmp_ne_u32_e64 s[0:1], v1, v23
	s_and_saveexec_b64 s[16:17], s[0:1]
	s_cbranch_execz .LBB264_84
; %bb.73:
	v_cmp_eq_u32_e64 s[0:1], v1, v22
	v_cmp_ne_u32_e64 s[2:3], v1, v22
	s_and_saveexec_b64 s[18:19], s[2:3]
	s_cbranch_execz .LBB264_83
; %bb.74:
	v_cmp_eq_u32_e64 s[2:3], v1, v21
	;; [unrolled: 5-line block ×5, first 2 shown]
	v_cmp_ne_u32_e64 s[6:7], v1, v15
	s_and_saveexec_b64 s[30:31], s[6:7]
; %bb.78:
	v_cmp_eq_u32_e64 s[6:7], v1, v13
	s_andn2_b64 s[28:29], s[28:29], exec
	s_and_b64 s[6:7], s[6:7], exec
	s_or_b64 s[28:29], s[28:29], s[6:7]
	v_mov_b32_e32 v9, v11
; %bb.79:
	s_or_b64 exec, exec, s[30:31]
	s_andn2_b64 s[6:7], s[24:25], exec
	s_and_b64 s[24:25], s[28:29], exec
	s_or_b64 s[24:25], s[6:7], s[24:25]
	v_mov_b32_e32 v12, v9
.LBB264_80:
	s_or_b64 exec, exec, s[26:27]
	s_andn2_b64 s[4:5], s[4:5], exec
	s_and_b64 s[6:7], s[24:25], exec
	s_or_b64 s[4:5], s[4:5], s[6:7]
	v_mov_b32_e32 v14, v12
.LBB264_81:
	s_or_b64 exec, exec, s[22:23]
	s_andn2_b64 s[2:3], s[2:3], exec
	s_and_b64 s[4:5], s[4:5], exec
	s_or_b64 s[2:3], s[2:3], s[4:5]
	v_mov_b32_e32 v16, v14
.LBB264_82:
	s_or_b64 exec, exec, s[20:21]
	s_andn2_b64 s[0:1], s[0:1], exec
	s_and_b64 s[2:3], s[2:3], exec
	s_or_b64 s[0:1], s[0:1], s[2:3]
	v_mov_b32_e32 v18, v16
.LBB264_83:
	s_or_b64 exec, exec, s[18:19]
	s_andn2_b64 s[2:3], vcc, exec
	s_and_b64 s[0:1], s[0:1], exec
	s_or_b64 vcc, s[2:3], s[0:1]
	v_mov_b32_e32 v20, v18
.LBB264_84:
	s_or_b64 exec, exec, s[16:17]
	s_andn2_b64 s[0:1], s[8:9], exec
	s_and_b64 s[2:3], vcc, exec
	s_or_b64 s[8:9], s[0:1], s[2:3]
	v_mov_b32_e32 v2, v20
.LBB264_85:
	s_or_b64 exec, exec, s[10:11]
	s_and_b64 exec, exec, s[8:9]
	s_cbranch_execz .LBB264_32
; %bb.86:
	scratch_load_dword v2, v2, off
	v_add_u32_e32 v0, s14, v0
	v_ashrrev_i32_e32 v1, 31, v0
	s_waitcnt lgkmcnt(0)
	v_lshl_add_u64 v[0:1], v[0:1], 2, s[12:13]
	s_waitcnt vmcnt(0)
	v_mul_f32_e32 v2, v8, v2
	global_store_dword v[0:1], v2, off
	s_endpgm
	.section	.rodata,"a",@progbits
	.p2align	6, 0x0
	.amdhsa_kernel _ZN4vllm3moe22topkGatingSoftplusSqrtILi8ELi64ELi4ELi16ELi64ELb1Ej6__halfEEvPKT6_PKbPfiPT5_PiiiibdPKfPKS9_SF_
		.amdhsa_group_segment_fixed_size 0
		.amdhsa_private_segment_fixed_size 48
		.amdhsa_kernarg_size 96
		.amdhsa_user_sgpr_count 2
		.amdhsa_user_sgpr_dispatch_ptr 0
		.amdhsa_user_sgpr_queue_ptr 0
		.amdhsa_user_sgpr_kernarg_segment_ptr 1
		.amdhsa_user_sgpr_dispatch_id 0
		.amdhsa_user_sgpr_kernarg_preload_length 0
		.amdhsa_user_sgpr_kernarg_preload_offset 0
		.amdhsa_user_sgpr_private_segment_size 0
		.amdhsa_uses_dynamic_stack 0
		.amdhsa_enable_private_segment 1
		.amdhsa_system_sgpr_workgroup_id_x 1
		.amdhsa_system_sgpr_workgroup_id_y 0
		.amdhsa_system_sgpr_workgroup_id_z 0
		.amdhsa_system_sgpr_workgroup_info 0
		.amdhsa_system_vgpr_workitem_id 1
		.amdhsa_next_free_vgpr 27
		.amdhsa_next_free_sgpr 34
		.amdhsa_accum_offset 28
		.amdhsa_reserve_vcc 1
		.amdhsa_float_round_mode_32 0
		.amdhsa_float_round_mode_16_64 0
		.amdhsa_float_denorm_mode_32 3
		.amdhsa_float_denorm_mode_16_64 3
		.amdhsa_dx10_clamp 1
		.amdhsa_ieee_mode 1
		.amdhsa_fp16_overflow 0
		.amdhsa_tg_split 0
		.amdhsa_exception_fp_ieee_invalid_op 0
		.amdhsa_exception_fp_denorm_src 0
		.amdhsa_exception_fp_ieee_div_zero 0
		.amdhsa_exception_fp_ieee_overflow 0
		.amdhsa_exception_fp_ieee_underflow 0
		.amdhsa_exception_fp_ieee_inexact 0
		.amdhsa_exception_int_div_zero 0
	.end_amdhsa_kernel
	.section	.text._ZN4vllm3moe22topkGatingSoftplusSqrtILi8ELi64ELi4ELi16ELi64ELb1Ej6__halfEEvPKT6_PKbPfiPT5_PiiiibdPKfPKS9_SF_,"axG",@progbits,_ZN4vllm3moe22topkGatingSoftplusSqrtILi8ELi64ELi4ELi16ELi64ELb1Ej6__halfEEvPKT6_PKbPfiPT5_PiiiibdPKfPKS9_SF_,comdat
.Lfunc_end264:
	.size	_ZN4vllm3moe22topkGatingSoftplusSqrtILi8ELi64ELi4ELi16ELi64ELb1Ej6__halfEEvPKT6_PKbPfiPT5_PiiiibdPKfPKS9_SF_, .Lfunc_end264-_ZN4vllm3moe22topkGatingSoftplusSqrtILi8ELi64ELi4ELi16ELi64ELb1Ej6__halfEEvPKT6_PKbPfiPT5_PiiiibdPKfPKS9_SF_
                                        ; -- End function
	.section	.AMDGPU.csdata,"",@progbits
; Kernel info:
; codeLenInByte = 4532
; NumSgprs: 40
; NumVgprs: 27
; NumAgprs: 0
; TotalNumVgprs: 27
; ScratchSize: 48
; MemoryBound: 0
; FloatMode: 240
; IeeeMode: 1
; LDSByteSize: 0 bytes/workgroup (compile time only)
; SGPRBlocks: 4
; VGPRBlocks: 3
; NumSGPRsForWavesPerEU: 40
; NumVGPRsForWavesPerEU: 27
; AccumOffset: 28
; Occupancy: 8
; WaveLimiterHint : 1
; COMPUTE_PGM_RSRC2:SCRATCH_EN: 1
; COMPUTE_PGM_RSRC2:USER_SGPR: 2
; COMPUTE_PGM_RSRC2:TRAP_HANDLER: 0
; COMPUTE_PGM_RSRC2:TGID_X_EN: 1
; COMPUTE_PGM_RSRC2:TGID_Y_EN: 0
; COMPUTE_PGM_RSRC2:TGID_Z_EN: 0
; COMPUTE_PGM_RSRC2:TIDIG_COMP_CNT: 1
; COMPUTE_PGM_RSRC3_GFX90A:ACCUM_OFFSET: 6
; COMPUTE_PGM_RSRC3_GFX90A:TG_SPLIT: 0
	.section	.text._ZN4vllm3moe22topkGatingSoftplusSqrtILi8ELi64ELi4ELi16ELi64ELb0Ej6__halfEEvPKT6_PKbPfiPT5_PiiiibdPKfPKS9_SF_,"axG",@progbits,_ZN4vllm3moe22topkGatingSoftplusSqrtILi8ELi64ELi4ELi16ELi64ELb0Ej6__halfEEvPKT6_PKbPfiPT5_PiiiibdPKfPKS9_SF_,comdat
	.protected	_ZN4vllm3moe22topkGatingSoftplusSqrtILi8ELi64ELi4ELi16ELi64ELb0Ej6__halfEEvPKT6_PKbPfiPT5_PiiiibdPKfPKS9_SF_ ; -- Begin function _ZN4vllm3moe22topkGatingSoftplusSqrtILi8ELi64ELi4ELi16ELi64ELb0Ej6__halfEEvPKT6_PKbPfiPT5_PiiiibdPKfPKS9_SF_
	.globl	_ZN4vllm3moe22topkGatingSoftplusSqrtILi8ELi64ELi4ELi16ELi64ELb0Ej6__halfEEvPKT6_PKbPfiPT5_PiiiibdPKfPKS9_SF_
	.p2align	8
	.type	_ZN4vllm3moe22topkGatingSoftplusSqrtILi8ELi64ELi4ELi16ELi64ELb0Ej6__halfEEvPKT6_PKbPfiPT5_PiiiibdPKfPKS9_SF_,@function
_ZN4vllm3moe22topkGatingSoftplusSqrtILi8ELi64ELi4ELi16ELi64ELb0Ej6__halfEEvPKT6_PKbPfiPT5_PiiiibdPKfPKS9_SF_: ; @_ZN4vllm3moe22topkGatingSoftplusSqrtILi8ELi64ELi4ELi16ELi64ELb0Ej6__halfEEvPKT6_PKbPfiPT5_PiiiibdPKfPKS9_SF_
; %bb.0:
	s_load_dword s33, s[0:1], 0x18
	v_bfe_u32 v1, v0, 10, 10
	v_and_b32_e32 v0, 0x3ff, v0
	s_lshl_b32 s2, s2, 5
	v_lshlrev_b32_e32 v1, 3, v1
	v_lshrrev_b32_e32 v2, 3, v0
	v_add3_u32 v8, s2, v1, v2
	s_waitcnt lgkmcnt(0)
	v_cmp_gt_i32_e32 vcc, s33, v8
	s_and_saveexec_b64 s[2:3], vcc
	s_cbranch_execz .LBB265_57
; %bb.1:
	s_load_dwordx4 s[4:7], s[0:1], 0x0
	s_load_dwordx2 s[34:35], s[0:1], 0x10
	s_waitcnt lgkmcnt(0)
	s_cmp_eq_u64 s[6:7], 0
	s_cbranch_scc1 .LBB265_3
; %bb.2:
	v_ashrrev_i32_e32 v9, 31, v8
	v_lshl_add_u64 v[2:3], s[6:7], 0, v[8:9]
	global_load_ubyte v1, v[2:3], off
	s_waitcnt vmcnt(0)
	v_and_b32_e32 v1, 1, v1
	v_cmp_eq_u32_e32 vcc, 1, v1
	s_xor_b64 s[2:3], vcc, -1
	s_orn2_b64 s[36:37], s[2:3], exec
	s_branch .LBB265_4
.LBB265_3:
	s_mov_b64 s[36:37], -1
.LBB265_4:
	v_lshlrev_b32_e32 v4, 6, v8
	v_mov_b32_e32 v2, s4
	v_mov_b32_e32 v3, s5
	v_ashrrev_i32_e32 v5, 31, v4
	v_and_b32_e32 v9, 7, v0
	v_lshl_add_u64 v[2:3], v[4:5], 1, v[2:3]
	v_mov_b32_e32 v1, 0
	v_lshlrev_b32_e32 v0, 4, v9
	v_lshl_add_u64 v[0:1], v[2:3], 0, v[0:1]
	global_load_dwordx4 v[4:7], v[0:1], off
	s_mov_b32 s12, 0x800000
	v_mov_b32_e32 v2, 0x4f800000
	s_mov_b32 s9, 0x3f317217
	s_mov_b32 s10, 0x7f800000
	v_mov_b32_e32 v3, 0x41b17218
	s_movk_i32 s8, 0x4d00
	s_mov_b32 s11, 0xf800000
	s_load_dwordx4 s[20:23], s[0:1], 0x40
	v_lshlrev_b32_e32 v12, 3, v9
	s_waitcnt lgkmcnt(0)
	s_cmp_lg_u64 s[22:23], 0
	s_cselect_b64 s[6:7], -1, 0
	s_and_b64 s[2:3], exec, s[6:7]
	s_waitcnt vmcnt(0)
	v_cvt_f32_f16_e32 v0, v4
	v_mul_f32_e32 v1, 0x3fb8aa3b, v0
	v_exp_f32_e32 v10, v1
	v_mov_b32_e32 v1, 0x260
	v_add_f32_e32 v10, 1.0, v10
	v_cmp_gt_f32_e32 vcc, s12, v10
	s_nop 1
	v_cndmask_b32_e32 v11, 1.0, v2, vcc
	v_mul_f32_e32 v10, v10, v11
	v_log_f32_e32 v11, v10
	v_cndmask_b32_e32 v13, 0, v3, vcc
	v_lshlrev_b32_e32 v10, 2, v12
	v_mul_f32_e32 v14, 0x3f317217, v11
	v_fma_f32 v14, v11, s9, -v14
	v_fmac_f32_e32 v14, 0x3377d1cf, v11
	v_fmac_f32_e32 v14, 0x3f317217, v11
	v_cmp_lt_f32_e64 vcc, |v11|, s10
	s_nop 1
	v_cndmask_b32_e32 v11, v11, v14, vcc
	v_sub_f32_e32 v11, v11, v13
	v_cmp_lt_f16_e32 vcc, s8, v4
	s_nop 1
	v_cndmask_b32_e32 v0, v11, v0, vcc
	v_mul_f32_e32 v11, 0x4f800000, v0
	v_cmp_gt_f32_e32 vcc, s11, v0
	s_nop 1
	v_cndmask_b32_e32 v0, v0, v11, vcc
	v_sqrt_f32_e32 v11, v0
	s_nop 0
	v_add_u32_e32 v13, -1, v11
	v_add_u32_e32 v14, 1, v11
	v_fma_f32 v15, -v13, v11, v0
	v_fma_f32 v16, -v14, v11, v0
	v_cmp_ge_f32_e64 s[4:5], 0, v15
	s_nop 1
	v_cndmask_b32_e64 v11, v11, v13, s[4:5]
	v_cmp_lt_f32_e64 s[4:5], 0, v16
	s_nop 1
	v_cndmask_b32_e64 v11, v11, v14, s[4:5]
	v_mul_f32_e32 v13, 0x37800000, v11
	v_cndmask_b32_e32 v11, v11, v13, vcc
	v_cmp_class_f32_e32 vcc, v0, v1
	s_nop 1
	v_cndmask_b32_e32 v0, v11, v0, vcc
	s_mov_b64 vcc, s[2:3]
	s_cbranch_vccz .LBB265_6
; %bb.5:
	global_load_dword v11, v10, s[22:23]
	s_waitcnt vmcnt(0)
	v_add_f32_e32 v0, v0, v11
.LBB265_6:
	v_cvt_f32_f16_sdwa v11, v4 dst_sel:DWORD dst_unused:UNUSED_PAD src0_sel:WORD_1
	v_mul_f32_e32 v13, 0x3fb8aa3b, v11
	v_exp_f32_e32 v13, v13
	s_nop 0
	v_add_f32_e32 v13, 1.0, v13
	v_cmp_gt_f32_e32 vcc, s12, v13
	s_nop 1
	v_cndmask_b32_e32 v2, 1.0, v2, vcc
	v_mul_f32_e32 v2, v13, v2
	v_log_f32_e32 v2, v2
	v_cndmask_b32_e32 v3, 0, v3, vcc
	v_mul_f32_e32 v13, 0x3f317217, v2
	v_fma_f32 v13, v2, s9, -v13
	v_fmac_f32_e32 v13, 0x3377d1cf, v2
	v_fmac_f32_e32 v13, 0x3f317217, v2
	v_cmp_lt_f32_e64 vcc, |v2|, s10
	s_nop 1
	v_cndmask_b32_e32 v2, v2, v13, vcc
	v_sub_f32_e32 v2, v2, v3
	v_cmp_gt_f16_sdwa vcc, v4, s8 src0_sel:WORD_1 src1_sel:DWORD
	v_cndmask_b32_e64 v4, 0, 1, s[6:7]
	v_cmp_ne_u32_e64 s[2:3], 1, v4
	v_cndmask_b32_e32 v2, v2, v11, vcc
	v_mul_f32_e32 v3, 0x4f800000, v2
	v_cmp_gt_f32_e64 s[4:5], s11, v2
	s_andn2_b64 vcc, exec, s[6:7]
	s_nop 0
	v_cndmask_b32_e64 v2, v2, v3, s[4:5]
	v_sqrt_f32_e32 v3, v2
	s_nop 0
	v_add_u32_e32 v4, -1, v3
	v_add_u32_e32 v11, 1, v3
	v_fma_f32 v13, -v4, v3, v2
	v_fma_f32 v14, -v11, v3, v2
	v_cmp_ge_f32_e64 s[6:7], 0, v13
	s_nop 1
	v_cndmask_b32_e64 v3, v3, v4, s[6:7]
	v_cmp_lt_f32_e64 s[6:7], 0, v14
	s_nop 1
	v_cndmask_b32_e64 v3, v3, v11, s[6:7]
	v_mul_f32_e32 v4, 0x37800000, v3
	v_cndmask_b32_e64 v3, v3, v4, s[4:5]
	v_cmp_class_f32_e64 s[4:5], v2, v1
	s_nop 1
	v_cndmask_b32_e64 v1, v3, v2, s[4:5]
	s_cbranch_vccnz .LBB265_8
; %bb.7:
	global_load_dword v2, v10, s[22:23] offset:4
	s_waitcnt vmcnt(0)
	v_add_f32_e32 v1, v1, v2
.LBB265_8:
	v_cvt_f32_f16_e32 v2, v5
	s_mov_b32 s8, 0x800000
	v_mov_b32_e32 v4, 0x4f800000
	s_mov_b32 s7, 0x3f317217
	v_mul_f32_e32 v3, 0x3fb8aa3b, v2
	v_exp_f32_e32 v3, v3
	s_mov_b32 s9, 0x7f800000
	s_movk_i32 s6, 0x4d00
	s_mov_b32 s10, 0xf800000
	v_add_f32_e32 v3, 1.0, v3
	v_cmp_gt_f32_e32 vcc, s8, v3
	s_nop 1
	v_cndmask_b32_e32 v11, 1.0, v4, vcc
	v_mul_f32_e32 v3, v3, v11
	v_log_f32_e32 v3, v3
	v_mov_b32_e32 v11, 0x41b17218
	v_cndmask_b32_e32 v13, 0, v11, vcc
	v_mul_f32_e32 v14, 0x3f317217, v3
	v_fma_f32 v14, v3, s7, -v14
	v_fmac_f32_e32 v14, 0x3377d1cf, v3
	v_fmac_f32_e32 v14, 0x3f317217, v3
	v_cmp_lt_f32_e64 vcc, |v3|, s9
	s_nop 1
	v_cndmask_b32_e32 v3, v3, v14, vcc
	v_sub_f32_e32 v3, v3, v13
	v_cmp_lt_f16_e32 vcc, s6, v5
	s_nop 1
	v_cndmask_b32_e32 v2, v3, v2, vcc
	v_mul_f32_e32 v3, 0x4f800000, v2
	v_cmp_gt_f32_e32 vcc, s10, v2
	s_nop 1
	v_cndmask_b32_e32 v2, v2, v3, vcc
	v_sqrt_f32_e32 v3, v2
	s_nop 0
	v_add_u32_e32 v13, -1, v3
	v_fma_f32 v14, -v13, v3, v2
	v_cmp_ge_f32_e64 s[4:5], 0, v14
	v_add_u32_e32 v14, 1, v3
	s_nop 0
	v_cndmask_b32_e64 v13, v3, v13, s[4:5]
	v_fma_f32 v3, -v14, v3, v2
	v_cmp_lt_f32_e64 s[4:5], 0, v3
	s_nop 1
	v_cndmask_b32_e64 v3, v13, v14, s[4:5]
	v_mul_f32_e32 v13, 0x37800000, v3
	v_cndmask_b32_e32 v13, v3, v13, vcc
	v_mov_b32_e32 v3, 0x260
	v_cmp_class_f32_e64 s[4:5], v2, v3
	s_and_b64 vcc, exec, s[2:3]
	s_nop 0
	v_cndmask_b32_e64 v2, v13, v2, s[4:5]
	s_cbranch_vccnz .LBB265_10
; %bb.9:
	global_load_dword v13, v10, s[22:23] offset:8
	s_waitcnt vmcnt(0)
	v_add_f32_e32 v2, v2, v13
.LBB265_10:
	v_cvt_f32_f16_sdwa v13, v5 dst_sel:DWORD dst_unused:UNUSED_PAD src0_sel:WORD_1
	v_mul_f32_e32 v14, 0x3fb8aa3b, v13
	v_exp_f32_e32 v14, v14
	s_nop 0
	v_add_f32_e32 v14, 1.0, v14
	v_cmp_gt_f32_e32 vcc, s8, v14
	s_nop 1
	v_cndmask_b32_e32 v4, 1.0, v4, vcc
	v_mul_f32_e32 v4, v14, v4
	v_log_f32_e32 v4, v4
	v_cndmask_b32_e32 v11, 0, v11, vcc
	v_mul_f32_e32 v14, 0x3f317217, v4
	v_fma_f32 v14, v4, s7, -v14
	v_fmac_f32_e32 v14, 0x3377d1cf, v4
	v_fmac_f32_e32 v14, 0x3f317217, v4
	v_cmp_lt_f32_e64 vcc, |v4|, s9
	s_nop 1
	v_cndmask_b32_e32 v4, v4, v14, vcc
	v_sub_f32_e32 v4, v4, v11
	v_cmp_gt_f16_sdwa vcc, v5, s6 src0_sel:WORD_1 src1_sel:DWORD
	s_nop 1
	v_cndmask_b32_e32 v4, v4, v13, vcc
	v_mul_f32_e32 v5, 0x4f800000, v4
	v_cmp_gt_f32_e64 s[4:5], s10, v4
	s_and_b64 vcc, exec, s[2:3]
	s_nop 0
	v_cndmask_b32_e64 v4, v4, v5, s[4:5]
	v_sqrt_f32_e32 v5, v4
	s_nop 0
	v_add_u32_e32 v11, -1, v5
	v_add_u32_e32 v13, 1, v5
	v_fma_f32 v14, -v11, v5, v4
	v_fma_f32 v15, -v13, v5, v4
	v_cmp_ge_f32_e64 s[6:7], 0, v14
	s_nop 1
	v_cndmask_b32_e64 v5, v5, v11, s[6:7]
	v_cmp_lt_f32_e64 s[6:7], 0, v15
	s_nop 1
	v_cndmask_b32_e64 v5, v5, v13, s[6:7]
	v_mul_f32_e32 v11, 0x37800000, v5
	v_cndmask_b32_e64 v5, v5, v11, s[4:5]
	v_cmp_class_f32_e64 s[4:5], v4, v3
	s_nop 1
	v_cndmask_b32_e64 v3, v5, v4, s[4:5]
	s_cbranch_vccnz .LBB265_12
; %bb.11:
	global_load_dword v4, v10, s[22:23] offset:12
	s_waitcnt vmcnt(0)
	v_add_f32_e32 v3, v3, v4
.LBB265_12:
	v_cvt_f32_f16_e32 v4, v6
	v_mov_b32_e32 v11, 0x4f800000
	s_mov_b32 s7, 0x3f317217
	s_movk_i32 s6, 0x4d00
	v_mul_f32_e32 v5, 0x3fb8aa3b, v4
	v_exp_f32_e32 v5, v5
	s_nop 0
	v_add_f32_e32 v5, 1.0, v5
	v_cmp_gt_f32_e32 vcc, s8, v5
	s_nop 1
	v_cndmask_b32_e32 v13, 1.0, v11, vcc
	v_mul_f32_e32 v5, v5, v13
	v_log_f32_e32 v5, v5
	v_mov_b32_e32 v13, 0x41b17218
	v_cndmask_b32_e32 v14, 0, v13, vcc
	v_mul_f32_e32 v15, 0x3f317217, v5
	v_fma_f32 v15, v5, s7, -v15
	v_fmac_f32_e32 v15, 0x3377d1cf, v5
	v_fmac_f32_e32 v15, 0x3f317217, v5
	v_cmp_lt_f32_e64 vcc, |v5|, s9
	s_nop 1
	v_cndmask_b32_e32 v5, v5, v15, vcc
	v_sub_f32_e32 v5, v5, v14
	v_cmp_lt_f16_e32 vcc, s6, v6
	s_nop 1
	v_cndmask_b32_e32 v4, v5, v4, vcc
	v_mul_f32_e32 v5, 0x4f800000, v4
	v_cmp_gt_f32_e32 vcc, s10, v4
	s_nop 1
	v_cndmask_b32_e32 v4, v4, v5, vcc
	v_sqrt_f32_e32 v5, v4
	s_nop 0
	v_add_u32_e32 v14, -1, v5
	v_fma_f32 v15, -v14, v5, v4
	v_cmp_ge_f32_e64 s[4:5], 0, v15
	v_add_u32_e32 v15, 1, v5
	s_nop 0
	v_cndmask_b32_e64 v14, v5, v14, s[4:5]
	v_fma_f32 v5, -v15, v5, v4
	v_cmp_lt_f32_e64 s[4:5], 0, v5
	s_nop 1
	v_cndmask_b32_e64 v5, v14, v15, s[4:5]
	v_mul_f32_e32 v14, 0x37800000, v5
	v_cndmask_b32_e32 v14, v5, v14, vcc
	v_mov_b32_e32 v5, 0x260
	v_cmp_class_f32_e64 s[4:5], v4, v5
	s_and_b64 vcc, exec, s[2:3]
	s_nop 0
	v_cndmask_b32_e64 v4, v14, v4, s[4:5]
	s_cbranch_vccnz .LBB265_14
; %bb.13:
	global_load_dword v14, v10, s[22:23] offset:16
	s_waitcnt vmcnt(0)
	v_add_f32_e32 v4, v4, v14
.LBB265_14:
	v_cvt_f32_f16_sdwa v14, v6 dst_sel:DWORD dst_unused:UNUSED_PAD src0_sel:WORD_1
	v_mul_f32_e32 v15, 0x3fb8aa3b, v14
	v_exp_f32_e32 v15, v15
	s_nop 0
	v_add_f32_e32 v15, 1.0, v15
	v_cmp_gt_f32_e32 vcc, s8, v15
	s_nop 1
	v_cndmask_b32_e32 v11, 1.0, v11, vcc
	v_mul_f32_e32 v11, v15, v11
	v_log_f32_e32 v11, v11
	v_cndmask_b32_e32 v13, 0, v13, vcc
	v_mul_f32_e32 v15, 0x3f317217, v11
	v_fma_f32 v15, v11, s7, -v15
	v_fmac_f32_e32 v15, 0x3377d1cf, v11
	v_fmac_f32_e32 v15, 0x3f317217, v11
	v_cmp_lt_f32_e64 vcc, |v11|, s9
	s_nop 1
	v_cndmask_b32_e32 v11, v11, v15, vcc
	v_sub_f32_e32 v11, v11, v13
	v_cmp_gt_f16_sdwa vcc, v6, s6 src0_sel:WORD_1 src1_sel:DWORD
	s_nop 1
	v_cndmask_b32_e32 v6, v11, v14, vcc
	v_mul_f32_e32 v11, 0x4f800000, v6
	v_cmp_gt_f32_e64 s[4:5], s10, v6
	s_and_b64 vcc, exec, s[2:3]
	s_nop 0
	v_cndmask_b32_e64 v6, v6, v11, s[4:5]
	v_sqrt_f32_e32 v11, v6
	s_nop 0
	v_add_u32_e32 v13, -1, v11
	v_add_u32_e32 v14, 1, v11
	v_fma_f32 v15, -v13, v11, v6
	v_fma_f32 v16, -v14, v11, v6
	v_cmp_ge_f32_e64 s[6:7], 0, v15
	s_nop 1
	v_cndmask_b32_e64 v11, v11, v13, s[6:7]
	v_cmp_lt_f32_e64 s[6:7], 0, v16
	s_nop 1
	v_cndmask_b32_e64 v11, v11, v14, s[6:7]
	v_mul_f32_e32 v13, 0x37800000, v11
	v_cndmask_b32_e64 v11, v11, v13, s[4:5]
	v_cmp_class_f32_e64 s[4:5], v6, v5
	s_nop 1
	v_cndmask_b32_e64 v5, v11, v6, s[4:5]
	s_cbranch_vccnz .LBB265_16
; %bb.15:
	global_load_dword v6, v10, s[22:23] offset:20
	s_waitcnt vmcnt(0)
	v_add_f32_e32 v5, v5, v6
.LBB265_16:
	v_cvt_f32_f16_e32 v6, v7
	v_mov_b32_e32 v13, 0x4f800000
	s_mov_b32 s7, 0x3f317217
	s_movk_i32 s6, 0x4d00
	v_mul_f32_e32 v11, 0x3fb8aa3b, v6
	v_exp_f32_e32 v11, v11
	s_nop 0
	v_add_f32_e32 v11, 1.0, v11
	v_cmp_gt_f32_e32 vcc, s8, v11
	s_nop 1
	v_cndmask_b32_e32 v14, 1.0, v13, vcc
	v_mul_f32_e32 v11, v11, v14
	v_log_f32_e32 v11, v11
	v_mov_b32_e32 v14, 0x41b17218
	v_cndmask_b32_e32 v15, 0, v14, vcc
	v_mul_f32_e32 v16, 0x3f317217, v11
	v_fma_f32 v16, v11, s7, -v16
	v_fmac_f32_e32 v16, 0x3377d1cf, v11
	v_fmac_f32_e32 v16, 0x3f317217, v11
	v_cmp_lt_f32_e64 vcc, |v11|, s9
	s_nop 1
	v_cndmask_b32_e32 v11, v11, v16, vcc
	v_sub_f32_e32 v11, v11, v15
	v_cmp_lt_f16_e32 vcc, s6, v7
	s_nop 1
	v_cndmask_b32_e32 v6, v11, v6, vcc
	v_mul_f32_e32 v11, 0x4f800000, v6
	v_cmp_gt_f32_e32 vcc, s10, v6
	s_nop 1
	v_cndmask_b32_e32 v6, v6, v11, vcc
	v_sqrt_f32_e32 v11, v6
	s_nop 0
	v_add_u32_e32 v15, -1, v11
	v_fma_f32 v16, -v15, v11, v6
	v_cmp_ge_f32_e64 s[4:5], 0, v16
	v_add_u32_e32 v16, 1, v11
	s_nop 0
	v_cndmask_b32_e64 v15, v11, v15, s[4:5]
	v_fma_f32 v11, -v16, v11, v6
	v_cmp_lt_f32_e64 s[4:5], 0, v11
	s_nop 1
	v_cndmask_b32_e64 v11, v15, v16, s[4:5]
	v_mul_f32_e32 v15, 0x37800000, v11
	v_cndmask_b32_e32 v15, v11, v15, vcc
	v_mov_b32_e32 v11, 0x260
	v_cmp_class_f32_e64 s[4:5], v6, v11
	s_and_b64 vcc, exec, s[2:3]
	s_nop 0
	v_cndmask_b32_e64 v6, v15, v6, s[4:5]
	s_cbranch_vccnz .LBB265_18
; %bb.17:
	global_load_dword v15, v10, s[22:23] offset:24
	s_waitcnt vmcnt(0)
	v_add_f32_e32 v6, v6, v15
.LBB265_18:
	v_cvt_f32_f16_sdwa v15, v7 dst_sel:DWORD dst_unused:UNUSED_PAD src0_sel:WORD_1
	v_mul_f32_e32 v16, 0x3fb8aa3b, v15
	v_exp_f32_e32 v16, v16
	s_nop 0
	v_add_f32_e32 v16, 1.0, v16
	v_cmp_gt_f32_e32 vcc, s8, v16
	s_nop 1
	v_cndmask_b32_e32 v13, 1.0, v13, vcc
	v_mul_f32_e32 v13, v16, v13
	v_log_f32_e32 v13, v13
	v_cndmask_b32_e32 v14, 0, v14, vcc
	v_mul_f32_e32 v16, 0x3f317217, v13
	v_fma_f32 v16, v13, s7, -v16
	v_fmac_f32_e32 v16, 0x3377d1cf, v13
	v_fmac_f32_e32 v16, 0x3f317217, v13
	v_cmp_lt_f32_e64 vcc, |v13|, s9
	s_nop 1
	v_cndmask_b32_e32 v13, v13, v16, vcc
	v_sub_f32_e32 v13, v13, v14
	v_cmp_gt_f16_sdwa vcc, v7, s6 src0_sel:WORD_1 src1_sel:DWORD
	s_nop 1
	v_cndmask_b32_e32 v7, v13, v15, vcc
	v_mul_f32_e32 v13, 0x4f800000, v7
	v_cmp_gt_f32_e64 s[4:5], s10, v7
	s_and_b64 vcc, exec, s[2:3]
	s_nop 0
	v_cndmask_b32_e64 v7, v7, v13, s[4:5]
	v_sqrt_f32_e32 v13, v7
	s_nop 0
	v_add_u32_e32 v14, -1, v13
	v_add_u32_e32 v15, 1, v13
	v_fma_f32 v16, -v14, v13, v7
	v_fma_f32 v17, -v15, v13, v7
	v_cmp_ge_f32_e64 s[6:7], 0, v16
	s_nop 1
	v_cndmask_b32_e64 v13, v13, v14, s[6:7]
	v_cmp_lt_f32_e64 s[6:7], 0, v17
	s_nop 1
	v_cndmask_b32_e64 v13, v13, v15, s[6:7]
	v_mul_f32_e32 v14, 0x37800000, v13
	v_cndmask_b32_e64 v13, v13, v14, s[4:5]
	v_cmp_class_f32_e64 s[4:5], v7, v11
	s_nop 1
	v_cndmask_b32_e64 v7, v13, v7, s[4:5]
	s_cbranch_vccnz .LBB265_20
; %bb.19:
	global_load_dword v10, v10, s[22:23] offset:28
	s_waitcnt vmcnt(0)
	v_add_f32_e32 v7, v7, v10
.LBB265_20:
	s_load_dwordx4 s[24:27], s[0:1], 0x30
	s_mov_b32 s42, 0
	v_cmp_eq_u32_e64 s[6:7], 0, v9
	s_waitcnt lgkmcnt(0)
	s_bitcmp1_b32 s27, 0
	s_cselect_b64 s[4:5], -1, 0
	s_cmp_gt_i32 s24, 0
	s_cselect_b64 s[38:39], -1, 0
	s_and_b64 vcc, exec, s[38:39]
	s_cbranch_vccz .LBB265_43
; %bb.21:
	v_mbcnt_lo_u32_b32 v10, -1, 0
	v_mbcnt_hi_u32_b32 v10, -1, v10
	v_and_b32_e32 v11, 0x78, v10
	v_add_u32_e32 v11, 8, v11
	v_xor_b32_e32 v13, 4, v10
	v_cmp_lt_i32_e32 vcc, v13, v11
	s_load_dwordx4 s[28:31], s[0:1], 0x20
	v_mul_lo_u32 v14, v8, s24
	v_cndmask_b32_e32 v13, v10, v13, vcc
	v_lshlrev_b32_e32 v15, 2, v13
	v_xor_b32_e32 v13, 2, v10
	v_cmp_lt_i32_e32 vcc, v13, v11
	v_mov_b32_e32 v18, 0xc61c4000
	v_mov_b32_e32 v19, v8
	v_cndmask_b32_e32 v13, v10, v13, vcc
	v_lshlrev_b32_e32 v16, 2, v13
	v_xor_b32_e32 v13, 1, v10
	v_cmp_lt_i32_e32 vcc, v13, v11
	s_nop 1
	v_cndmask_b32_e32 v10, v10, v13, vcc
	v_lshlrev_b32_e32 v17, 2, v10
	v_mov_b32_e32 v13, 0
	s_branch .LBB265_24
.LBB265_22:                             ;   in Loop: Header=BB265_24 Depth=1
	s_or_b64 exec, exec, s[40:41]
.LBB265_23:                             ;   in Loop: Header=BB265_24 Depth=1
	s_cmp_eq_u32 s24, s42
	v_add_u32_e32 v19, s33, v19
	s_cbranch_scc1 .LBB265_44
.LBB265_24:                             ; =>This Inner Loop Header: Depth=1
	v_cmp_gt_f32_e32 vcc, v1, v0
	s_nop 1
	v_cndmask_b32_e32 v11, v0, v1, vcc
	v_cndmask_b32_e64 v10, 0, 1, vcc
	v_cmp_gt_f32_e32 vcc, v2, v11
	s_nop 1
	v_cndmask_b32_e32 v11, v11, v2, vcc
	v_cndmask_b32_e64 v10, v10, 2, vcc
	;; [unrolled: 4-line block ×6, first 2 shown]
	v_cmp_gt_f32_e32 vcc, v7, v11
	s_nop 1
	v_cndmask_b32_e64 v10, v10, 7, vcc
	v_cndmask_b32_e32 v20, v11, v7, vcc
	ds_bpermute_b32 v11, v15, v20
	v_or_b32_e32 v10, v12, v10
	s_waitcnt lgkmcnt(0)
	ds_bpermute_b32 v21, v15, v10
	s_waitcnt lgkmcnt(0)
	v_cmp_lt_f32_e64 s[8:9], v20, v11
	v_cmp_nlt_f32_e32 vcc, v20, v11
	s_and_saveexec_b64 s[10:11], vcc
; %bb.25:                               ;   in Loop: Header=BB265_24 Depth=1
	v_cmp_eq_f32_e32 vcc, v20, v11
	v_cmp_lt_i32_e64 s[0:1], v21, v10
	s_and_b64 s[0:1], vcc, s[0:1]
	s_andn2_b64 s[8:9], s[8:9], exec
	s_and_b64 s[0:1], s[0:1], exec
	s_or_b64 s[8:9], s[8:9], s[0:1]
; %bb.26:                               ;   in Loop: Header=BB265_24 Depth=1
	s_or_b64 exec, exec, s[10:11]
	s_and_saveexec_b64 s[0:1], s[8:9]
; %bb.27:                               ;   in Loop: Header=BB265_24 Depth=1
	v_mov_b32_e32 v20, v11
	v_mov_b32_e32 v10, v21
; %bb.28:                               ;   in Loop: Header=BB265_24 Depth=1
	s_or_b64 exec, exec, s[0:1]
	ds_bpermute_b32 v11, v16, v20
	ds_bpermute_b32 v21, v16, v10
	s_waitcnt lgkmcnt(1)
	v_cmp_lt_f32_e64 s[8:9], v20, v11
	v_cmp_nlt_f32_e32 vcc, v20, v11
	s_and_saveexec_b64 s[10:11], vcc
	s_cbranch_execz .LBB265_30
; %bb.29:                               ;   in Loop: Header=BB265_24 Depth=1
	v_cmp_eq_f32_e32 vcc, v20, v11
	s_waitcnt lgkmcnt(0)
	v_cmp_lt_i32_e64 s[0:1], v21, v10
	s_and_b64 s[0:1], vcc, s[0:1]
	s_andn2_b64 s[8:9], s[8:9], exec
	s_and_b64 s[0:1], s[0:1], exec
	s_or_b64 s[8:9], s[8:9], s[0:1]
.LBB265_30:                             ;   in Loop: Header=BB265_24 Depth=1
	s_or_b64 exec, exec, s[10:11]
	s_and_saveexec_b64 s[0:1], s[8:9]
	s_cbranch_execz .LBB265_32
; %bb.31:                               ;   in Loop: Header=BB265_24 Depth=1
	v_mov_b32_e32 v20, v11
	s_waitcnt lgkmcnt(0)
	v_mov_b32_e32 v10, v21
.LBB265_32:                             ;   in Loop: Header=BB265_24 Depth=1
	s_or_b64 exec, exec, s[0:1]
	ds_bpermute_b32 v11, v17, v20
	s_waitcnt lgkmcnt(1)
	ds_bpermute_b32 v21, v17, v10
	s_waitcnt lgkmcnt(1)
	v_cmp_lt_f32_e64 s[8:9], v20, v11
	v_cmp_nlt_f32_e32 vcc, v20, v11
	s_and_saveexec_b64 s[10:11], vcc
	s_cbranch_execnz .LBB265_36
; %bb.33:                               ;   in Loop: Header=BB265_24 Depth=1
	s_or_b64 exec, exec, s[10:11]
	s_and_saveexec_b64 s[0:1], s[8:9]
	s_cbranch_execnz .LBB265_37
.LBB265_34:                             ;   in Loop: Header=BB265_24 Depth=1
	s_or_b64 exec, exec, s[0:1]
	s_and_saveexec_b64 s[8:9], s[6:7]
	s_cbranch_execnz .LBB265_38
.LBB265_35:                             ;   in Loop: Header=BB265_24 Depth=1
	s_or_b64 exec, exec, s[8:9]
	s_add_i32 s42, s42, 1
	s_cmp_ge_i32 s42, s24
	s_cbranch_scc1 .LBB265_23
	s_branch .LBB265_41
.LBB265_36:                             ;   in Loop: Header=BB265_24 Depth=1
	v_cmp_eq_f32_e32 vcc, v20, v11
	s_waitcnt lgkmcnt(0)
	v_cmp_lt_i32_e64 s[0:1], v21, v10
	s_and_b64 s[0:1], vcc, s[0:1]
	s_andn2_b64 s[8:9], s[8:9], exec
	s_and_b64 s[0:1], s[0:1], exec
	s_or_b64 s[8:9], s[8:9], s[0:1]
	s_or_b64 exec, exec, s[10:11]
	s_and_saveexec_b64 s[0:1], s[8:9]
	s_cbranch_execz .LBB265_34
.LBB265_37:                             ;   in Loop: Header=BB265_24 Depth=1
	s_waitcnt lgkmcnt(0)
	v_mov_b32_e32 v10, v21
	v_mov_b32_e32 v20, v11
	s_or_b64 exec, exec, s[0:1]
	s_and_saveexec_b64 s[8:9], s[6:7]
	s_cbranch_execz .LBB265_35
.LBB265_38:                             ;   in Loop: Header=BB265_24 Depth=1
	s_and_b64 vcc, exec, s[2:3]
	s_cbranch_vccnz .LBB265_40
; %bb.39:                               ;   in Loop: Header=BB265_24 Depth=1
	v_ashrrev_i32_e32 v11, 31, v10
	v_lshl_add_u64 v[22:23], v[10:11], 2, s[22:23]
	global_load_dword v11, v[22:23], off
	s_waitcnt vmcnt(0)
	v_sub_f32_e32 v20, v20, v11
.LBB265_40:                             ;   in Loop: Header=BB265_24 Depth=1
	v_add_u32_e32 v22, s42, v14
	v_cmp_le_i32_e32 vcc, s25, v10
	v_cmp_gt_i32_e64 s[0:1], s26, v10
	v_ashrrev_i32_e32 v23, 31, v22
	s_and_b64 s[0:1], vcc, s[0:1]
	v_lshlrev_b64 v[22:23], 2, v[22:23]
	v_lshl_add_u64 v[24:25], s[34:35], 0, v[22:23]
	v_subrev_u32_e32 v11, s25, v10
	s_and_b64 vcc, s[36:37], s[0:1]
	global_store_dword v[24:25], v20, off
	v_cndmask_b32_e32 v11, 64, v11, vcc
	v_lshl_add_u64 v[24:25], s[28:29], 0, v[22:23]
	global_store_dword v[24:25], v11, off
	v_add_f32_e32 v11, v13, v20
	v_lshl_add_u64 v[22:23], s[30:31], 0, v[22:23]
	v_cndmask_b32_e64 v13, v13, v11, s[4:5]
	global_store_dword v[22:23], v19, off
	s_or_b64 exec, exec, s[8:9]
	s_add_i32 s42, s42, 1
	s_cmp_ge_i32 s42, s24
	s_cbranch_scc1 .LBB265_23
.LBB265_41:                             ;   in Loop: Header=BB265_24 Depth=1
	v_ashrrev_i32_e32 v20, 31, v10
	v_lshrrev_b32_e32 v11, 29, v20
	v_add_u32_e32 v11, v10, v11
	v_ashrrev_i32_e32 v11, 3, v11
	s_waitcnt lgkmcnt(0)
	v_lshrrev_b32_e32 v21, 29, v11
	v_add_u32_e32 v21, v11, v21
	v_and_b32_e32 v21, -8, v21
	v_sub_u32_e32 v21, v11, v21
	v_cmp_eq_u32_e32 vcc, v9, v21
	s_and_saveexec_b64 s[40:41], vcc
	s_cbranch_execz .LBB265_22
; %bb.42:                               ;   in Loop: Header=BB265_24 Depth=1
	v_lshrrev_b32_e32 v20, 26, v20
	v_add_u32_e32 v20, v10, v20
	v_lshlrev_b32_e32 v11, 3, v11
	v_sub_u32_e32 v10, v10, v11
	v_ashrrev_i32_e32 v11, 6, v20
	v_lshl_add_u32 v10, v11, 3, v10
	v_cmp_ne_u32_e32 vcc, 6, v10
	v_cmp_ne_u32_e64 s[0:1], 5, v10
	v_cmp_ne_u32_e64 s[8:9], 4, v10
	;; [unrolled: 1-line block ×7, first 2 shown]
	v_cndmask_b32_e32 v6, v18, v6, vcc
	v_cndmask_b32_e64 v5, v18, v5, s[0:1]
	v_cndmask_b32_e64 v7, v18, v7, s[18:19]
	v_cndmask_b32_e64 v4, v18, v4, s[8:9]
	v_cndmask_b32_e64 v3, v18, v3, s[10:11]
	v_cndmask_b32_e64 v2, v18, v2, s[12:13]
	v_cndmask_b32_e64 v1, v18, v1, s[14:15]
	v_cndmask_b32_e64 v0, v18, v0, s[16:17]
	s_branch .LBB265_22
.LBB265_43:
	v_mov_b32_e32 v13, 0
.LBB265_44:
	v_cmp_eq_u32_e32 vcc, 0, v9
	s_and_b64 exec, exec, vcc
	s_cbranch_execz .LBB265_57
; %bb.45:
	s_andn2_b64 vcc, exec, s[4:5]
	v_cvt_f32_f64_e32 v0, s[20:21]
	s_cbranch_vccnz .LBB265_47
; %bb.46:
	v_cmp_lt_f32_e32 vcc, 0, v13
	s_nop 1
	v_cndmask_b32_e32 v1, 1.0, v13, vcc
	v_div_scale_f32 v2, s[0:1], v1, v1, v0
	v_rcp_f32_e32 v3, v2
	s_nop 0
	v_fma_f32 v4, -v2, v3, 1.0
	v_fmac_f32_e32 v3, v4, v3
	v_div_scale_f32 v4, vcc, v0, v1, v0
	v_mul_f32_e32 v5, v4, v3
	v_fma_f32 v6, -v2, v5, v4
	v_fmac_f32_e32 v5, v6, v3
	v_fma_f32 v2, -v2, v5, v4
	v_div_fmas_f32 v2, v2, v3, v5
	v_div_fixup_f32 v0, v2, v1, v0
.LBB265_47:
	s_andn2_b64 vcc, exec, s[38:39]
	s_cbranch_vccnz .LBB265_57
; %bb.48:
	v_mul_lo_u32 v2, v8, s24
	s_cmp_gt_u32 s24, 3
	v_ashrrev_i32_e32 v3, 31, v2
	s_cbranch_scc0 .LBB265_52
; %bb.49:
	s_and_b32 s0, s24, 0x7ffffffc
	v_lshl_add_u64 v[4:5], v[2:3], 2, s[34:35]
	v_mov_b32_e32 v1, v0
	v_lshl_add_u64 v[4:5], v[4:5], 0, 8
	s_mov_b32 s1, s0
.LBB265_50:                             ; =>This Inner Loop Header: Depth=1
	global_load_dwordx4 v[6:9], v[4:5], off offset:-8
	s_add_i32 s1, s1, -4
	s_cmp_lg_u32 s1, 0
	s_waitcnt vmcnt(0)
	v_pk_mul_f32 v[6:7], v[0:1], v[6:7]
	v_pk_mul_f32 v[8:9], v[0:1], v[8:9]
	global_store_dwordx4 v[4:5], v[6:9], off offset:-8
	v_lshl_add_u64 v[4:5], v[4:5], 0, 16
	s_cbranch_scc1 .LBB265_50
; %bb.51:
	s_cmp_lg_u32 s0, s24
	s_cselect_b64 s[2:3], -1, 0
	s_branch .LBB265_54
.LBB265_52:
	s_mov_b64 s[2:3], 0
                                        ; implicit-def: $sgpr0
	s_cbranch_execz .LBB265_54
; %bb.53:
	s_mov_b64 s[2:3], -1
	s_mov_b32 s0, 0
.LBB265_54:
	s_andn2_b64 vcc, exec, s[2:3]
	s_cbranch_vccnz .LBB265_57
; %bb.55:
	s_mov_b32 s1, 0
	v_lshl_add_u64 v[2:3], v[2:3], 0, s[0:1]
	s_sub_i32 s2, s24, s0
	v_lshl_add_u64 v[2:3], v[2:3], 2, s[34:35]
.LBB265_56:                             ; =>This Inner Loop Header: Depth=1
	global_load_dword v1, v[2:3], off
	s_add_i32 s2, s2, -1
	s_cmp_lg_u32 s2, 0
	s_waitcnt vmcnt(0)
	v_mul_f32_e32 v1, v0, v1
	global_store_dword v[2:3], v1, off
	v_lshl_add_u64 v[2:3], v[2:3], 0, 4
	s_cbranch_scc1 .LBB265_56
.LBB265_57:
	s_endpgm
	.section	.rodata,"a",@progbits
	.p2align	6, 0x0
	.amdhsa_kernel _ZN4vllm3moe22topkGatingSoftplusSqrtILi8ELi64ELi4ELi16ELi64ELb0Ej6__halfEEvPKT6_PKbPfiPT5_PiiiibdPKfPKS9_SF_
		.amdhsa_group_segment_fixed_size 0
		.amdhsa_private_segment_fixed_size 0
		.amdhsa_kernarg_size 96
		.amdhsa_user_sgpr_count 2
		.amdhsa_user_sgpr_dispatch_ptr 0
		.amdhsa_user_sgpr_queue_ptr 0
		.amdhsa_user_sgpr_kernarg_segment_ptr 1
		.amdhsa_user_sgpr_dispatch_id 0
		.amdhsa_user_sgpr_kernarg_preload_length 0
		.amdhsa_user_sgpr_kernarg_preload_offset 0
		.amdhsa_user_sgpr_private_segment_size 0
		.amdhsa_uses_dynamic_stack 0
		.amdhsa_enable_private_segment 0
		.amdhsa_system_sgpr_workgroup_id_x 1
		.amdhsa_system_sgpr_workgroup_id_y 0
		.amdhsa_system_sgpr_workgroup_id_z 0
		.amdhsa_system_sgpr_workgroup_info 0
		.amdhsa_system_vgpr_workitem_id 1
		.amdhsa_next_free_vgpr 26
		.amdhsa_next_free_sgpr 43
		.amdhsa_accum_offset 28
		.amdhsa_reserve_vcc 1
		.amdhsa_float_round_mode_32 0
		.amdhsa_float_round_mode_16_64 0
		.amdhsa_float_denorm_mode_32 3
		.amdhsa_float_denorm_mode_16_64 3
		.amdhsa_dx10_clamp 1
		.amdhsa_ieee_mode 1
		.amdhsa_fp16_overflow 0
		.amdhsa_tg_split 0
		.amdhsa_exception_fp_ieee_invalid_op 0
		.amdhsa_exception_fp_denorm_src 0
		.amdhsa_exception_fp_ieee_div_zero 0
		.amdhsa_exception_fp_ieee_overflow 0
		.amdhsa_exception_fp_ieee_underflow 0
		.amdhsa_exception_fp_ieee_inexact 0
		.amdhsa_exception_int_div_zero 0
	.end_amdhsa_kernel
	.section	.text._ZN4vllm3moe22topkGatingSoftplusSqrtILi8ELi64ELi4ELi16ELi64ELb0Ej6__halfEEvPKT6_PKbPfiPT5_PiiiibdPKfPKS9_SF_,"axG",@progbits,_ZN4vllm3moe22topkGatingSoftplusSqrtILi8ELi64ELi4ELi16ELi64ELb0Ej6__halfEEvPKT6_PKbPfiPT5_PiiiibdPKfPKS9_SF_,comdat
.Lfunc_end265:
	.size	_ZN4vllm3moe22topkGatingSoftplusSqrtILi8ELi64ELi4ELi16ELi64ELb0Ej6__halfEEvPKT6_PKbPfiPT5_PiiiibdPKfPKS9_SF_, .Lfunc_end265-_ZN4vllm3moe22topkGatingSoftplusSqrtILi8ELi64ELi4ELi16ELi64ELb0Ej6__halfEEvPKT6_PKbPfiPT5_PiiiibdPKfPKS9_SF_
                                        ; -- End function
	.section	.AMDGPU.csdata,"",@progbits
; Kernel info:
; codeLenInByte = 3936
; NumSgprs: 49
; NumVgprs: 26
; NumAgprs: 0
; TotalNumVgprs: 26
; ScratchSize: 0
; MemoryBound: 0
; FloatMode: 240
; IeeeMode: 1
; LDSByteSize: 0 bytes/workgroup (compile time only)
; SGPRBlocks: 6
; VGPRBlocks: 3
; NumSGPRsForWavesPerEU: 49
; NumVGPRsForWavesPerEU: 26
; AccumOffset: 28
; Occupancy: 8
; WaveLimiterHint : 0
; COMPUTE_PGM_RSRC2:SCRATCH_EN: 0
; COMPUTE_PGM_RSRC2:USER_SGPR: 2
; COMPUTE_PGM_RSRC2:TRAP_HANDLER: 0
; COMPUTE_PGM_RSRC2:TGID_X_EN: 1
; COMPUTE_PGM_RSRC2:TGID_Y_EN: 0
; COMPUTE_PGM_RSRC2:TGID_Z_EN: 0
; COMPUTE_PGM_RSRC2:TIDIG_COMP_CNT: 1
; COMPUTE_PGM_RSRC3_GFX90A:ACCUM_OFFSET: 6
; COMPUTE_PGM_RSRC3_GFX90A:TG_SPLIT: 0
	.section	.text._ZN4vllm3moe22topkGatingSoftplusSqrtILi8ELi64ELi4ELi16ELi32ELb1Ej6__halfEEvPKT6_PKbPfiPT5_PiiiibdPKfPKS9_SF_,"axG",@progbits,_ZN4vllm3moe22topkGatingSoftplusSqrtILi8ELi64ELi4ELi16ELi32ELb1Ej6__halfEEvPKT6_PKbPfiPT5_PiiiibdPKfPKS9_SF_,comdat
	.protected	_ZN4vllm3moe22topkGatingSoftplusSqrtILi8ELi64ELi4ELi16ELi32ELb1Ej6__halfEEvPKT6_PKbPfiPT5_PiiiibdPKfPKS9_SF_ ; -- Begin function _ZN4vllm3moe22topkGatingSoftplusSqrtILi8ELi64ELi4ELi16ELi32ELb1Ej6__halfEEvPKT6_PKbPfiPT5_PiiiibdPKfPKS9_SF_
	.globl	_ZN4vllm3moe22topkGatingSoftplusSqrtILi8ELi64ELi4ELi16ELi32ELb1Ej6__halfEEvPKT6_PKbPfiPT5_PiiiibdPKfPKS9_SF_
	.p2align	8
	.type	_ZN4vllm3moe22topkGatingSoftplusSqrtILi8ELi64ELi4ELi16ELi32ELb1Ej6__halfEEvPKT6_PKbPfiPT5_PiiiibdPKfPKS9_SF_,@function
_ZN4vllm3moe22topkGatingSoftplusSqrtILi8ELi64ELi4ELi16ELi32ELb1Ej6__halfEEvPKT6_PKbPfiPT5_PiiiibdPKfPKS9_SF_: ; @_ZN4vllm3moe22topkGatingSoftplusSqrtILi8ELi64ELi4ELi16ELi32ELb1Ej6__halfEEvPKT6_PKbPfiPT5_PiiiibdPKfPKS9_SF_
; %bb.0:
	s_load_dword s3, s[0:1], 0x18
	v_bfe_u32 v1, v0, 10, 10
	v_and_b32_e32 v8, 0x3ff, v0
	s_lshl_b32 s2, s2, 4
	v_lshlrev_b32_e32 v1, 2, v1
	v_lshrrev_b32_e32 v0, 3, v8
	v_add3_u32 v6, s2, v1, v0
	s_waitcnt lgkmcnt(0)
	v_cmp_gt_i32_e32 vcc, s3, v6
	s_and_saveexec_b64 s[2:3], vcc
	s_cbranch_execz .LBB266_32
; %bb.1:
	s_load_dwordx2 s[2:3], s[0:1], 0x0
	s_load_dword s33, s[0:1], 0x30
	v_lshlrev_b32_e32 v0, 6, v6
	v_lshlrev_b32_e32 v2, 3, v8
	v_ashrrev_i32_e32 v1, 31, v0
	v_and_b32_e32 v10, 56, v2
	s_waitcnt lgkmcnt(0)
	v_lshl_add_u64 v[0:1], v[0:1], 1, s[2:3]
	v_lshlrev_b32_e32 v4, 1, v10
	v_mov_b32_e32 v5, 0
	v_lshl_add_u64 v[0:1], v[0:1], 0, v[4:5]
	global_load_dwordx4 v[0:3], v[0:1], off
	s_load_dwordx4 s[8:11], s[0:1], 0x50
	v_ashrrev_i32_e32 v7, 31, v6
	s_mov_b32 s15, 0x800000
	s_mov_b32 s13, 0x3f317217
	;; [unrolled: 1-line block ×3, first 2 shown]
	s_waitcnt lgkmcnt(0)
	v_mov_b32_e32 v12, s8
	v_mov_b32_e32 v13, s9
	v_lshl_add_u64 v[12:13], v[6:7], 2, v[12:13]
	global_load_dword v4, v[12:13], off
	v_mov_b32_e32 v7, 0x4f800000
	v_mov_b32_e32 v9, 0x41b17218
	s_movk_i32 s9, 0x4d00
	s_mov_b32 s12, 0xf800000
	v_mov_b32_e32 v19, 0x260
	s_cmp_gt_i32 s33, 0
	s_mov_b32 s8, 0
	s_waitcnt vmcnt(1)
	v_cvt_f32_f16_e32 v11, v0
	v_cvt_f32_f16_sdwa v16, v0 dst_sel:DWORD dst_unused:UNUSED_PAD src0_sel:WORD_1
	v_cvt_f32_f16_e32 v17, v1
	v_cvt_f32_f16_sdwa v18, v1 dst_sel:DWORD dst_unused:UNUSED_PAD src0_sel:WORD_1
	v_mul_f32_e32 v12, 0x3fb8aa3b, v11
	v_mul_f32_e32 v13, 0x3fb8aa3b, v16
	v_exp_f32_e32 v12, v12
	v_exp_f32_e32 v13, v13
	v_mul_f32_e32 v14, 0x3fb8aa3b, v17
	v_mul_f32_e32 v15, 0x3fb8aa3b, v18
	v_exp_f32_e32 v14, v14
	v_exp_f32_e32 v15, v15
	v_pk_add_f32 v[12:13], v[12:13], 1.0 op_sel_hi:[1,0]
	s_waitcnt vmcnt(0)
	v_mul_lo_u32 v4, v4, s33
	v_cmp_gt_f32_e32 vcc, s15, v13
	v_pk_add_f32 v[14:15], v[14:15], 1.0 op_sel_hi:[1,0]
	v_cmp_gt_f32_e64 s[2:3], s15, v12
	v_cndmask_b32_e32 v20, 1.0, v7, vcc
	v_cmp_gt_f32_e64 s[4:5], s15, v15
	v_cndmask_b32_e64 v21, 1.0, v7, s[2:3]
	v_mul_f32_e32 v13, v13, v20
	v_cndmask_b32_e64 v22, 1.0, v7, s[4:5]
	v_cmp_gt_f32_e64 s[6:7], s15, v14
	v_mul_f32_e32 v12, v12, v21
	v_log_f32_e32 v13, v13
	v_cndmask_b32_e64 v23, 1.0, v7, s[6:7]
	v_mul_f32_e32 v15, v15, v22
	v_log_f32_e32 v12, v12
	v_mul_f32_e32 v14, v14, v23
	v_log_f32_e32 v15, v15
	v_log_f32_e32 v14, v14
	v_mul_f32_e32 v23, 0x3f317217, v13
	v_mul_f32_e32 v24, 0x3f317217, v12
	v_fma_f32 v23, v13, s13, -v23
	v_mul_f32_e32 v25, 0x3f317217, v15
	v_fma_f32 v24, v12, s13, -v24
	v_fmac_f32_e32 v23, 0x3377d1cf, v13
	v_cndmask_b32_e32 v20, 0, v9, vcc
	v_mul_f32_e32 v26, 0x3f317217, v14
	v_fma_f32 v25, v15, s13, -v25
	v_fmac_f32_e32 v24, 0x3377d1cf, v12
	v_fmac_f32_e32 v23, 0x3f317217, v13
	v_cmp_lt_f32_e64 vcc, |v13|, s14
	v_fma_f32 v26, v14, s13, -v26
	v_fmac_f32_e32 v25, 0x3377d1cf, v15
	v_fmac_f32_e32 v24, 0x3f317217, v12
	v_cndmask_b32_e32 v13, v13, v23, vcc
	v_cmp_lt_f32_e64 vcc, |v12|, s14
	v_fmac_f32_e32 v26, 0x3377d1cf, v14
	v_fmac_f32_e32 v25, 0x3f317217, v15
	v_cndmask_b32_e32 v12, v12, v24, vcc
	v_cmp_lt_f32_e64 vcc, |v15|, s14
	v_cndmask_b32_e64 v21, 0, v9, s[2:3]
	v_fmac_f32_e32 v26, 0x3f317217, v14
	v_cndmask_b32_e32 v15, v15, v25, vcc
	v_cmp_lt_f32_e64 vcc, |v14|, s14
	v_sub_f32_e32 v12, v12, v21
	v_sub_f32_e32 v13, v13, v20
	v_cndmask_b32_e32 v14, v14, v26, vcc
	v_cmp_lt_f16_e32 vcc, s9, v0
	v_cndmask_b32_e64 v22, 0, v9, s[4:5]
	v_sub_f32_e32 v15, v15, v22
	v_cndmask_b32_e32 v11, v12, v11, vcc
	v_cmp_gt_f16_sdwa vcc, v0, s9 src0_sel:WORD_1 src1_sel:DWORD
	v_cmp_gt_f32_e64 s[2:3], s12, v11
	s_nop 0
	v_cndmask_b32_e32 v0, v13, v16, vcc
	v_mul_f32_e32 v12, 0x4f800000, v0
	v_cmp_gt_f32_e32 vcc, s12, v0
	v_mul_f32_e32 v13, 0x4f800000, v11
	v_cndmask_b32_e64 v11, v11, v13, s[2:3]
	v_cndmask_b32_e32 v0, v0, v12, vcc
	v_sqrt_f32_e32 v12, v0
	v_sqrt_f32_e32 v13, v11
	v_add_u32_e32 v16, -1, v12
	v_add_u32_e32 v21, -1, v13
	v_fma_f32 v23, -v16, v12, v0
	v_add_u32_e32 v20, 1, v12
	v_fma_f32 v25, -v21, v13, v11
	v_cmp_ge_f32_e64 s[4:5], 0, v23
	v_add_u32_e32 v22, 1, v13
	v_fma_f32 v24, -v20, v12, v0
	v_cndmask_b32_e64 v12, v12, v16, s[4:5]
	v_cmp_ge_f32_e64 s[4:5], 0, v25
	v_fma_f32 v26, -v22, v13, v11
	s_nop 0
	v_cndmask_b32_e64 v13, v13, v21, s[4:5]
	v_cmp_lt_f32_e64 s[4:5], 0, v24
	s_nop 1
	v_cndmask_b32_e64 v12, v12, v20, s[4:5]
	v_cmp_lt_f32_e64 s[4:5], 0, v26
	v_mul_f32_e32 v16, 0x37800000, v12
	v_cndmask_b32_e32 v12, v12, v16, vcc
	v_cndmask_b32_e64 v13, v13, v22, s[4:5]
	v_mul_f32_e32 v20, 0x37800000, v13
	v_cmp_class_f32_e32 vcc, v0, v19
	v_cndmask_b32_e64 v16, v13, v20, s[2:3]
	v_cmp_lt_f16_e64 s[2:3], s9, v1
	v_cndmask_b32_e32 v13, v12, v0, vcc
	v_cmp_class_f32_e32 vcc, v11, v19
	v_cndmask_b32_e64 v0, 0, v9, s[6:7]
	v_sub_f32_e32 v0, v14, v0
	v_cndmask_b32_e32 v12, v16, v11, vcc
	v_cmp_gt_f16_sdwa vcc, v1, s9 src0_sel:WORD_1 src1_sel:DWORD
	v_cndmask_b32_e64 v0, v0, v17, s[2:3]
	v_cvt_f32_f16_e32 v17, v2
	v_cndmask_b32_e32 v11, v15, v18, vcc
	v_mul_f32_e32 v15, 0x4f800000, v11
	v_cmp_gt_f32_e32 vcc, s12, v11
	v_cvt_f32_f16_sdwa v18, v2 dst_sel:DWORD dst_unused:UNUSED_PAD src0_sel:WORD_1
	s_nop 0
	v_cndmask_b32_e32 v11, v11, v15, vcc
	v_sqrt_f32_e32 v15, v11
	s_nop 0
	v_add_u32_e32 v1, -1, v15
	v_fma_f32 v14, -v1, v15, v11
	v_cmp_ge_f32_e64 s[2:3], 0, v14
	v_add_u32_e32 v14, 1, v15
	s_nop 0
	v_cndmask_b32_e64 v1, v15, v1, s[2:3]
	v_fma_f32 v15, -v14, v15, v11
	v_cmp_lt_f32_e64 s[2:3], 0, v15
	v_mul_f32_e32 v15, 0x4f800000, v0
	s_nop 0
	v_cndmask_b32_e64 v1, v1, v14, s[2:3]
	v_cmp_gt_f32_e64 s[2:3], s12, v0
	v_mul_f32_e32 v14, 0x37800000, v1
	v_cndmask_b32_e32 v1, v1, v14, vcc
	v_cndmask_b32_e64 v16, v0, v15, s[2:3]
	v_sqrt_f32_e32 v0, v16
	v_cmp_class_f32_e32 vcc, v11, v19
	v_add_u32_e32 v14, 1, v0
	s_nop 0
	v_cndmask_b32_e32 v15, v1, v11, vcc
	v_add_u32_e32 v1, -1, v0
	v_fma_f32 v11, -v1, v0, v16
	v_cmp_ge_f32_e32 vcc, 0, v11
	v_fma_f32 v20, -v14, v0, v16
	s_nop 0
	v_cndmask_b32_e32 v11, v0, v1, vcc
	v_mul_f32_e32 v0, 0x3fb8aa3b, v17
	v_mul_f32_e32 v1, 0x3fb8aa3b, v18
	v_exp_f32_e32 v0, v0
	v_exp_f32_e32 v1, v1
	v_cmp_lt_f32_e32 vcc, 0, v20
	v_pk_add_f32 v[0:1], v[0:1], 1.0 op_sel_hi:[1,0]
	s_nop 0
	v_cndmask_b32_e32 v11, v11, v14, vcc
	v_mul_f32_e32 v14, 0x37800000, v11
	v_cmp_gt_f32_e32 vcc, s15, v1
	v_cndmask_b32_e64 v11, v11, v14, s[2:3]
	v_cmp_class_f32_e64 s[2:3], v16, v19
	v_cndmask_b32_e32 v14, 1.0, v7, vcc
	v_mul_f32_e32 v1, v1, v14
	v_log_f32_e32 v1, v1
	v_cndmask_b32_e64 v14, v11, v16, s[2:3]
	v_cmp_gt_f32_e64 s[2:3], s15, v0
	scratch_store_dwordx4 off, v[12:15], off
	v_mul_f32_e32 v11, 0x3f317217, v1
	v_fma_f32 v11, v1, s13, -v11
	v_cndmask_b32_e64 v12, 1.0, v7, s[2:3]
	v_mul_f32_e32 v0, v0, v12
	v_log_f32_e32 v0, v0
	v_fmac_f32_e32 v11, 0x3377d1cf, v1
	v_fmac_f32_e32 v11, 0x3f317217, v1
	v_cmp_lt_f32_e64 s[4:5], |v1|, s14
	v_cvt_f32_f16_sdwa v15, v3 dst_sel:DWORD dst_unused:UNUSED_PAD src0_sel:WORD_1
	v_mul_f32_e32 v13, 0x3fb8aa3b, v15
	v_cndmask_b32_e64 v1, v1, v11, s[4:5]
	v_cndmask_b32_e32 v11, 0, v9, vcc
	v_sub_f32_e32 v1, v1, v11
	v_mul_f32_e32 v11, 0x3f317217, v0
	v_fma_f32 v11, v0, s13, -v11
	v_fmac_f32_e32 v11, 0x3377d1cf, v0
	v_fmac_f32_e32 v11, 0x3f317217, v0
	v_cmp_lt_f32_e64 vcc, |v0|, s14
	v_exp_f32_e32 v13, v13
	s_nop 0
	v_cndmask_b32_e32 v0, v0, v11, vcc
	v_cmp_gt_f16_sdwa vcc, v2, s9 src0_sel:WORD_1 src1_sel:DWORD
	v_cndmask_b32_e64 v11, 0, v9, s[2:3]
	v_cmp_lt_f16_e64 s[2:3], s9, v2
	v_cndmask_b32_e32 v1, v1, v18, vcc
	v_mul_f32_e32 v12, 0x4f800000, v1
	v_cmp_gt_f32_e32 vcc, s12, v1
	v_sub_f32_e32 v0, v0, v11
	v_cndmask_b32_e64 v0, v0, v17, s[2:3]
	v_cndmask_b32_e32 v1, v1, v12, vcc
	v_sqrt_f32_e32 v12, v1
	s_nop 0
	v_add_u32_e32 v2, -1, v12
	v_fma_f32 v11, -v2, v12, v1
	v_cmp_ge_f32_e64 s[2:3], 0, v11
	v_add_u32_e32 v11, 1, v12
	s_nop 0
	v_cndmask_b32_e64 v2, v12, v2, s[2:3]
	v_fma_f32 v12, -v11, v12, v1
	v_cmp_lt_f32_e64 s[2:3], 0, v12
	v_mul_f32_e32 v12, 0x4f800000, v0
	s_nop 0
	v_cndmask_b32_e64 v2, v2, v11, s[2:3]
	v_cmp_gt_f32_e64 s[2:3], s12, v0
	v_mul_f32_e32 v11, 0x37800000, v2
	v_cndmask_b32_e32 v2, v2, v11, vcc
	v_cndmask_b32_e64 v0, v0, v12, s[2:3]
	v_sqrt_f32_e32 v12, v0
	v_cmp_class_f32_e32 vcc, v1, v19
	v_add_u32_e32 v14, 1, v12
	s_nop 0
	v_cndmask_b32_e32 v1, v2, v1, vcc
	v_add_u32_e32 v2, -1, v12
	v_fma_f32 v11, -v2, v12, v0
	v_cmp_ge_f32_e32 vcc, 0, v11
	v_cvt_f32_f16_e32 v11, v3
	v_fma_f32 v16, -v14, v12, v0
	v_cndmask_b32_e32 v2, v12, v2, vcc
	v_cmp_lt_f32_e32 vcc, 0, v16
	v_mul_f32_e32 v12, 0x3fb8aa3b, v11
	v_exp_f32_e32 v12, v12
	v_cndmask_b32_e32 v2, v2, v14, vcc
	v_mul_f32_e32 v14, 0x37800000, v2
	v_cndmask_b32_e64 v2, v2, v14, s[2:3]
	v_pk_add_f32 v[12:13], v[12:13], 1.0 op_sel_hi:[1,0]
	v_cmp_class_f32_e64 s[2:3], v0, v19
	v_cmp_gt_f32_e32 vcc, s15, v13
	s_nop 0
	v_cndmask_b32_e64 v0, v2, v0, s[2:3]
	v_cndmask_b32_e32 v16, 1.0, v7, vcc
	v_mul_f32_e32 v13, v13, v16
	v_log_f32_e32 v13, v13
	v_cmp_gt_f32_e64 s[2:3], s15, v12
	v_mul_f32_e32 v2, 0x3f317217, v13
	s_nop 0
	v_cndmask_b32_e64 v7, 1.0, v7, s[2:3]
	v_mul_f32_e32 v7, v12, v7
	v_fma_f32 v2, v13, s13, -v2
	v_log_f32_e32 v7, v7
	v_fmac_f32_e32 v2, 0x3377d1cf, v13
	v_fmac_f32_e32 v2, 0x3f317217, v13
	v_cmp_lt_f32_e64 s[4:5], |v13|, s14
	v_cndmask_b32_e32 v12, 0, v9, vcc
	v_cmp_lt_f32_e64 vcc, |v7|, s14
	v_cndmask_b32_e64 v2, v13, v2, s[4:5]
	v_sub_f32_e32 v2, v2, v12
	v_mul_f32_e32 v12, 0x3f317217, v7
	v_fma_f32 v12, v7, s13, -v12
	v_fmac_f32_e32 v12, 0x3377d1cf, v7
	v_fmac_f32_e32 v12, 0x3f317217, v7
	v_cndmask_b32_e32 v7, v7, v12, vcc
	v_cmp_gt_f16_sdwa vcc, v3, s9 src0_sel:WORD_1 src1_sel:DWORD
	v_cndmask_b32_e64 v9, 0, v9, s[2:3]
	v_sub_f32_e32 v7, v7, v9
	v_cndmask_b32_e32 v2, v2, v15, vcc
	v_mul_f32_e32 v12, 0x4f800000, v2
	v_cmp_gt_f32_e32 vcc, s12, v2
	v_cmp_lt_f16_e64 s[2:3], s9, v3
	s_cselect_b64 s[4:5], -1, 0
	v_cndmask_b32_e32 v2, v2, v12, vcc
	v_sqrt_f32_e32 v12, v2
	v_cndmask_b32_e64 v3, v7, v11, s[2:3]
	s_cmp_lt_i32 s33, 1
	v_add_u32_e32 v7, -1, v12
	v_fma_f32 v9, -v7, v12, v2
	v_cmp_ge_f32_e64 s[2:3], 0, v9
	v_add_u32_e32 v9, 1, v12
	v_fma_f32 v11, -v9, v12, v2
	v_cndmask_b32_e64 v7, v12, v7, s[2:3]
	v_cmp_lt_f32_e64 s[2:3], 0, v11
	v_mul_f32_e32 v11, 0x4f800000, v3
	s_nop 0
	v_cndmask_b32_e64 v7, v7, v9, s[2:3]
	v_cmp_gt_f32_e64 s[2:3], s12, v3
	v_mul_f32_e32 v9, 0x37800000, v7
	s_nop 0
	v_cndmask_b32_e64 v11, v3, v11, s[2:3]
	v_sqrt_f32_e32 v12, v11
	v_cndmask_b32_e32 v3, v7, v9, vcc
	v_cmp_class_f32_e32 vcc, v2, v19
	s_nop 1
	v_cndmask_b32_e32 v3, v3, v2, vcc
	v_add_u32_e32 v2, -1, v12
	v_fma_f32 v7, -v2, v12, v11
	v_cmp_ge_f32_e32 vcc, 0, v7
	v_add_u32_e32 v7, 1, v12
	v_fma_f32 v9, -v7, v12, v11
	v_cndmask_b32_e32 v2, v12, v2, vcc
	v_cmp_lt_f32_e32 vcc, 0, v9
	s_nop 1
	v_cndmask_b32_e32 v2, v2, v7, vcc
	v_mul_f32_e32 v7, 0x37800000, v2
	v_cndmask_b32_e64 v2, v2, v7, s[2:3]
	v_cmp_class_f32_e32 vcc, v11, v19
	s_nop 1
	v_cndmask_b32_e32 v2, v2, v11, vcc
	scratch_store_dwordx4 off, v[0:3], off offset:16
	s_nop 1
	v_lshl_add_u64 v[2:3], v[4:5], 2, s[10:11]
	v_mul_lo_u32 v0, v6, s33
	s_cbranch_scc1 .LBB266_29
; %bb.2:
	s_load_dwordx2 s[6:7], s[0:1], 0x20
	s_cmp_lt_u32 s33, 4
	v_and_b32_e32 v4, 7, v8
	s_cbranch_scc1 .LBB266_21
; %bb.3:
	v_lshlrev_b32_e32 v5, 3, v4
	s_mov_b32 s11, 0
	s_and_b32 s8, s33, 0x7ffffffc
	v_ashrrev_i32_e32 v1, 31, v0
	v_sub_u32_e32 v11, 0, v5
	v_mov_b32_e32 v5, 0
	s_mov_b32 s10, s11
	s_branch .LBB266_5
.LBB266_4:                              ;   in Loop: Header=BB266_5 Depth=1
	s_or_b64 exec, exec, s[12:13]
	s_add_i32 s10, s10, 4
	s_cmp_eq_u32 s10, s8
	s_cbranch_scc1 .LBB266_22
.LBB266_5:                              ; =>This Loop Header: Depth=1
                                        ;     Child Loop BB266_7 Depth 2
                                        ;     Child Loop BB266_11 Depth 2
	;; [unrolled: 1-line block ×4, first 2 shown]
	v_lshl_add_u64 v[6:7], s[10:11], 2, v[2:3]
	global_load_dword v12, v[6:7], off
	v_add_u32_e32 v8, s10, v0
	v_ashrrev_i32_e32 v9, 31, v8
	v_mov_b32_e32 v13, 0
	s_mov_b64 s[12:13], 0
	s_waitcnt lgkmcnt(0)
	v_lshl_add_u64 v[8:9], v[8:9], 2, s[6:7]
	s_mov_b32 s9, 0
	s_waitcnt vmcnt(0)
	v_add_u32_e32 v14, v11, v12
	s_branch .LBB266_7
.LBB266_6:                              ;   in Loop: Header=BB266_7 Depth=2
	s_or_b64 exec, exec, s[14:15]
	s_add_i32 s16, s9, 1
	s_cmp_gt_u32 s9, 6
	s_cselect_b64 s[2:3], -1, 0
	s_xor_b64 s[14:15], vcc, -1
	s_or_b64 s[2:3], s[14:15], s[2:3]
	s_and_b64 s[2:3], exec, s[2:3]
	v_add_u32_e32 v13, 4, v13
	s_or_b64 s[12:13], s[2:3], s[12:13]
	s_mov_b32 s9, s16
	s_andn2_b64 exec, exec, s[12:13]
	s_cbranch_execz .LBB266_9
.LBB266_7:                              ;   Parent Loop BB266_5 Depth=1
                                        ; =>  This Inner Loop Header: Depth=2
	v_cmp_ne_u32_e32 vcc, s9, v14
	v_cmp_eq_u32_e64 s[2:3], s9, v14
	s_and_saveexec_b64 s[14:15], s[2:3]
	s_cbranch_execz .LBB266_6
; %bb.8:                                ;   in Loop: Header=BB266_7 Depth=2
	scratch_load_dword v15, v13, off
	s_waitcnt vmcnt(0)
	v_add_f32_e32 v5, v5, v15
	global_store_dword v[8:9], v12, off
	s_branch .LBB266_6
.LBB266_9:                              ;   in Loop: Header=BB266_5 Depth=1
	s_or_b64 exec, exec, s[12:13]
	global_load_dword v12, v[6:7], off offset:4
	s_ashr_i32 s3, s10, 31
	s_mov_b32 s2, s10
	v_lshl_add_u64 v[8:9], s[2:3], 0, v[0:1]
	v_mov_b32_e32 v13, 0
	s_mov_b32 s9, 0
	v_lshl_add_u64 v[8:9], v[8:9], 2, s[6:7]
	s_mov_b64 s[12:13], 0
	s_waitcnt vmcnt(0)
	v_add_u32_e32 v14, v11, v12
	s_branch .LBB266_11
.LBB266_10:                             ;   in Loop: Header=BB266_11 Depth=2
	s_or_b64 exec, exec, s[14:15]
	s_add_i32 s16, s9, 1
	s_cmp_gt_u32 s9, 6
	s_cselect_b64 s[2:3], -1, 0
	s_xor_b64 s[14:15], vcc, -1
	s_or_b64 s[2:3], s[14:15], s[2:3]
	s_and_b64 s[2:3], exec, s[2:3]
	v_add_u32_e32 v13, 4, v13
	s_or_b64 s[12:13], s[2:3], s[12:13]
	s_mov_b32 s9, s16
	s_andn2_b64 exec, exec, s[12:13]
	s_cbranch_execz .LBB266_13
.LBB266_11:                             ;   Parent Loop BB266_5 Depth=1
                                        ; =>  This Inner Loop Header: Depth=2
	v_cmp_ne_u32_e32 vcc, s9, v14
	v_cmp_eq_u32_e64 s[2:3], s9, v14
	s_and_saveexec_b64 s[14:15], s[2:3]
	s_cbranch_execz .LBB266_10
; %bb.12:                               ;   in Loop: Header=BB266_11 Depth=2
	scratch_load_dword v15, v13, off
	s_waitcnt vmcnt(0)
	v_add_f32_e32 v5, v5, v15
	global_store_dword v[8:9], v12, off offset:4
	s_branch .LBB266_10
.LBB266_13:                             ;   in Loop: Header=BB266_5 Depth=1
	s_or_b64 exec, exec, s[12:13]
	global_load_dword v12, v[6:7], off offset:8
	v_mov_b32_e32 v13, 0
	s_mov_b32 s9, 0
	s_mov_b64 s[12:13], 0
	s_waitcnt vmcnt(0)
	v_add_u32_e32 v14, v11, v12
	s_branch .LBB266_15
.LBB266_14:                             ;   in Loop: Header=BB266_15 Depth=2
	s_or_b64 exec, exec, s[14:15]
	s_add_i32 s16, s9, 1
	s_cmp_gt_u32 s9, 6
	s_cselect_b64 s[2:3], -1, 0
	s_xor_b64 s[14:15], vcc, -1
	s_or_b64 s[2:3], s[14:15], s[2:3]
	s_and_b64 s[2:3], exec, s[2:3]
	v_add_u32_e32 v13, 4, v13
	s_or_b64 s[12:13], s[2:3], s[12:13]
	s_mov_b32 s9, s16
	s_andn2_b64 exec, exec, s[12:13]
	s_cbranch_execz .LBB266_17
.LBB266_15:                             ;   Parent Loop BB266_5 Depth=1
                                        ; =>  This Inner Loop Header: Depth=2
	v_cmp_ne_u32_e32 vcc, s9, v14
	v_cmp_eq_u32_e64 s[2:3], s9, v14
	s_and_saveexec_b64 s[14:15], s[2:3]
	s_cbranch_execz .LBB266_14
; %bb.16:                               ;   in Loop: Header=BB266_15 Depth=2
	scratch_load_dword v15, v13, off
	s_waitcnt vmcnt(0)
	v_add_f32_e32 v5, v5, v15
	global_store_dword v[8:9], v12, off offset:8
	s_branch .LBB266_14
.LBB266_17:                             ;   in Loop: Header=BB266_5 Depth=1
	s_or_b64 exec, exec, s[12:13]
	global_load_dword v6, v[6:7], off offset:12
	v_mov_b32_e32 v7, 0
	s_mov_b32 s9, 0
	s_mov_b64 s[12:13], 0
	s_waitcnt vmcnt(0)
	v_add_u32_e32 v12, v11, v6
	s_branch .LBB266_19
.LBB266_18:                             ;   in Loop: Header=BB266_19 Depth=2
	s_or_b64 exec, exec, s[14:15]
	s_add_i32 s16, s9, 1
	s_cmp_gt_u32 s9, 6
	s_cselect_b64 s[2:3], -1, 0
	s_xor_b64 s[14:15], vcc, -1
	s_or_b64 s[2:3], s[14:15], s[2:3]
	s_and_b64 s[2:3], exec, s[2:3]
	v_add_u32_e32 v7, 4, v7
	s_or_b64 s[12:13], s[2:3], s[12:13]
	s_mov_b32 s9, s16
	s_andn2_b64 exec, exec, s[12:13]
	s_cbranch_execz .LBB266_4
.LBB266_19:                             ;   Parent Loop BB266_5 Depth=1
                                        ; =>  This Inner Loop Header: Depth=2
	v_cmp_ne_u32_e32 vcc, s9, v12
	v_cmp_eq_u32_e64 s[2:3], s9, v12
	s_and_saveexec_b64 s[14:15], s[2:3]
	s_cbranch_execz .LBB266_18
; %bb.20:                               ;   in Loop: Header=BB266_19 Depth=2
	scratch_load_dword v13, v7, off
	s_waitcnt vmcnt(0)
	v_add_f32_e32 v5, v5, v13
	global_store_dword v[8:9], v6, off offset:12
	s_branch .LBB266_18
.LBB266_21:
	v_mov_b32_e32 v5, 0
.LBB266_22:
	s_and_b32 s14, s33, 3
	s_cmp_eq_u32 s14, 0
	s_mov_b32 s9, 0
	s_cbranch_scc1 .LBB266_29
; %bb.23:
	v_lshlrev_b32_e32 v1, 3, v4
	v_sub_u32_e32 v1, 0, v1
	s_mov_b32 s15, s9
	s_branch .LBB266_25
.LBB266_24:                             ;   in Loop: Header=BB266_25 Depth=1
	s_or_b64 exec, exec, s[10:11]
	s_add_i32 s8, s8, 1
	s_add_i32 s15, s15, 1
	s_cmp_lg_u32 s15, s14
	s_cbranch_scc0 .LBB266_29
.LBB266_25:                             ; =>This Loop Header: Depth=1
                                        ;     Child Loop BB266_27 Depth 2
	v_lshl_add_u64 v[6:7], s[8:9], 2, v[2:3]
	global_load_dword v4, v[6:7], off
	v_add_u32_e32 v6, s8, v0
	v_ashrrev_i32_e32 v7, 31, v6
	v_mov_b32_e32 v8, 0
	s_mov_b32 s16, 0
	s_waitcnt lgkmcnt(0)
	v_lshl_add_u64 v[6:7], v[6:7], 2, s[6:7]
	s_mov_b64 s[10:11], 0
	s_waitcnt vmcnt(0)
	v_add_u32_e32 v9, v1, v4
	s_branch .LBB266_27
.LBB266_26:                             ;   in Loop: Header=BB266_27 Depth=2
	s_or_b64 exec, exec, s[12:13]
	s_add_i32 s17, s16, 1
	s_cmp_gt_u32 s16, 6
	s_cselect_b64 s[2:3], -1, 0
	s_xor_b64 s[12:13], vcc, -1
	s_or_b64 s[2:3], s[12:13], s[2:3]
	s_and_b64 s[2:3], exec, s[2:3]
	v_add_u32_e32 v8, 4, v8
	s_or_b64 s[10:11], s[2:3], s[10:11]
	s_mov_b32 s16, s17
	s_andn2_b64 exec, exec, s[10:11]
	s_cbranch_execz .LBB266_24
.LBB266_27:                             ;   Parent Loop BB266_25 Depth=1
                                        ; =>  This Inner Loop Header: Depth=2
	v_cmp_ne_u32_e32 vcc, s16, v9
	v_cmp_eq_u32_e64 s[2:3], s16, v9
	s_and_saveexec_b64 s[12:13], s[2:3]
	s_cbranch_execz .LBB266_26
; %bb.28:                               ;   in Loop: Header=BB266_27 Depth=2
	scratch_load_dword v11, v8, off
	s_waitcnt vmcnt(0)
	v_add_f32_e32 v5, v5, v11
	global_store_dword v[6:7], v4, off
	s_branch .LBB266_26
.LBB266_29:
	s_waitcnt lgkmcnt(0)
	s_load_dword s6, s[0:1], 0x3c
	s_waitcnt lgkmcnt(0)
	s_bitcmp1_b32 s6, 0
	s_cselect_b64 s[2:3], -1, 0
	s_bitcmp0_b32 s6, 0
	s_cbranch_scc0 .LBB266_33
; %bb.30:
	s_load_dwordx2 s[6:7], s[0:1], 0x40
	s_andn2_b64 vcc, exec, s[2:3]
	s_waitcnt lgkmcnt(0)
	v_cvt_f32_f64_e32 v8, s[6:7]
	s_cbranch_vccz .LBB266_34
.LBB266_31:
	s_andn2_b64 vcc, exec, s[4:5]
	s_cbranch_vccz .LBB266_35
.LBB266_32:
	s_endpgm
.LBB266_33:
	v_mbcnt_lo_u32_b32 v1, -1, 0
	v_mbcnt_hi_u32_b32 v1, -1, v1
	v_and_b32_e32 v4, 0x78, v1
	v_add_u32_e32 v4, 8, v4
	v_xor_b32_e32 v6, 4, v1
	v_cmp_lt_i32_e32 vcc, v6, v4
	v_xor_b32_e32 v7, 2, v1
	s_nop 0
	v_cndmask_b32_e32 v6, v1, v6, vcc
	v_lshlrev_b32_e32 v6, 2, v6
	ds_bpermute_b32 v6, v6, v5
	v_cmp_lt_i32_e32 vcc, v7, v4
	s_waitcnt lgkmcnt(0)
	v_add_f32_e32 v5, v5, v6
	v_cndmask_b32_e32 v6, v1, v7, vcc
	v_lshlrev_b32_e32 v6, 2, v6
	ds_bpermute_b32 v6, v6, v5
	v_xor_b32_e32 v7, 1, v1
	v_cmp_lt_i32_e32 vcc, v7, v4
	s_waitcnt lgkmcnt(0)
	v_add_f32_e32 v5, v5, v6
	v_cndmask_b32_e32 v1, v1, v7, vcc
	v_lshlrev_b32_e32 v1, 2, v1
	ds_bpermute_b32 v1, v1, v5
	s_waitcnt lgkmcnt(0)
	v_add_f32_e32 v5, v5, v1
	s_load_dwordx2 s[6:7], s[0:1], 0x40
	s_andn2_b64 vcc, exec, s[2:3]
	s_waitcnt lgkmcnt(0)
	v_cvt_f32_f64_e32 v8, s[6:7]
	s_cbranch_vccnz .LBB266_31
.LBB266_34:
	v_cmp_lt_f32_e32 vcc, 0, v5
	s_nop 1
	v_cndmask_b32_e32 v1, 1.0, v5, vcc
	v_div_scale_f32 v4, s[2:3], v1, v1, v8
	v_rcp_f32_e32 v5, v4
	s_nop 0
	v_fma_f32 v6, -v4, v5, 1.0
	v_fmac_f32_e32 v5, v6, v5
	v_div_scale_f32 v6, vcc, v8, v1, v8
	v_mul_f32_e32 v7, v6, v5
	v_fma_f32 v9, -v4, v7, v6
	v_fmac_f32_e32 v7, v9, v5
	v_fma_f32 v4, -v4, v7, v6
	v_div_fmas_f32 v4, v4, v5, v7
	v_div_fixup_f32 v8, v4, v1, v8
	s_andn2_b64 vcc, exec, s[4:5]
	s_cbranch_vccnz .LBB266_32
.LBB266_35:
	s_load_dwordx2 s[12:13], s[0:1], 0x10
	v_mov_b32_e32 v1, 0
	v_or_b32_e32 v20, 4, v1
	v_or_b32_e32 v18, 8, v1
	;; [unrolled: 1-line block ×3, first 2 shown]
	v_add_u32_e32 v14, 16, v1
	v_add_u32_e32 v12, 20, v1
	;; [unrolled: 1-line block ×4, first 2 shown]
	v_or_b32_e32 v23, 1, v10
	v_or_b32_e32 v22, 2, v10
	;; [unrolled: 1-line block ×7, first 2 shown]
	s_cmp_eq_u32 s33, 1
	s_mov_b32 s14, 0
	s_cbranch_scc1 .LBB266_70
; %bb.36:
	v_ashrrev_i32_e32 v1, 31, v0
	s_waitcnt lgkmcnt(0)
	v_lshl_add_u64 v[4:5], v[0:1], 2, s[12:13]
	s_and_b32 s14, s33, 0x7ffffffe
	v_lshl_add_u64 v[4:5], v[4:5], 0, 4
	v_lshl_add_u64 v[6:7], v[2:3], 0, 4
	s_mov_b32 s15, 0
	s_branch .LBB266_38
.LBB266_37:                             ;   in Loop: Header=BB266_38 Depth=1
	s_or_b64 exec, exec, s[0:1]
	s_add_i32 s15, s15, 2
	v_lshl_add_u64 v[4:5], v[4:5], 0, 8
	s_cmp_eq_u32 s14, s15
	v_lshl_add_u64 v[6:7], v[6:7], 0, 8
	s_cbranch_scc1 .LBB266_70
.LBB266_38:                             ; =>This Inner Loop Header: Depth=1
	global_load_dword v24, v[6:7], off offset:-4
	v_mov_b32_e32 v1, 0
	s_waitcnt vmcnt(0)
	v_cmp_eq_u32_e32 vcc, v24, v10
	v_cmp_ne_u32_e64 s[0:1], v24, v10
	s_and_saveexec_b64 s[16:17], s[0:1]
	s_cbranch_execz .LBB266_52
; %bb.39:                               ;   in Loop: Header=BB266_38 Depth=1
	v_cmp_eq_u32_e64 s[0:1], v24, v23
	v_cmp_ne_u32_e64 s[2:3], v24, v23
	v_mov_b32_e32 v1, v20
	s_and_saveexec_b64 s[18:19], s[2:3]
	s_cbranch_execz .LBB266_51
; %bb.40:                               ;   in Loop: Header=BB266_38 Depth=1
	v_cmp_eq_u32_e64 s[2:3], v24, v22
	v_cmp_ne_u32_e64 s[4:5], v24, v22
	v_mov_b32_e32 v1, v18
	;; [unrolled: 6-line block ×6, first 2 shown]
	s_and_saveexec_b64 s[30:31], s[10:11]
	s_xor_b64 s[30:31], exec, s[30:31]
; %bb.45:                               ;   in Loop: Header=BB266_38 Depth=1
	v_cmp_eq_u32_e64 s[10:11], v24, v13
	s_andn2_b64 s[28:29], s[28:29], exec
	s_and_b64 s[10:11], s[10:11], exec
	s_or_b64 s[28:29], s[28:29], s[10:11]
	v_mov_b32_e32 v1, v11
; %bb.46:                               ;   in Loop: Header=BB266_38 Depth=1
	s_or_b64 exec, exec, s[30:31]
	s_andn2_b64 s[8:9], s[8:9], exec
	s_and_b64 s[10:11], s[28:29], exec
	s_or_b64 s[8:9], s[8:9], s[10:11]
.LBB266_47:                             ;   in Loop: Header=BB266_38 Depth=1
	s_or_b64 exec, exec, s[26:27]
	s_andn2_b64 s[6:7], s[6:7], exec
	s_and_b64 s[8:9], s[8:9], exec
	s_or_b64 s[6:7], s[6:7], s[8:9]
.LBB266_48:                             ;   in Loop: Header=BB266_38 Depth=1
	s_or_b64 exec, exec, s[24:25]
	s_andn2_b64 s[4:5], s[4:5], exec
	s_and_b64 s[6:7], s[6:7], exec
	s_or_b64 s[4:5], s[4:5], s[6:7]
.LBB266_49:                             ;   in Loop: Header=BB266_38 Depth=1
	s_or_b64 exec, exec, s[22:23]
	s_andn2_b64 s[2:3], s[2:3], exec
	s_and_b64 s[4:5], s[4:5], exec
	s_or_b64 s[2:3], s[2:3], s[4:5]
.LBB266_50:                             ;   in Loop: Header=BB266_38 Depth=1
	s_or_b64 exec, exec, s[20:21]
	s_andn2_b64 s[0:1], s[0:1], exec
	s_and_b64 s[2:3], s[2:3], exec
	s_or_b64 s[0:1], s[0:1], s[2:3]
.LBB266_51:                             ;   in Loop: Header=BB266_38 Depth=1
	s_or_b64 exec, exec, s[18:19]
	s_andn2_b64 s[2:3], vcc, exec
	s_and_b64 s[0:1], s[0:1], exec
	s_or_b64 vcc, s[2:3], s[0:1]
.LBB266_52:                             ;   in Loop: Header=BB266_38 Depth=1
	s_or_b64 exec, exec, s[16:17]
	s_and_saveexec_b64 s[0:1], vcc
	s_cbranch_execz .LBB266_54
; %bb.53:                               ;   in Loop: Header=BB266_38 Depth=1
	scratch_load_dword v1, v1, off
	v_add_u32_e32 v24, s15, v0
	v_ashrrev_i32_e32 v25, 31, v24
	v_lshl_add_u64 v[24:25], v[24:25], 2, s[12:13]
	s_waitcnt vmcnt(0)
	v_mul_f32_e32 v1, v8, v1
	global_store_dword v[24:25], v1, off
.LBB266_54:                             ;   in Loop: Header=BB266_38 Depth=1
	s_or_b64 exec, exec, s[0:1]
	global_load_dword v24, v[6:7], off
	v_mov_b32_e32 v1, 0
	s_waitcnt vmcnt(0)
	v_cmp_eq_u32_e64 s[8:9], v24, v10
	v_cmp_ne_u32_e32 vcc, v24, v10
	s_and_saveexec_b64 s[10:11], vcc
	s_cbranch_execz .LBB266_68
; %bb.55:                               ;   in Loop: Header=BB266_38 Depth=1
	v_cmp_eq_u32_e32 vcc, v24, v23
	v_cmp_ne_u32_e64 s[0:1], v24, v23
	v_mov_b32_e32 v1, v20
	s_and_saveexec_b64 s[16:17], s[0:1]
	s_cbranch_execz .LBB266_67
; %bb.56:                               ;   in Loop: Header=BB266_38 Depth=1
	v_cmp_eq_u32_e64 s[0:1], v24, v22
	v_cmp_ne_u32_e64 s[2:3], v24, v22
	v_mov_b32_e32 v1, v18
	s_and_saveexec_b64 s[18:19], s[2:3]
	s_cbranch_execz .LBB266_66
; %bb.57:                               ;   in Loop: Header=BB266_38 Depth=1
	v_cmp_eq_u32_e64 s[2:3], v24, v21
	;; [unrolled: 6-line block ×5, first 2 shown]
	v_cmp_ne_u32_e64 s[6:7], v24, v15
	v_mov_b32_e32 v1, v9
	s_and_saveexec_b64 s[30:31], s[6:7]
; %bb.61:                               ;   in Loop: Header=BB266_38 Depth=1
	v_cmp_eq_u32_e64 s[6:7], v24, v13
	s_andn2_b64 s[28:29], s[28:29], exec
	s_and_b64 s[6:7], s[6:7], exec
	s_or_b64 s[28:29], s[28:29], s[6:7]
	v_mov_b32_e32 v1, v11
; %bb.62:                               ;   in Loop: Header=BB266_38 Depth=1
	s_or_b64 exec, exec, s[30:31]
	s_andn2_b64 s[6:7], s[24:25], exec
	s_and_b64 s[24:25], s[28:29], exec
	s_or_b64 s[24:25], s[6:7], s[24:25]
.LBB266_63:                             ;   in Loop: Header=BB266_38 Depth=1
	s_or_b64 exec, exec, s[26:27]
	s_andn2_b64 s[4:5], s[4:5], exec
	s_and_b64 s[6:7], s[24:25], exec
	s_or_b64 s[4:5], s[4:5], s[6:7]
.LBB266_64:                             ;   in Loop: Header=BB266_38 Depth=1
	s_or_b64 exec, exec, s[22:23]
	s_andn2_b64 s[2:3], s[2:3], exec
	s_and_b64 s[4:5], s[4:5], exec
	s_or_b64 s[2:3], s[2:3], s[4:5]
.LBB266_65:                             ;   in Loop: Header=BB266_38 Depth=1
	s_or_b64 exec, exec, s[20:21]
	s_andn2_b64 s[0:1], s[0:1], exec
	s_and_b64 s[2:3], s[2:3], exec
	s_or_b64 s[0:1], s[0:1], s[2:3]
.LBB266_66:                             ;   in Loop: Header=BB266_38 Depth=1
	s_or_b64 exec, exec, s[18:19]
	s_andn2_b64 s[2:3], vcc, exec
	s_and_b64 s[0:1], s[0:1], exec
	s_or_b64 vcc, s[2:3], s[0:1]
.LBB266_67:                             ;   in Loop: Header=BB266_38 Depth=1
	s_or_b64 exec, exec, s[16:17]
	s_andn2_b64 s[0:1], s[8:9], exec
	s_and_b64 s[2:3], vcc, exec
	s_or_b64 s[8:9], s[0:1], s[2:3]
.LBB266_68:                             ;   in Loop: Header=BB266_38 Depth=1
	s_or_b64 exec, exec, s[10:11]
	s_and_saveexec_b64 s[0:1], s[8:9]
	s_cbranch_execz .LBB266_37
; %bb.69:                               ;   in Loop: Header=BB266_38 Depth=1
	scratch_load_dword v1, v1, off
	s_waitcnt vmcnt(0)
	v_mul_f32_e32 v1, v8, v1
	global_store_dword v[4:5], v1, off
	s_branch .LBB266_37
.LBB266_70:
	s_bitcmp0_b32 s33, 0
	s_mov_b32 s15, 0
	s_cbranch_scc1 .LBB266_32
; %bb.71:
	v_lshl_add_u64 v[2:3], s[14:15], 2, v[2:3]
	global_load_dword v1, v[2:3], off
	v_mov_b32_e32 v2, 0
	s_waitcnt vmcnt(0)
	v_cmp_eq_u32_e64 s[8:9], v1, v10
	v_cmp_ne_u32_e32 vcc, v1, v10
	s_and_saveexec_b64 s[10:11], vcc
	s_cbranch_execz .LBB266_85
; %bb.72:
	v_cmp_eq_u32_e32 vcc, v1, v23
	v_cmp_ne_u32_e64 s[0:1], v1, v23
	s_and_saveexec_b64 s[16:17], s[0:1]
	s_cbranch_execz .LBB266_84
; %bb.73:
	v_cmp_eq_u32_e64 s[0:1], v1, v22
	v_cmp_ne_u32_e64 s[2:3], v1, v22
	s_and_saveexec_b64 s[18:19], s[2:3]
	s_cbranch_execz .LBB266_83
; %bb.74:
	v_cmp_eq_u32_e64 s[2:3], v1, v21
	v_cmp_ne_u32_e64 s[4:5], v1, v21
	s_and_saveexec_b64 s[20:21], s[4:5]
	s_cbranch_execz .LBB266_82
; %bb.75:
	v_cmp_eq_u32_e64 s[4:5], v1, v19
	v_cmp_ne_u32_e64 s[6:7], v1, v19
	s_and_saveexec_b64 s[22:23], s[6:7]
	s_cbranch_execz .LBB266_81
; %bb.76:
	v_cmp_eq_u32_e64 s[24:25], v1, v17
	v_cmp_ne_u32_e64 s[6:7], v1, v17
	s_and_saveexec_b64 s[26:27], s[6:7]
	s_cbranch_execz .LBB266_80
; %bb.77:
	v_cmp_eq_u32_e64 s[28:29], v1, v15
	v_cmp_ne_u32_e64 s[6:7], v1, v15
	s_and_saveexec_b64 s[30:31], s[6:7]
; %bb.78:
	v_cmp_eq_u32_e64 s[6:7], v1, v13
	s_andn2_b64 s[28:29], s[28:29], exec
	s_and_b64 s[6:7], s[6:7], exec
	s_or_b64 s[28:29], s[28:29], s[6:7]
	v_mov_b32_e32 v9, v11
; %bb.79:
	s_or_b64 exec, exec, s[30:31]
	s_andn2_b64 s[6:7], s[24:25], exec
	s_and_b64 s[24:25], s[28:29], exec
	s_or_b64 s[24:25], s[6:7], s[24:25]
	v_mov_b32_e32 v12, v9
.LBB266_80:
	s_or_b64 exec, exec, s[26:27]
	s_andn2_b64 s[4:5], s[4:5], exec
	s_and_b64 s[6:7], s[24:25], exec
	s_or_b64 s[4:5], s[4:5], s[6:7]
	v_mov_b32_e32 v14, v12
.LBB266_81:
	s_or_b64 exec, exec, s[22:23]
	s_andn2_b64 s[2:3], s[2:3], exec
	s_and_b64 s[4:5], s[4:5], exec
	s_or_b64 s[2:3], s[2:3], s[4:5]
	v_mov_b32_e32 v16, v14
.LBB266_82:
	s_or_b64 exec, exec, s[20:21]
	s_andn2_b64 s[0:1], s[0:1], exec
	s_and_b64 s[2:3], s[2:3], exec
	s_or_b64 s[0:1], s[0:1], s[2:3]
	v_mov_b32_e32 v18, v16
.LBB266_83:
	s_or_b64 exec, exec, s[18:19]
	s_andn2_b64 s[2:3], vcc, exec
	s_and_b64 s[0:1], s[0:1], exec
	s_or_b64 vcc, s[2:3], s[0:1]
	v_mov_b32_e32 v20, v18
.LBB266_84:
	s_or_b64 exec, exec, s[16:17]
	s_andn2_b64 s[0:1], s[8:9], exec
	s_and_b64 s[2:3], vcc, exec
	s_or_b64 s[8:9], s[0:1], s[2:3]
	v_mov_b32_e32 v2, v20
.LBB266_85:
	s_or_b64 exec, exec, s[10:11]
	s_and_b64 exec, exec, s[8:9]
	s_cbranch_execz .LBB266_32
; %bb.86:
	scratch_load_dword v2, v2, off
	v_add_u32_e32 v0, s14, v0
	v_ashrrev_i32_e32 v1, 31, v0
	s_waitcnt lgkmcnt(0)
	v_lshl_add_u64 v[0:1], v[0:1], 2, s[12:13]
	s_waitcnt vmcnt(0)
	v_mul_f32_e32 v2, v8, v2
	global_store_dword v[0:1], v2, off
	s_endpgm
	.section	.rodata,"a",@progbits
	.p2align	6, 0x0
	.amdhsa_kernel _ZN4vllm3moe22topkGatingSoftplusSqrtILi8ELi64ELi4ELi16ELi32ELb1Ej6__halfEEvPKT6_PKbPfiPT5_PiiiibdPKfPKS9_SF_
		.amdhsa_group_segment_fixed_size 0
		.amdhsa_private_segment_fixed_size 48
		.amdhsa_kernarg_size 96
		.amdhsa_user_sgpr_count 2
		.amdhsa_user_sgpr_dispatch_ptr 0
		.amdhsa_user_sgpr_queue_ptr 0
		.amdhsa_user_sgpr_kernarg_segment_ptr 1
		.amdhsa_user_sgpr_dispatch_id 0
		.amdhsa_user_sgpr_kernarg_preload_length 0
		.amdhsa_user_sgpr_kernarg_preload_offset 0
		.amdhsa_user_sgpr_private_segment_size 0
		.amdhsa_uses_dynamic_stack 0
		.amdhsa_enable_private_segment 1
		.amdhsa_system_sgpr_workgroup_id_x 1
		.amdhsa_system_sgpr_workgroup_id_y 0
		.amdhsa_system_sgpr_workgroup_id_z 0
		.amdhsa_system_sgpr_workgroup_info 0
		.amdhsa_system_vgpr_workitem_id 1
		.amdhsa_next_free_vgpr 27
		.amdhsa_next_free_sgpr 34
		.amdhsa_accum_offset 28
		.amdhsa_reserve_vcc 1
		.amdhsa_float_round_mode_32 0
		.amdhsa_float_round_mode_16_64 0
		.amdhsa_float_denorm_mode_32 3
		.amdhsa_float_denorm_mode_16_64 3
		.amdhsa_dx10_clamp 1
		.amdhsa_ieee_mode 1
		.amdhsa_fp16_overflow 0
		.amdhsa_tg_split 0
		.amdhsa_exception_fp_ieee_invalid_op 0
		.amdhsa_exception_fp_denorm_src 0
		.amdhsa_exception_fp_ieee_div_zero 0
		.amdhsa_exception_fp_ieee_overflow 0
		.amdhsa_exception_fp_ieee_underflow 0
		.amdhsa_exception_fp_ieee_inexact 0
		.amdhsa_exception_int_div_zero 0
	.end_amdhsa_kernel
	.section	.text._ZN4vllm3moe22topkGatingSoftplusSqrtILi8ELi64ELi4ELi16ELi32ELb1Ej6__halfEEvPKT6_PKbPfiPT5_PiiiibdPKfPKS9_SF_,"axG",@progbits,_ZN4vllm3moe22topkGatingSoftplusSqrtILi8ELi64ELi4ELi16ELi32ELb1Ej6__halfEEvPKT6_PKbPfiPT5_PiiiibdPKfPKS9_SF_,comdat
.Lfunc_end266:
	.size	_ZN4vllm3moe22topkGatingSoftplusSqrtILi8ELi64ELi4ELi16ELi32ELb1Ej6__halfEEvPKT6_PKbPfiPT5_PiiiibdPKfPKS9_SF_, .Lfunc_end266-_ZN4vllm3moe22topkGatingSoftplusSqrtILi8ELi64ELi4ELi16ELi32ELb1Ej6__halfEEvPKT6_PKbPfiPT5_PiiiibdPKfPKS9_SF_
                                        ; -- End function
	.section	.AMDGPU.csdata,"",@progbits
; Kernel info:
; codeLenInByte = 4532
; NumSgprs: 40
; NumVgprs: 27
; NumAgprs: 0
; TotalNumVgprs: 27
; ScratchSize: 48
; MemoryBound: 0
; FloatMode: 240
; IeeeMode: 1
; LDSByteSize: 0 bytes/workgroup (compile time only)
; SGPRBlocks: 4
; VGPRBlocks: 3
; NumSGPRsForWavesPerEU: 40
; NumVGPRsForWavesPerEU: 27
; AccumOffset: 28
; Occupancy: 8
; WaveLimiterHint : 1
; COMPUTE_PGM_RSRC2:SCRATCH_EN: 1
; COMPUTE_PGM_RSRC2:USER_SGPR: 2
; COMPUTE_PGM_RSRC2:TRAP_HANDLER: 0
; COMPUTE_PGM_RSRC2:TGID_X_EN: 1
; COMPUTE_PGM_RSRC2:TGID_Y_EN: 0
; COMPUTE_PGM_RSRC2:TGID_Z_EN: 0
; COMPUTE_PGM_RSRC2:TIDIG_COMP_CNT: 1
; COMPUTE_PGM_RSRC3_GFX90A:ACCUM_OFFSET: 6
; COMPUTE_PGM_RSRC3_GFX90A:TG_SPLIT: 0
	.section	.text._ZN4vllm3moe22topkGatingSoftplusSqrtILi8ELi64ELi4ELi16ELi32ELb0Ej6__halfEEvPKT6_PKbPfiPT5_PiiiibdPKfPKS9_SF_,"axG",@progbits,_ZN4vllm3moe22topkGatingSoftplusSqrtILi8ELi64ELi4ELi16ELi32ELb0Ej6__halfEEvPKT6_PKbPfiPT5_PiiiibdPKfPKS9_SF_,comdat
	.protected	_ZN4vllm3moe22topkGatingSoftplusSqrtILi8ELi64ELi4ELi16ELi32ELb0Ej6__halfEEvPKT6_PKbPfiPT5_PiiiibdPKfPKS9_SF_ ; -- Begin function _ZN4vllm3moe22topkGatingSoftplusSqrtILi8ELi64ELi4ELi16ELi32ELb0Ej6__halfEEvPKT6_PKbPfiPT5_PiiiibdPKfPKS9_SF_
	.globl	_ZN4vllm3moe22topkGatingSoftplusSqrtILi8ELi64ELi4ELi16ELi32ELb0Ej6__halfEEvPKT6_PKbPfiPT5_PiiiibdPKfPKS9_SF_
	.p2align	8
	.type	_ZN4vllm3moe22topkGatingSoftplusSqrtILi8ELi64ELi4ELi16ELi32ELb0Ej6__halfEEvPKT6_PKbPfiPT5_PiiiibdPKfPKS9_SF_,@function
_ZN4vllm3moe22topkGatingSoftplusSqrtILi8ELi64ELi4ELi16ELi32ELb0Ej6__halfEEvPKT6_PKbPfiPT5_PiiiibdPKfPKS9_SF_: ; @_ZN4vllm3moe22topkGatingSoftplusSqrtILi8ELi64ELi4ELi16ELi32ELb0Ej6__halfEEvPKT6_PKbPfiPT5_PiiiibdPKfPKS9_SF_
; %bb.0:
	s_load_dword s33, s[0:1], 0x18
	v_bfe_u32 v1, v0, 10, 10
	v_and_b32_e32 v0, 0x3ff, v0
	s_lshl_b32 s2, s2, 4
	v_lshlrev_b32_e32 v1, 2, v1
	v_lshrrev_b32_e32 v2, 3, v0
	v_add3_u32 v8, s2, v1, v2
	s_waitcnt lgkmcnt(0)
	v_cmp_gt_i32_e32 vcc, s33, v8
	s_and_saveexec_b64 s[2:3], vcc
	s_cbranch_execz .LBB267_57
; %bb.1:
	s_load_dwordx4 s[4:7], s[0:1], 0x0
	s_load_dwordx2 s[34:35], s[0:1], 0x10
	s_waitcnt lgkmcnt(0)
	s_cmp_eq_u64 s[6:7], 0
	s_cbranch_scc1 .LBB267_3
; %bb.2:
	v_ashrrev_i32_e32 v9, 31, v8
	v_lshl_add_u64 v[2:3], s[6:7], 0, v[8:9]
	global_load_ubyte v1, v[2:3], off
	s_waitcnt vmcnt(0)
	v_and_b32_e32 v1, 1, v1
	v_cmp_eq_u32_e32 vcc, 1, v1
	s_xor_b64 s[2:3], vcc, -1
	s_orn2_b64 s[36:37], s[2:3], exec
	s_branch .LBB267_4
.LBB267_3:
	s_mov_b64 s[36:37], -1
.LBB267_4:
	v_lshlrev_b32_e32 v4, 6, v8
	v_mov_b32_e32 v2, s4
	v_mov_b32_e32 v3, s5
	v_ashrrev_i32_e32 v5, 31, v4
	v_and_b32_e32 v9, 7, v0
	v_lshl_add_u64 v[2:3], v[4:5], 1, v[2:3]
	v_mov_b32_e32 v1, 0
	v_lshlrev_b32_e32 v0, 4, v9
	v_lshl_add_u64 v[0:1], v[2:3], 0, v[0:1]
	global_load_dwordx4 v[4:7], v[0:1], off
	s_mov_b32 s12, 0x800000
	v_mov_b32_e32 v2, 0x4f800000
	s_mov_b32 s9, 0x3f317217
	s_mov_b32 s10, 0x7f800000
	v_mov_b32_e32 v3, 0x41b17218
	s_movk_i32 s8, 0x4d00
	s_mov_b32 s11, 0xf800000
	s_load_dwordx4 s[20:23], s[0:1], 0x40
	v_lshlrev_b32_e32 v12, 3, v9
	s_waitcnt lgkmcnt(0)
	s_cmp_lg_u64 s[22:23], 0
	s_cselect_b64 s[6:7], -1, 0
	s_and_b64 s[2:3], exec, s[6:7]
	s_waitcnt vmcnt(0)
	v_cvt_f32_f16_e32 v0, v4
	v_mul_f32_e32 v1, 0x3fb8aa3b, v0
	v_exp_f32_e32 v10, v1
	v_mov_b32_e32 v1, 0x260
	v_add_f32_e32 v10, 1.0, v10
	v_cmp_gt_f32_e32 vcc, s12, v10
	s_nop 1
	v_cndmask_b32_e32 v11, 1.0, v2, vcc
	v_mul_f32_e32 v10, v10, v11
	v_log_f32_e32 v11, v10
	v_cndmask_b32_e32 v13, 0, v3, vcc
	v_lshlrev_b32_e32 v10, 2, v12
	v_mul_f32_e32 v14, 0x3f317217, v11
	v_fma_f32 v14, v11, s9, -v14
	v_fmac_f32_e32 v14, 0x3377d1cf, v11
	v_fmac_f32_e32 v14, 0x3f317217, v11
	v_cmp_lt_f32_e64 vcc, |v11|, s10
	s_nop 1
	v_cndmask_b32_e32 v11, v11, v14, vcc
	v_sub_f32_e32 v11, v11, v13
	v_cmp_lt_f16_e32 vcc, s8, v4
	s_nop 1
	v_cndmask_b32_e32 v0, v11, v0, vcc
	v_mul_f32_e32 v11, 0x4f800000, v0
	v_cmp_gt_f32_e32 vcc, s11, v0
	s_nop 1
	v_cndmask_b32_e32 v0, v0, v11, vcc
	v_sqrt_f32_e32 v11, v0
	s_nop 0
	v_add_u32_e32 v13, -1, v11
	v_add_u32_e32 v14, 1, v11
	v_fma_f32 v15, -v13, v11, v0
	v_fma_f32 v16, -v14, v11, v0
	v_cmp_ge_f32_e64 s[4:5], 0, v15
	s_nop 1
	v_cndmask_b32_e64 v11, v11, v13, s[4:5]
	v_cmp_lt_f32_e64 s[4:5], 0, v16
	s_nop 1
	v_cndmask_b32_e64 v11, v11, v14, s[4:5]
	v_mul_f32_e32 v13, 0x37800000, v11
	v_cndmask_b32_e32 v11, v11, v13, vcc
	v_cmp_class_f32_e32 vcc, v0, v1
	s_nop 1
	v_cndmask_b32_e32 v0, v11, v0, vcc
	s_mov_b64 vcc, s[2:3]
	s_cbranch_vccz .LBB267_6
; %bb.5:
	global_load_dword v11, v10, s[22:23]
	s_waitcnt vmcnt(0)
	v_add_f32_e32 v0, v0, v11
.LBB267_6:
	v_cvt_f32_f16_sdwa v11, v4 dst_sel:DWORD dst_unused:UNUSED_PAD src0_sel:WORD_1
	v_mul_f32_e32 v13, 0x3fb8aa3b, v11
	v_exp_f32_e32 v13, v13
	s_nop 0
	v_add_f32_e32 v13, 1.0, v13
	v_cmp_gt_f32_e32 vcc, s12, v13
	s_nop 1
	v_cndmask_b32_e32 v2, 1.0, v2, vcc
	v_mul_f32_e32 v2, v13, v2
	v_log_f32_e32 v2, v2
	v_cndmask_b32_e32 v3, 0, v3, vcc
	v_mul_f32_e32 v13, 0x3f317217, v2
	v_fma_f32 v13, v2, s9, -v13
	v_fmac_f32_e32 v13, 0x3377d1cf, v2
	v_fmac_f32_e32 v13, 0x3f317217, v2
	v_cmp_lt_f32_e64 vcc, |v2|, s10
	s_nop 1
	v_cndmask_b32_e32 v2, v2, v13, vcc
	v_sub_f32_e32 v2, v2, v3
	v_cmp_gt_f16_sdwa vcc, v4, s8 src0_sel:WORD_1 src1_sel:DWORD
	v_cndmask_b32_e64 v4, 0, 1, s[6:7]
	v_cmp_ne_u32_e64 s[2:3], 1, v4
	v_cndmask_b32_e32 v2, v2, v11, vcc
	v_mul_f32_e32 v3, 0x4f800000, v2
	v_cmp_gt_f32_e64 s[4:5], s11, v2
	s_andn2_b64 vcc, exec, s[6:7]
	s_nop 0
	v_cndmask_b32_e64 v2, v2, v3, s[4:5]
	v_sqrt_f32_e32 v3, v2
	s_nop 0
	v_add_u32_e32 v4, -1, v3
	v_add_u32_e32 v11, 1, v3
	v_fma_f32 v13, -v4, v3, v2
	v_fma_f32 v14, -v11, v3, v2
	v_cmp_ge_f32_e64 s[6:7], 0, v13
	s_nop 1
	v_cndmask_b32_e64 v3, v3, v4, s[6:7]
	v_cmp_lt_f32_e64 s[6:7], 0, v14
	s_nop 1
	v_cndmask_b32_e64 v3, v3, v11, s[6:7]
	v_mul_f32_e32 v4, 0x37800000, v3
	v_cndmask_b32_e64 v3, v3, v4, s[4:5]
	v_cmp_class_f32_e64 s[4:5], v2, v1
	s_nop 1
	v_cndmask_b32_e64 v1, v3, v2, s[4:5]
	s_cbranch_vccnz .LBB267_8
; %bb.7:
	global_load_dword v2, v10, s[22:23] offset:4
	s_waitcnt vmcnt(0)
	v_add_f32_e32 v1, v1, v2
.LBB267_8:
	v_cvt_f32_f16_e32 v2, v5
	s_mov_b32 s8, 0x800000
	v_mov_b32_e32 v4, 0x4f800000
	s_mov_b32 s7, 0x3f317217
	v_mul_f32_e32 v3, 0x3fb8aa3b, v2
	v_exp_f32_e32 v3, v3
	s_mov_b32 s9, 0x7f800000
	s_movk_i32 s6, 0x4d00
	s_mov_b32 s10, 0xf800000
	v_add_f32_e32 v3, 1.0, v3
	v_cmp_gt_f32_e32 vcc, s8, v3
	s_nop 1
	v_cndmask_b32_e32 v11, 1.0, v4, vcc
	v_mul_f32_e32 v3, v3, v11
	v_log_f32_e32 v3, v3
	v_mov_b32_e32 v11, 0x41b17218
	v_cndmask_b32_e32 v13, 0, v11, vcc
	v_mul_f32_e32 v14, 0x3f317217, v3
	v_fma_f32 v14, v3, s7, -v14
	v_fmac_f32_e32 v14, 0x3377d1cf, v3
	v_fmac_f32_e32 v14, 0x3f317217, v3
	v_cmp_lt_f32_e64 vcc, |v3|, s9
	s_nop 1
	v_cndmask_b32_e32 v3, v3, v14, vcc
	v_sub_f32_e32 v3, v3, v13
	v_cmp_lt_f16_e32 vcc, s6, v5
	s_nop 1
	v_cndmask_b32_e32 v2, v3, v2, vcc
	v_mul_f32_e32 v3, 0x4f800000, v2
	v_cmp_gt_f32_e32 vcc, s10, v2
	s_nop 1
	v_cndmask_b32_e32 v2, v2, v3, vcc
	v_sqrt_f32_e32 v3, v2
	s_nop 0
	v_add_u32_e32 v13, -1, v3
	v_fma_f32 v14, -v13, v3, v2
	v_cmp_ge_f32_e64 s[4:5], 0, v14
	v_add_u32_e32 v14, 1, v3
	s_nop 0
	v_cndmask_b32_e64 v13, v3, v13, s[4:5]
	v_fma_f32 v3, -v14, v3, v2
	v_cmp_lt_f32_e64 s[4:5], 0, v3
	s_nop 1
	v_cndmask_b32_e64 v3, v13, v14, s[4:5]
	v_mul_f32_e32 v13, 0x37800000, v3
	v_cndmask_b32_e32 v13, v3, v13, vcc
	v_mov_b32_e32 v3, 0x260
	v_cmp_class_f32_e64 s[4:5], v2, v3
	s_and_b64 vcc, exec, s[2:3]
	s_nop 0
	v_cndmask_b32_e64 v2, v13, v2, s[4:5]
	s_cbranch_vccnz .LBB267_10
; %bb.9:
	global_load_dword v13, v10, s[22:23] offset:8
	s_waitcnt vmcnt(0)
	v_add_f32_e32 v2, v2, v13
.LBB267_10:
	v_cvt_f32_f16_sdwa v13, v5 dst_sel:DWORD dst_unused:UNUSED_PAD src0_sel:WORD_1
	v_mul_f32_e32 v14, 0x3fb8aa3b, v13
	v_exp_f32_e32 v14, v14
	s_nop 0
	v_add_f32_e32 v14, 1.0, v14
	v_cmp_gt_f32_e32 vcc, s8, v14
	s_nop 1
	v_cndmask_b32_e32 v4, 1.0, v4, vcc
	v_mul_f32_e32 v4, v14, v4
	v_log_f32_e32 v4, v4
	v_cndmask_b32_e32 v11, 0, v11, vcc
	v_mul_f32_e32 v14, 0x3f317217, v4
	v_fma_f32 v14, v4, s7, -v14
	v_fmac_f32_e32 v14, 0x3377d1cf, v4
	v_fmac_f32_e32 v14, 0x3f317217, v4
	v_cmp_lt_f32_e64 vcc, |v4|, s9
	s_nop 1
	v_cndmask_b32_e32 v4, v4, v14, vcc
	v_sub_f32_e32 v4, v4, v11
	v_cmp_gt_f16_sdwa vcc, v5, s6 src0_sel:WORD_1 src1_sel:DWORD
	s_nop 1
	v_cndmask_b32_e32 v4, v4, v13, vcc
	v_mul_f32_e32 v5, 0x4f800000, v4
	v_cmp_gt_f32_e64 s[4:5], s10, v4
	s_and_b64 vcc, exec, s[2:3]
	s_nop 0
	v_cndmask_b32_e64 v4, v4, v5, s[4:5]
	v_sqrt_f32_e32 v5, v4
	s_nop 0
	v_add_u32_e32 v11, -1, v5
	v_add_u32_e32 v13, 1, v5
	v_fma_f32 v14, -v11, v5, v4
	v_fma_f32 v15, -v13, v5, v4
	v_cmp_ge_f32_e64 s[6:7], 0, v14
	s_nop 1
	v_cndmask_b32_e64 v5, v5, v11, s[6:7]
	v_cmp_lt_f32_e64 s[6:7], 0, v15
	s_nop 1
	v_cndmask_b32_e64 v5, v5, v13, s[6:7]
	v_mul_f32_e32 v11, 0x37800000, v5
	v_cndmask_b32_e64 v5, v5, v11, s[4:5]
	v_cmp_class_f32_e64 s[4:5], v4, v3
	s_nop 1
	v_cndmask_b32_e64 v3, v5, v4, s[4:5]
	s_cbranch_vccnz .LBB267_12
; %bb.11:
	global_load_dword v4, v10, s[22:23] offset:12
	s_waitcnt vmcnt(0)
	v_add_f32_e32 v3, v3, v4
.LBB267_12:
	v_cvt_f32_f16_e32 v4, v6
	v_mov_b32_e32 v11, 0x4f800000
	s_mov_b32 s7, 0x3f317217
	s_movk_i32 s6, 0x4d00
	v_mul_f32_e32 v5, 0x3fb8aa3b, v4
	v_exp_f32_e32 v5, v5
	s_nop 0
	v_add_f32_e32 v5, 1.0, v5
	v_cmp_gt_f32_e32 vcc, s8, v5
	s_nop 1
	v_cndmask_b32_e32 v13, 1.0, v11, vcc
	v_mul_f32_e32 v5, v5, v13
	v_log_f32_e32 v5, v5
	v_mov_b32_e32 v13, 0x41b17218
	v_cndmask_b32_e32 v14, 0, v13, vcc
	v_mul_f32_e32 v15, 0x3f317217, v5
	v_fma_f32 v15, v5, s7, -v15
	v_fmac_f32_e32 v15, 0x3377d1cf, v5
	v_fmac_f32_e32 v15, 0x3f317217, v5
	v_cmp_lt_f32_e64 vcc, |v5|, s9
	s_nop 1
	v_cndmask_b32_e32 v5, v5, v15, vcc
	v_sub_f32_e32 v5, v5, v14
	v_cmp_lt_f16_e32 vcc, s6, v6
	s_nop 1
	v_cndmask_b32_e32 v4, v5, v4, vcc
	v_mul_f32_e32 v5, 0x4f800000, v4
	v_cmp_gt_f32_e32 vcc, s10, v4
	s_nop 1
	v_cndmask_b32_e32 v4, v4, v5, vcc
	v_sqrt_f32_e32 v5, v4
	s_nop 0
	v_add_u32_e32 v14, -1, v5
	v_fma_f32 v15, -v14, v5, v4
	v_cmp_ge_f32_e64 s[4:5], 0, v15
	v_add_u32_e32 v15, 1, v5
	s_nop 0
	v_cndmask_b32_e64 v14, v5, v14, s[4:5]
	v_fma_f32 v5, -v15, v5, v4
	v_cmp_lt_f32_e64 s[4:5], 0, v5
	s_nop 1
	v_cndmask_b32_e64 v5, v14, v15, s[4:5]
	v_mul_f32_e32 v14, 0x37800000, v5
	v_cndmask_b32_e32 v14, v5, v14, vcc
	v_mov_b32_e32 v5, 0x260
	v_cmp_class_f32_e64 s[4:5], v4, v5
	s_and_b64 vcc, exec, s[2:3]
	s_nop 0
	v_cndmask_b32_e64 v4, v14, v4, s[4:5]
	s_cbranch_vccnz .LBB267_14
; %bb.13:
	global_load_dword v14, v10, s[22:23] offset:16
	s_waitcnt vmcnt(0)
	v_add_f32_e32 v4, v4, v14
.LBB267_14:
	v_cvt_f32_f16_sdwa v14, v6 dst_sel:DWORD dst_unused:UNUSED_PAD src0_sel:WORD_1
	v_mul_f32_e32 v15, 0x3fb8aa3b, v14
	v_exp_f32_e32 v15, v15
	s_nop 0
	v_add_f32_e32 v15, 1.0, v15
	v_cmp_gt_f32_e32 vcc, s8, v15
	s_nop 1
	v_cndmask_b32_e32 v11, 1.0, v11, vcc
	v_mul_f32_e32 v11, v15, v11
	v_log_f32_e32 v11, v11
	v_cndmask_b32_e32 v13, 0, v13, vcc
	v_mul_f32_e32 v15, 0x3f317217, v11
	v_fma_f32 v15, v11, s7, -v15
	v_fmac_f32_e32 v15, 0x3377d1cf, v11
	v_fmac_f32_e32 v15, 0x3f317217, v11
	v_cmp_lt_f32_e64 vcc, |v11|, s9
	s_nop 1
	v_cndmask_b32_e32 v11, v11, v15, vcc
	v_sub_f32_e32 v11, v11, v13
	v_cmp_gt_f16_sdwa vcc, v6, s6 src0_sel:WORD_1 src1_sel:DWORD
	s_nop 1
	v_cndmask_b32_e32 v6, v11, v14, vcc
	v_mul_f32_e32 v11, 0x4f800000, v6
	v_cmp_gt_f32_e64 s[4:5], s10, v6
	s_and_b64 vcc, exec, s[2:3]
	s_nop 0
	v_cndmask_b32_e64 v6, v6, v11, s[4:5]
	v_sqrt_f32_e32 v11, v6
	s_nop 0
	v_add_u32_e32 v13, -1, v11
	v_add_u32_e32 v14, 1, v11
	v_fma_f32 v15, -v13, v11, v6
	v_fma_f32 v16, -v14, v11, v6
	v_cmp_ge_f32_e64 s[6:7], 0, v15
	s_nop 1
	v_cndmask_b32_e64 v11, v11, v13, s[6:7]
	v_cmp_lt_f32_e64 s[6:7], 0, v16
	s_nop 1
	v_cndmask_b32_e64 v11, v11, v14, s[6:7]
	v_mul_f32_e32 v13, 0x37800000, v11
	v_cndmask_b32_e64 v11, v11, v13, s[4:5]
	v_cmp_class_f32_e64 s[4:5], v6, v5
	s_nop 1
	v_cndmask_b32_e64 v5, v11, v6, s[4:5]
	s_cbranch_vccnz .LBB267_16
; %bb.15:
	global_load_dword v6, v10, s[22:23] offset:20
	s_waitcnt vmcnt(0)
	v_add_f32_e32 v5, v5, v6
.LBB267_16:
	v_cvt_f32_f16_e32 v6, v7
	v_mov_b32_e32 v13, 0x4f800000
	s_mov_b32 s7, 0x3f317217
	s_movk_i32 s6, 0x4d00
	v_mul_f32_e32 v11, 0x3fb8aa3b, v6
	v_exp_f32_e32 v11, v11
	s_nop 0
	v_add_f32_e32 v11, 1.0, v11
	v_cmp_gt_f32_e32 vcc, s8, v11
	s_nop 1
	v_cndmask_b32_e32 v14, 1.0, v13, vcc
	v_mul_f32_e32 v11, v11, v14
	v_log_f32_e32 v11, v11
	v_mov_b32_e32 v14, 0x41b17218
	v_cndmask_b32_e32 v15, 0, v14, vcc
	v_mul_f32_e32 v16, 0x3f317217, v11
	v_fma_f32 v16, v11, s7, -v16
	v_fmac_f32_e32 v16, 0x3377d1cf, v11
	v_fmac_f32_e32 v16, 0x3f317217, v11
	v_cmp_lt_f32_e64 vcc, |v11|, s9
	s_nop 1
	v_cndmask_b32_e32 v11, v11, v16, vcc
	v_sub_f32_e32 v11, v11, v15
	v_cmp_lt_f16_e32 vcc, s6, v7
	s_nop 1
	v_cndmask_b32_e32 v6, v11, v6, vcc
	v_mul_f32_e32 v11, 0x4f800000, v6
	v_cmp_gt_f32_e32 vcc, s10, v6
	s_nop 1
	v_cndmask_b32_e32 v6, v6, v11, vcc
	v_sqrt_f32_e32 v11, v6
	s_nop 0
	v_add_u32_e32 v15, -1, v11
	v_fma_f32 v16, -v15, v11, v6
	v_cmp_ge_f32_e64 s[4:5], 0, v16
	v_add_u32_e32 v16, 1, v11
	s_nop 0
	v_cndmask_b32_e64 v15, v11, v15, s[4:5]
	v_fma_f32 v11, -v16, v11, v6
	v_cmp_lt_f32_e64 s[4:5], 0, v11
	s_nop 1
	v_cndmask_b32_e64 v11, v15, v16, s[4:5]
	v_mul_f32_e32 v15, 0x37800000, v11
	v_cndmask_b32_e32 v15, v11, v15, vcc
	v_mov_b32_e32 v11, 0x260
	v_cmp_class_f32_e64 s[4:5], v6, v11
	s_and_b64 vcc, exec, s[2:3]
	s_nop 0
	v_cndmask_b32_e64 v6, v15, v6, s[4:5]
	s_cbranch_vccnz .LBB267_18
; %bb.17:
	global_load_dword v15, v10, s[22:23] offset:24
	s_waitcnt vmcnt(0)
	v_add_f32_e32 v6, v6, v15
.LBB267_18:
	v_cvt_f32_f16_sdwa v15, v7 dst_sel:DWORD dst_unused:UNUSED_PAD src0_sel:WORD_1
	v_mul_f32_e32 v16, 0x3fb8aa3b, v15
	v_exp_f32_e32 v16, v16
	s_nop 0
	v_add_f32_e32 v16, 1.0, v16
	v_cmp_gt_f32_e32 vcc, s8, v16
	s_nop 1
	v_cndmask_b32_e32 v13, 1.0, v13, vcc
	v_mul_f32_e32 v13, v16, v13
	v_log_f32_e32 v13, v13
	v_cndmask_b32_e32 v14, 0, v14, vcc
	v_mul_f32_e32 v16, 0x3f317217, v13
	v_fma_f32 v16, v13, s7, -v16
	v_fmac_f32_e32 v16, 0x3377d1cf, v13
	v_fmac_f32_e32 v16, 0x3f317217, v13
	v_cmp_lt_f32_e64 vcc, |v13|, s9
	s_nop 1
	v_cndmask_b32_e32 v13, v13, v16, vcc
	v_sub_f32_e32 v13, v13, v14
	v_cmp_gt_f16_sdwa vcc, v7, s6 src0_sel:WORD_1 src1_sel:DWORD
	s_nop 1
	v_cndmask_b32_e32 v7, v13, v15, vcc
	v_mul_f32_e32 v13, 0x4f800000, v7
	v_cmp_gt_f32_e64 s[4:5], s10, v7
	s_and_b64 vcc, exec, s[2:3]
	s_nop 0
	v_cndmask_b32_e64 v7, v7, v13, s[4:5]
	v_sqrt_f32_e32 v13, v7
	s_nop 0
	v_add_u32_e32 v14, -1, v13
	v_add_u32_e32 v15, 1, v13
	v_fma_f32 v16, -v14, v13, v7
	v_fma_f32 v17, -v15, v13, v7
	v_cmp_ge_f32_e64 s[6:7], 0, v16
	s_nop 1
	v_cndmask_b32_e64 v13, v13, v14, s[6:7]
	v_cmp_lt_f32_e64 s[6:7], 0, v17
	s_nop 1
	v_cndmask_b32_e64 v13, v13, v15, s[6:7]
	v_mul_f32_e32 v14, 0x37800000, v13
	v_cndmask_b32_e64 v13, v13, v14, s[4:5]
	v_cmp_class_f32_e64 s[4:5], v7, v11
	s_nop 1
	v_cndmask_b32_e64 v7, v13, v7, s[4:5]
	s_cbranch_vccnz .LBB267_20
; %bb.19:
	global_load_dword v10, v10, s[22:23] offset:28
	s_waitcnt vmcnt(0)
	v_add_f32_e32 v7, v7, v10
.LBB267_20:
	s_load_dwordx4 s[24:27], s[0:1], 0x30
	s_mov_b32 s42, 0
	v_cmp_eq_u32_e64 s[6:7], 0, v9
	s_waitcnt lgkmcnt(0)
	s_bitcmp1_b32 s27, 0
	s_cselect_b64 s[4:5], -1, 0
	s_cmp_gt_i32 s24, 0
	s_cselect_b64 s[38:39], -1, 0
	s_and_b64 vcc, exec, s[38:39]
	s_cbranch_vccz .LBB267_43
; %bb.21:
	v_mbcnt_lo_u32_b32 v10, -1, 0
	v_mbcnt_hi_u32_b32 v10, -1, v10
	v_and_b32_e32 v11, 0x78, v10
	v_add_u32_e32 v11, 8, v11
	v_xor_b32_e32 v13, 4, v10
	v_cmp_lt_i32_e32 vcc, v13, v11
	s_load_dwordx4 s[28:31], s[0:1], 0x20
	v_mul_lo_u32 v14, v8, s24
	v_cndmask_b32_e32 v13, v10, v13, vcc
	v_lshlrev_b32_e32 v15, 2, v13
	v_xor_b32_e32 v13, 2, v10
	v_cmp_lt_i32_e32 vcc, v13, v11
	v_mov_b32_e32 v18, 0xc61c4000
	v_mov_b32_e32 v19, v8
	v_cndmask_b32_e32 v13, v10, v13, vcc
	v_lshlrev_b32_e32 v16, 2, v13
	v_xor_b32_e32 v13, 1, v10
	v_cmp_lt_i32_e32 vcc, v13, v11
	s_nop 1
	v_cndmask_b32_e32 v10, v10, v13, vcc
	v_lshlrev_b32_e32 v17, 2, v10
	v_mov_b32_e32 v13, 0
	s_branch .LBB267_24
.LBB267_22:                             ;   in Loop: Header=BB267_24 Depth=1
	s_or_b64 exec, exec, s[40:41]
.LBB267_23:                             ;   in Loop: Header=BB267_24 Depth=1
	s_cmp_eq_u32 s24, s42
	v_add_u32_e32 v19, s33, v19
	s_cbranch_scc1 .LBB267_44
.LBB267_24:                             ; =>This Inner Loop Header: Depth=1
	v_cmp_gt_f32_e32 vcc, v1, v0
	s_nop 1
	v_cndmask_b32_e32 v11, v0, v1, vcc
	v_cndmask_b32_e64 v10, 0, 1, vcc
	v_cmp_gt_f32_e32 vcc, v2, v11
	s_nop 1
	v_cndmask_b32_e32 v11, v11, v2, vcc
	v_cndmask_b32_e64 v10, v10, 2, vcc
	;; [unrolled: 4-line block ×6, first 2 shown]
	v_cmp_gt_f32_e32 vcc, v7, v11
	s_nop 1
	v_cndmask_b32_e64 v10, v10, 7, vcc
	v_cndmask_b32_e32 v20, v11, v7, vcc
	ds_bpermute_b32 v11, v15, v20
	v_or_b32_e32 v10, v12, v10
	s_waitcnt lgkmcnt(0)
	ds_bpermute_b32 v21, v15, v10
	s_waitcnt lgkmcnt(0)
	v_cmp_lt_f32_e64 s[8:9], v20, v11
	v_cmp_nlt_f32_e32 vcc, v20, v11
	s_and_saveexec_b64 s[10:11], vcc
; %bb.25:                               ;   in Loop: Header=BB267_24 Depth=1
	v_cmp_eq_f32_e32 vcc, v20, v11
	v_cmp_lt_i32_e64 s[0:1], v21, v10
	s_and_b64 s[0:1], vcc, s[0:1]
	s_andn2_b64 s[8:9], s[8:9], exec
	s_and_b64 s[0:1], s[0:1], exec
	s_or_b64 s[8:9], s[8:9], s[0:1]
; %bb.26:                               ;   in Loop: Header=BB267_24 Depth=1
	s_or_b64 exec, exec, s[10:11]
	s_and_saveexec_b64 s[0:1], s[8:9]
; %bb.27:                               ;   in Loop: Header=BB267_24 Depth=1
	v_mov_b32_e32 v20, v11
	v_mov_b32_e32 v10, v21
; %bb.28:                               ;   in Loop: Header=BB267_24 Depth=1
	s_or_b64 exec, exec, s[0:1]
	ds_bpermute_b32 v11, v16, v20
	ds_bpermute_b32 v21, v16, v10
	s_waitcnt lgkmcnt(1)
	v_cmp_lt_f32_e64 s[8:9], v20, v11
	v_cmp_nlt_f32_e32 vcc, v20, v11
	s_and_saveexec_b64 s[10:11], vcc
	s_cbranch_execz .LBB267_30
; %bb.29:                               ;   in Loop: Header=BB267_24 Depth=1
	v_cmp_eq_f32_e32 vcc, v20, v11
	s_waitcnt lgkmcnt(0)
	v_cmp_lt_i32_e64 s[0:1], v21, v10
	s_and_b64 s[0:1], vcc, s[0:1]
	s_andn2_b64 s[8:9], s[8:9], exec
	s_and_b64 s[0:1], s[0:1], exec
	s_or_b64 s[8:9], s[8:9], s[0:1]
.LBB267_30:                             ;   in Loop: Header=BB267_24 Depth=1
	s_or_b64 exec, exec, s[10:11]
	s_and_saveexec_b64 s[0:1], s[8:9]
	s_cbranch_execz .LBB267_32
; %bb.31:                               ;   in Loop: Header=BB267_24 Depth=1
	v_mov_b32_e32 v20, v11
	s_waitcnt lgkmcnt(0)
	v_mov_b32_e32 v10, v21
.LBB267_32:                             ;   in Loop: Header=BB267_24 Depth=1
	s_or_b64 exec, exec, s[0:1]
	ds_bpermute_b32 v11, v17, v20
	s_waitcnt lgkmcnt(1)
	ds_bpermute_b32 v21, v17, v10
	s_waitcnt lgkmcnt(1)
	v_cmp_lt_f32_e64 s[8:9], v20, v11
	v_cmp_nlt_f32_e32 vcc, v20, v11
	s_and_saveexec_b64 s[10:11], vcc
	s_cbranch_execnz .LBB267_36
; %bb.33:                               ;   in Loop: Header=BB267_24 Depth=1
	s_or_b64 exec, exec, s[10:11]
	s_and_saveexec_b64 s[0:1], s[8:9]
	s_cbranch_execnz .LBB267_37
.LBB267_34:                             ;   in Loop: Header=BB267_24 Depth=1
	s_or_b64 exec, exec, s[0:1]
	s_and_saveexec_b64 s[8:9], s[6:7]
	s_cbranch_execnz .LBB267_38
.LBB267_35:                             ;   in Loop: Header=BB267_24 Depth=1
	s_or_b64 exec, exec, s[8:9]
	s_add_i32 s42, s42, 1
	s_cmp_ge_i32 s42, s24
	s_cbranch_scc1 .LBB267_23
	s_branch .LBB267_41
.LBB267_36:                             ;   in Loop: Header=BB267_24 Depth=1
	v_cmp_eq_f32_e32 vcc, v20, v11
	s_waitcnt lgkmcnt(0)
	v_cmp_lt_i32_e64 s[0:1], v21, v10
	s_and_b64 s[0:1], vcc, s[0:1]
	s_andn2_b64 s[8:9], s[8:9], exec
	s_and_b64 s[0:1], s[0:1], exec
	s_or_b64 s[8:9], s[8:9], s[0:1]
	s_or_b64 exec, exec, s[10:11]
	s_and_saveexec_b64 s[0:1], s[8:9]
	s_cbranch_execz .LBB267_34
.LBB267_37:                             ;   in Loop: Header=BB267_24 Depth=1
	s_waitcnt lgkmcnt(0)
	v_mov_b32_e32 v10, v21
	v_mov_b32_e32 v20, v11
	s_or_b64 exec, exec, s[0:1]
	s_and_saveexec_b64 s[8:9], s[6:7]
	s_cbranch_execz .LBB267_35
.LBB267_38:                             ;   in Loop: Header=BB267_24 Depth=1
	s_and_b64 vcc, exec, s[2:3]
	s_cbranch_vccnz .LBB267_40
; %bb.39:                               ;   in Loop: Header=BB267_24 Depth=1
	v_ashrrev_i32_e32 v11, 31, v10
	v_lshl_add_u64 v[22:23], v[10:11], 2, s[22:23]
	global_load_dword v11, v[22:23], off
	s_waitcnt vmcnt(0)
	v_sub_f32_e32 v20, v20, v11
.LBB267_40:                             ;   in Loop: Header=BB267_24 Depth=1
	v_add_u32_e32 v22, s42, v14
	v_cmp_le_i32_e32 vcc, s25, v10
	v_cmp_gt_i32_e64 s[0:1], s26, v10
	v_ashrrev_i32_e32 v23, 31, v22
	s_and_b64 s[0:1], vcc, s[0:1]
	v_lshlrev_b64 v[22:23], 2, v[22:23]
	v_lshl_add_u64 v[24:25], s[34:35], 0, v[22:23]
	v_subrev_u32_e32 v11, s25, v10
	s_and_b64 vcc, s[36:37], s[0:1]
	global_store_dword v[24:25], v20, off
	v_cndmask_b32_e32 v11, 64, v11, vcc
	v_lshl_add_u64 v[24:25], s[28:29], 0, v[22:23]
	global_store_dword v[24:25], v11, off
	v_add_f32_e32 v11, v13, v20
	v_lshl_add_u64 v[22:23], s[30:31], 0, v[22:23]
	v_cndmask_b32_e64 v13, v13, v11, s[4:5]
	global_store_dword v[22:23], v19, off
	s_or_b64 exec, exec, s[8:9]
	s_add_i32 s42, s42, 1
	s_cmp_ge_i32 s42, s24
	s_cbranch_scc1 .LBB267_23
.LBB267_41:                             ;   in Loop: Header=BB267_24 Depth=1
	v_ashrrev_i32_e32 v20, 31, v10
	v_lshrrev_b32_e32 v11, 29, v20
	v_add_u32_e32 v11, v10, v11
	v_ashrrev_i32_e32 v11, 3, v11
	s_waitcnt lgkmcnt(0)
	v_lshrrev_b32_e32 v21, 29, v11
	v_add_u32_e32 v21, v11, v21
	v_and_b32_e32 v21, -8, v21
	v_sub_u32_e32 v21, v11, v21
	v_cmp_eq_u32_e32 vcc, v9, v21
	s_and_saveexec_b64 s[40:41], vcc
	s_cbranch_execz .LBB267_22
; %bb.42:                               ;   in Loop: Header=BB267_24 Depth=1
	v_lshrrev_b32_e32 v20, 26, v20
	v_add_u32_e32 v20, v10, v20
	v_lshlrev_b32_e32 v11, 3, v11
	v_sub_u32_e32 v10, v10, v11
	v_ashrrev_i32_e32 v11, 6, v20
	v_lshl_add_u32 v10, v11, 3, v10
	v_cmp_ne_u32_e32 vcc, 6, v10
	v_cmp_ne_u32_e64 s[0:1], 5, v10
	v_cmp_ne_u32_e64 s[8:9], 4, v10
	;; [unrolled: 1-line block ×7, first 2 shown]
	v_cndmask_b32_e32 v6, v18, v6, vcc
	v_cndmask_b32_e64 v5, v18, v5, s[0:1]
	v_cndmask_b32_e64 v7, v18, v7, s[18:19]
	;; [unrolled: 1-line block ×7, first 2 shown]
	s_branch .LBB267_22
.LBB267_43:
	v_mov_b32_e32 v13, 0
.LBB267_44:
	v_cmp_eq_u32_e32 vcc, 0, v9
	s_and_b64 exec, exec, vcc
	s_cbranch_execz .LBB267_57
; %bb.45:
	s_andn2_b64 vcc, exec, s[4:5]
	v_cvt_f32_f64_e32 v0, s[20:21]
	s_cbranch_vccnz .LBB267_47
; %bb.46:
	v_cmp_lt_f32_e32 vcc, 0, v13
	s_nop 1
	v_cndmask_b32_e32 v1, 1.0, v13, vcc
	v_div_scale_f32 v2, s[0:1], v1, v1, v0
	v_rcp_f32_e32 v3, v2
	s_nop 0
	v_fma_f32 v4, -v2, v3, 1.0
	v_fmac_f32_e32 v3, v4, v3
	v_div_scale_f32 v4, vcc, v0, v1, v0
	v_mul_f32_e32 v5, v4, v3
	v_fma_f32 v6, -v2, v5, v4
	v_fmac_f32_e32 v5, v6, v3
	v_fma_f32 v2, -v2, v5, v4
	v_div_fmas_f32 v2, v2, v3, v5
	v_div_fixup_f32 v0, v2, v1, v0
.LBB267_47:
	s_andn2_b64 vcc, exec, s[38:39]
	s_cbranch_vccnz .LBB267_57
; %bb.48:
	v_mul_lo_u32 v2, v8, s24
	s_cmp_gt_u32 s24, 3
	v_ashrrev_i32_e32 v3, 31, v2
	s_cbranch_scc0 .LBB267_52
; %bb.49:
	s_and_b32 s0, s24, 0x7ffffffc
	v_lshl_add_u64 v[4:5], v[2:3], 2, s[34:35]
	v_mov_b32_e32 v1, v0
	v_lshl_add_u64 v[4:5], v[4:5], 0, 8
	s_mov_b32 s1, s0
.LBB267_50:                             ; =>This Inner Loop Header: Depth=1
	global_load_dwordx4 v[6:9], v[4:5], off offset:-8
	s_add_i32 s1, s1, -4
	s_cmp_lg_u32 s1, 0
	s_waitcnt vmcnt(0)
	v_pk_mul_f32 v[6:7], v[0:1], v[6:7]
	v_pk_mul_f32 v[8:9], v[0:1], v[8:9]
	global_store_dwordx4 v[4:5], v[6:9], off offset:-8
	v_lshl_add_u64 v[4:5], v[4:5], 0, 16
	s_cbranch_scc1 .LBB267_50
; %bb.51:
	s_cmp_lg_u32 s0, s24
	s_cselect_b64 s[2:3], -1, 0
	s_branch .LBB267_54
.LBB267_52:
	s_mov_b64 s[2:3], 0
                                        ; implicit-def: $sgpr0
	s_cbranch_execz .LBB267_54
; %bb.53:
	s_mov_b64 s[2:3], -1
	s_mov_b32 s0, 0
.LBB267_54:
	s_andn2_b64 vcc, exec, s[2:3]
	s_cbranch_vccnz .LBB267_57
; %bb.55:
	s_mov_b32 s1, 0
	v_lshl_add_u64 v[2:3], v[2:3], 0, s[0:1]
	s_sub_i32 s2, s24, s0
	v_lshl_add_u64 v[2:3], v[2:3], 2, s[34:35]
.LBB267_56:                             ; =>This Inner Loop Header: Depth=1
	global_load_dword v1, v[2:3], off
	s_add_i32 s2, s2, -1
	s_cmp_lg_u32 s2, 0
	s_waitcnt vmcnt(0)
	v_mul_f32_e32 v1, v0, v1
	global_store_dword v[2:3], v1, off
	v_lshl_add_u64 v[2:3], v[2:3], 0, 4
	s_cbranch_scc1 .LBB267_56
.LBB267_57:
	s_endpgm
	.section	.rodata,"a",@progbits
	.p2align	6, 0x0
	.amdhsa_kernel _ZN4vllm3moe22topkGatingSoftplusSqrtILi8ELi64ELi4ELi16ELi32ELb0Ej6__halfEEvPKT6_PKbPfiPT5_PiiiibdPKfPKS9_SF_
		.amdhsa_group_segment_fixed_size 0
		.amdhsa_private_segment_fixed_size 0
		.amdhsa_kernarg_size 96
		.amdhsa_user_sgpr_count 2
		.amdhsa_user_sgpr_dispatch_ptr 0
		.amdhsa_user_sgpr_queue_ptr 0
		.amdhsa_user_sgpr_kernarg_segment_ptr 1
		.amdhsa_user_sgpr_dispatch_id 0
		.amdhsa_user_sgpr_kernarg_preload_length 0
		.amdhsa_user_sgpr_kernarg_preload_offset 0
		.amdhsa_user_sgpr_private_segment_size 0
		.amdhsa_uses_dynamic_stack 0
		.amdhsa_enable_private_segment 0
		.amdhsa_system_sgpr_workgroup_id_x 1
		.amdhsa_system_sgpr_workgroup_id_y 0
		.amdhsa_system_sgpr_workgroup_id_z 0
		.amdhsa_system_sgpr_workgroup_info 0
		.amdhsa_system_vgpr_workitem_id 1
		.amdhsa_next_free_vgpr 26
		.amdhsa_next_free_sgpr 43
		.amdhsa_accum_offset 28
		.amdhsa_reserve_vcc 1
		.amdhsa_float_round_mode_32 0
		.amdhsa_float_round_mode_16_64 0
		.amdhsa_float_denorm_mode_32 3
		.amdhsa_float_denorm_mode_16_64 3
		.amdhsa_dx10_clamp 1
		.amdhsa_ieee_mode 1
		.amdhsa_fp16_overflow 0
		.amdhsa_tg_split 0
		.amdhsa_exception_fp_ieee_invalid_op 0
		.amdhsa_exception_fp_denorm_src 0
		.amdhsa_exception_fp_ieee_div_zero 0
		.amdhsa_exception_fp_ieee_overflow 0
		.amdhsa_exception_fp_ieee_underflow 0
		.amdhsa_exception_fp_ieee_inexact 0
		.amdhsa_exception_int_div_zero 0
	.end_amdhsa_kernel
	.section	.text._ZN4vllm3moe22topkGatingSoftplusSqrtILi8ELi64ELi4ELi16ELi32ELb0Ej6__halfEEvPKT6_PKbPfiPT5_PiiiibdPKfPKS9_SF_,"axG",@progbits,_ZN4vllm3moe22topkGatingSoftplusSqrtILi8ELi64ELi4ELi16ELi32ELb0Ej6__halfEEvPKT6_PKbPfiPT5_PiiiibdPKfPKS9_SF_,comdat
.Lfunc_end267:
	.size	_ZN4vllm3moe22topkGatingSoftplusSqrtILi8ELi64ELi4ELi16ELi32ELb0Ej6__halfEEvPKT6_PKbPfiPT5_PiiiibdPKfPKS9_SF_, .Lfunc_end267-_ZN4vllm3moe22topkGatingSoftplusSqrtILi8ELi64ELi4ELi16ELi32ELb0Ej6__halfEEvPKT6_PKbPfiPT5_PiiiibdPKfPKS9_SF_
                                        ; -- End function
	.section	.AMDGPU.csdata,"",@progbits
; Kernel info:
; codeLenInByte = 3936
; NumSgprs: 49
; NumVgprs: 26
; NumAgprs: 0
; TotalNumVgprs: 26
; ScratchSize: 0
; MemoryBound: 0
; FloatMode: 240
; IeeeMode: 1
; LDSByteSize: 0 bytes/workgroup (compile time only)
; SGPRBlocks: 6
; VGPRBlocks: 3
; NumSGPRsForWavesPerEU: 49
; NumVGPRsForWavesPerEU: 26
; AccumOffset: 28
; Occupancy: 8
; WaveLimiterHint : 0
; COMPUTE_PGM_RSRC2:SCRATCH_EN: 0
; COMPUTE_PGM_RSRC2:USER_SGPR: 2
; COMPUTE_PGM_RSRC2:TRAP_HANDLER: 0
; COMPUTE_PGM_RSRC2:TGID_X_EN: 1
; COMPUTE_PGM_RSRC2:TGID_Y_EN: 0
; COMPUTE_PGM_RSRC2:TGID_Z_EN: 0
; COMPUTE_PGM_RSRC2:TIDIG_COMP_CNT: 1
; COMPUTE_PGM_RSRC3_GFX90A:ACCUM_OFFSET: 6
; COMPUTE_PGM_RSRC3_GFX90A:TG_SPLIT: 0
	.section	.text._ZN4vllm3moe22topkGatingSoftplusSqrtILi8ELi128ELi4ELi16ELi64ELb1Ej6__halfEEvPKT6_PKbPfiPT5_PiiiibdPKfPKS9_SF_,"axG",@progbits,_ZN4vllm3moe22topkGatingSoftplusSqrtILi8ELi128ELi4ELi16ELi64ELb1Ej6__halfEEvPKT6_PKbPfiPT5_PiiiibdPKfPKS9_SF_,comdat
	.protected	_ZN4vllm3moe22topkGatingSoftplusSqrtILi8ELi128ELi4ELi16ELi64ELb1Ej6__halfEEvPKT6_PKbPfiPT5_PiiiibdPKfPKS9_SF_ ; -- Begin function _ZN4vllm3moe22topkGatingSoftplusSqrtILi8ELi128ELi4ELi16ELi64ELb1Ej6__halfEEvPKT6_PKbPfiPT5_PiiiibdPKfPKS9_SF_
	.globl	_ZN4vllm3moe22topkGatingSoftplusSqrtILi8ELi128ELi4ELi16ELi64ELb1Ej6__halfEEvPKT6_PKbPfiPT5_PiiiibdPKfPKS9_SF_
	.p2align	8
	.type	_ZN4vllm3moe22topkGatingSoftplusSqrtILi8ELi128ELi4ELi16ELi64ELb1Ej6__halfEEvPKT6_PKbPfiPT5_PiiiibdPKfPKS9_SF_,@function
_ZN4vllm3moe22topkGatingSoftplusSqrtILi8ELi128ELi4ELi16ELi64ELb1Ej6__halfEEvPKT6_PKbPfiPT5_PiiiibdPKfPKS9_SF_: ; @_ZN4vllm3moe22topkGatingSoftplusSqrtILi8ELi128ELi4ELi16ELi64ELb1Ej6__halfEEvPKT6_PKbPfiPT5_PiiiibdPKfPKS9_SF_
; %bb.0:
	s_load_dword s3, s[0:1], 0x18
	v_bfe_u32 v1, v0, 10, 10
	v_and_b32_e32 v8, 0x3ff, v0
	s_lshl_b32 s2, s2, 4
	v_lshlrev_b32_e32 v1, 2, v1
	v_lshrrev_b32_e32 v0, 4, v8
	v_add3_u32 v6, s2, v1, v0
	s_waitcnt lgkmcnt(0)
	v_cmp_gt_i32_e32 vcc, s3, v6
	s_and_saveexec_b64 s[2:3], vcc
	s_cbranch_execz .LBB268_32
; %bb.1:
	s_load_dwordx2 s[2:3], s[0:1], 0x0
	s_load_dword s33, s[0:1], 0x30
	v_lshlrev_b32_e32 v0, 7, v6
	v_lshlrev_b32_e32 v2, 3, v8
	v_ashrrev_i32_e32 v1, 31, v0
	v_and_b32_e32 v10, 0x78, v2
	s_waitcnt lgkmcnt(0)
	v_lshl_add_u64 v[0:1], v[0:1], 1, s[2:3]
	v_lshlrev_b32_e32 v4, 1, v10
	v_mov_b32_e32 v5, 0
	v_lshl_add_u64 v[0:1], v[0:1], 0, v[4:5]
	global_load_dwordx4 v[0:3], v[0:1], off
	s_load_dwordx4 s[8:11], s[0:1], 0x50
	v_ashrrev_i32_e32 v7, 31, v6
	s_mov_b32 s15, 0x800000
	s_mov_b32 s13, 0x3f317217
	;; [unrolled: 1-line block ×3, first 2 shown]
	s_waitcnt lgkmcnt(0)
	v_mov_b32_e32 v12, s8
	v_mov_b32_e32 v13, s9
	v_lshl_add_u64 v[12:13], v[6:7], 2, v[12:13]
	global_load_dword v4, v[12:13], off
	v_mov_b32_e32 v7, 0x4f800000
	v_mov_b32_e32 v9, 0x41b17218
	s_movk_i32 s9, 0x4d00
	s_mov_b32 s12, 0xf800000
	v_mov_b32_e32 v19, 0x260
	s_cmp_gt_i32 s33, 0
	s_mov_b32 s8, 0
	s_waitcnt vmcnt(1)
	v_cvt_f32_f16_e32 v11, v0
	v_cvt_f32_f16_sdwa v16, v0 dst_sel:DWORD dst_unused:UNUSED_PAD src0_sel:WORD_1
	v_cvt_f32_f16_e32 v17, v1
	v_cvt_f32_f16_sdwa v18, v1 dst_sel:DWORD dst_unused:UNUSED_PAD src0_sel:WORD_1
	v_mul_f32_e32 v12, 0x3fb8aa3b, v11
	v_mul_f32_e32 v13, 0x3fb8aa3b, v16
	v_exp_f32_e32 v12, v12
	v_exp_f32_e32 v13, v13
	v_mul_f32_e32 v14, 0x3fb8aa3b, v17
	v_mul_f32_e32 v15, 0x3fb8aa3b, v18
	v_exp_f32_e32 v14, v14
	v_exp_f32_e32 v15, v15
	v_pk_add_f32 v[12:13], v[12:13], 1.0 op_sel_hi:[1,0]
	s_waitcnt vmcnt(0)
	v_mul_lo_u32 v4, v4, s33
	v_cmp_gt_f32_e32 vcc, s15, v13
	v_pk_add_f32 v[14:15], v[14:15], 1.0 op_sel_hi:[1,0]
	v_cmp_gt_f32_e64 s[2:3], s15, v12
	v_cndmask_b32_e32 v20, 1.0, v7, vcc
	v_cmp_gt_f32_e64 s[4:5], s15, v15
	v_cndmask_b32_e64 v21, 1.0, v7, s[2:3]
	v_mul_f32_e32 v13, v13, v20
	v_cndmask_b32_e64 v22, 1.0, v7, s[4:5]
	v_cmp_gt_f32_e64 s[6:7], s15, v14
	v_mul_f32_e32 v12, v12, v21
	v_log_f32_e32 v13, v13
	v_cndmask_b32_e64 v23, 1.0, v7, s[6:7]
	v_mul_f32_e32 v15, v15, v22
	v_log_f32_e32 v12, v12
	v_mul_f32_e32 v14, v14, v23
	v_log_f32_e32 v15, v15
	v_log_f32_e32 v14, v14
	v_mul_f32_e32 v23, 0x3f317217, v13
	v_mul_f32_e32 v24, 0x3f317217, v12
	v_fma_f32 v23, v13, s13, -v23
	v_mul_f32_e32 v25, 0x3f317217, v15
	v_fma_f32 v24, v12, s13, -v24
	v_fmac_f32_e32 v23, 0x3377d1cf, v13
	v_cndmask_b32_e32 v20, 0, v9, vcc
	v_mul_f32_e32 v26, 0x3f317217, v14
	v_fma_f32 v25, v15, s13, -v25
	v_fmac_f32_e32 v24, 0x3377d1cf, v12
	v_fmac_f32_e32 v23, 0x3f317217, v13
	v_cmp_lt_f32_e64 vcc, |v13|, s14
	v_fma_f32 v26, v14, s13, -v26
	v_fmac_f32_e32 v25, 0x3377d1cf, v15
	v_fmac_f32_e32 v24, 0x3f317217, v12
	v_cndmask_b32_e32 v13, v13, v23, vcc
	v_cmp_lt_f32_e64 vcc, |v12|, s14
	v_fmac_f32_e32 v26, 0x3377d1cf, v14
	v_fmac_f32_e32 v25, 0x3f317217, v15
	v_cndmask_b32_e32 v12, v12, v24, vcc
	v_cmp_lt_f32_e64 vcc, |v15|, s14
	v_cndmask_b32_e64 v21, 0, v9, s[2:3]
	v_fmac_f32_e32 v26, 0x3f317217, v14
	v_cndmask_b32_e32 v15, v15, v25, vcc
	v_cmp_lt_f32_e64 vcc, |v14|, s14
	v_sub_f32_e32 v12, v12, v21
	v_sub_f32_e32 v13, v13, v20
	v_cndmask_b32_e32 v14, v14, v26, vcc
	v_cmp_lt_f16_e32 vcc, s9, v0
	v_cndmask_b32_e64 v22, 0, v9, s[4:5]
	v_sub_f32_e32 v15, v15, v22
	v_cndmask_b32_e32 v11, v12, v11, vcc
	v_cmp_gt_f16_sdwa vcc, v0, s9 src0_sel:WORD_1 src1_sel:DWORD
	v_cmp_gt_f32_e64 s[2:3], s12, v11
	s_nop 0
	v_cndmask_b32_e32 v0, v13, v16, vcc
	v_mul_f32_e32 v12, 0x4f800000, v0
	v_cmp_gt_f32_e32 vcc, s12, v0
	v_mul_f32_e32 v13, 0x4f800000, v11
	v_cndmask_b32_e64 v11, v11, v13, s[2:3]
	v_cndmask_b32_e32 v0, v0, v12, vcc
	v_sqrt_f32_e32 v12, v0
	v_sqrt_f32_e32 v13, v11
	v_add_u32_e32 v16, -1, v12
	v_add_u32_e32 v21, -1, v13
	v_fma_f32 v23, -v16, v12, v0
	v_add_u32_e32 v20, 1, v12
	v_fma_f32 v25, -v21, v13, v11
	v_cmp_ge_f32_e64 s[4:5], 0, v23
	v_add_u32_e32 v22, 1, v13
	v_fma_f32 v24, -v20, v12, v0
	v_cndmask_b32_e64 v12, v12, v16, s[4:5]
	v_cmp_ge_f32_e64 s[4:5], 0, v25
	v_fma_f32 v26, -v22, v13, v11
	s_nop 0
	v_cndmask_b32_e64 v13, v13, v21, s[4:5]
	v_cmp_lt_f32_e64 s[4:5], 0, v24
	s_nop 1
	v_cndmask_b32_e64 v12, v12, v20, s[4:5]
	v_cmp_lt_f32_e64 s[4:5], 0, v26
	v_mul_f32_e32 v16, 0x37800000, v12
	v_cndmask_b32_e32 v12, v12, v16, vcc
	v_cndmask_b32_e64 v13, v13, v22, s[4:5]
	v_mul_f32_e32 v20, 0x37800000, v13
	v_cmp_class_f32_e32 vcc, v0, v19
	v_cndmask_b32_e64 v16, v13, v20, s[2:3]
	v_cmp_lt_f16_e64 s[2:3], s9, v1
	v_cndmask_b32_e32 v13, v12, v0, vcc
	v_cmp_class_f32_e32 vcc, v11, v19
	v_cndmask_b32_e64 v0, 0, v9, s[6:7]
	v_sub_f32_e32 v0, v14, v0
	v_cndmask_b32_e32 v12, v16, v11, vcc
	v_cmp_gt_f16_sdwa vcc, v1, s9 src0_sel:WORD_1 src1_sel:DWORD
	v_cndmask_b32_e64 v0, v0, v17, s[2:3]
	v_cvt_f32_f16_e32 v17, v2
	v_cndmask_b32_e32 v11, v15, v18, vcc
	v_mul_f32_e32 v15, 0x4f800000, v11
	v_cmp_gt_f32_e32 vcc, s12, v11
	v_cvt_f32_f16_sdwa v18, v2 dst_sel:DWORD dst_unused:UNUSED_PAD src0_sel:WORD_1
	s_nop 0
	v_cndmask_b32_e32 v11, v11, v15, vcc
	v_sqrt_f32_e32 v15, v11
	s_nop 0
	v_add_u32_e32 v1, -1, v15
	v_fma_f32 v14, -v1, v15, v11
	v_cmp_ge_f32_e64 s[2:3], 0, v14
	v_add_u32_e32 v14, 1, v15
	s_nop 0
	v_cndmask_b32_e64 v1, v15, v1, s[2:3]
	v_fma_f32 v15, -v14, v15, v11
	v_cmp_lt_f32_e64 s[2:3], 0, v15
	v_mul_f32_e32 v15, 0x4f800000, v0
	s_nop 0
	v_cndmask_b32_e64 v1, v1, v14, s[2:3]
	v_cmp_gt_f32_e64 s[2:3], s12, v0
	v_mul_f32_e32 v14, 0x37800000, v1
	v_cndmask_b32_e32 v1, v1, v14, vcc
	v_cndmask_b32_e64 v16, v0, v15, s[2:3]
	v_sqrt_f32_e32 v0, v16
	v_cmp_class_f32_e32 vcc, v11, v19
	v_add_u32_e32 v14, 1, v0
	s_nop 0
	v_cndmask_b32_e32 v15, v1, v11, vcc
	v_add_u32_e32 v1, -1, v0
	v_fma_f32 v11, -v1, v0, v16
	v_cmp_ge_f32_e32 vcc, 0, v11
	v_fma_f32 v20, -v14, v0, v16
	s_nop 0
	v_cndmask_b32_e32 v11, v0, v1, vcc
	v_mul_f32_e32 v0, 0x3fb8aa3b, v17
	v_mul_f32_e32 v1, 0x3fb8aa3b, v18
	v_exp_f32_e32 v0, v0
	v_exp_f32_e32 v1, v1
	v_cmp_lt_f32_e32 vcc, 0, v20
	v_pk_add_f32 v[0:1], v[0:1], 1.0 op_sel_hi:[1,0]
	s_nop 0
	v_cndmask_b32_e32 v11, v11, v14, vcc
	v_mul_f32_e32 v14, 0x37800000, v11
	v_cmp_gt_f32_e32 vcc, s15, v1
	v_cndmask_b32_e64 v11, v11, v14, s[2:3]
	v_cmp_class_f32_e64 s[2:3], v16, v19
	v_cndmask_b32_e32 v14, 1.0, v7, vcc
	v_mul_f32_e32 v1, v1, v14
	v_log_f32_e32 v1, v1
	v_cndmask_b32_e64 v14, v11, v16, s[2:3]
	v_cmp_gt_f32_e64 s[2:3], s15, v0
	scratch_store_dwordx4 off, v[12:15], off
	v_mul_f32_e32 v11, 0x3f317217, v1
	v_fma_f32 v11, v1, s13, -v11
	v_cndmask_b32_e64 v12, 1.0, v7, s[2:3]
	v_mul_f32_e32 v0, v0, v12
	v_log_f32_e32 v0, v0
	v_fmac_f32_e32 v11, 0x3377d1cf, v1
	v_fmac_f32_e32 v11, 0x3f317217, v1
	v_cmp_lt_f32_e64 s[4:5], |v1|, s14
	v_cvt_f32_f16_sdwa v15, v3 dst_sel:DWORD dst_unused:UNUSED_PAD src0_sel:WORD_1
	v_mul_f32_e32 v13, 0x3fb8aa3b, v15
	v_cndmask_b32_e64 v1, v1, v11, s[4:5]
	v_cndmask_b32_e32 v11, 0, v9, vcc
	v_sub_f32_e32 v1, v1, v11
	v_mul_f32_e32 v11, 0x3f317217, v0
	v_fma_f32 v11, v0, s13, -v11
	v_fmac_f32_e32 v11, 0x3377d1cf, v0
	v_fmac_f32_e32 v11, 0x3f317217, v0
	v_cmp_lt_f32_e64 vcc, |v0|, s14
	v_exp_f32_e32 v13, v13
	s_nop 0
	v_cndmask_b32_e32 v0, v0, v11, vcc
	v_cmp_gt_f16_sdwa vcc, v2, s9 src0_sel:WORD_1 src1_sel:DWORD
	v_cndmask_b32_e64 v11, 0, v9, s[2:3]
	v_cmp_lt_f16_e64 s[2:3], s9, v2
	v_cndmask_b32_e32 v1, v1, v18, vcc
	v_mul_f32_e32 v12, 0x4f800000, v1
	v_cmp_gt_f32_e32 vcc, s12, v1
	v_sub_f32_e32 v0, v0, v11
	v_cndmask_b32_e64 v0, v0, v17, s[2:3]
	v_cndmask_b32_e32 v1, v1, v12, vcc
	v_sqrt_f32_e32 v12, v1
	s_nop 0
	v_add_u32_e32 v2, -1, v12
	v_fma_f32 v11, -v2, v12, v1
	v_cmp_ge_f32_e64 s[2:3], 0, v11
	v_add_u32_e32 v11, 1, v12
	s_nop 0
	v_cndmask_b32_e64 v2, v12, v2, s[2:3]
	v_fma_f32 v12, -v11, v12, v1
	v_cmp_lt_f32_e64 s[2:3], 0, v12
	v_mul_f32_e32 v12, 0x4f800000, v0
	s_nop 0
	v_cndmask_b32_e64 v2, v2, v11, s[2:3]
	v_cmp_gt_f32_e64 s[2:3], s12, v0
	v_mul_f32_e32 v11, 0x37800000, v2
	v_cndmask_b32_e32 v2, v2, v11, vcc
	v_cndmask_b32_e64 v0, v0, v12, s[2:3]
	v_sqrt_f32_e32 v12, v0
	v_cmp_class_f32_e32 vcc, v1, v19
	v_add_u32_e32 v14, 1, v12
	s_nop 0
	v_cndmask_b32_e32 v1, v2, v1, vcc
	v_add_u32_e32 v2, -1, v12
	v_fma_f32 v11, -v2, v12, v0
	v_cmp_ge_f32_e32 vcc, 0, v11
	v_cvt_f32_f16_e32 v11, v3
	v_fma_f32 v16, -v14, v12, v0
	v_cndmask_b32_e32 v2, v12, v2, vcc
	v_cmp_lt_f32_e32 vcc, 0, v16
	v_mul_f32_e32 v12, 0x3fb8aa3b, v11
	v_exp_f32_e32 v12, v12
	v_cndmask_b32_e32 v2, v2, v14, vcc
	v_mul_f32_e32 v14, 0x37800000, v2
	v_cndmask_b32_e64 v2, v2, v14, s[2:3]
	v_pk_add_f32 v[12:13], v[12:13], 1.0 op_sel_hi:[1,0]
	v_cmp_class_f32_e64 s[2:3], v0, v19
	v_cmp_gt_f32_e32 vcc, s15, v13
	s_nop 0
	v_cndmask_b32_e64 v0, v2, v0, s[2:3]
	v_cndmask_b32_e32 v16, 1.0, v7, vcc
	v_mul_f32_e32 v13, v13, v16
	v_log_f32_e32 v13, v13
	v_cmp_gt_f32_e64 s[2:3], s15, v12
	v_mul_f32_e32 v2, 0x3f317217, v13
	s_nop 0
	v_cndmask_b32_e64 v7, 1.0, v7, s[2:3]
	v_mul_f32_e32 v7, v12, v7
	v_fma_f32 v2, v13, s13, -v2
	v_log_f32_e32 v7, v7
	v_fmac_f32_e32 v2, 0x3377d1cf, v13
	v_fmac_f32_e32 v2, 0x3f317217, v13
	v_cmp_lt_f32_e64 s[4:5], |v13|, s14
	v_cndmask_b32_e32 v12, 0, v9, vcc
	v_cmp_lt_f32_e64 vcc, |v7|, s14
	v_cndmask_b32_e64 v2, v13, v2, s[4:5]
	v_sub_f32_e32 v2, v2, v12
	v_mul_f32_e32 v12, 0x3f317217, v7
	v_fma_f32 v12, v7, s13, -v12
	v_fmac_f32_e32 v12, 0x3377d1cf, v7
	v_fmac_f32_e32 v12, 0x3f317217, v7
	v_cndmask_b32_e32 v7, v7, v12, vcc
	v_cmp_gt_f16_sdwa vcc, v3, s9 src0_sel:WORD_1 src1_sel:DWORD
	v_cndmask_b32_e64 v9, 0, v9, s[2:3]
	v_sub_f32_e32 v7, v7, v9
	v_cndmask_b32_e32 v2, v2, v15, vcc
	v_mul_f32_e32 v12, 0x4f800000, v2
	v_cmp_gt_f32_e32 vcc, s12, v2
	v_cmp_lt_f16_e64 s[2:3], s9, v3
	s_cselect_b64 s[4:5], -1, 0
	v_cndmask_b32_e32 v2, v2, v12, vcc
	v_sqrt_f32_e32 v12, v2
	v_cndmask_b32_e64 v3, v7, v11, s[2:3]
	s_cmp_lt_i32 s33, 1
	v_add_u32_e32 v7, -1, v12
	v_fma_f32 v9, -v7, v12, v2
	v_cmp_ge_f32_e64 s[2:3], 0, v9
	v_add_u32_e32 v9, 1, v12
	v_fma_f32 v11, -v9, v12, v2
	v_cndmask_b32_e64 v7, v12, v7, s[2:3]
	v_cmp_lt_f32_e64 s[2:3], 0, v11
	v_mul_f32_e32 v11, 0x4f800000, v3
	s_nop 0
	v_cndmask_b32_e64 v7, v7, v9, s[2:3]
	v_cmp_gt_f32_e64 s[2:3], s12, v3
	v_mul_f32_e32 v9, 0x37800000, v7
	s_nop 0
	v_cndmask_b32_e64 v11, v3, v11, s[2:3]
	v_sqrt_f32_e32 v12, v11
	v_cndmask_b32_e32 v3, v7, v9, vcc
	v_cmp_class_f32_e32 vcc, v2, v19
	s_nop 1
	v_cndmask_b32_e32 v3, v3, v2, vcc
	v_add_u32_e32 v2, -1, v12
	v_fma_f32 v7, -v2, v12, v11
	v_cmp_ge_f32_e32 vcc, 0, v7
	v_add_u32_e32 v7, 1, v12
	v_fma_f32 v9, -v7, v12, v11
	v_cndmask_b32_e32 v2, v12, v2, vcc
	v_cmp_lt_f32_e32 vcc, 0, v9
	s_nop 1
	v_cndmask_b32_e32 v2, v2, v7, vcc
	v_mul_f32_e32 v7, 0x37800000, v2
	v_cndmask_b32_e64 v2, v2, v7, s[2:3]
	v_cmp_class_f32_e32 vcc, v11, v19
	s_nop 1
	v_cndmask_b32_e32 v2, v2, v11, vcc
	scratch_store_dwordx4 off, v[0:3], off offset:16
	s_nop 1
	v_lshl_add_u64 v[2:3], v[4:5], 2, s[10:11]
	v_mul_lo_u32 v0, v6, s33
	s_cbranch_scc1 .LBB268_29
; %bb.2:
	s_load_dwordx2 s[6:7], s[0:1], 0x20
	s_cmp_lt_u32 s33, 4
	v_and_b32_e32 v4, 15, v8
	s_cbranch_scc1 .LBB268_21
; %bb.3:
	v_lshlrev_b32_e32 v5, 3, v4
	s_mov_b32 s11, 0
	s_and_b32 s8, s33, 0x7ffffffc
	v_ashrrev_i32_e32 v1, 31, v0
	v_sub_u32_e32 v11, 0, v5
	v_mov_b32_e32 v5, 0
	s_mov_b32 s10, s11
	s_branch .LBB268_5
.LBB268_4:                              ;   in Loop: Header=BB268_5 Depth=1
	s_or_b64 exec, exec, s[12:13]
	s_add_i32 s10, s10, 4
	s_cmp_eq_u32 s10, s8
	s_cbranch_scc1 .LBB268_22
.LBB268_5:                              ; =>This Loop Header: Depth=1
                                        ;     Child Loop BB268_7 Depth 2
                                        ;     Child Loop BB268_11 Depth 2
	;; [unrolled: 1-line block ×4, first 2 shown]
	v_lshl_add_u64 v[6:7], s[10:11], 2, v[2:3]
	global_load_dword v12, v[6:7], off
	v_add_u32_e32 v8, s10, v0
	v_ashrrev_i32_e32 v9, 31, v8
	v_mov_b32_e32 v13, 0
	s_mov_b64 s[12:13], 0
	s_waitcnt lgkmcnt(0)
	v_lshl_add_u64 v[8:9], v[8:9], 2, s[6:7]
	s_mov_b32 s9, 0
	s_waitcnt vmcnt(0)
	v_add_u32_e32 v14, v11, v12
	s_branch .LBB268_7
.LBB268_6:                              ;   in Loop: Header=BB268_7 Depth=2
	s_or_b64 exec, exec, s[14:15]
	s_add_i32 s16, s9, 1
	s_cmp_gt_u32 s9, 6
	s_cselect_b64 s[2:3], -1, 0
	s_xor_b64 s[14:15], vcc, -1
	s_or_b64 s[2:3], s[14:15], s[2:3]
	s_and_b64 s[2:3], exec, s[2:3]
	v_add_u32_e32 v13, 4, v13
	s_or_b64 s[12:13], s[2:3], s[12:13]
	s_mov_b32 s9, s16
	s_andn2_b64 exec, exec, s[12:13]
	s_cbranch_execz .LBB268_9
.LBB268_7:                              ;   Parent Loop BB268_5 Depth=1
                                        ; =>  This Inner Loop Header: Depth=2
	v_cmp_ne_u32_e32 vcc, s9, v14
	v_cmp_eq_u32_e64 s[2:3], s9, v14
	s_and_saveexec_b64 s[14:15], s[2:3]
	s_cbranch_execz .LBB268_6
; %bb.8:                                ;   in Loop: Header=BB268_7 Depth=2
	scratch_load_dword v15, v13, off
	s_waitcnt vmcnt(0)
	v_add_f32_e32 v5, v5, v15
	global_store_dword v[8:9], v12, off
	s_branch .LBB268_6
.LBB268_9:                              ;   in Loop: Header=BB268_5 Depth=1
	s_or_b64 exec, exec, s[12:13]
	global_load_dword v12, v[6:7], off offset:4
	s_ashr_i32 s3, s10, 31
	s_mov_b32 s2, s10
	v_lshl_add_u64 v[8:9], s[2:3], 0, v[0:1]
	v_mov_b32_e32 v13, 0
	s_mov_b32 s9, 0
	v_lshl_add_u64 v[8:9], v[8:9], 2, s[6:7]
	s_mov_b64 s[12:13], 0
	s_waitcnt vmcnt(0)
	v_add_u32_e32 v14, v11, v12
	s_branch .LBB268_11
.LBB268_10:                             ;   in Loop: Header=BB268_11 Depth=2
	s_or_b64 exec, exec, s[14:15]
	s_add_i32 s16, s9, 1
	s_cmp_gt_u32 s9, 6
	s_cselect_b64 s[2:3], -1, 0
	s_xor_b64 s[14:15], vcc, -1
	s_or_b64 s[2:3], s[14:15], s[2:3]
	s_and_b64 s[2:3], exec, s[2:3]
	v_add_u32_e32 v13, 4, v13
	s_or_b64 s[12:13], s[2:3], s[12:13]
	s_mov_b32 s9, s16
	s_andn2_b64 exec, exec, s[12:13]
	s_cbranch_execz .LBB268_13
.LBB268_11:                             ;   Parent Loop BB268_5 Depth=1
                                        ; =>  This Inner Loop Header: Depth=2
	v_cmp_ne_u32_e32 vcc, s9, v14
	v_cmp_eq_u32_e64 s[2:3], s9, v14
	s_and_saveexec_b64 s[14:15], s[2:3]
	s_cbranch_execz .LBB268_10
; %bb.12:                               ;   in Loop: Header=BB268_11 Depth=2
	scratch_load_dword v15, v13, off
	s_waitcnt vmcnt(0)
	v_add_f32_e32 v5, v5, v15
	global_store_dword v[8:9], v12, off offset:4
	s_branch .LBB268_10
.LBB268_13:                             ;   in Loop: Header=BB268_5 Depth=1
	s_or_b64 exec, exec, s[12:13]
	global_load_dword v12, v[6:7], off offset:8
	v_mov_b32_e32 v13, 0
	s_mov_b32 s9, 0
	s_mov_b64 s[12:13], 0
	s_waitcnt vmcnt(0)
	v_add_u32_e32 v14, v11, v12
	s_branch .LBB268_15
.LBB268_14:                             ;   in Loop: Header=BB268_15 Depth=2
	s_or_b64 exec, exec, s[14:15]
	s_add_i32 s16, s9, 1
	s_cmp_gt_u32 s9, 6
	s_cselect_b64 s[2:3], -1, 0
	s_xor_b64 s[14:15], vcc, -1
	s_or_b64 s[2:3], s[14:15], s[2:3]
	s_and_b64 s[2:3], exec, s[2:3]
	v_add_u32_e32 v13, 4, v13
	s_or_b64 s[12:13], s[2:3], s[12:13]
	s_mov_b32 s9, s16
	s_andn2_b64 exec, exec, s[12:13]
	s_cbranch_execz .LBB268_17
.LBB268_15:                             ;   Parent Loop BB268_5 Depth=1
                                        ; =>  This Inner Loop Header: Depth=2
	v_cmp_ne_u32_e32 vcc, s9, v14
	v_cmp_eq_u32_e64 s[2:3], s9, v14
	s_and_saveexec_b64 s[14:15], s[2:3]
	s_cbranch_execz .LBB268_14
; %bb.16:                               ;   in Loop: Header=BB268_15 Depth=2
	scratch_load_dword v15, v13, off
	s_waitcnt vmcnt(0)
	v_add_f32_e32 v5, v5, v15
	global_store_dword v[8:9], v12, off offset:8
	s_branch .LBB268_14
.LBB268_17:                             ;   in Loop: Header=BB268_5 Depth=1
	s_or_b64 exec, exec, s[12:13]
	global_load_dword v6, v[6:7], off offset:12
	v_mov_b32_e32 v7, 0
	s_mov_b32 s9, 0
	s_mov_b64 s[12:13], 0
	s_waitcnt vmcnt(0)
	v_add_u32_e32 v12, v11, v6
	s_branch .LBB268_19
.LBB268_18:                             ;   in Loop: Header=BB268_19 Depth=2
	s_or_b64 exec, exec, s[14:15]
	s_add_i32 s16, s9, 1
	s_cmp_gt_u32 s9, 6
	s_cselect_b64 s[2:3], -1, 0
	s_xor_b64 s[14:15], vcc, -1
	s_or_b64 s[2:3], s[14:15], s[2:3]
	s_and_b64 s[2:3], exec, s[2:3]
	v_add_u32_e32 v7, 4, v7
	s_or_b64 s[12:13], s[2:3], s[12:13]
	s_mov_b32 s9, s16
	s_andn2_b64 exec, exec, s[12:13]
	s_cbranch_execz .LBB268_4
.LBB268_19:                             ;   Parent Loop BB268_5 Depth=1
                                        ; =>  This Inner Loop Header: Depth=2
	v_cmp_ne_u32_e32 vcc, s9, v12
	v_cmp_eq_u32_e64 s[2:3], s9, v12
	s_and_saveexec_b64 s[14:15], s[2:3]
	s_cbranch_execz .LBB268_18
; %bb.20:                               ;   in Loop: Header=BB268_19 Depth=2
	scratch_load_dword v13, v7, off
	s_waitcnt vmcnt(0)
	v_add_f32_e32 v5, v5, v13
	global_store_dword v[8:9], v6, off offset:12
	s_branch .LBB268_18
.LBB268_21:
	v_mov_b32_e32 v5, 0
.LBB268_22:
	s_and_b32 s14, s33, 3
	s_cmp_eq_u32 s14, 0
	s_mov_b32 s9, 0
	s_cbranch_scc1 .LBB268_29
; %bb.23:
	v_lshlrev_b32_e32 v1, 3, v4
	v_sub_u32_e32 v1, 0, v1
	s_mov_b32 s15, s9
	s_branch .LBB268_25
.LBB268_24:                             ;   in Loop: Header=BB268_25 Depth=1
	s_or_b64 exec, exec, s[10:11]
	s_add_i32 s8, s8, 1
	s_add_i32 s15, s15, 1
	s_cmp_lg_u32 s15, s14
	s_cbranch_scc0 .LBB268_29
.LBB268_25:                             ; =>This Loop Header: Depth=1
                                        ;     Child Loop BB268_27 Depth 2
	v_lshl_add_u64 v[6:7], s[8:9], 2, v[2:3]
	global_load_dword v4, v[6:7], off
	v_add_u32_e32 v6, s8, v0
	v_ashrrev_i32_e32 v7, 31, v6
	v_mov_b32_e32 v8, 0
	s_mov_b32 s16, 0
	s_waitcnt lgkmcnt(0)
	v_lshl_add_u64 v[6:7], v[6:7], 2, s[6:7]
	s_mov_b64 s[10:11], 0
	s_waitcnt vmcnt(0)
	v_add_u32_e32 v9, v1, v4
	s_branch .LBB268_27
.LBB268_26:                             ;   in Loop: Header=BB268_27 Depth=2
	s_or_b64 exec, exec, s[12:13]
	s_add_i32 s17, s16, 1
	s_cmp_gt_u32 s16, 6
	s_cselect_b64 s[2:3], -1, 0
	s_xor_b64 s[12:13], vcc, -1
	s_or_b64 s[2:3], s[12:13], s[2:3]
	s_and_b64 s[2:3], exec, s[2:3]
	v_add_u32_e32 v8, 4, v8
	s_or_b64 s[10:11], s[2:3], s[10:11]
	s_mov_b32 s16, s17
	s_andn2_b64 exec, exec, s[10:11]
	s_cbranch_execz .LBB268_24
.LBB268_27:                             ;   Parent Loop BB268_25 Depth=1
                                        ; =>  This Inner Loop Header: Depth=2
	v_cmp_ne_u32_e32 vcc, s16, v9
	v_cmp_eq_u32_e64 s[2:3], s16, v9
	s_and_saveexec_b64 s[12:13], s[2:3]
	s_cbranch_execz .LBB268_26
; %bb.28:                               ;   in Loop: Header=BB268_27 Depth=2
	scratch_load_dword v11, v8, off
	s_waitcnt vmcnt(0)
	v_add_f32_e32 v5, v5, v11
	global_store_dword v[6:7], v4, off
	s_branch .LBB268_26
.LBB268_29:
	s_waitcnt lgkmcnt(0)
	s_load_dword s6, s[0:1], 0x3c
	s_waitcnt lgkmcnt(0)
	s_bitcmp1_b32 s6, 0
	s_cselect_b64 s[2:3], -1, 0
	s_bitcmp0_b32 s6, 0
	s_cbranch_scc0 .LBB268_33
; %bb.30:
	s_load_dwordx2 s[6:7], s[0:1], 0x40
	s_andn2_b64 vcc, exec, s[2:3]
	s_waitcnt lgkmcnt(0)
	v_cvt_f32_f64_e32 v8, s[6:7]
	s_cbranch_vccz .LBB268_34
.LBB268_31:
	s_andn2_b64 vcc, exec, s[4:5]
	s_cbranch_vccz .LBB268_35
.LBB268_32:
	s_endpgm
.LBB268_33:
	v_mbcnt_lo_u32_b32 v1, -1, 0
	v_mbcnt_hi_u32_b32 v1, -1, v1
	v_and_b32_e32 v4, 0x70, v1
	v_add_u32_e32 v4, 16, v4
	v_xor_b32_e32 v6, 8, v1
	v_cmp_lt_i32_e32 vcc, v6, v4
	v_xor_b32_e32 v7, 4, v1
	s_nop 0
	v_cndmask_b32_e32 v6, v1, v6, vcc
	v_lshlrev_b32_e32 v6, 2, v6
	ds_bpermute_b32 v6, v6, v5
	v_cmp_lt_i32_e32 vcc, v7, v4
	s_waitcnt lgkmcnt(0)
	v_add_f32_e32 v5, v5, v6
	v_cndmask_b32_e32 v6, v1, v7, vcc
	v_lshlrev_b32_e32 v6, 2, v6
	ds_bpermute_b32 v6, v6, v5
	v_xor_b32_e32 v7, 2, v1
	v_cmp_lt_i32_e32 vcc, v7, v4
	s_waitcnt lgkmcnt(0)
	v_add_f32_e32 v5, v5, v6
	v_cndmask_b32_e32 v6, v1, v7, vcc
	v_lshlrev_b32_e32 v6, 2, v6
	ds_bpermute_b32 v6, v6, v5
	v_xor_b32_e32 v7, 1, v1
	v_cmp_lt_i32_e32 vcc, v7, v4
	s_waitcnt lgkmcnt(0)
	v_add_f32_e32 v5, v5, v6
	v_cndmask_b32_e32 v1, v1, v7, vcc
	v_lshlrev_b32_e32 v1, 2, v1
	ds_bpermute_b32 v1, v1, v5
	s_waitcnt lgkmcnt(0)
	v_add_f32_e32 v5, v5, v1
	s_load_dwordx2 s[6:7], s[0:1], 0x40
	s_andn2_b64 vcc, exec, s[2:3]
	s_waitcnt lgkmcnt(0)
	v_cvt_f32_f64_e32 v8, s[6:7]
	s_cbranch_vccnz .LBB268_31
.LBB268_34:
	v_cmp_lt_f32_e32 vcc, 0, v5
	s_nop 1
	v_cndmask_b32_e32 v1, 1.0, v5, vcc
	v_div_scale_f32 v4, s[2:3], v1, v1, v8
	v_rcp_f32_e32 v5, v4
	s_nop 0
	v_fma_f32 v6, -v4, v5, 1.0
	v_fmac_f32_e32 v5, v6, v5
	v_div_scale_f32 v6, vcc, v8, v1, v8
	v_mul_f32_e32 v7, v6, v5
	v_fma_f32 v9, -v4, v7, v6
	v_fmac_f32_e32 v7, v9, v5
	v_fma_f32 v4, -v4, v7, v6
	v_div_fmas_f32 v4, v4, v5, v7
	v_div_fixup_f32 v8, v4, v1, v8
	s_andn2_b64 vcc, exec, s[4:5]
	s_cbranch_vccnz .LBB268_32
.LBB268_35:
	s_load_dwordx2 s[12:13], s[0:1], 0x10
	v_mov_b32_e32 v1, 0
	v_or_b32_e32 v20, 4, v1
	v_or_b32_e32 v18, 8, v1
	;; [unrolled: 1-line block ×3, first 2 shown]
	v_add_u32_e32 v14, 16, v1
	v_add_u32_e32 v12, 20, v1
	;; [unrolled: 1-line block ×4, first 2 shown]
	v_or_b32_e32 v23, 1, v10
	v_or_b32_e32 v22, 2, v10
	;; [unrolled: 1-line block ×7, first 2 shown]
	s_cmp_eq_u32 s33, 1
	s_mov_b32 s14, 0
	s_cbranch_scc1 .LBB268_70
; %bb.36:
	v_ashrrev_i32_e32 v1, 31, v0
	s_waitcnt lgkmcnt(0)
	v_lshl_add_u64 v[4:5], v[0:1], 2, s[12:13]
	s_and_b32 s14, s33, 0x7ffffffe
	v_lshl_add_u64 v[4:5], v[4:5], 0, 4
	v_lshl_add_u64 v[6:7], v[2:3], 0, 4
	s_mov_b32 s15, 0
	s_branch .LBB268_38
.LBB268_37:                             ;   in Loop: Header=BB268_38 Depth=1
	s_or_b64 exec, exec, s[0:1]
	s_add_i32 s15, s15, 2
	v_lshl_add_u64 v[4:5], v[4:5], 0, 8
	s_cmp_eq_u32 s14, s15
	v_lshl_add_u64 v[6:7], v[6:7], 0, 8
	s_cbranch_scc1 .LBB268_70
.LBB268_38:                             ; =>This Inner Loop Header: Depth=1
	global_load_dword v24, v[6:7], off offset:-4
	v_mov_b32_e32 v1, 0
	s_waitcnt vmcnt(0)
	v_cmp_eq_u32_e32 vcc, v24, v10
	v_cmp_ne_u32_e64 s[0:1], v24, v10
	s_and_saveexec_b64 s[16:17], s[0:1]
	s_cbranch_execz .LBB268_52
; %bb.39:                               ;   in Loop: Header=BB268_38 Depth=1
	v_cmp_eq_u32_e64 s[0:1], v24, v23
	v_cmp_ne_u32_e64 s[2:3], v24, v23
	v_mov_b32_e32 v1, v20
	s_and_saveexec_b64 s[18:19], s[2:3]
	s_cbranch_execz .LBB268_51
; %bb.40:                               ;   in Loop: Header=BB268_38 Depth=1
	v_cmp_eq_u32_e64 s[2:3], v24, v22
	v_cmp_ne_u32_e64 s[4:5], v24, v22
	v_mov_b32_e32 v1, v18
	;; [unrolled: 6-line block ×6, first 2 shown]
	s_and_saveexec_b64 s[30:31], s[10:11]
	s_xor_b64 s[30:31], exec, s[30:31]
; %bb.45:                               ;   in Loop: Header=BB268_38 Depth=1
	v_cmp_eq_u32_e64 s[10:11], v24, v13
	s_andn2_b64 s[28:29], s[28:29], exec
	s_and_b64 s[10:11], s[10:11], exec
	s_or_b64 s[28:29], s[28:29], s[10:11]
	v_mov_b32_e32 v1, v11
; %bb.46:                               ;   in Loop: Header=BB268_38 Depth=1
	s_or_b64 exec, exec, s[30:31]
	s_andn2_b64 s[8:9], s[8:9], exec
	s_and_b64 s[10:11], s[28:29], exec
	s_or_b64 s[8:9], s[8:9], s[10:11]
.LBB268_47:                             ;   in Loop: Header=BB268_38 Depth=1
	s_or_b64 exec, exec, s[26:27]
	s_andn2_b64 s[6:7], s[6:7], exec
	s_and_b64 s[8:9], s[8:9], exec
	s_or_b64 s[6:7], s[6:7], s[8:9]
.LBB268_48:                             ;   in Loop: Header=BB268_38 Depth=1
	s_or_b64 exec, exec, s[24:25]
	s_andn2_b64 s[4:5], s[4:5], exec
	s_and_b64 s[6:7], s[6:7], exec
	s_or_b64 s[4:5], s[4:5], s[6:7]
.LBB268_49:                             ;   in Loop: Header=BB268_38 Depth=1
	s_or_b64 exec, exec, s[22:23]
	s_andn2_b64 s[2:3], s[2:3], exec
	s_and_b64 s[4:5], s[4:5], exec
	s_or_b64 s[2:3], s[2:3], s[4:5]
.LBB268_50:                             ;   in Loop: Header=BB268_38 Depth=1
	s_or_b64 exec, exec, s[20:21]
	s_andn2_b64 s[0:1], s[0:1], exec
	s_and_b64 s[2:3], s[2:3], exec
	s_or_b64 s[0:1], s[0:1], s[2:3]
.LBB268_51:                             ;   in Loop: Header=BB268_38 Depth=1
	s_or_b64 exec, exec, s[18:19]
	s_andn2_b64 s[2:3], vcc, exec
	s_and_b64 s[0:1], s[0:1], exec
	s_or_b64 vcc, s[2:3], s[0:1]
.LBB268_52:                             ;   in Loop: Header=BB268_38 Depth=1
	s_or_b64 exec, exec, s[16:17]
	s_and_saveexec_b64 s[0:1], vcc
	s_cbranch_execz .LBB268_54
; %bb.53:                               ;   in Loop: Header=BB268_38 Depth=1
	scratch_load_dword v1, v1, off
	v_add_u32_e32 v24, s15, v0
	v_ashrrev_i32_e32 v25, 31, v24
	v_lshl_add_u64 v[24:25], v[24:25], 2, s[12:13]
	s_waitcnt vmcnt(0)
	v_mul_f32_e32 v1, v8, v1
	global_store_dword v[24:25], v1, off
.LBB268_54:                             ;   in Loop: Header=BB268_38 Depth=1
	s_or_b64 exec, exec, s[0:1]
	global_load_dword v24, v[6:7], off
	v_mov_b32_e32 v1, 0
	s_waitcnt vmcnt(0)
	v_cmp_eq_u32_e64 s[8:9], v24, v10
	v_cmp_ne_u32_e32 vcc, v24, v10
	s_and_saveexec_b64 s[10:11], vcc
	s_cbranch_execz .LBB268_68
; %bb.55:                               ;   in Loop: Header=BB268_38 Depth=1
	v_cmp_eq_u32_e32 vcc, v24, v23
	v_cmp_ne_u32_e64 s[0:1], v24, v23
	v_mov_b32_e32 v1, v20
	s_and_saveexec_b64 s[16:17], s[0:1]
	s_cbranch_execz .LBB268_67
; %bb.56:                               ;   in Loop: Header=BB268_38 Depth=1
	v_cmp_eq_u32_e64 s[0:1], v24, v22
	v_cmp_ne_u32_e64 s[2:3], v24, v22
	v_mov_b32_e32 v1, v18
	s_and_saveexec_b64 s[18:19], s[2:3]
	s_cbranch_execz .LBB268_66
; %bb.57:                               ;   in Loop: Header=BB268_38 Depth=1
	v_cmp_eq_u32_e64 s[2:3], v24, v21
	;; [unrolled: 6-line block ×5, first 2 shown]
	v_cmp_ne_u32_e64 s[6:7], v24, v15
	v_mov_b32_e32 v1, v9
	s_and_saveexec_b64 s[30:31], s[6:7]
; %bb.61:                               ;   in Loop: Header=BB268_38 Depth=1
	v_cmp_eq_u32_e64 s[6:7], v24, v13
	s_andn2_b64 s[28:29], s[28:29], exec
	s_and_b64 s[6:7], s[6:7], exec
	s_or_b64 s[28:29], s[28:29], s[6:7]
	v_mov_b32_e32 v1, v11
; %bb.62:                               ;   in Loop: Header=BB268_38 Depth=1
	s_or_b64 exec, exec, s[30:31]
	s_andn2_b64 s[6:7], s[24:25], exec
	s_and_b64 s[24:25], s[28:29], exec
	s_or_b64 s[24:25], s[6:7], s[24:25]
.LBB268_63:                             ;   in Loop: Header=BB268_38 Depth=1
	s_or_b64 exec, exec, s[26:27]
	s_andn2_b64 s[4:5], s[4:5], exec
	s_and_b64 s[6:7], s[24:25], exec
	s_or_b64 s[4:5], s[4:5], s[6:7]
.LBB268_64:                             ;   in Loop: Header=BB268_38 Depth=1
	s_or_b64 exec, exec, s[22:23]
	s_andn2_b64 s[2:3], s[2:3], exec
	s_and_b64 s[4:5], s[4:5], exec
	s_or_b64 s[2:3], s[2:3], s[4:5]
.LBB268_65:                             ;   in Loop: Header=BB268_38 Depth=1
	s_or_b64 exec, exec, s[20:21]
	s_andn2_b64 s[0:1], s[0:1], exec
	s_and_b64 s[2:3], s[2:3], exec
	s_or_b64 s[0:1], s[0:1], s[2:3]
.LBB268_66:                             ;   in Loop: Header=BB268_38 Depth=1
	s_or_b64 exec, exec, s[18:19]
	s_andn2_b64 s[2:3], vcc, exec
	s_and_b64 s[0:1], s[0:1], exec
	s_or_b64 vcc, s[2:3], s[0:1]
.LBB268_67:                             ;   in Loop: Header=BB268_38 Depth=1
	s_or_b64 exec, exec, s[16:17]
	s_andn2_b64 s[0:1], s[8:9], exec
	s_and_b64 s[2:3], vcc, exec
	s_or_b64 s[8:9], s[0:1], s[2:3]
.LBB268_68:                             ;   in Loop: Header=BB268_38 Depth=1
	s_or_b64 exec, exec, s[10:11]
	s_and_saveexec_b64 s[0:1], s[8:9]
	s_cbranch_execz .LBB268_37
; %bb.69:                               ;   in Loop: Header=BB268_38 Depth=1
	scratch_load_dword v1, v1, off
	s_waitcnt vmcnt(0)
	v_mul_f32_e32 v1, v8, v1
	global_store_dword v[4:5], v1, off
	s_branch .LBB268_37
.LBB268_70:
	s_bitcmp0_b32 s33, 0
	s_mov_b32 s15, 0
	s_cbranch_scc1 .LBB268_32
; %bb.71:
	v_lshl_add_u64 v[2:3], s[14:15], 2, v[2:3]
	global_load_dword v1, v[2:3], off
	v_mov_b32_e32 v2, 0
	s_waitcnt vmcnt(0)
	v_cmp_eq_u32_e64 s[8:9], v1, v10
	v_cmp_ne_u32_e32 vcc, v1, v10
	s_and_saveexec_b64 s[10:11], vcc
	s_cbranch_execz .LBB268_85
; %bb.72:
	v_cmp_eq_u32_e32 vcc, v1, v23
	v_cmp_ne_u32_e64 s[0:1], v1, v23
	s_and_saveexec_b64 s[16:17], s[0:1]
	s_cbranch_execz .LBB268_84
; %bb.73:
	v_cmp_eq_u32_e64 s[0:1], v1, v22
	v_cmp_ne_u32_e64 s[2:3], v1, v22
	s_and_saveexec_b64 s[18:19], s[2:3]
	s_cbranch_execz .LBB268_83
; %bb.74:
	v_cmp_eq_u32_e64 s[2:3], v1, v21
	;; [unrolled: 5-line block ×5, first 2 shown]
	v_cmp_ne_u32_e64 s[6:7], v1, v15
	s_and_saveexec_b64 s[30:31], s[6:7]
; %bb.78:
	v_cmp_eq_u32_e64 s[6:7], v1, v13
	s_andn2_b64 s[28:29], s[28:29], exec
	s_and_b64 s[6:7], s[6:7], exec
	s_or_b64 s[28:29], s[28:29], s[6:7]
	v_mov_b32_e32 v9, v11
; %bb.79:
	s_or_b64 exec, exec, s[30:31]
	s_andn2_b64 s[6:7], s[24:25], exec
	s_and_b64 s[24:25], s[28:29], exec
	s_or_b64 s[24:25], s[6:7], s[24:25]
	v_mov_b32_e32 v12, v9
.LBB268_80:
	s_or_b64 exec, exec, s[26:27]
	s_andn2_b64 s[4:5], s[4:5], exec
	s_and_b64 s[6:7], s[24:25], exec
	s_or_b64 s[4:5], s[4:5], s[6:7]
	v_mov_b32_e32 v14, v12
.LBB268_81:
	s_or_b64 exec, exec, s[22:23]
	s_andn2_b64 s[2:3], s[2:3], exec
	s_and_b64 s[4:5], s[4:5], exec
	s_or_b64 s[2:3], s[2:3], s[4:5]
	v_mov_b32_e32 v16, v14
.LBB268_82:
	s_or_b64 exec, exec, s[20:21]
	s_andn2_b64 s[0:1], s[0:1], exec
	s_and_b64 s[2:3], s[2:3], exec
	s_or_b64 s[0:1], s[0:1], s[2:3]
	v_mov_b32_e32 v18, v16
.LBB268_83:
	s_or_b64 exec, exec, s[18:19]
	s_andn2_b64 s[2:3], vcc, exec
	s_and_b64 s[0:1], s[0:1], exec
	s_or_b64 vcc, s[2:3], s[0:1]
	v_mov_b32_e32 v20, v18
.LBB268_84:
	s_or_b64 exec, exec, s[16:17]
	s_andn2_b64 s[0:1], s[8:9], exec
	s_and_b64 s[2:3], vcc, exec
	s_or_b64 s[8:9], s[0:1], s[2:3]
	v_mov_b32_e32 v2, v20
.LBB268_85:
	s_or_b64 exec, exec, s[10:11]
	s_and_b64 exec, exec, s[8:9]
	s_cbranch_execz .LBB268_32
; %bb.86:
	scratch_load_dword v2, v2, off
	v_add_u32_e32 v0, s14, v0
	v_ashrrev_i32_e32 v1, 31, v0
	s_waitcnt lgkmcnt(0)
	v_lshl_add_u64 v[0:1], v[0:1], 2, s[12:13]
	s_waitcnt vmcnt(0)
	v_mul_f32_e32 v2, v8, v2
	global_store_dword v[0:1], v2, off
	s_endpgm
	.section	.rodata,"a",@progbits
	.p2align	6, 0x0
	.amdhsa_kernel _ZN4vllm3moe22topkGatingSoftplusSqrtILi8ELi128ELi4ELi16ELi64ELb1Ej6__halfEEvPKT6_PKbPfiPT5_PiiiibdPKfPKS9_SF_
		.amdhsa_group_segment_fixed_size 0
		.amdhsa_private_segment_fixed_size 48
		.amdhsa_kernarg_size 96
		.amdhsa_user_sgpr_count 2
		.amdhsa_user_sgpr_dispatch_ptr 0
		.amdhsa_user_sgpr_queue_ptr 0
		.amdhsa_user_sgpr_kernarg_segment_ptr 1
		.amdhsa_user_sgpr_dispatch_id 0
		.amdhsa_user_sgpr_kernarg_preload_length 0
		.amdhsa_user_sgpr_kernarg_preload_offset 0
		.amdhsa_user_sgpr_private_segment_size 0
		.amdhsa_uses_dynamic_stack 0
		.amdhsa_enable_private_segment 1
		.amdhsa_system_sgpr_workgroup_id_x 1
		.amdhsa_system_sgpr_workgroup_id_y 0
		.amdhsa_system_sgpr_workgroup_id_z 0
		.amdhsa_system_sgpr_workgroup_info 0
		.amdhsa_system_vgpr_workitem_id 1
		.amdhsa_next_free_vgpr 27
		.amdhsa_next_free_sgpr 34
		.amdhsa_accum_offset 28
		.amdhsa_reserve_vcc 1
		.amdhsa_float_round_mode_32 0
		.amdhsa_float_round_mode_16_64 0
		.amdhsa_float_denorm_mode_32 3
		.amdhsa_float_denorm_mode_16_64 3
		.amdhsa_dx10_clamp 1
		.amdhsa_ieee_mode 1
		.amdhsa_fp16_overflow 0
		.amdhsa_tg_split 0
		.amdhsa_exception_fp_ieee_invalid_op 0
		.amdhsa_exception_fp_denorm_src 0
		.amdhsa_exception_fp_ieee_div_zero 0
		.amdhsa_exception_fp_ieee_overflow 0
		.amdhsa_exception_fp_ieee_underflow 0
		.amdhsa_exception_fp_ieee_inexact 0
		.amdhsa_exception_int_div_zero 0
	.end_amdhsa_kernel
	.section	.text._ZN4vllm3moe22topkGatingSoftplusSqrtILi8ELi128ELi4ELi16ELi64ELb1Ej6__halfEEvPKT6_PKbPfiPT5_PiiiibdPKfPKS9_SF_,"axG",@progbits,_ZN4vllm3moe22topkGatingSoftplusSqrtILi8ELi128ELi4ELi16ELi64ELb1Ej6__halfEEvPKT6_PKbPfiPT5_PiiiibdPKfPKS9_SF_,comdat
.Lfunc_end268:
	.size	_ZN4vllm3moe22topkGatingSoftplusSqrtILi8ELi128ELi4ELi16ELi64ELb1Ej6__halfEEvPKT6_PKbPfiPT5_PiiiibdPKfPKS9_SF_, .Lfunc_end268-_ZN4vllm3moe22topkGatingSoftplusSqrtILi8ELi128ELi4ELi16ELi64ELb1Ej6__halfEEvPKT6_PKbPfiPT5_PiiiibdPKfPKS9_SF_
                                        ; -- End function
	.section	.AMDGPU.csdata,"",@progbits
; Kernel info:
; codeLenInByte = 4568
; NumSgprs: 40
; NumVgprs: 27
; NumAgprs: 0
; TotalNumVgprs: 27
; ScratchSize: 48
; MemoryBound: 0
; FloatMode: 240
; IeeeMode: 1
; LDSByteSize: 0 bytes/workgroup (compile time only)
; SGPRBlocks: 4
; VGPRBlocks: 3
; NumSGPRsForWavesPerEU: 40
; NumVGPRsForWavesPerEU: 27
; AccumOffset: 28
; Occupancy: 8
; WaveLimiterHint : 1
; COMPUTE_PGM_RSRC2:SCRATCH_EN: 1
; COMPUTE_PGM_RSRC2:USER_SGPR: 2
; COMPUTE_PGM_RSRC2:TRAP_HANDLER: 0
; COMPUTE_PGM_RSRC2:TGID_X_EN: 1
; COMPUTE_PGM_RSRC2:TGID_Y_EN: 0
; COMPUTE_PGM_RSRC2:TGID_Z_EN: 0
; COMPUTE_PGM_RSRC2:TIDIG_COMP_CNT: 1
; COMPUTE_PGM_RSRC3_GFX90A:ACCUM_OFFSET: 6
; COMPUTE_PGM_RSRC3_GFX90A:TG_SPLIT: 0
	.section	.text._ZN4vllm3moe22topkGatingSoftplusSqrtILi8ELi128ELi4ELi16ELi64ELb0Ej6__halfEEvPKT6_PKbPfiPT5_PiiiibdPKfPKS9_SF_,"axG",@progbits,_ZN4vllm3moe22topkGatingSoftplusSqrtILi8ELi128ELi4ELi16ELi64ELb0Ej6__halfEEvPKT6_PKbPfiPT5_PiiiibdPKfPKS9_SF_,comdat
	.protected	_ZN4vllm3moe22topkGatingSoftplusSqrtILi8ELi128ELi4ELi16ELi64ELb0Ej6__halfEEvPKT6_PKbPfiPT5_PiiiibdPKfPKS9_SF_ ; -- Begin function _ZN4vllm3moe22topkGatingSoftplusSqrtILi8ELi128ELi4ELi16ELi64ELb0Ej6__halfEEvPKT6_PKbPfiPT5_PiiiibdPKfPKS9_SF_
	.globl	_ZN4vllm3moe22topkGatingSoftplusSqrtILi8ELi128ELi4ELi16ELi64ELb0Ej6__halfEEvPKT6_PKbPfiPT5_PiiiibdPKfPKS9_SF_
	.p2align	8
	.type	_ZN4vllm3moe22topkGatingSoftplusSqrtILi8ELi128ELi4ELi16ELi64ELb0Ej6__halfEEvPKT6_PKbPfiPT5_PiiiibdPKfPKS9_SF_,@function
_ZN4vllm3moe22topkGatingSoftplusSqrtILi8ELi128ELi4ELi16ELi64ELb0Ej6__halfEEvPKT6_PKbPfiPT5_PiiiibdPKfPKS9_SF_: ; @_ZN4vllm3moe22topkGatingSoftplusSqrtILi8ELi128ELi4ELi16ELi64ELb0Ej6__halfEEvPKT6_PKbPfiPT5_PiiiibdPKfPKS9_SF_
; %bb.0:
	s_load_dword s33, s[0:1], 0x18
	v_bfe_u32 v1, v0, 10, 10
	v_and_b32_e32 v0, 0x3ff, v0
	s_lshl_b32 s2, s2, 4
	v_lshlrev_b32_e32 v1, 2, v1
	v_lshrrev_b32_e32 v2, 4, v0
	v_add3_u32 v8, s2, v1, v2
	s_waitcnt lgkmcnt(0)
	v_cmp_gt_i32_e32 vcc, s33, v8
	s_and_saveexec_b64 s[2:3], vcc
	s_cbranch_execz .LBB269_61
; %bb.1:
	s_load_dwordx4 s[4:7], s[0:1], 0x0
	s_load_dwordx2 s[34:35], s[0:1], 0x10
	s_waitcnt lgkmcnt(0)
	s_cmp_eq_u64 s[6:7], 0
	s_cbranch_scc1 .LBB269_3
; %bb.2:
	v_ashrrev_i32_e32 v9, 31, v8
	v_lshl_add_u64 v[2:3], s[6:7], 0, v[8:9]
	global_load_ubyte v1, v[2:3], off
	s_waitcnt vmcnt(0)
	v_and_b32_e32 v1, 1, v1
	v_cmp_eq_u32_e32 vcc, 1, v1
	s_xor_b64 s[2:3], vcc, -1
	s_orn2_b64 s[36:37], s[2:3], exec
	s_branch .LBB269_4
.LBB269_3:
	s_mov_b64 s[36:37], -1
.LBB269_4:
	v_lshlrev_b32_e32 v4, 7, v8
	v_mov_b32_e32 v2, s4
	v_mov_b32_e32 v3, s5
	v_ashrrev_i32_e32 v5, 31, v4
	v_and_b32_e32 v9, 15, v0
	v_lshl_add_u64 v[2:3], v[4:5], 1, v[2:3]
	v_mov_b32_e32 v1, 0
	v_lshlrev_b32_e32 v0, 4, v9
	v_lshl_add_u64 v[0:1], v[2:3], 0, v[0:1]
	global_load_dwordx4 v[4:7], v[0:1], off
	s_mov_b32 s12, 0x800000
	v_mov_b32_e32 v2, 0x4f800000
	s_mov_b32 s9, 0x3f317217
	s_mov_b32 s10, 0x7f800000
	v_mov_b32_e32 v3, 0x41b17218
	s_movk_i32 s8, 0x4d00
	s_mov_b32 s11, 0xf800000
	s_load_dwordx4 s[20:23], s[0:1], 0x40
	v_lshlrev_b32_e32 v12, 3, v9
	s_waitcnt lgkmcnt(0)
	s_cmp_lg_u64 s[22:23], 0
	s_cselect_b64 s[6:7], -1, 0
	s_and_b64 s[2:3], exec, s[6:7]
	s_waitcnt vmcnt(0)
	v_cvt_f32_f16_e32 v0, v4
	v_mul_f32_e32 v1, 0x3fb8aa3b, v0
	v_exp_f32_e32 v10, v1
	v_mov_b32_e32 v1, 0x260
	v_add_f32_e32 v10, 1.0, v10
	v_cmp_gt_f32_e32 vcc, s12, v10
	s_nop 1
	v_cndmask_b32_e32 v11, 1.0, v2, vcc
	v_mul_f32_e32 v10, v10, v11
	v_log_f32_e32 v11, v10
	v_cndmask_b32_e32 v13, 0, v3, vcc
	v_lshlrev_b32_e32 v10, 2, v12
	v_mul_f32_e32 v14, 0x3f317217, v11
	v_fma_f32 v14, v11, s9, -v14
	v_fmac_f32_e32 v14, 0x3377d1cf, v11
	v_fmac_f32_e32 v14, 0x3f317217, v11
	v_cmp_lt_f32_e64 vcc, |v11|, s10
	s_nop 1
	v_cndmask_b32_e32 v11, v11, v14, vcc
	v_sub_f32_e32 v11, v11, v13
	v_cmp_lt_f16_e32 vcc, s8, v4
	s_nop 1
	v_cndmask_b32_e32 v0, v11, v0, vcc
	v_mul_f32_e32 v11, 0x4f800000, v0
	v_cmp_gt_f32_e32 vcc, s11, v0
	s_nop 1
	v_cndmask_b32_e32 v0, v0, v11, vcc
	v_sqrt_f32_e32 v11, v0
	s_nop 0
	v_add_u32_e32 v13, -1, v11
	v_add_u32_e32 v14, 1, v11
	v_fma_f32 v15, -v13, v11, v0
	v_fma_f32 v16, -v14, v11, v0
	v_cmp_ge_f32_e64 s[4:5], 0, v15
	s_nop 1
	v_cndmask_b32_e64 v11, v11, v13, s[4:5]
	v_cmp_lt_f32_e64 s[4:5], 0, v16
	s_nop 1
	v_cndmask_b32_e64 v11, v11, v14, s[4:5]
	v_mul_f32_e32 v13, 0x37800000, v11
	v_cndmask_b32_e32 v11, v11, v13, vcc
	v_cmp_class_f32_e32 vcc, v0, v1
	s_nop 1
	v_cndmask_b32_e32 v0, v11, v0, vcc
	s_mov_b64 vcc, s[2:3]
	s_cbranch_vccz .LBB269_6
; %bb.5:
	global_load_dword v11, v10, s[22:23]
	s_waitcnt vmcnt(0)
	v_add_f32_e32 v0, v0, v11
.LBB269_6:
	v_cvt_f32_f16_sdwa v11, v4 dst_sel:DWORD dst_unused:UNUSED_PAD src0_sel:WORD_1
	v_mul_f32_e32 v13, 0x3fb8aa3b, v11
	v_exp_f32_e32 v13, v13
	s_nop 0
	v_add_f32_e32 v13, 1.0, v13
	v_cmp_gt_f32_e32 vcc, s12, v13
	s_nop 1
	v_cndmask_b32_e32 v2, 1.0, v2, vcc
	v_mul_f32_e32 v2, v13, v2
	v_log_f32_e32 v2, v2
	v_cndmask_b32_e32 v3, 0, v3, vcc
	v_mul_f32_e32 v13, 0x3f317217, v2
	v_fma_f32 v13, v2, s9, -v13
	v_fmac_f32_e32 v13, 0x3377d1cf, v2
	v_fmac_f32_e32 v13, 0x3f317217, v2
	v_cmp_lt_f32_e64 vcc, |v2|, s10
	s_nop 1
	v_cndmask_b32_e32 v2, v2, v13, vcc
	v_sub_f32_e32 v2, v2, v3
	v_cmp_gt_f16_sdwa vcc, v4, s8 src0_sel:WORD_1 src1_sel:DWORD
	v_cndmask_b32_e64 v4, 0, 1, s[6:7]
	v_cmp_ne_u32_e64 s[2:3], 1, v4
	v_cndmask_b32_e32 v2, v2, v11, vcc
	v_mul_f32_e32 v3, 0x4f800000, v2
	v_cmp_gt_f32_e64 s[4:5], s11, v2
	s_andn2_b64 vcc, exec, s[6:7]
	s_nop 0
	v_cndmask_b32_e64 v2, v2, v3, s[4:5]
	v_sqrt_f32_e32 v3, v2
	s_nop 0
	v_add_u32_e32 v4, -1, v3
	v_add_u32_e32 v11, 1, v3
	v_fma_f32 v13, -v4, v3, v2
	v_fma_f32 v14, -v11, v3, v2
	v_cmp_ge_f32_e64 s[6:7], 0, v13
	s_nop 1
	v_cndmask_b32_e64 v3, v3, v4, s[6:7]
	v_cmp_lt_f32_e64 s[6:7], 0, v14
	s_nop 1
	v_cndmask_b32_e64 v3, v3, v11, s[6:7]
	v_mul_f32_e32 v4, 0x37800000, v3
	v_cndmask_b32_e64 v3, v3, v4, s[4:5]
	v_cmp_class_f32_e64 s[4:5], v2, v1
	s_nop 1
	v_cndmask_b32_e64 v1, v3, v2, s[4:5]
	s_cbranch_vccnz .LBB269_8
; %bb.7:
	global_load_dword v2, v10, s[22:23] offset:4
	s_waitcnt vmcnt(0)
	v_add_f32_e32 v1, v1, v2
.LBB269_8:
	v_cvt_f32_f16_e32 v2, v5
	s_mov_b32 s8, 0x800000
	v_mov_b32_e32 v4, 0x4f800000
	s_mov_b32 s7, 0x3f317217
	v_mul_f32_e32 v3, 0x3fb8aa3b, v2
	v_exp_f32_e32 v3, v3
	s_mov_b32 s9, 0x7f800000
	s_movk_i32 s6, 0x4d00
	s_mov_b32 s10, 0xf800000
	v_add_f32_e32 v3, 1.0, v3
	v_cmp_gt_f32_e32 vcc, s8, v3
	s_nop 1
	v_cndmask_b32_e32 v11, 1.0, v4, vcc
	v_mul_f32_e32 v3, v3, v11
	v_log_f32_e32 v3, v3
	v_mov_b32_e32 v11, 0x41b17218
	v_cndmask_b32_e32 v13, 0, v11, vcc
	v_mul_f32_e32 v14, 0x3f317217, v3
	v_fma_f32 v14, v3, s7, -v14
	v_fmac_f32_e32 v14, 0x3377d1cf, v3
	v_fmac_f32_e32 v14, 0x3f317217, v3
	v_cmp_lt_f32_e64 vcc, |v3|, s9
	s_nop 1
	v_cndmask_b32_e32 v3, v3, v14, vcc
	v_sub_f32_e32 v3, v3, v13
	v_cmp_lt_f16_e32 vcc, s6, v5
	s_nop 1
	v_cndmask_b32_e32 v2, v3, v2, vcc
	v_mul_f32_e32 v3, 0x4f800000, v2
	v_cmp_gt_f32_e32 vcc, s10, v2
	s_nop 1
	v_cndmask_b32_e32 v2, v2, v3, vcc
	v_sqrt_f32_e32 v3, v2
	s_nop 0
	v_add_u32_e32 v13, -1, v3
	v_fma_f32 v14, -v13, v3, v2
	v_cmp_ge_f32_e64 s[4:5], 0, v14
	v_add_u32_e32 v14, 1, v3
	s_nop 0
	v_cndmask_b32_e64 v13, v3, v13, s[4:5]
	v_fma_f32 v3, -v14, v3, v2
	v_cmp_lt_f32_e64 s[4:5], 0, v3
	s_nop 1
	v_cndmask_b32_e64 v3, v13, v14, s[4:5]
	v_mul_f32_e32 v13, 0x37800000, v3
	v_cndmask_b32_e32 v13, v3, v13, vcc
	v_mov_b32_e32 v3, 0x260
	v_cmp_class_f32_e64 s[4:5], v2, v3
	s_and_b64 vcc, exec, s[2:3]
	s_nop 0
	v_cndmask_b32_e64 v2, v13, v2, s[4:5]
	s_cbranch_vccnz .LBB269_10
; %bb.9:
	global_load_dword v13, v10, s[22:23] offset:8
	s_waitcnt vmcnt(0)
	v_add_f32_e32 v2, v2, v13
.LBB269_10:
	v_cvt_f32_f16_sdwa v13, v5 dst_sel:DWORD dst_unused:UNUSED_PAD src0_sel:WORD_1
	v_mul_f32_e32 v14, 0x3fb8aa3b, v13
	v_exp_f32_e32 v14, v14
	s_nop 0
	v_add_f32_e32 v14, 1.0, v14
	v_cmp_gt_f32_e32 vcc, s8, v14
	s_nop 1
	v_cndmask_b32_e32 v4, 1.0, v4, vcc
	v_mul_f32_e32 v4, v14, v4
	v_log_f32_e32 v4, v4
	v_cndmask_b32_e32 v11, 0, v11, vcc
	v_mul_f32_e32 v14, 0x3f317217, v4
	v_fma_f32 v14, v4, s7, -v14
	v_fmac_f32_e32 v14, 0x3377d1cf, v4
	v_fmac_f32_e32 v14, 0x3f317217, v4
	v_cmp_lt_f32_e64 vcc, |v4|, s9
	s_nop 1
	v_cndmask_b32_e32 v4, v4, v14, vcc
	v_sub_f32_e32 v4, v4, v11
	v_cmp_gt_f16_sdwa vcc, v5, s6 src0_sel:WORD_1 src1_sel:DWORD
	s_nop 1
	v_cndmask_b32_e32 v4, v4, v13, vcc
	v_mul_f32_e32 v5, 0x4f800000, v4
	v_cmp_gt_f32_e64 s[4:5], s10, v4
	s_and_b64 vcc, exec, s[2:3]
	s_nop 0
	v_cndmask_b32_e64 v4, v4, v5, s[4:5]
	v_sqrt_f32_e32 v5, v4
	s_nop 0
	v_add_u32_e32 v11, -1, v5
	v_add_u32_e32 v13, 1, v5
	v_fma_f32 v14, -v11, v5, v4
	v_fma_f32 v15, -v13, v5, v4
	v_cmp_ge_f32_e64 s[6:7], 0, v14
	s_nop 1
	v_cndmask_b32_e64 v5, v5, v11, s[6:7]
	v_cmp_lt_f32_e64 s[6:7], 0, v15
	s_nop 1
	v_cndmask_b32_e64 v5, v5, v13, s[6:7]
	v_mul_f32_e32 v11, 0x37800000, v5
	v_cndmask_b32_e64 v5, v5, v11, s[4:5]
	v_cmp_class_f32_e64 s[4:5], v4, v3
	s_nop 1
	v_cndmask_b32_e64 v3, v5, v4, s[4:5]
	s_cbranch_vccnz .LBB269_12
; %bb.11:
	global_load_dword v4, v10, s[22:23] offset:12
	s_waitcnt vmcnt(0)
	v_add_f32_e32 v3, v3, v4
.LBB269_12:
	v_cvt_f32_f16_e32 v4, v6
	v_mov_b32_e32 v11, 0x4f800000
	s_mov_b32 s7, 0x3f317217
	s_movk_i32 s6, 0x4d00
	v_mul_f32_e32 v5, 0x3fb8aa3b, v4
	v_exp_f32_e32 v5, v5
	s_nop 0
	v_add_f32_e32 v5, 1.0, v5
	v_cmp_gt_f32_e32 vcc, s8, v5
	s_nop 1
	v_cndmask_b32_e32 v13, 1.0, v11, vcc
	v_mul_f32_e32 v5, v5, v13
	v_log_f32_e32 v5, v5
	v_mov_b32_e32 v13, 0x41b17218
	v_cndmask_b32_e32 v14, 0, v13, vcc
	v_mul_f32_e32 v15, 0x3f317217, v5
	v_fma_f32 v15, v5, s7, -v15
	v_fmac_f32_e32 v15, 0x3377d1cf, v5
	v_fmac_f32_e32 v15, 0x3f317217, v5
	v_cmp_lt_f32_e64 vcc, |v5|, s9
	s_nop 1
	v_cndmask_b32_e32 v5, v5, v15, vcc
	v_sub_f32_e32 v5, v5, v14
	v_cmp_lt_f16_e32 vcc, s6, v6
	s_nop 1
	v_cndmask_b32_e32 v4, v5, v4, vcc
	v_mul_f32_e32 v5, 0x4f800000, v4
	v_cmp_gt_f32_e32 vcc, s10, v4
	s_nop 1
	v_cndmask_b32_e32 v4, v4, v5, vcc
	v_sqrt_f32_e32 v5, v4
	s_nop 0
	v_add_u32_e32 v14, -1, v5
	v_fma_f32 v15, -v14, v5, v4
	v_cmp_ge_f32_e64 s[4:5], 0, v15
	v_add_u32_e32 v15, 1, v5
	s_nop 0
	v_cndmask_b32_e64 v14, v5, v14, s[4:5]
	v_fma_f32 v5, -v15, v5, v4
	v_cmp_lt_f32_e64 s[4:5], 0, v5
	s_nop 1
	v_cndmask_b32_e64 v5, v14, v15, s[4:5]
	v_mul_f32_e32 v14, 0x37800000, v5
	v_cndmask_b32_e32 v14, v5, v14, vcc
	v_mov_b32_e32 v5, 0x260
	v_cmp_class_f32_e64 s[4:5], v4, v5
	s_and_b64 vcc, exec, s[2:3]
	s_nop 0
	v_cndmask_b32_e64 v4, v14, v4, s[4:5]
	s_cbranch_vccnz .LBB269_14
; %bb.13:
	global_load_dword v14, v10, s[22:23] offset:16
	s_waitcnt vmcnt(0)
	v_add_f32_e32 v4, v4, v14
.LBB269_14:
	v_cvt_f32_f16_sdwa v14, v6 dst_sel:DWORD dst_unused:UNUSED_PAD src0_sel:WORD_1
	v_mul_f32_e32 v15, 0x3fb8aa3b, v14
	v_exp_f32_e32 v15, v15
	s_nop 0
	v_add_f32_e32 v15, 1.0, v15
	v_cmp_gt_f32_e32 vcc, s8, v15
	s_nop 1
	v_cndmask_b32_e32 v11, 1.0, v11, vcc
	v_mul_f32_e32 v11, v15, v11
	v_log_f32_e32 v11, v11
	v_cndmask_b32_e32 v13, 0, v13, vcc
	v_mul_f32_e32 v15, 0x3f317217, v11
	v_fma_f32 v15, v11, s7, -v15
	v_fmac_f32_e32 v15, 0x3377d1cf, v11
	v_fmac_f32_e32 v15, 0x3f317217, v11
	v_cmp_lt_f32_e64 vcc, |v11|, s9
	s_nop 1
	v_cndmask_b32_e32 v11, v11, v15, vcc
	v_sub_f32_e32 v11, v11, v13
	v_cmp_gt_f16_sdwa vcc, v6, s6 src0_sel:WORD_1 src1_sel:DWORD
	s_nop 1
	v_cndmask_b32_e32 v6, v11, v14, vcc
	v_mul_f32_e32 v11, 0x4f800000, v6
	v_cmp_gt_f32_e64 s[4:5], s10, v6
	s_and_b64 vcc, exec, s[2:3]
	s_nop 0
	v_cndmask_b32_e64 v6, v6, v11, s[4:5]
	v_sqrt_f32_e32 v11, v6
	s_nop 0
	v_add_u32_e32 v13, -1, v11
	v_add_u32_e32 v14, 1, v11
	v_fma_f32 v15, -v13, v11, v6
	v_fma_f32 v16, -v14, v11, v6
	v_cmp_ge_f32_e64 s[6:7], 0, v15
	s_nop 1
	v_cndmask_b32_e64 v11, v11, v13, s[6:7]
	v_cmp_lt_f32_e64 s[6:7], 0, v16
	s_nop 1
	v_cndmask_b32_e64 v11, v11, v14, s[6:7]
	v_mul_f32_e32 v13, 0x37800000, v11
	v_cndmask_b32_e64 v11, v11, v13, s[4:5]
	v_cmp_class_f32_e64 s[4:5], v6, v5
	s_nop 1
	v_cndmask_b32_e64 v5, v11, v6, s[4:5]
	s_cbranch_vccnz .LBB269_16
; %bb.15:
	global_load_dword v6, v10, s[22:23] offset:20
	s_waitcnt vmcnt(0)
	v_add_f32_e32 v5, v5, v6
.LBB269_16:
	v_cvt_f32_f16_e32 v6, v7
	v_mov_b32_e32 v13, 0x4f800000
	s_mov_b32 s7, 0x3f317217
	s_movk_i32 s6, 0x4d00
	v_mul_f32_e32 v11, 0x3fb8aa3b, v6
	v_exp_f32_e32 v11, v11
	s_nop 0
	v_add_f32_e32 v11, 1.0, v11
	v_cmp_gt_f32_e32 vcc, s8, v11
	s_nop 1
	v_cndmask_b32_e32 v14, 1.0, v13, vcc
	v_mul_f32_e32 v11, v11, v14
	v_log_f32_e32 v11, v11
	v_mov_b32_e32 v14, 0x41b17218
	v_cndmask_b32_e32 v15, 0, v14, vcc
	v_mul_f32_e32 v16, 0x3f317217, v11
	v_fma_f32 v16, v11, s7, -v16
	v_fmac_f32_e32 v16, 0x3377d1cf, v11
	v_fmac_f32_e32 v16, 0x3f317217, v11
	v_cmp_lt_f32_e64 vcc, |v11|, s9
	s_nop 1
	v_cndmask_b32_e32 v11, v11, v16, vcc
	v_sub_f32_e32 v11, v11, v15
	v_cmp_lt_f16_e32 vcc, s6, v7
	s_nop 1
	v_cndmask_b32_e32 v6, v11, v6, vcc
	v_mul_f32_e32 v11, 0x4f800000, v6
	v_cmp_gt_f32_e32 vcc, s10, v6
	s_nop 1
	v_cndmask_b32_e32 v6, v6, v11, vcc
	v_sqrt_f32_e32 v11, v6
	s_nop 0
	v_add_u32_e32 v15, -1, v11
	v_fma_f32 v16, -v15, v11, v6
	v_cmp_ge_f32_e64 s[4:5], 0, v16
	v_add_u32_e32 v16, 1, v11
	s_nop 0
	v_cndmask_b32_e64 v15, v11, v15, s[4:5]
	v_fma_f32 v11, -v16, v11, v6
	v_cmp_lt_f32_e64 s[4:5], 0, v11
	s_nop 1
	v_cndmask_b32_e64 v11, v15, v16, s[4:5]
	v_mul_f32_e32 v15, 0x37800000, v11
	v_cndmask_b32_e32 v15, v11, v15, vcc
	v_mov_b32_e32 v11, 0x260
	v_cmp_class_f32_e64 s[4:5], v6, v11
	s_and_b64 vcc, exec, s[2:3]
	s_nop 0
	v_cndmask_b32_e64 v6, v15, v6, s[4:5]
	s_cbranch_vccnz .LBB269_18
; %bb.17:
	global_load_dword v15, v10, s[22:23] offset:24
	s_waitcnt vmcnt(0)
	v_add_f32_e32 v6, v6, v15
.LBB269_18:
	v_cvt_f32_f16_sdwa v15, v7 dst_sel:DWORD dst_unused:UNUSED_PAD src0_sel:WORD_1
	v_mul_f32_e32 v16, 0x3fb8aa3b, v15
	v_exp_f32_e32 v16, v16
	s_nop 0
	v_add_f32_e32 v16, 1.0, v16
	v_cmp_gt_f32_e32 vcc, s8, v16
	s_nop 1
	v_cndmask_b32_e32 v13, 1.0, v13, vcc
	v_mul_f32_e32 v13, v16, v13
	v_log_f32_e32 v13, v13
	v_cndmask_b32_e32 v14, 0, v14, vcc
	v_mul_f32_e32 v16, 0x3f317217, v13
	v_fma_f32 v16, v13, s7, -v16
	v_fmac_f32_e32 v16, 0x3377d1cf, v13
	v_fmac_f32_e32 v16, 0x3f317217, v13
	v_cmp_lt_f32_e64 vcc, |v13|, s9
	s_nop 1
	v_cndmask_b32_e32 v13, v13, v16, vcc
	v_sub_f32_e32 v13, v13, v14
	v_cmp_gt_f16_sdwa vcc, v7, s6 src0_sel:WORD_1 src1_sel:DWORD
	s_nop 1
	v_cndmask_b32_e32 v7, v13, v15, vcc
	v_mul_f32_e32 v13, 0x4f800000, v7
	v_cmp_gt_f32_e64 s[4:5], s10, v7
	s_and_b64 vcc, exec, s[2:3]
	s_nop 0
	v_cndmask_b32_e64 v7, v7, v13, s[4:5]
	v_sqrt_f32_e32 v13, v7
	s_nop 0
	v_add_u32_e32 v14, -1, v13
	v_add_u32_e32 v15, 1, v13
	v_fma_f32 v16, -v14, v13, v7
	v_fma_f32 v17, -v15, v13, v7
	v_cmp_ge_f32_e64 s[6:7], 0, v16
	s_nop 1
	v_cndmask_b32_e64 v13, v13, v14, s[6:7]
	v_cmp_lt_f32_e64 s[6:7], 0, v17
	s_nop 1
	v_cndmask_b32_e64 v13, v13, v15, s[6:7]
	v_mul_f32_e32 v14, 0x37800000, v13
	v_cndmask_b32_e64 v13, v13, v14, s[4:5]
	v_cmp_class_f32_e64 s[4:5], v7, v11
	s_nop 1
	v_cndmask_b32_e64 v7, v13, v7, s[4:5]
	s_cbranch_vccnz .LBB269_20
; %bb.19:
	global_load_dword v10, v10, s[22:23] offset:28
	s_waitcnt vmcnt(0)
	v_add_f32_e32 v7, v7, v10
.LBB269_20:
	s_load_dwordx4 s[24:27], s[0:1], 0x30
	s_mov_b32 s42, 0
	v_cmp_eq_u32_e64 s[6:7], 0, v9
	s_waitcnt lgkmcnt(0)
	s_bitcmp1_b32 s27, 0
	s_cselect_b64 s[4:5], -1, 0
	s_cmp_gt_i32 s24, 0
	s_cselect_b64 s[38:39], -1, 0
	s_and_b64 vcc, exec, s[38:39]
	s_cbranch_vccz .LBB269_47
; %bb.21:
	v_mbcnt_lo_u32_b32 v10, -1, 0
	v_mbcnt_hi_u32_b32 v10, -1, v10
	v_and_b32_e32 v11, 0x70, v10
	v_add_u32_e32 v11, 16, v11
	v_xor_b32_e32 v13, 8, v10
	v_cmp_lt_i32_e32 vcc, v13, v11
	s_load_dwordx4 s[28:31], s[0:1], 0x20
	v_mul_lo_u32 v14, v8, s24
	v_cndmask_b32_e32 v13, v10, v13, vcc
	v_lshlrev_b32_e32 v15, 2, v13
	v_xor_b32_e32 v13, 4, v10
	v_cmp_lt_i32_e32 vcc, v13, v11
	v_mov_b32_e32 v19, 0x80
	v_mov_b32_e32 v20, 0xc61c4000
	v_cndmask_b32_e32 v13, v10, v13, vcc
	v_lshlrev_b32_e32 v16, 2, v13
	v_xor_b32_e32 v13, 2, v10
	v_cmp_lt_i32_e32 vcc, v13, v11
	v_mov_b32_e32 v21, v8
	s_nop 0
	v_cndmask_b32_e32 v13, v10, v13, vcc
	v_lshlrev_b32_e32 v17, 2, v13
	v_xor_b32_e32 v13, 1, v10
	v_cmp_lt_i32_e32 vcc, v13, v11
	s_nop 1
	v_cndmask_b32_e32 v10, v10, v13, vcc
	v_lshlrev_b32_e32 v18, 2, v10
	v_mov_b32_e32 v13, 0
	s_branch .LBB269_24
.LBB269_22:                             ;   in Loop: Header=BB269_24 Depth=1
	s_or_b64 exec, exec, s[40:41]
.LBB269_23:                             ;   in Loop: Header=BB269_24 Depth=1
	s_cmp_eq_u32 s24, s42
	v_add_u32_e32 v21, s33, v21
	s_cbranch_scc1 .LBB269_48
.LBB269_24:                             ; =>This Inner Loop Header: Depth=1
	v_cmp_gt_f32_e32 vcc, v1, v0
	s_nop 1
	v_cndmask_b32_e32 v11, v0, v1, vcc
	v_cndmask_b32_e64 v10, 0, 1, vcc
	v_cmp_gt_f32_e32 vcc, v2, v11
	s_nop 1
	v_cndmask_b32_e32 v11, v11, v2, vcc
	v_cndmask_b32_e64 v10, v10, 2, vcc
	;; [unrolled: 4-line block ×6, first 2 shown]
	v_cmp_gt_f32_e32 vcc, v7, v11
	s_nop 1
	v_cndmask_b32_e64 v10, v10, 7, vcc
	v_cndmask_b32_e32 v22, v11, v7, vcc
	ds_bpermute_b32 v11, v15, v22
	v_or_b32_e32 v10, v12, v10
	s_waitcnt lgkmcnt(0)
	ds_bpermute_b32 v23, v15, v10
	s_waitcnt lgkmcnt(0)
	v_cmp_lt_f32_e64 s[8:9], v22, v11
	v_cmp_nlt_f32_e32 vcc, v22, v11
	s_and_saveexec_b64 s[10:11], vcc
; %bb.25:                               ;   in Loop: Header=BB269_24 Depth=1
	v_cmp_eq_f32_e32 vcc, v22, v11
	v_cmp_lt_i32_e64 s[0:1], v23, v10
	s_and_b64 s[0:1], vcc, s[0:1]
	s_andn2_b64 s[8:9], s[8:9], exec
	s_and_b64 s[0:1], s[0:1], exec
	s_or_b64 s[8:9], s[8:9], s[0:1]
; %bb.26:                               ;   in Loop: Header=BB269_24 Depth=1
	s_or_b64 exec, exec, s[10:11]
	s_and_saveexec_b64 s[0:1], s[8:9]
; %bb.27:                               ;   in Loop: Header=BB269_24 Depth=1
	v_mov_b32_e32 v22, v11
	v_mov_b32_e32 v10, v23
; %bb.28:                               ;   in Loop: Header=BB269_24 Depth=1
	s_or_b64 exec, exec, s[0:1]
	ds_bpermute_b32 v11, v16, v22
	ds_bpermute_b32 v23, v16, v10
	s_waitcnt lgkmcnt(1)
	v_cmp_lt_f32_e64 s[8:9], v22, v11
	v_cmp_nlt_f32_e32 vcc, v22, v11
	s_and_saveexec_b64 s[10:11], vcc
	s_cbranch_execz .LBB269_30
; %bb.29:                               ;   in Loop: Header=BB269_24 Depth=1
	v_cmp_eq_f32_e32 vcc, v22, v11
	s_waitcnt lgkmcnt(0)
	v_cmp_lt_i32_e64 s[0:1], v23, v10
	s_and_b64 s[0:1], vcc, s[0:1]
	s_andn2_b64 s[8:9], s[8:9], exec
	s_and_b64 s[0:1], s[0:1], exec
	s_or_b64 s[8:9], s[8:9], s[0:1]
.LBB269_30:                             ;   in Loop: Header=BB269_24 Depth=1
	s_or_b64 exec, exec, s[10:11]
	s_and_saveexec_b64 s[0:1], s[8:9]
	s_cbranch_execz .LBB269_32
; %bb.31:                               ;   in Loop: Header=BB269_24 Depth=1
	v_mov_b32_e32 v22, v11
	s_waitcnt lgkmcnt(0)
	v_mov_b32_e32 v10, v23
.LBB269_32:                             ;   in Loop: Header=BB269_24 Depth=1
	s_or_b64 exec, exec, s[0:1]
	ds_bpermute_b32 v11, v17, v22
	s_waitcnt lgkmcnt(1)
	ds_bpermute_b32 v23, v17, v10
	s_waitcnt lgkmcnt(1)
	v_cmp_lt_f32_e64 s[8:9], v22, v11
	v_cmp_nlt_f32_e32 vcc, v22, v11
	s_and_saveexec_b64 s[10:11], vcc
	s_cbranch_execz .LBB269_34
; %bb.33:                               ;   in Loop: Header=BB269_24 Depth=1
	v_cmp_eq_f32_e32 vcc, v22, v11
	s_waitcnt lgkmcnt(0)
	v_cmp_lt_i32_e64 s[0:1], v23, v10
	s_and_b64 s[0:1], vcc, s[0:1]
	s_andn2_b64 s[8:9], s[8:9], exec
	s_and_b64 s[0:1], s[0:1], exec
	s_or_b64 s[8:9], s[8:9], s[0:1]
.LBB269_34:                             ;   in Loop: Header=BB269_24 Depth=1
	s_or_b64 exec, exec, s[10:11]
	s_and_saveexec_b64 s[0:1], s[8:9]
	s_cbranch_execz .LBB269_36
; %bb.35:                               ;   in Loop: Header=BB269_24 Depth=1
	v_mov_b32_e32 v22, v11
	s_waitcnt lgkmcnt(0)
	v_mov_b32_e32 v10, v23
.LBB269_36:                             ;   in Loop: Header=BB269_24 Depth=1
	s_or_b64 exec, exec, s[0:1]
	ds_bpermute_b32 v11, v18, v22
	s_waitcnt lgkmcnt(1)
	ds_bpermute_b32 v23, v18, v10
	s_waitcnt lgkmcnt(1)
	v_cmp_lt_f32_e64 s[8:9], v22, v11
	v_cmp_nlt_f32_e32 vcc, v22, v11
	s_and_saveexec_b64 s[10:11], vcc
	s_cbranch_execnz .LBB269_40
; %bb.37:                               ;   in Loop: Header=BB269_24 Depth=1
	s_or_b64 exec, exec, s[10:11]
	s_and_saveexec_b64 s[0:1], s[8:9]
	s_cbranch_execnz .LBB269_41
.LBB269_38:                             ;   in Loop: Header=BB269_24 Depth=1
	s_or_b64 exec, exec, s[0:1]
	s_and_saveexec_b64 s[8:9], s[6:7]
	s_cbranch_execnz .LBB269_42
.LBB269_39:                             ;   in Loop: Header=BB269_24 Depth=1
	s_or_b64 exec, exec, s[8:9]
	s_add_i32 s42, s42, 1
	s_cmp_ge_i32 s42, s24
	s_cbranch_scc1 .LBB269_23
	s_branch .LBB269_45
.LBB269_40:                             ;   in Loop: Header=BB269_24 Depth=1
	v_cmp_eq_f32_e32 vcc, v22, v11
	s_waitcnt lgkmcnt(0)
	v_cmp_lt_i32_e64 s[0:1], v23, v10
	s_and_b64 s[0:1], vcc, s[0:1]
	s_andn2_b64 s[8:9], s[8:9], exec
	s_and_b64 s[0:1], s[0:1], exec
	s_or_b64 s[8:9], s[8:9], s[0:1]
	s_or_b64 exec, exec, s[10:11]
	s_and_saveexec_b64 s[0:1], s[8:9]
	s_cbranch_execz .LBB269_38
.LBB269_41:                             ;   in Loop: Header=BB269_24 Depth=1
	s_waitcnt lgkmcnt(0)
	v_mov_b32_e32 v10, v23
	v_mov_b32_e32 v22, v11
	s_or_b64 exec, exec, s[0:1]
	s_and_saveexec_b64 s[8:9], s[6:7]
	s_cbranch_execz .LBB269_39
.LBB269_42:                             ;   in Loop: Header=BB269_24 Depth=1
	s_and_b64 vcc, exec, s[2:3]
	s_cbranch_vccnz .LBB269_44
; %bb.43:                               ;   in Loop: Header=BB269_24 Depth=1
	v_ashrrev_i32_e32 v11, 31, v10
	v_lshl_add_u64 v[24:25], v[10:11], 2, s[22:23]
	global_load_dword v11, v[24:25], off
	s_waitcnt vmcnt(0)
	v_sub_f32_e32 v22, v22, v11
.LBB269_44:                             ;   in Loop: Header=BB269_24 Depth=1
	v_add_u32_e32 v24, s42, v14
	v_cmp_le_i32_e32 vcc, s25, v10
	v_cmp_gt_i32_e64 s[0:1], s26, v10
	v_ashrrev_i32_e32 v25, 31, v24
	s_and_b64 s[0:1], vcc, s[0:1]
	v_lshlrev_b64 v[24:25], 2, v[24:25]
	v_lshl_add_u64 v[26:27], s[34:35], 0, v[24:25]
	v_subrev_u32_e32 v11, s25, v10
	s_and_b64 vcc, s[36:37], s[0:1]
	global_store_dword v[26:27], v22, off
	v_cndmask_b32_e32 v11, v19, v11, vcc
	v_lshl_add_u64 v[26:27], s[28:29], 0, v[24:25]
	global_store_dword v[26:27], v11, off
	v_add_f32_e32 v11, v13, v22
	v_lshl_add_u64 v[24:25], s[30:31], 0, v[24:25]
	v_cndmask_b32_e64 v13, v13, v11, s[4:5]
	global_store_dword v[24:25], v21, off
	s_or_b64 exec, exec, s[8:9]
	s_add_i32 s42, s42, 1
	s_cmp_ge_i32 s42, s24
	s_cbranch_scc1 .LBB269_23
.LBB269_45:                             ;   in Loop: Header=BB269_24 Depth=1
	v_ashrrev_i32_e32 v22, 31, v10
	v_lshrrev_b32_e32 v11, 29, v22
	v_add_u32_e32 v11, v10, v11
	v_ashrrev_i32_e32 v11, 3, v11
	s_waitcnt lgkmcnt(0)
	v_lshrrev_b32_e32 v23, 28, v11
	v_add_u32_e32 v23, v11, v23
	v_and_b32_e32 v23, -16, v23
	v_sub_u32_e32 v23, v11, v23
	v_cmp_eq_u32_e32 vcc, v9, v23
	s_and_saveexec_b64 s[40:41], vcc
	s_cbranch_execz .LBB269_22
; %bb.46:                               ;   in Loop: Header=BB269_24 Depth=1
	v_lshrrev_b32_e32 v22, 25, v22
	v_add_u32_e32 v22, v10, v22
	v_lshlrev_b32_e32 v11, 3, v11
	v_sub_u32_e32 v10, v10, v11
	v_ashrrev_i32_e32 v11, 7, v22
	v_lshl_add_u32 v10, v11, 3, v10
	v_cmp_ne_u32_e32 vcc, 6, v10
	v_cmp_ne_u32_e64 s[0:1], 5, v10
	v_cmp_ne_u32_e64 s[8:9], 4, v10
	;; [unrolled: 1-line block ×7, first 2 shown]
	v_cndmask_b32_e32 v6, v20, v6, vcc
	v_cndmask_b32_e64 v5, v20, v5, s[0:1]
	v_cndmask_b32_e64 v7, v20, v7, s[18:19]
	;; [unrolled: 1-line block ×7, first 2 shown]
	s_branch .LBB269_22
.LBB269_47:
	v_mov_b32_e32 v13, 0
.LBB269_48:
	v_cmp_eq_u32_e32 vcc, 0, v9
	s_and_b64 exec, exec, vcc
	s_cbranch_execz .LBB269_61
; %bb.49:
	s_andn2_b64 vcc, exec, s[4:5]
	v_cvt_f32_f64_e32 v0, s[20:21]
	s_cbranch_vccnz .LBB269_51
; %bb.50:
	v_cmp_lt_f32_e32 vcc, 0, v13
	s_nop 1
	v_cndmask_b32_e32 v1, 1.0, v13, vcc
	v_div_scale_f32 v2, s[0:1], v1, v1, v0
	v_rcp_f32_e32 v3, v2
	s_nop 0
	v_fma_f32 v4, -v2, v3, 1.0
	v_fmac_f32_e32 v3, v4, v3
	v_div_scale_f32 v4, vcc, v0, v1, v0
	v_mul_f32_e32 v5, v4, v3
	v_fma_f32 v6, -v2, v5, v4
	v_fmac_f32_e32 v5, v6, v3
	v_fma_f32 v2, -v2, v5, v4
	v_div_fmas_f32 v2, v2, v3, v5
	v_div_fixup_f32 v0, v2, v1, v0
.LBB269_51:
	s_andn2_b64 vcc, exec, s[38:39]
	s_cbranch_vccnz .LBB269_61
; %bb.52:
	v_mul_lo_u32 v2, v8, s24
	s_cmp_gt_u32 s24, 3
	v_ashrrev_i32_e32 v3, 31, v2
	s_cbranch_scc0 .LBB269_56
; %bb.53:
	s_and_b32 s0, s24, 0x7ffffffc
	v_lshl_add_u64 v[4:5], v[2:3], 2, s[34:35]
	v_mov_b32_e32 v1, v0
	v_lshl_add_u64 v[4:5], v[4:5], 0, 8
	s_mov_b32 s1, s0
.LBB269_54:                             ; =>This Inner Loop Header: Depth=1
	global_load_dwordx4 v[6:9], v[4:5], off offset:-8
	s_add_i32 s1, s1, -4
	s_cmp_lg_u32 s1, 0
	s_waitcnt vmcnt(0)
	v_pk_mul_f32 v[6:7], v[0:1], v[6:7]
	v_pk_mul_f32 v[8:9], v[0:1], v[8:9]
	global_store_dwordx4 v[4:5], v[6:9], off offset:-8
	v_lshl_add_u64 v[4:5], v[4:5], 0, 16
	s_cbranch_scc1 .LBB269_54
; %bb.55:
	s_cmp_lg_u32 s0, s24
	s_cselect_b64 s[2:3], -1, 0
	s_branch .LBB269_58
.LBB269_56:
	s_mov_b64 s[2:3], 0
                                        ; implicit-def: $sgpr0
	s_cbranch_execz .LBB269_58
; %bb.57:
	s_mov_b64 s[2:3], -1
	s_mov_b32 s0, 0
.LBB269_58:
	s_andn2_b64 vcc, exec, s[2:3]
	s_cbranch_vccnz .LBB269_61
; %bb.59:
	s_mov_b32 s1, 0
	v_lshl_add_u64 v[2:3], v[2:3], 0, s[0:1]
	s_sub_i32 s2, s24, s0
	v_lshl_add_u64 v[2:3], v[2:3], 2, s[34:35]
.LBB269_60:                             ; =>This Inner Loop Header: Depth=1
	global_load_dword v1, v[2:3], off
	s_add_i32 s2, s2, -1
	s_cmp_lg_u32 s2, 0
	s_waitcnt vmcnt(0)
	v_mul_f32_e32 v1, v0, v1
	global_store_dword v[2:3], v1, off
	v_lshl_add_u64 v[2:3], v[2:3], 0, 4
	s_cbranch_scc1 .LBB269_60
.LBB269_61:
	s_endpgm
	.section	.rodata,"a",@progbits
	.p2align	6, 0x0
	.amdhsa_kernel _ZN4vllm3moe22topkGatingSoftplusSqrtILi8ELi128ELi4ELi16ELi64ELb0Ej6__halfEEvPKT6_PKbPfiPT5_PiiiibdPKfPKS9_SF_
		.amdhsa_group_segment_fixed_size 0
		.amdhsa_private_segment_fixed_size 0
		.amdhsa_kernarg_size 96
		.amdhsa_user_sgpr_count 2
		.amdhsa_user_sgpr_dispatch_ptr 0
		.amdhsa_user_sgpr_queue_ptr 0
		.amdhsa_user_sgpr_kernarg_segment_ptr 1
		.amdhsa_user_sgpr_dispatch_id 0
		.amdhsa_user_sgpr_kernarg_preload_length 0
		.amdhsa_user_sgpr_kernarg_preload_offset 0
		.amdhsa_user_sgpr_private_segment_size 0
		.amdhsa_uses_dynamic_stack 0
		.amdhsa_enable_private_segment 0
		.amdhsa_system_sgpr_workgroup_id_x 1
		.amdhsa_system_sgpr_workgroup_id_y 0
		.amdhsa_system_sgpr_workgroup_id_z 0
		.amdhsa_system_sgpr_workgroup_info 0
		.amdhsa_system_vgpr_workitem_id 1
		.amdhsa_next_free_vgpr 28
		.amdhsa_next_free_sgpr 43
		.amdhsa_accum_offset 28
		.amdhsa_reserve_vcc 1
		.amdhsa_float_round_mode_32 0
		.amdhsa_float_round_mode_16_64 0
		.amdhsa_float_denorm_mode_32 3
		.amdhsa_float_denorm_mode_16_64 3
		.amdhsa_dx10_clamp 1
		.amdhsa_ieee_mode 1
		.amdhsa_fp16_overflow 0
		.amdhsa_tg_split 0
		.amdhsa_exception_fp_ieee_invalid_op 0
		.amdhsa_exception_fp_denorm_src 0
		.amdhsa_exception_fp_ieee_div_zero 0
		.amdhsa_exception_fp_ieee_overflow 0
		.amdhsa_exception_fp_ieee_underflow 0
		.amdhsa_exception_fp_ieee_inexact 0
		.amdhsa_exception_int_div_zero 0
	.end_amdhsa_kernel
	.section	.text._ZN4vllm3moe22topkGatingSoftplusSqrtILi8ELi128ELi4ELi16ELi64ELb0Ej6__halfEEvPKT6_PKbPfiPT5_PiiiibdPKfPKS9_SF_,"axG",@progbits,_ZN4vllm3moe22topkGatingSoftplusSqrtILi8ELi128ELi4ELi16ELi64ELb0Ej6__halfEEvPKT6_PKbPfiPT5_PiiiibdPKfPKS9_SF_,comdat
.Lfunc_end269:
	.size	_ZN4vllm3moe22topkGatingSoftplusSqrtILi8ELi128ELi4ELi16ELi64ELb0Ej6__halfEEvPKT6_PKbPfiPT5_PiiiibdPKfPKS9_SF_, .Lfunc_end269-_ZN4vllm3moe22topkGatingSoftplusSqrtILi8ELi128ELi4ELi16ELi64ELb0Ej6__halfEEvPKT6_PKbPfiPT5_PiiiibdPKfPKS9_SF_
                                        ; -- End function
	.section	.AMDGPU.csdata,"",@progbits
; Kernel info:
; codeLenInByte = 4068
; NumSgprs: 49
; NumVgprs: 28
; NumAgprs: 0
; TotalNumVgprs: 28
; ScratchSize: 0
; MemoryBound: 0
; FloatMode: 240
; IeeeMode: 1
; LDSByteSize: 0 bytes/workgroup (compile time only)
; SGPRBlocks: 6
; VGPRBlocks: 3
; NumSGPRsForWavesPerEU: 49
; NumVGPRsForWavesPerEU: 28
; AccumOffset: 28
; Occupancy: 8
; WaveLimiterHint : 0
; COMPUTE_PGM_RSRC2:SCRATCH_EN: 0
; COMPUTE_PGM_RSRC2:USER_SGPR: 2
; COMPUTE_PGM_RSRC2:TRAP_HANDLER: 0
; COMPUTE_PGM_RSRC2:TGID_X_EN: 1
; COMPUTE_PGM_RSRC2:TGID_Y_EN: 0
; COMPUTE_PGM_RSRC2:TGID_Z_EN: 0
; COMPUTE_PGM_RSRC2:TIDIG_COMP_CNT: 1
; COMPUTE_PGM_RSRC3_GFX90A:ACCUM_OFFSET: 6
; COMPUTE_PGM_RSRC3_GFX90A:TG_SPLIT: 0
	.section	.text._ZN4vllm3moe22topkGatingSoftplusSqrtILi8ELi128ELi4ELi16ELi32ELb1Ej6__halfEEvPKT6_PKbPfiPT5_PiiiibdPKfPKS9_SF_,"axG",@progbits,_ZN4vllm3moe22topkGatingSoftplusSqrtILi8ELi128ELi4ELi16ELi32ELb1Ej6__halfEEvPKT6_PKbPfiPT5_PiiiibdPKfPKS9_SF_,comdat
	.protected	_ZN4vllm3moe22topkGatingSoftplusSqrtILi8ELi128ELi4ELi16ELi32ELb1Ej6__halfEEvPKT6_PKbPfiPT5_PiiiibdPKfPKS9_SF_ ; -- Begin function _ZN4vllm3moe22topkGatingSoftplusSqrtILi8ELi128ELi4ELi16ELi32ELb1Ej6__halfEEvPKT6_PKbPfiPT5_PiiiibdPKfPKS9_SF_
	.globl	_ZN4vllm3moe22topkGatingSoftplusSqrtILi8ELi128ELi4ELi16ELi32ELb1Ej6__halfEEvPKT6_PKbPfiPT5_PiiiibdPKfPKS9_SF_
	.p2align	8
	.type	_ZN4vllm3moe22topkGatingSoftplusSqrtILi8ELi128ELi4ELi16ELi32ELb1Ej6__halfEEvPKT6_PKbPfiPT5_PiiiibdPKfPKS9_SF_,@function
_ZN4vllm3moe22topkGatingSoftplusSqrtILi8ELi128ELi4ELi16ELi32ELb1Ej6__halfEEvPKT6_PKbPfiPT5_PiiiibdPKfPKS9_SF_: ; @_ZN4vllm3moe22topkGatingSoftplusSqrtILi8ELi128ELi4ELi16ELi32ELb1Ej6__halfEEvPKT6_PKbPfiPT5_PiiiibdPKfPKS9_SF_
; %bb.0:
	s_load_dword s3, s[0:1], 0x18
	v_bfe_u32 v1, v0, 10, 10
	v_and_b32_e32 v8, 0x3ff, v0
	s_lshl_b32 s2, s2, 3
	v_lshlrev_b32_e32 v1, 1, v1
	v_lshrrev_b32_e32 v0, 4, v8
	v_add3_u32 v6, s2, v1, v0
	s_waitcnt lgkmcnt(0)
	v_cmp_gt_i32_e32 vcc, s3, v6
	s_and_saveexec_b64 s[2:3], vcc
	s_cbranch_execz .LBB270_32
; %bb.1:
	s_load_dwordx2 s[2:3], s[0:1], 0x0
	s_load_dword s33, s[0:1], 0x30
	v_lshlrev_b32_e32 v0, 7, v6
	v_lshlrev_b32_e32 v2, 3, v8
	v_ashrrev_i32_e32 v1, 31, v0
	v_and_b32_e32 v10, 0x78, v2
	s_waitcnt lgkmcnt(0)
	v_lshl_add_u64 v[0:1], v[0:1], 1, s[2:3]
	v_lshlrev_b32_e32 v4, 1, v10
	v_mov_b32_e32 v5, 0
	v_lshl_add_u64 v[0:1], v[0:1], 0, v[4:5]
	global_load_dwordx4 v[0:3], v[0:1], off
	s_load_dwordx4 s[8:11], s[0:1], 0x50
	v_ashrrev_i32_e32 v7, 31, v6
	s_mov_b32 s15, 0x800000
	s_mov_b32 s13, 0x3f317217
	;; [unrolled: 1-line block ×3, first 2 shown]
	s_waitcnt lgkmcnt(0)
	v_mov_b32_e32 v12, s8
	v_mov_b32_e32 v13, s9
	v_lshl_add_u64 v[12:13], v[6:7], 2, v[12:13]
	global_load_dword v4, v[12:13], off
	v_mov_b32_e32 v7, 0x4f800000
	v_mov_b32_e32 v9, 0x41b17218
	s_movk_i32 s9, 0x4d00
	s_mov_b32 s12, 0xf800000
	v_mov_b32_e32 v19, 0x260
	s_cmp_gt_i32 s33, 0
	s_mov_b32 s8, 0
	s_waitcnt vmcnt(1)
	v_cvt_f32_f16_e32 v11, v0
	v_cvt_f32_f16_sdwa v16, v0 dst_sel:DWORD dst_unused:UNUSED_PAD src0_sel:WORD_1
	v_cvt_f32_f16_e32 v17, v1
	v_cvt_f32_f16_sdwa v18, v1 dst_sel:DWORD dst_unused:UNUSED_PAD src0_sel:WORD_1
	v_mul_f32_e32 v12, 0x3fb8aa3b, v11
	v_mul_f32_e32 v13, 0x3fb8aa3b, v16
	v_exp_f32_e32 v12, v12
	v_exp_f32_e32 v13, v13
	v_mul_f32_e32 v14, 0x3fb8aa3b, v17
	v_mul_f32_e32 v15, 0x3fb8aa3b, v18
	v_exp_f32_e32 v14, v14
	v_exp_f32_e32 v15, v15
	v_pk_add_f32 v[12:13], v[12:13], 1.0 op_sel_hi:[1,0]
	s_waitcnt vmcnt(0)
	v_mul_lo_u32 v4, v4, s33
	v_cmp_gt_f32_e32 vcc, s15, v13
	v_pk_add_f32 v[14:15], v[14:15], 1.0 op_sel_hi:[1,0]
	v_cmp_gt_f32_e64 s[2:3], s15, v12
	v_cndmask_b32_e32 v20, 1.0, v7, vcc
	v_cmp_gt_f32_e64 s[4:5], s15, v15
	v_cndmask_b32_e64 v21, 1.0, v7, s[2:3]
	v_mul_f32_e32 v13, v13, v20
	v_cndmask_b32_e64 v22, 1.0, v7, s[4:5]
	v_cmp_gt_f32_e64 s[6:7], s15, v14
	v_mul_f32_e32 v12, v12, v21
	v_log_f32_e32 v13, v13
	v_cndmask_b32_e64 v23, 1.0, v7, s[6:7]
	v_mul_f32_e32 v15, v15, v22
	v_log_f32_e32 v12, v12
	v_mul_f32_e32 v14, v14, v23
	v_log_f32_e32 v15, v15
	v_log_f32_e32 v14, v14
	v_mul_f32_e32 v23, 0x3f317217, v13
	v_mul_f32_e32 v24, 0x3f317217, v12
	v_fma_f32 v23, v13, s13, -v23
	v_mul_f32_e32 v25, 0x3f317217, v15
	v_fma_f32 v24, v12, s13, -v24
	v_fmac_f32_e32 v23, 0x3377d1cf, v13
	v_cndmask_b32_e32 v20, 0, v9, vcc
	v_mul_f32_e32 v26, 0x3f317217, v14
	v_fma_f32 v25, v15, s13, -v25
	v_fmac_f32_e32 v24, 0x3377d1cf, v12
	v_fmac_f32_e32 v23, 0x3f317217, v13
	v_cmp_lt_f32_e64 vcc, |v13|, s14
	v_fma_f32 v26, v14, s13, -v26
	v_fmac_f32_e32 v25, 0x3377d1cf, v15
	v_fmac_f32_e32 v24, 0x3f317217, v12
	v_cndmask_b32_e32 v13, v13, v23, vcc
	v_cmp_lt_f32_e64 vcc, |v12|, s14
	v_fmac_f32_e32 v26, 0x3377d1cf, v14
	v_fmac_f32_e32 v25, 0x3f317217, v15
	v_cndmask_b32_e32 v12, v12, v24, vcc
	v_cmp_lt_f32_e64 vcc, |v15|, s14
	v_cndmask_b32_e64 v21, 0, v9, s[2:3]
	v_fmac_f32_e32 v26, 0x3f317217, v14
	v_cndmask_b32_e32 v15, v15, v25, vcc
	v_cmp_lt_f32_e64 vcc, |v14|, s14
	v_sub_f32_e32 v12, v12, v21
	v_sub_f32_e32 v13, v13, v20
	v_cndmask_b32_e32 v14, v14, v26, vcc
	v_cmp_lt_f16_e32 vcc, s9, v0
	v_cndmask_b32_e64 v22, 0, v9, s[4:5]
	v_sub_f32_e32 v15, v15, v22
	v_cndmask_b32_e32 v11, v12, v11, vcc
	v_cmp_gt_f16_sdwa vcc, v0, s9 src0_sel:WORD_1 src1_sel:DWORD
	v_cmp_gt_f32_e64 s[2:3], s12, v11
	s_nop 0
	v_cndmask_b32_e32 v0, v13, v16, vcc
	v_mul_f32_e32 v12, 0x4f800000, v0
	v_cmp_gt_f32_e32 vcc, s12, v0
	v_mul_f32_e32 v13, 0x4f800000, v11
	v_cndmask_b32_e64 v11, v11, v13, s[2:3]
	v_cndmask_b32_e32 v0, v0, v12, vcc
	v_sqrt_f32_e32 v12, v0
	v_sqrt_f32_e32 v13, v11
	v_add_u32_e32 v16, -1, v12
	v_add_u32_e32 v21, -1, v13
	v_fma_f32 v23, -v16, v12, v0
	v_add_u32_e32 v20, 1, v12
	v_fma_f32 v25, -v21, v13, v11
	v_cmp_ge_f32_e64 s[4:5], 0, v23
	v_add_u32_e32 v22, 1, v13
	v_fma_f32 v24, -v20, v12, v0
	v_cndmask_b32_e64 v12, v12, v16, s[4:5]
	v_cmp_ge_f32_e64 s[4:5], 0, v25
	v_fma_f32 v26, -v22, v13, v11
	s_nop 0
	v_cndmask_b32_e64 v13, v13, v21, s[4:5]
	v_cmp_lt_f32_e64 s[4:5], 0, v24
	s_nop 1
	v_cndmask_b32_e64 v12, v12, v20, s[4:5]
	v_cmp_lt_f32_e64 s[4:5], 0, v26
	v_mul_f32_e32 v16, 0x37800000, v12
	v_cndmask_b32_e32 v12, v12, v16, vcc
	v_cndmask_b32_e64 v13, v13, v22, s[4:5]
	v_mul_f32_e32 v20, 0x37800000, v13
	v_cmp_class_f32_e32 vcc, v0, v19
	v_cndmask_b32_e64 v16, v13, v20, s[2:3]
	v_cmp_lt_f16_e64 s[2:3], s9, v1
	v_cndmask_b32_e32 v13, v12, v0, vcc
	v_cmp_class_f32_e32 vcc, v11, v19
	v_cndmask_b32_e64 v0, 0, v9, s[6:7]
	v_sub_f32_e32 v0, v14, v0
	v_cndmask_b32_e32 v12, v16, v11, vcc
	v_cmp_gt_f16_sdwa vcc, v1, s9 src0_sel:WORD_1 src1_sel:DWORD
	v_cndmask_b32_e64 v0, v0, v17, s[2:3]
	v_cvt_f32_f16_e32 v17, v2
	v_cndmask_b32_e32 v11, v15, v18, vcc
	v_mul_f32_e32 v15, 0x4f800000, v11
	v_cmp_gt_f32_e32 vcc, s12, v11
	v_cvt_f32_f16_sdwa v18, v2 dst_sel:DWORD dst_unused:UNUSED_PAD src0_sel:WORD_1
	s_nop 0
	v_cndmask_b32_e32 v11, v11, v15, vcc
	v_sqrt_f32_e32 v15, v11
	s_nop 0
	v_add_u32_e32 v1, -1, v15
	v_fma_f32 v14, -v1, v15, v11
	v_cmp_ge_f32_e64 s[2:3], 0, v14
	v_add_u32_e32 v14, 1, v15
	s_nop 0
	v_cndmask_b32_e64 v1, v15, v1, s[2:3]
	v_fma_f32 v15, -v14, v15, v11
	v_cmp_lt_f32_e64 s[2:3], 0, v15
	v_mul_f32_e32 v15, 0x4f800000, v0
	s_nop 0
	v_cndmask_b32_e64 v1, v1, v14, s[2:3]
	v_cmp_gt_f32_e64 s[2:3], s12, v0
	v_mul_f32_e32 v14, 0x37800000, v1
	v_cndmask_b32_e32 v1, v1, v14, vcc
	v_cndmask_b32_e64 v16, v0, v15, s[2:3]
	v_sqrt_f32_e32 v0, v16
	v_cmp_class_f32_e32 vcc, v11, v19
	v_add_u32_e32 v14, 1, v0
	s_nop 0
	v_cndmask_b32_e32 v15, v1, v11, vcc
	v_add_u32_e32 v1, -1, v0
	v_fma_f32 v11, -v1, v0, v16
	v_cmp_ge_f32_e32 vcc, 0, v11
	v_fma_f32 v20, -v14, v0, v16
	s_nop 0
	v_cndmask_b32_e32 v11, v0, v1, vcc
	v_mul_f32_e32 v0, 0x3fb8aa3b, v17
	v_mul_f32_e32 v1, 0x3fb8aa3b, v18
	v_exp_f32_e32 v0, v0
	v_exp_f32_e32 v1, v1
	v_cmp_lt_f32_e32 vcc, 0, v20
	v_pk_add_f32 v[0:1], v[0:1], 1.0 op_sel_hi:[1,0]
	s_nop 0
	v_cndmask_b32_e32 v11, v11, v14, vcc
	v_mul_f32_e32 v14, 0x37800000, v11
	v_cmp_gt_f32_e32 vcc, s15, v1
	v_cndmask_b32_e64 v11, v11, v14, s[2:3]
	v_cmp_class_f32_e64 s[2:3], v16, v19
	v_cndmask_b32_e32 v14, 1.0, v7, vcc
	v_mul_f32_e32 v1, v1, v14
	v_log_f32_e32 v1, v1
	v_cndmask_b32_e64 v14, v11, v16, s[2:3]
	v_cmp_gt_f32_e64 s[2:3], s15, v0
	scratch_store_dwordx4 off, v[12:15], off
	v_mul_f32_e32 v11, 0x3f317217, v1
	v_fma_f32 v11, v1, s13, -v11
	v_cndmask_b32_e64 v12, 1.0, v7, s[2:3]
	v_mul_f32_e32 v0, v0, v12
	v_log_f32_e32 v0, v0
	v_fmac_f32_e32 v11, 0x3377d1cf, v1
	v_fmac_f32_e32 v11, 0x3f317217, v1
	v_cmp_lt_f32_e64 s[4:5], |v1|, s14
	v_cvt_f32_f16_sdwa v15, v3 dst_sel:DWORD dst_unused:UNUSED_PAD src0_sel:WORD_1
	v_mul_f32_e32 v13, 0x3fb8aa3b, v15
	v_cndmask_b32_e64 v1, v1, v11, s[4:5]
	v_cndmask_b32_e32 v11, 0, v9, vcc
	v_sub_f32_e32 v1, v1, v11
	v_mul_f32_e32 v11, 0x3f317217, v0
	v_fma_f32 v11, v0, s13, -v11
	v_fmac_f32_e32 v11, 0x3377d1cf, v0
	v_fmac_f32_e32 v11, 0x3f317217, v0
	v_cmp_lt_f32_e64 vcc, |v0|, s14
	v_exp_f32_e32 v13, v13
	s_nop 0
	v_cndmask_b32_e32 v0, v0, v11, vcc
	v_cmp_gt_f16_sdwa vcc, v2, s9 src0_sel:WORD_1 src1_sel:DWORD
	v_cndmask_b32_e64 v11, 0, v9, s[2:3]
	v_cmp_lt_f16_e64 s[2:3], s9, v2
	v_cndmask_b32_e32 v1, v1, v18, vcc
	v_mul_f32_e32 v12, 0x4f800000, v1
	v_cmp_gt_f32_e32 vcc, s12, v1
	v_sub_f32_e32 v0, v0, v11
	v_cndmask_b32_e64 v0, v0, v17, s[2:3]
	v_cndmask_b32_e32 v1, v1, v12, vcc
	v_sqrt_f32_e32 v12, v1
	s_nop 0
	v_add_u32_e32 v2, -1, v12
	v_fma_f32 v11, -v2, v12, v1
	v_cmp_ge_f32_e64 s[2:3], 0, v11
	v_add_u32_e32 v11, 1, v12
	s_nop 0
	v_cndmask_b32_e64 v2, v12, v2, s[2:3]
	v_fma_f32 v12, -v11, v12, v1
	v_cmp_lt_f32_e64 s[2:3], 0, v12
	v_mul_f32_e32 v12, 0x4f800000, v0
	s_nop 0
	v_cndmask_b32_e64 v2, v2, v11, s[2:3]
	v_cmp_gt_f32_e64 s[2:3], s12, v0
	v_mul_f32_e32 v11, 0x37800000, v2
	v_cndmask_b32_e32 v2, v2, v11, vcc
	v_cndmask_b32_e64 v0, v0, v12, s[2:3]
	v_sqrt_f32_e32 v12, v0
	v_cmp_class_f32_e32 vcc, v1, v19
	v_add_u32_e32 v14, 1, v12
	s_nop 0
	v_cndmask_b32_e32 v1, v2, v1, vcc
	v_add_u32_e32 v2, -1, v12
	v_fma_f32 v11, -v2, v12, v0
	v_cmp_ge_f32_e32 vcc, 0, v11
	v_cvt_f32_f16_e32 v11, v3
	v_fma_f32 v16, -v14, v12, v0
	v_cndmask_b32_e32 v2, v12, v2, vcc
	v_cmp_lt_f32_e32 vcc, 0, v16
	v_mul_f32_e32 v12, 0x3fb8aa3b, v11
	v_exp_f32_e32 v12, v12
	v_cndmask_b32_e32 v2, v2, v14, vcc
	v_mul_f32_e32 v14, 0x37800000, v2
	v_cndmask_b32_e64 v2, v2, v14, s[2:3]
	v_pk_add_f32 v[12:13], v[12:13], 1.0 op_sel_hi:[1,0]
	v_cmp_class_f32_e64 s[2:3], v0, v19
	v_cmp_gt_f32_e32 vcc, s15, v13
	s_nop 0
	v_cndmask_b32_e64 v0, v2, v0, s[2:3]
	v_cndmask_b32_e32 v16, 1.0, v7, vcc
	v_mul_f32_e32 v13, v13, v16
	v_log_f32_e32 v13, v13
	v_cmp_gt_f32_e64 s[2:3], s15, v12
	v_mul_f32_e32 v2, 0x3f317217, v13
	s_nop 0
	v_cndmask_b32_e64 v7, 1.0, v7, s[2:3]
	v_mul_f32_e32 v7, v12, v7
	v_fma_f32 v2, v13, s13, -v2
	v_log_f32_e32 v7, v7
	v_fmac_f32_e32 v2, 0x3377d1cf, v13
	v_fmac_f32_e32 v2, 0x3f317217, v13
	v_cmp_lt_f32_e64 s[4:5], |v13|, s14
	v_cndmask_b32_e32 v12, 0, v9, vcc
	v_cmp_lt_f32_e64 vcc, |v7|, s14
	v_cndmask_b32_e64 v2, v13, v2, s[4:5]
	v_sub_f32_e32 v2, v2, v12
	v_mul_f32_e32 v12, 0x3f317217, v7
	v_fma_f32 v12, v7, s13, -v12
	v_fmac_f32_e32 v12, 0x3377d1cf, v7
	v_fmac_f32_e32 v12, 0x3f317217, v7
	v_cndmask_b32_e32 v7, v7, v12, vcc
	v_cmp_gt_f16_sdwa vcc, v3, s9 src0_sel:WORD_1 src1_sel:DWORD
	v_cndmask_b32_e64 v9, 0, v9, s[2:3]
	v_sub_f32_e32 v7, v7, v9
	v_cndmask_b32_e32 v2, v2, v15, vcc
	v_mul_f32_e32 v12, 0x4f800000, v2
	v_cmp_gt_f32_e32 vcc, s12, v2
	v_cmp_lt_f16_e64 s[2:3], s9, v3
	s_cselect_b64 s[4:5], -1, 0
	v_cndmask_b32_e32 v2, v2, v12, vcc
	v_sqrt_f32_e32 v12, v2
	v_cndmask_b32_e64 v3, v7, v11, s[2:3]
	s_cmp_lt_i32 s33, 1
	v_add_u32_e32 v7, -1, v12
	v_fma_f32 v9, -v7, v12, v2
	v_cmp_ge_f32_e64 s[2:3], 0, v9
	v_add_u32_e32 v9, 1, v12
	v_fma_f32 v11, -v9, v12, v2
	v_cndmask_b32_e64 v7, v12, v7, s[2:3]
	v_cmp_lt_f32_e64 s[2:3], 0, v11
	v_mul_f32_e32 v11, 0x4f800000, v3
	s_nop 0
	v_cndmask_b32_e64 v7, v7, v9, s[2:3]
	v_cmp_gt_f32_e64 s[2:3], s12, v3
	v_mul_f32_e32 v9, 0x37800000, v7
	s_nop 0
	v_cndmask_b32_e64 v11, v3, v11, s[2:3]
	v_sqrt_f32_e32 v12, v11
	v_cndmask_b32_e32 v3, v7, v9, vcc
	v_cmp_class_f32_e32 vcc, v2, v19
	s_nop 1
	v_cndmask_b32_e32 v3, v3, v2, vcc
	v_add_u32_e32 v2, -1, v12
	v_fma_f32 v7, -v2, v12, v11
	v_cmp_ge_f32_e32 vcc, 0, v7
	v_add_u32_e32 v7, 1, v12
	v_fma_f32 v9, -v7, v12, v11
	v_cndmask_b32_e32 v2, v12, v2, vcc
	v_cmp_lt_f32_e32 vcc, 0, v9
	s_nop 1
	v_cndmask_b32_e32 v2, v2, v7, vcc
	v_mul_f32_e32 v7, 0x37800000, v2
	v_cndmask_b32_e64 v2, v2, v7, s[2:3]
	v_cmp_class_f32_e32 vcc, v11, v19
	s_nop 1
	v_cndmask_b32_e32 v2, v2, v11, vcc
	scratch_store_dwordx4 off, v[0:3], off offset:16
	s_nop 1
	v_lshl_add_u64 v[2:3], v[4:5], 2, s[10:11]
	v_mul_lo_u32 v0, v6, s33
	s_cbranch_scc1 .LBB270_29
; %bb.2:
	s_load_dwordx2 s[6:7], s[0:1], 0x20
	s_cmp_lt_u32 s33, 4
	v_and_b32_e32 v4, 15, v8
	s_cbranch_scc1 .LBB270_21
; %bb.3:
	v_lshlrev_b32_e32 v5, 3, v4
	s_mov_b32 s11, 0
	s_and_b32 s8, s33, 0x7ffffffc
	v_ashrrev_i32_e32 v1, 31, v0
	v_sub_u32_e32 v11, 0, v5
	v_mov_b32_e32 v5, 0
	s_mov_b32 s10, s11
	s_branch .LBB270_5
.LBB270_4:                              ;   in Loop: Header=BB270_5 Depth=1
	s_or_b64 exec, exec, s[12:13]
	s_add_i32 s10, s10, 4
	s_cmp_eq_u32 s10, s8
	s_cbranch_scc1 .LBB270_22
.LBB270_5:                              ; =>This Loop Header: Depth=1
                                        ;     Child Loop BB270_7 Depth 2
                                        ;     Child Loop BB270_11 Depth 2
	;; [unrolled: 1-line block ×4, first 2 shown]
	v_lshl_add_u64 v[6:7], s[10:11], 2, v[2:3]
	global_load_dword v12, v[6:7], off
	v_add_u32_e32 v8, s10, v0
	v_ashrrev_i32_e32 v9, 31, v8
	v_mov_b32_e32 v13, 0
	s_mov_b64 s[12:13], 0
	s_waitcnt lgkmcnt(0)
	v_lshl_add_u64 v[8:9], v[8:9], 2, s[6:7]
	s_mov_b32 s9, 0
	s_waitcnt vmcnt(0)
	v_add_u32_e32 v14, v11, v12
	s_branch .LBB270_7
.LBB270_6:                              ;   in Loop: Header=BB270_7 Depth=2
	s_or_b64 exec, exec, s[14:15]
	s_add_i32 s16, s9, 1
	s_cmp_gt_u32 s9, 6
	s_cselect_b64 s[2:3], -1, 0
	s_xor_b64 s[14:15], vcc, -1
	s_or_b64 s[2:3], s[14:15], s[2:3]
	s_and_b64 s[2:3], exec, s[2:3]
	v_add_u32_e32 v13, 4, v13
	s_or_b64 s[12:13], s[2:3], s[12:13]
	s_mov_b32 s9, s16
	s_andn2_b64 exec, exec, s[12:13]
	s_cbranch_execz .LBB270_9
.LBB270_7:                              ;   Parent Loop BB270_5 Depth=1
                                        ; =>  This Inner Loop Header: Depth=2
	v_cmp_ne_u32_e32 vcc, s9, v14
	v_cmp_eq_u32_e64 s[2:3], s9, v14
	s_and_saveexec_b64 s[14:15], s[2:3]
	s_cbranch_execz .LBB270_6
; %bb.8:                                ;   in Loop: Header=BB270_7 Depth=2
	scratch_load_dword v15, v13, off
	s_waitcnt vmcnt(0)
	v_add_f32_e32 v5, v5, v15
	global_store_dword v[8:9], v12, off
	s_branch .LBB270_6
.LBB270_9:                              ;   in Loop: Header=BB270_5 Depth=1
	s_or_b64 exec, exec, s[12:13]
	global_load_dword v12, v[6:7], off offset:4
	s_ashr_i32 s3, s10, 31
	s_mov_b32 s2, s10
	v_lshl_add_u64 v[8:9], s[2:3], 0, v[0:1]
	v_mov_b32_e32 v13, 0
	s_mov_b32 s9, 0
	v_lshl_add_u64 v[8:9], v[8:9], 2, s[6:7]
	s_mov_b64 s[12:13], 0
	s_waitcnt vmcnt(0)
	v_add_u32_e32 v14, v11, v12
	s_branch .LBB270_11
.LBB270_10:                             ;   in Loop: Header=BB270_11 Depth=2
	s_or_b64 exec, exec, s[14:15]
	s_add_i32 s16, s9, 1
	s_cmp_gt_u32 s9, 6
	s_cselect_b64 s[2:3], -1, 0
	s_xor_b64 s[14:15], vcc, -1
	s_or_b64 s[2:3], s[14:15], s[2:3]
	s_and_b64 s[2:3], exec, s[2:3]
	v_add_u32_e32 v13, 4, v13
	s_or_b64 s[12:13], s[2:3], s[12:13]
	s_mov_b32 s9, s16
	s_andn2_b64 exec, exec, s[12:13]
	s_cbranch_execz .LBB270_13
.LBB270_11:                             ;   Parent Loop BB270_5 Depth=1
                                        ; =>  This Inner Loop Header: Depth=2
	v_cmp_ne_u32_e32 vcc, s9, v14
	v_cmp_eq_u32_e64 s[2:3], s9, v14
	s_and_saveexec_b64 s[14:15], s[2:3]
	s_cbranch_execz .LBB270_10
; %bb.12:                               ;   in Loop: Header=BB270_11 Depth=2
	scratch_load_dword v15, v13, off
	s_waitcnt vmcnt(0)
	v_add_f32_e32 v5, v5, v15
	global_store_dword v[8:9], v12, off offset:4
	s_branch .LBB270_10
.LBB270_13:                             ;   in Loop: Header=BB270_5 Depth=1
	s_or_b64 exec, exec, s[12:13]
	global_load_dword v12, v[6:7], off offset:8
	v_mov_b32_e32 v13, 0
	s_mov_b32 s9, 0
	s_mov_b64 s[12:13], 0
	s_waitcnt vmcnt(0)
	v_add_u32_e32 v14, v11, v12
	s_branch .LBB270_15
.LBB270_14:                             ;   in Loop: Header=BB270_15 Depth=2
	s_or_b64 exec, exec, s[14:15]
	s_add_i32 s16, s9, 1
	s_cmp_gt_u32 s9, 6
	s_cselect_b64 s[2:3], -1, 0
	s_xor_b64 s[14:15], vcc, -1
	s_or_b64 s[2:3], s[14:15], s[2:3]
	s_and_b64 s[2:3], exec, s[2:3]
	v_add_u32_e32 v13, 4, v13
	s_or_b64 s[12:13], s[2:3], s[12:13]
	s_mov_b32 s9, s16
	s_andn2_b64 exec, exec, s[12:13]
	s_cbranch_execz .LBB270_17
.LBB270_15:                             ;   Parent Loop BB270_5 Depth=1
                                        ; =>  This Inner Loop Header: Depth=2
	v_cmp_ne_u32_e32 vcc, s9, v14
	v_cmp_eq_u32_e64 s[2:3], s9, v14
	s_and_saveexec_b64 s[14:15], s[2:3]
	s_cbranch_execz .LBB270_14
; %bb.16:                               ;   in Loop: Header=BB270_15 Depth=2
	scratch_load_dword v15, v13, off
	s_waitcnt vmcnt(0)
	v_add_f32_e32 v5, v5, v15
	global_store_dword v[8:9], v12, off offset:8
	s_branch .LBB270_14
.LBB270_17:                             ;   in Loop: Header=BB270_5 Depth=1
	s_or_b64 exec, exec, s[12:13]
	global_load_dword v6, v[6:7], off offset:12
	v_mov_b32_e32 v7, 0
	s_mov_b32 s9, 0
	s_mov_b64 s[12:13], 0
	s_waitcnt vmcnt(0)
	v_add_u32_e32 v12, v11, v6
	s_branch .LBB270_19
.LBB270_18:                             ;   in Loop: Header=BB270_19 Depth=2
	s_or_b64 exec, exec, s[14:15]
	s_add_i32 s16, s9, 1
	s_cmp_gt_u32 s9, 6
	s_cselect_b64 s[2:3], -1, 0
	s_xor_b64 s[14:15], vcc, -1
	s_or_b64 s[2:3], s[14:15], s[2:3]
	s_and_b64 s[2:3], exec, s[2:3]
	v_add_u32_e32 v7, 4, v7
	s_or_b64 s[12:13], s[2:3], s[12:13]
	s_mov_b32 s9, s16
	s_andn2_b64 exec, exec, s[12:13]
	s_cbranch_execz .LBB270_4
.LBB270_19:                             ;   Parent Loop BB270_5 Depth=1
                                        ; =>  This Inner Loop Header: Depth=2
	v_cmp_ne_u32_e32 vcc, s9, v12
	v_cmp_eq_u32_e64 s[2:3], s9, v12
	s_and_saveexec_b64 s[14:15], s[2:3]
	s_cbranch_execz .LBB270_18
; %bb.20:                               ;   in Loop: Header=BB270_19 Depth=2
	scratch_load_dword v13, v7, off
	s_waitcnt vmcnt(0)
	v_add_f32_e32 v5, v5, v13
	global_store_dword v[8:9], v6, off offset:12
	s_branch .LBB270_18
.LBB270_21:
	v_mov_b32_e32 v5, 0
.LBB270_22:
	s_and_b32 s14, s33, 3
	s_cmp_eq_u32 s14, 0
	s_mov_b32 s9, 0
	s_cbranch_scc1 .LBB270_29
; %bb.23:
	v_lshlrev_b32_e32 v1, 3, v4
	v_sub_u32_e32 v1, 0, v1
	s_mov_b32 s15, s9
	s_branch .LBB270_25
.LBB270_24:                             ;   in Loop: Header=BB270_25 Depth=1
	s_or_b64 exec, exec, s[10:11]
	s_add_i32 s8, s8, 1
	s_add_i32 s15, s15, 1
	s_cmp_lg_u32 s15, s14
	s_cbranch_scc0 .LBB270_29
.LBB270_25:                             ; =>This Loop Header: Depth=1
                                        ;     Child Loop BB270_27 Depth 2
	v_lshl_add_u64 v[6:7], s[8:9], 2, v[2:3]
	global_load_dword v4, v[6:7], off
	v_add_u32_e32 v6, s8, v0
	v_ashrrev_i32_e32 v7, 31, v6
	v_mov_b32_e32 v8, 0
	s_mov_b32 s16, 0
	s_waitcnt lgkmcnt(0)
	v_lshl_add_u64 v[6:7], v[6:7], 2, s[6:7]
	s_mov_b64 s[10:11], 0
	s_waitcnt vmcnt(0)
	v_add_u32_e32 v9, v1, v4
	s_branch .LBB270_27
.LBB270_26:                             ;   in Loop: Header=BB270_27 Depth=2
	s_or_b64 exec, exec, s[12:13]
	s_add_i32 s17, s16, 1
	s_cmp_gt_u32 s16, 6
	s_cselect_b64 s[2:3], -1, 0
	s_xor_b64 s[12:13], vcc, -1
	s_or_b64 s[2:3], s[12:13], s[2:3]
	s_and_b64 s[2:3], exec, s[2:3]
	v_add_u32_e32 v8, 4, v8
	s_or_b64 s[10:11], s[2:3], s[10:11]
	s_mov_b32 s16, s17
	s_andn2_b64 exec, exec, s[10:11]
	s_cbranch_execz .LBB270_24
.LBB270_27:                             ;   Parent Loop BB270_25 Depth=1
                                        ; =>  This Inner Loop Header: Depth=2
	v_cmp_ne_u32_e32 vcc, s16, v9
	v_cmp_eq_u32_e64 s[2:3], s16, v9
	s_and_saveexec_b64 s[12:13], s[2:3]
	s_cbranch_execz .LBB270_26
; %bb.28:                               ;   in Loop: Header=BB270_27 Depth=2
	scratch_load_dword v11, v8, off
	s_waitcnt vmcnt(0)
	v_add_f32_e32 v5, v5, v11
	global_store_dword v[6:7], v4, off
	s_branch .LBB270_26
.LBB270_29:
	s_waitcnt lgkmcnt(0)
	s_load_dword s6, s[0:1], 0x3c
	s_waitcnt lgkmcnt(0)
	s_bitcmp1_b32 s6, 0
	s_cselect_b64 s[2:3], -1, 0
	s_bitcmp0_b32 s6, 0
	s_cbranch_scc0 .LBB270_33
; %bb.30:
	s_load_dwordx2 s[6:7], s[0:1], 0x40
	s_andn2_b64 vcc, exec, s[2:3]
	s_waitcnt lgkmcnt(0)
	v_cvt_f32_f64_e32 v8, s[6:7]
	s_cbranch_vccz .LBB270_34
.LBB270_31:
	s_andn2_b64 vcc, exec, s[4:5]
	s_cbranch_vccz .LBB270_35
.LBB270_32:
	s_endpgm
.LBB270_33:
	v_mbcnt_lo_u32_b32 v1, -1, 0
	v_mbcnt_hi_u32_b32 v1, -1, v1
	v_and_b32_e32 v4, 0x70, v1
	v_add_u32_e32 v4, 16, v4
	v_xor_b32_e32 v6, 8, v1
	v_cmp_lt_i32_e32 vcc, v6, v4
	v_xor_b32_e32 v7, 4, v1
	s_nop 0
	v_cndmask_b32_e32 v6, v1, v6, vcc
	v_lshlrev_b32_e32 v6, 2, v6
	ds_bpermute_b32 v6, v6, v5
	v_cmp_lt_i32_e32 vcc, v7, v4
	s_waitcnt lgkmcnt(0)
	v_add_f32_e32 v5, v5, v6
	v_cndmask_b32_e32 v6, v1, v7, vcc
	v_lshlrev_b32_e32 v6, 2, v6
	ds_bpermute_b32 v6, v6, v5
	v_xor_b32_e32 v7, 2, v1
	v_cmp_lt_i32_e32 vcc, v7, v4
	s_waitcnt lgkmcnt(0)
	v_add_f32_e32 v5, v5, v6
	v_cndmask_b32_e32 v6, v1, v7, vcc
	v_lshlrev_b32_e32 v6, 2, v6
	ds_bpermute_b32 v6, v6, v5
	v_xor_b32_e32 v7, 1, v1
	v_cmp_lt_i32_e32 vcc, v7, v4
	s_waitcnt lgkmcnt(0)
	v_add_f32_e32 v5, v5, v6
	v_cndmask_b32_e32 v1, v1, v7, vcc
	v_lshlrev_b32_e32 v1, 2, v1
	ds_bpermute_b32 v1, v1, v5
	s_waitcnt lgkmcnt(0)
	v_add_f32_e32 v5, v5, v1
	s_load_dwordx2 s[6:7], s[0:1], 0x40
	s_andn2_b64 vcc, exec, s[2:3]
	s_waitcnt lgkmcnt(0)
	v_cvt_f32_f64_e32 v8, s[6:7]
	s_cbranch_vccnz .LBB270_31
.LBB270_34:
	v_cmp_lt_f32_e32 vcc, 0, v5
	s_nop 1
	v_cndmask_b32_e32 v1, 1.0, v5, vcc
	v_div_scale_f32 v4, s[2:3], v1, v1, v8
	v_rcp_f32_e32 v5, v4
	s_nop 0
	v_fma_f32 v6, -v4, v5, 1.0
	v_fmac_f32_e32 v5, v6, v5
	v_div_scale_f32 v6, vcc, v8, v1, v8
	v_mul_f32_e32 v7, v6, v5
	v_fma_f32 v9, -v4, v7, v6
	v_fmac_f32_e32 v7, v9, v5
	v_fma_f32 v4, -v4, v7, v6
	v_div_fmas_f32 v4, v4, v5, v7
	v_div_fixup_f32 v8, v4, v1, v8
	s_andn2_b64 vcc, exec, s[4:5]
	s_cbranch_vccnz .LBB270_32
.LBB270_35:
	s_load_dwordx2 s[12:13], s[0:1], 0x10
	v_mov_b32_e32 v1, 0
	v_or_b32_e32 v20, 4, v1
	v_or_b32_e32 v18, 8, v1
	;; [unrolled: 1-line block ×3, first 2 shown]
	v_add_u32_e32 v14, 16, v1
	v_add_u32_e32 v12, 20, v1
	;; [unrolled: 1-line block ×4, first 2 shown]
	v_or_b32_e32 v23, 1, v10
	v_or_b32_e32 v22, 2, v10
	;; [unrolled: 1-line block ×7, first 2 shown]
	s_cmp_eq_u32 s33, 1
	s_mov_b32 s14, 0
	s_cbranch_scc1 .LBB270_70
; %bb.36:
	v_ashrrev_i32_e32 v1, 31, v0
	s_waitcnt lgkmcnt(0)
	v_lshl_add_u64 v[4:5], v[0:1], 2, s[12:13]
	s_and_b32 s14, s33, 0x7ffffffe
	v_lshl_add_u64 v[4:5], v[4:5], 0, 4
	v_lshl_add_u64 v[6:7], v[2:3], 0, 4
	s_mov_b32 s15, 0
	s_branch .LBB270_38
.LBB270_37:                             ;   in Loop: Header=BB270_38 Depth=1
	s_or_b64 exec, exec, s[0:1]
	s_add_i32 s15, s15, 2
	v_lshl_add_u64 v[4:5], v[4:5], 0, 8
	s_cmp_eq_u32 s14, s15
	v_lshl_add_u64 v[6:7], v[6:7], 0, 8
	s_cbranch_scc1 .LBB270_70
.LBB270_38:                             ; =>This Inner Loop Header: Depth=1
	global_load_dword v24, v[6:7], off offset:-4
	v_mov_b32_e32 v1, 0
	s_waitcnt vmcnt(0)
	v_cmp_eq_u32_e32 vcc, v24, v10
	v_cmp_ne_u32_e64 s[0:1], v24, v10
	s_and_saveexec_b64 s[16:17], s[0:1]
	s_cbranch_execz .LBB270_52
; %bb.39:                               ;   in Loop: Header=BB270_38 Depth=1
	v_cmp_eq_u32_e64 s[0:1], v24, v23
	v_cmp_ne_u32_e64 s[2:3], v24, v23
	v_mov_b32_e32 v1, v20
	s_and_saveexec_b64 s[18:19], s[2:3]
	s_cbranch_execz .LBB270_51
; %bb.40:                               ;   in Loop: Header=BB270_38 Depth=1
	v_cmp_eq_u32_e64 s[2:3], v24, v22
	v_cmp_ne_u32_e64 s[4:5], v24, v22
	v_mov_b32_e32 v1, v18
	;; [unrolled: 6-line block ×6, first 2 shown]
	s_and_saveexec_b64 s[30:31], s[10:11]
	s_xor_b64 s[30:31], exec, s[30:31]
; %bb.45:                               ;   in Loop: Header=BB270_38 Depth=1
	v_cmp_eq_u32_e64 s[10:11], v24, v13
	s_andn2_b64 s[28:29], s[28:29], exec
	s_and_b64 s[10:11], s[10:11], exec
	s_or_b64 s[28:29], s[28:29], s[10:11]
	v_mov_b32_e32 v1, v11
; %bb.46:                               ;   in Loop: Header=BB270_38 Depth=1
	s_or_b64 exec, exec, s[30:31]
	s_andn2_b64 s[8:9], s[8:9], exec
	s_and_b64 s[10:11], s[28:29], exec
	s_or_b64 s[8:9], s[8:9], s[10:11]
.LBB270_47:                             ;   in Loop: Header=BB270_38 Depth=1
	s_or_b64 exec, exec, s[26:27]
	s_andn2_b64 s[6:7], s[6:7], exec
	s_and_b64 s[8:9], s[8:9], exec
	s_or_b64 s[6:7], s[6:7], s[8:9]
.LBB270_48:                             ;   in Loop: Header=BB270_38 Depth=1
	s_or_b64 exec, exec, s[24:25]
	s_andn2_b64 s[4:5], s[4:5], exec
	s_and_b64 s[6:7], s[6:7], exec
	s_or_b64 s[4:5], s[4:5], s[6:7]
.LBB270_49:                             ;   in Loop: Header=BB270_38 Depth=1
	s_or_b64 exec, exec, s[22:23]
	s_andn2_b64 s[2:3], s[2:3], exec
	s_and_b64 s[4:5], s[4:5], exec
	s_or_b64 s[2:3], s[2:3], s[4:5]
.LBB270_50:                             ;   in Loop: Header=BB270_38 Depth=1
	s_or_b64 exec, exec, s[20:21]
	s_andn2_b64 s[0:1], s[0:1], exec
	s_and_b64 s[2:3], s[2:3], exec
	s_or_b64 s[0:1], s[0:1], s[2:3]
.LBB270_51:                             ;   in Loop: Header=BB270_38 Depth=1
	s_or_b64 exec, exec, s[18:19]
	s_andn2_b64 s[2:3], vcc, exec
	s_and_b64 s[0:1], s[0:1], exec
	s_or_b64 vcc, s[2:3], s[0:1]
.LBB270_52:                             ;   in Loop: Header=BB270_38 Depth=1
	s_or_b64 exec, exec, s[16:17]
	s_and_saveexec_b64 s[0:1], vcc
	s_cbranch_execz .LBB270_54
; %bb.53:                               ;   in Loop: Header=BB270_38 Depth=1
	scratch_load_dword v1, v1, off
	v_add_u32_e32 v24, s15, v0
	v_ashrrev_i32_e32 v25, 31, v24
	v_lshl_add_u64 v[24:25], v[24:25], 2, s[12:13]
	s_waitcnt vmcnt(0)
	v_mul_f32_e32 v1, v8, v1
	global_store_dword v[24:25], v1, off
.LBB270_54:                             ;   in Loop: Header=BB270_38 Depth=1
	s_or_b64 exec, exec, s[0:1]
	global_load_dword v24, v[6:7], off
	v_mov_b32_e32 v1, 0
	s_waitcnt vmcnt(0)
	v_cmp_eq_u32_e64 s[8:9], v24, v10
	v_cmp_ne_u32_e32 vcc, v24, v10
	s_and_saveexec_b64 s[10:11], vcc
	s_cbranch_execz .LBB270_68
; %bb.55:                               ;   in Loop: Header=BB270_38 Depth=1
	v_cmp_eq_u32_e32 vcc, v24, v23
	v_cmp_ne_u32_e64 s[0:1], v24, v23
	v_mov_b32_e32 v1, v20
	s_and_saveexec_b64 s[16:17], s[0:1]
	s_cbranch_execz .LBB270_67
; %bb.56:                               ;   in Loop: Header=BB270_38 Depth=1
	v_cmp_eq_u32_e64 s[0:1], v24, v22
	v_cmp_ne_u32_e64 s[2:3], v24, v22
	v_mov_b32_e32 v1, v18
	s_and_saveexec_b64 s[18:19], s[2:3]
	s_cbranch_execz .LBB270_66
; %bb.57:                               ;   in Loop: Header=BB270_38 Depth=1
	v_cmp_eq_u32_e64 s[2:3], v24, v21
	;; [unrolled: 6-line block ×5, first 2 shown]
	v_cmp_ne_u32_e64 s[6:7], v24, v15
	v_mov_b32_e32 v1, v9
	s_and_saveexec_b64 s[30:31], s[6:7]
; %bb.61:                               ;   in Loop: Header=BB270_38 Depth=1
	v_cmp_eq_u32_e64 s[6:7], v24, v13
	s_andn2_b64 s[28:29], s[28:29], exec
	s_and_b64 s[6:7], s[6:7], exec
	s_or_b64 s[28:29], s[28:29], s[6:7]
	v_mov_b32_e32 v1, v11
; %bb.62:                               ;   in Loop: Header=BB270_38 Depth=1
	s_or_b64 exec, exec, s[30:31]
	s_andn2_b64 s[6:7], s[24:25], exec
	s_and_b64 s[24:25], s[28:29], exec
	s_or_b64 s[24:25], s[6:7], s[24:25]
.LBB270_63:                             ;   in Loop: Header=BB270_38 Depth=1
	s_or_b64 exec, exec, s[26:27]
	s_andn2_b64 s[4:5], s[4:5], exec
	s_and_b64 s[6:7], s[24:25], exec
	s_or_b64 s[4:5], s[4:5], s[6:7]
.LBB270_64:                             ;   in Loop: Header=BB270_38 Depth=1
	s_or_b64 exec, exec, s[22:23]
	s_andn2_b64 s[2:3], s[2:3], exec
	s_and_b64 s[4:5], s[4:5], exec
	s_or_b64 s[2:3], s[2:3], s[4:5]
.LBB270_65:                             ;   in Loop: Header=BB270_38 Depth=1
	s_or_b64 exec, exec, s[20:21]
	s_andn2_b64 s[0:1], s[0:1], exec
	s_and_b64 s[2:3], s[2:3], exec
	s_or_b64 s[0:1], s[0:1], s[2:3]
.LBB270_66:                             ;   in Loop: Header=BB270_38 Depth=1
	s_or_b64 exec, exec, s[18:19]
	s_andn2_b64 s[2:3], vcc, exec
	s_and_b64 s[0:1], s[0:1], exec
	s_or_b64 vcc, s[2:3], s[0:1]
.LBB270_67:                             ;   in Loop: Header=BB270_38 Depth=1
	s_or_b64 exec, exec, s[16:17]
	s_andn2_b64 s[0:1], s[8:9], exec
	s_and_b64 s[2:3], vcc, exec
	s_or_b64 s[8:9], s[0:1], s[2:3]
.LBB270_68:                             ;   in Loop: Header=BB270_38 Depth=1
	s_or_b64 exec, exec, s[10:11]
	s_and_saveexec_b64 s[0:1], s[8:9]
	s_cbranch_execz .LBB270_37
; %bb.69:                               ;   in Loop: Header=BB270_38 Depth=1
	scratch_load_dword v1, v1, off
	s_waitcnt vmcnt(0)
	v_mul_f32_e32 v1, v8, v1
	global_store_dword v[4:5], v1, off
	s_branch .LBB270_37
.LBB270_70:
	s_bitcmp0_b32 s33, 0
	s_mov_b32 s15, 0
	s_cbranch_scc1 .LBB270_32
; %bb.71:
	v_lshl_add_u64 v[2:3], s[14:15], 2, v[2:3]
	global_load_dword v1, v[2:3], off
	v_mov_b32_e32 v2, 0
	s_waitcnt vmcnt(0)
	v_cmp_eq_u32_e64 s[8:9], v1, v10
	v_cmp_ne_u32_e32 vcc, v1, v10
	s_and_saveexec_b64 s[10:11], vcc
	s_cbranch_execz .LBB270_85
; %bb.72:
	v_cmp_eq_u32_e32 vcc, v1, v23
	v_cmp_ne_u32_e64 s[0:1], v1, v23
	s_and_saveexec_b64 s[16:17], s[0:1]
	s_cbranch_execz .LBB270_84
; %bb.73:
	v_cmp_eq_u32_e64 s[0:1], v1, v22
	v_cmp_ne_u32_e64 s[2:3], v1, v22
	s_and_saveexec_b64 s[18:19], s[2:3]
	s_cbranch_execz .LBB270_83
; %bb.74:
	v_cmp_eq_u32_e64 s[2:3], v1, v21
	;; [unrolled: 5-line block ×5, first 2 shown]
	v_cmp_ne_u32_e64 s[6:7], v1, v15
	s_and_saveexec_b64 s[30:31], s[6:7]
; %bb.78:
	v_cmp_eq_u32_e64 s[6:7], v1, v13
	s_andn2_b64 s[28:29], s[28:29], exec
	s_and_b64 s[6:7], s[6:7], exec
	s_or_b64 s[28:29], s[28:29], s[6:7]
	v_mov_b32_e32 v9, v11
; %bb.79:
	s_or_b64 exec, exec, s[30:31]
	s_andn2_b64 s[6:7], s[24:25], exec
	s_and_b64 s[24:25], s[28:29], exec
	s_or_b64 s[24:25], s[6:7], s[24:25]
	v_mov_b32_e32 v12, v9
.LBB270_80:
	s_or_b64 exec, exec, s[26:27]
	s_andn2_b64 s[4:5], s[4:5], exec
	s_and_b64 s[6:7], s[24:25], exec
	s_or_b64 s[4:5], s[4:5], s[6:7]
	v_mov_b32_e32 v14, v12
.LBB270_81:
	s_or_b64 exec, exec, s[22:23]
	s_andn2_b64 s[2:3], s[2:3], exec
	s_and_b64 s[4:5], s[4:5], exec
	s_or_b64 s[2:3], s[2:3], s[4:5]
	v_mov_b32_e32 v16, v14
.LBB270_82:
	s_or_b64 exec, exec, s[20:21]
	s_andn2_b64 s[0:1], s[0:1], exec
	s_and_b64 s[2:3], s[2:3], exec
	s_or_b64 s[0:1], s[0:1], s[2:3]
	v_mov_b32_e32 v18, v16
.LBB270_83:
	s_or_b64 exec, exec, s[18:19]
	s_andn2_b64 s[2:3], vcc, exec
	s_and_b64 s[0:1], s[0:1], exec
	s_or_b64 vcc, s[2:3], s[0:1]
	v_mov_b32_e32 v20, v18
.LBB270_84:
	s_or_b64 exec, exec, s[16:17]
	s_andn2_b64 s[0:1], s[8:9], exec
	s_and_b64 s[2:3], vcc, exec
	s_or_b64 s[8:9], s[0:1], s[2:3]
	v_mov_b32_e32 v2, v20
.LBB270_85:
	s_or_b64 exec, exec, s[10:11]
	s_and_b64 exec, exec, s[8:9]
	s_cbranch_execz .LBB270_32
; %bb.86:
	scratch_load_dword v2, v2, off
	v_add_u32_e32 v0, s14, v0
	v_ashrrev_i32_e32 v1, 31, v0
	s_waitcnt lgkmcnt(0)
	v_lshl_add_u64 v[0:1], v[0:1], 2, s[12:13]
	s_waitcnt vmcnt(0)
	v_mul_f32_e32 v2, v8, v2
	global_store_dword v[0:1], v2, off
	s_endpgm
	.section	.rodata,"a",@progbits
	.p2align	6, 0x0
	.amdhsa_kernel _ZN4vllm3moe22topkGatingSoftplusSqrtILi8ELi128ELi4ELi16ELi32ELb1Ej6__halfEEvPKT6_PKbPfiPT5_PiiiibdPKfPKS9_SF_
		.amdhsa_group_segment_fixed_size 0
		.amdhsa_private_segment_fixed_size 48
		.amdhsa_kernarg_size 96
		.amdhsa_user_sgpr_count 2
		.amdhsa_user_sgpr_dispatch_ptr 0
		.amdhsa_user_sgpr_queue_ptr 0
		.amdhsa_user_sgpr_kernarg_segment_ptr 1
		.amdhsa_user_sgpr_dispatch_id 0
		.amdhsa_user_sgpr_kernarg_preload_length 0
		.amdhsa_user_sgpr_kernarg_preload_offset 0
		.amdhsa_user_sgpr_private_segment_size 0
		.amdhsa_uses_dynamic_stack 0
		.amdhsa_enable_private_segment 1
		.amdhsa_system_sgpr_workgroup_id_x 1
		.amdhsa_system_sgpr_workgroup_id_y 0
		.amdhsa_system_sgpr_workgroup_id_z 0
		.amdhsa_system_sgpr_workgroup_info 0
		.amdhsa_system_vgpr_workitem_id 1
		.amdhsa_next_free_vgpr 27
		.amdhsa_next_free_sgpr 34
		.amdhsa_accum_offset 28
		.amdhsa_reserve_vcc 1
		.amdhsa_float_round_mode_32 0
		.amdhsa_float_round_mode_16_64 0
		.amdhsa_float_denorm_mode_32 3
		.amdhsa_float_denorm_mode_16_64 3
		.amdhsa_dx10_clamp 1
		.amdhsa_ieee_mode 1
		.amdhsa_fp16_overflow 0
		.amdhsa_tg_split 0
		.amdhsa_exception_fp_ieee_invalid_op 0
		.amdhsa_exception_fp_denorm_src 0
		.amdhsa_exception_fp_ieee_div_zero 0
		.amdhsa_exception_fp_ieee_overflow 0
		.amdhsa_exception_fp_ieee_underflow 0
		.amdhsa_exception_fp_ieee_inexact 0
		.amdhsa_exception_int_div_zero 0
	.end_amdhsa_kernel
	.section	.text._ZN4vllm3moe22topkGatingSoftplusSqrtILi8ELi128ELi4ELi16ELi32ELb1Ej6__halfEEvPKT6_PKbPfiPT5_PiiiibdPKfPKS9_SF_,"axG",@progbits,_ZN4vllm3moe22topkGatingSoftplusSqrtILi8ELi128ELi4ELi16ELi32ELb1Ej6__halfEEvPKT6_PKbPfiPT5_PiiiibdPKfPKS9_SF_,comdat
.Lfunc_end270:
	.size	_ZN4vllm3moe22topkGatingSoftplusSqrtILi8ELi128ELi4ELi16ELi32ELb1Ej6__halfEEvPKT6_PKbPfiPT5_PiiiibdPKfPKS9_SF_, .Lfunc_end270-_ZN4vllm3moe22topkGatingSoftplusSqrtILi8ELi128ELi4ELi16ELi32ELb1Ej6__halfEEvPKT6_PKbPfiPT5_PiiiibdPKfPKS9_SF_
                                        ; -- End function
	.section	.AMDGPU.csdata,"",@progbits
; Kernel info:
; codeLenInByte = 4568
; NumSgprs: 40
; NumVgprs: 27
; NumAgprs: 0
; TotalNumVgprs: 27
; ScratchSize: 48
; MemoryBound: 0
; FloatMode: 240
; IeeeMode: 1
; LDSByteSize: 0 bytes/workgroup (compile time only)
; SGPRBlocks: 4
; VGPRBlocks: 3
; NumSGPRsForWavesPerEU: 40
; NumVGPRsForWavesPerEU: 27
; AccumOffset: 28
; Occupancy: 8
; WaveLimiterHint : 1
; COMPUTE_PGM_RSRC2:SCRATCH_EN: 1
; COMPUTE_PGM_RSRC2:USER_SGPR: 2
; COMPUTE_PGM_RSRC2:TRAP_HANDLER: 0
; COMPUTE_PGM_RSRC2:TGID_X_EN: 1
; COMPUTE_PGM_RSRC2:TGID_Y_EN: 0
; COMPUTE_PGM_RSRC2:TGID_Z_EN: 0
; COMPUTE_PGM_RSRC2:TIDIG_COMP_CNT: 1
; COMPUTE_PGM_RSRC3_GFX90A:ACCUM_OFFSET: 6
; COMPUTE_PGM_RSRC3_GFX90A:TG_SPLIT: 0
	.section	.text._ZN4vllm3moe22topkGatingSoftplusSqrtILi8ELi128ELi4ELi16ELi32ELb0Ej6__halfEEvPKT6_PKbPfiPT5_PiiiibdPKfPKS9_SF_,"axG",@progbits,_ZN4vllm3moe22topkGatingSoftplusSqrtILi8ELi128ELi4ELi16ELi32ELb0Ej6__halfEEvPKT6_PKbPfiPT5_PiiiibdPKfPKS9_SF_,comdat
	.protected	_ZN4vllm3moe22topkGatingSoftplusSqrtILi8ELi128ELi4ELi16ELi32ELb0Ej6__halfEEvPKT6_PKbPfiPT5_PiiiibdPKfPKS9_SF_ ; -- Begin function _ZN4vllm3moe22topkGatingSoftplusSqrtILi8ELi128ELi4ELi16ELi32ELb0Ej6__halfEEvPKT6_PKbPfiPT5_PiiiibdPKfPKS9_SF_
	.globl	_ZN4vllm3moe22topkGatingSoftplusSqrtILi8ELi128ELi4ELi16ELi32ELb0Ej6__halfEEvPKT6_PKbPfiPT5_PiiiibdPKfPKS9_SF_
	.p2align	8
	.type	_ZN4vllm3moe22topkGatingSoftplusSqrtILi8ELi128ELi4ELi16ELi32ELb0Ej6__halfEEvPKT6_PKbPfiPT5_PiiiibdPKfPKS9_SF_,@function
_ZN4vllm3moe22topkGatingSoftplusSqrtILi8ELi128ELi4ELi16ELi32ELb0Ej6__halfEEvPKT6_PKbPfiPT5_PiiiibdPKfPKS9_SF_: ; @_ZN4vllm3moe22topkGatingSoftplusSqrtILi8ELi128ELi4ELi16ELi32ELb0Ej6__halfEEvPKT6_PKbPfiPT5_PiiiibdPKfPKS9_SF_
; %bb.0:
	s_load_dword s33, s[0:1], 0x18
	v_bfe_u32 v1, v0, 10, 10
	v_and_b32_e32 v0, 0x3ff, v0
	s_lshl_b32 s2, s2, 3
	v_lshlrev_b32_e32 v1, 1, v1
	v_lshrrev_b32_e32 v2, 4, v0
	v_add3_u32 v8, s2, v1, v2
	s_waitcnt lgkmcnt(0)
	v_cmp_gt_i32_e32 vcc, s33, v8
	s_and_saveexec_b64 s[2:3], vcc
	s_cbranch_execz .LBB271_61
; %bb.1:
	s_load_dwordx4 s[4:7], s[0:1], 0x0
	s_load_dwordx2 s[34:35], s[0:1], 0x10
	s_waitcnt lgkmcnt(0)
	s_cmp_eq_u64 s[6:7], 0
	s_cbranch_scc1 .LBB271_3
; %bb.2:
	v_ashrrev_i32_e32 v9, 31, v8
	v_lshl_add_u64 v[2:3], s[6:7], 0, v[8:9]
	global_load_ubyte v1, v[2:3], off
	s_waitcnt vmcnt(0)
	v_and_b32_e32 v1, 1, v1
	v_cmp_eq_u32_e32 vcc, 1, v1
	s_xor_b64 s[2:3], vcc, -1
	s_orn2_b64 s[36:37], s[2:3], exec
	s_branch .LBB271_4
.LBB271_3:
	s_mov_b64 s[36:37], -1
.LBB271_4:
	v_lshlrev_b32_e32 v4, 7, v8
	v_mov_b32_e32 v2, s4
	v_mov_b32_e32 v3, s5
	v_ashrrev_i32_e32 v5, 31, v4
	v_and_b32_e32 v9, 15, v0
	v_lshl_add_u64 v[2:3], v[4:5], 1, v[2:3]
	v_mov_b32_e32 v1, 0
	v_lshlrev_b32_e32 v0, 4, v9
	v_lshl_add_u64 v[0:1], v[2:3], 0, v[0:1]
	global_load_dwordx4 v[4:7], v[0:1], off
	s_mov_b32 s12, 0x800000
	v_mov_b32_e32 v2, 0x4f800000
	s_mov_b32 s9, 0x3f317217
	s_mov_b32 s10, 0x7f800000
	v_mov_b32_e32 v3, 0x41b17218
	s_movk_i32 s8, 0x4d00
	s_mov_b32 s11, 0xf800000
	s_load_dwordx4 s[20:23], s[0:1], 0x40
	v_lshlrev_b32_e32 v12, 3, v9
	s_waitcnt lgkmcnt(0)
	s_cmp_lg_u64 s[22:23], 0
	s_cselect_b64 s[6:7], -1, 0
	s_and_b64 s[2:3], exec, s[6:7]
	s_waitcnt vmcnt(0)
	v_cvt_f32_f16_e32 v0, v4
	v_mul_f32_e32 v1, 0x3fb8aa3b, v0
	v_exp_f32_e32 v10, v1
	v_mov_b32_e32 v1, 0x260
	v_add_f32_e32 v10, 1.0, v10
	v_cmp_gt_f32_e32 vcc, s12, v10
	s_nop 1
	v_cndmask_b32_e32 v11, 1.0, v2, vcc
	v_mul_f32_e32 v10, v10, v11
	v_log_f32_e32 v11, v10
	v_cndmask_b32_e32 v13, 0, v3, vcc
	v_lshlrev_b32_e32 v10, 2, v12
	v_mul_f32_e32 v14, 0x3f317217, v11
	v_fma_f32 v14, v11, s9, -v14
	v_fmac_f32_e32 v14, 0x3377d1cf, v11
	v_fmac_f32_e32 v14, 0x3f317217, v11
	v_cmp_lt_f32_e64 vcc, |v11|, s10
	s_nop 1
	v_cndmask_b32_e32 v11, v11, v14, vcc
	v_sub_f32_e32 v11, v11, v13
	v_cmp_lt_f16_e32 vcc, s8, v4
	s_nop 1
	v_cndmask_b32_e32 v0, v11, v0, vcc
	v_mul_f32_e32 v11, 0x4f800000, v0
	v_cmp_gt_f32_e32 vcc, s11, v0
	s_nop 1
	v_cndmask_b32_e32 v0, v0, v11, vcc
	v_sqrt_f32_e32 v11, v0
	s_nop 0
	v_add_u32_e32 v13, -1, v11
	v_add_u32_e32 v14, 1, v11
	v_fma_f32 v15, -v13, v11, v0
	v_fma_f32 v16, -v14, v11, v0
	v_cmp_ge_f32_e64 s[4:5], 0, v15
	s_nop 1
	v_cndmask_b32_e64 v11, v11, v13, s[4:5]
	v_cmp_lt_f32_e64 s[4:5], 0, v16
	s_nop 1
	v_cndmask_b32_e64 v11, v11, v14, s[4:5]
	v_mul_f32_e32 v13, 0x37800000, v11
	v_cndmask_b32_e32 v11, v11, v13, vcc
	v_cmp_class_f32_e32 vcc, v0, v1
	s_nop 1
	v_cndmask_b32_e32 v0, v11, v0, vcc
	s_mov_b64 vcc, s[2:3]
	s_cbranch_vccz .LBB271_6
; %bb.5:
	global_load_dword v11, v10, s[22:23]
	s_waitcnt vmcnt(0)
	v_add_f32_e32 v0, v0, v11
.LBB271_6:
	v_cvt_f32_f16_sdwa v11, v4 dst_sel:DWORD dst_unused:UNUSED_PAD src0_sel:WORD_1
	v_mul_f32_e32 v13, 0x3fb8aa3b, v11
	v_exp_f32_e32 v13, v13
	s_nop 0
	v_add_f32_e32 v13, 1.0, v13
	v_cmp_gt_f32_e32 vcc, s12, v13
	s_nop 1
	v_cndmask_b32_e32 v2, 1.0, v2, vcc
	v_mul_f32_e32 v2, v13, v2
	v_log_f32_e32 v2, v2
	v_cndmask_b32_e32 v3, 0, v3, vcc
	v_mul_f32_e32 v13, 0x3f317217, v2
	v_fma_f32 v13, v2, s9, -v13
	v_fmac_f32_e32 v13, 0x3377d1cf, v2
	v_fmac_f32_e32 v13, 0x3f317217, v2
	v_cmp_lt_f32_e64 vcc, |v2|, s10
	s_nop 1
	v_cndmask_b32_e32 v2, v2, v13, vcc
	v_sub_f32_e32 v2, v2, v3
	v_cmp_gt_f16_sdwa vcc, v4, s8 src0_sel:WORD_1 src1_sel:DWORD
	v_cndmask_b32_e64 v4, 0, 1, s[6:7]
	v_cmp_ne_u32_e64 s[2:3], 1, v4
	v_cndmask_b32_e32 v2, v2, v11, vcc
	v_mul_f32_e32 v3, 0x4f800000, v2
	v_cmp_gt_f32_e64 s[4:5], s11, v2
	s_andn2_b64 vcc, exec, s[6:7]
	s_nop 0
	v_cndmask_b32_e64 v2, v2, v3, s[4:5]
	v_sqrt_f32_e32 v3, v2
	s_nop 0
	v_add_u32_e32 v4, -1, v3
	v_add_u32_e32 v11, 1, v3
	v_fma_f32 v13, -v4, v3, v2
	v_fma_f32 v14, -v11, v3, v2
	v_cmp_ge_f32_e64 s[6:7], 0, v13
	s_nop 1
	v_cndmask_b32_e64 v3, v3, v4, s[6:7]
	v_cmp_lt_f32_e64 s[6:7], 0, v14
	s_nop 1
	v_cndmask_b32_e64 v3, v3, v11, s[6:7]
	v_mul_f32_e32 v4, 0x37800000, v3
	v_cndmask_b32_e64 v3, v3, v4, s[4:5]
	v_cmp_class_f32_e64 s[4:5], v2, v1
	s_nop 1
	v_cndmask_b32_e64 v1, v3, v2, s[4:5]
	s_cbranch_vccnz .LBB271_8
; %bb.7:
	global_load_dword v2, v10, s[22:23] offset:4
	s_waitcnt vmcnt(0)
	v_add_f32_e32 v1, v1, v2
.LBB271_8:
	v_cvt_f32_f16_e32 v2, v5
	s_mov_b32 s8, 0x800000
	v_mov_b32_e32 v4, 0x4f800000
	s_mov_b32 s7, 0x3f317217
	v_mul_f32_e32 v3, 0x3fb8aa3b, v2
	v_exp_f32_e32 v3, v3
	s_mov_b32 s9, 0x7f800000
	s_movk_i32 s6, 0x4d00
	s_mov_b32 s10, 0xf800000
	v_add_f32_e32 v3, 1.0, v3
	v_cmp_gt_f32_e32 vcc, s8, v3
	s_nop 1
	v_cndmask_b32_e32 v11, 1.0, v4, vcc
	v_mul_f32_e32 v3, v3, v11
	v_log_f32_e32 v3, v3
	v_mov_b32_e32 v11, 0x41b17218
	v_cndmask_b32_e32 v13, 0, v11, vcc
	v_mul_f32_e32 v14, 0x3f317217, v3
	v_fma_f32 v14, v3, s7, -v14
	v_fmac_f32_e32 v14, 0x3377d1cf, v3
	v_fmac_f32_e32 v14, 0x3f317217, v3
	v_cmp_lt_f32_e64 vcc, |v3|, s9
	s_nop 1
	v_cndmask_b32_e32 v3, v3, v14, vcc
	v_sub_f32_e32 v3, v3, v13
	v_cmp_lt_f16_e32 vcc, s6, v5
	s_nop 1
	v_cndmask_b32_e32 v2, v3, v2, vcc
	v_mul_f32_e32 v3, 0x4f800000, v2
	v_cmp_gt_f32_e32 vcc, s10, v2
	s_nop 1
	v_cndmask_b32_e32 v2, v2, v3, vcc
	v_sqrt_f32_e32 v3, v2
	s_nop 0
	v_add_u32_e32 v13, -1, v3
	v_fma_f32 v14, -v13, v3, v2
	v_cmp_ge_f32_e64 s[4:5], 0, v14
	v_add_u32_e32 v14, 1, v3
	s_nop 0
	v_cndmask_b32_e64 v13, v3, v13, s[4:5]
	v_fma_f32 v3, -v14, v3, v2
	v_cmp_lt_f32_e64 s[4:5], 0, v3
	s_nop 1
	v_cndmask_b32_e64 v3, v13, v14, s[4:5]
	v_mul_f32_e32 v13, 0x37800000, v3
	v_cndmask_b32_e32 v13, v3, v13, vcc
	v_mov_b32_e32 v3, 0x260
	v_cmp_class_f32_e64 s[4:5], v2, v3
	s_and_b64 vcc, exec, s[2:3]
	s_nop 0
	v_cndmask_b32_e64 v2, v13, v2, s[4:5]
	s_cbranch_vccnz .LBB271_10
; %bb.9:
	global_load_dword v13, v10, s[22:23] offset:8
	s_waitcnt vmcnt(0)
	v_add_f32_e32 v2, v2, v13
.LBB271_10:
	v_cvt_f32_f16_sdwa v13, v5 dst_sel:DWORD dst_unused:UNUSED_PAD src0_sel:WORD_1
	v_mul_f32_e32 v14, 0x3fb8aa3b, v13
	v_exp_f32_e32 v14, v14
	s_nop 0
	v_add_f32_e32 v14, 1.0, v14
	v_cmp_gt_f32_e32 vcc, s8, v14
	s_nop 1
	v_cndmask_b32_e32 v4, 1.0, v4, vcc
	v_mul_f32_e32 v4, v14, v4
	v_log_f32_e32 v4, v4
	v_cndmask_b32_e32 v11, 0, v11, vcc
	v_mul_f32_e32 v14, 0x3f317217, v4
	v_fma_f32 v14, v4, s7, -v14
	v_fmac_f32_e32 v14, 0x3377d1cf, v4
	v_fmac_f32_e32 v14, 0x3f317217, v4
	v_cmp_lt_f32_e64 vcc, |v4|, s9
	s_nop 1
	v_cndmask_b32_e32 v4, v4, v14, vcc
	v_sub_f32_e32 v4, v4, v11
	v_cmp_gt_f16_sdwa vcc, v5, s6 src0_sel:WORD_1 src1_sel:DWORD
	s_nop 1
	v_cndmask_b32_e32 v4, v4, v13, vcc
	v_mul_f32_e32 v5, 0x4f800000, v4
	v_cmp_gt_f32_e64 s[4:5], s10, v4
	s_and_b64 vcc, exec, s[2:3]
	s_nop 0
	v_cndmask_b32_e64 v4, v4, v5, s[4:5]
	v_sqrt_f32_e32 v5, v4
	s_nop 0
	v_add_u32_e32 v11, -1, v5
	v_add_u32_e32 v13, 1, v5
	v_fma_f32 v14, -v11, v5, v4
	v_fma_f32 v15, -v13, v5, v4
	v_cmp_ge_f32_e64 s[6:7], 0, v14
	s_nop 1
	v_cndmask_b32_e64 v5, v5, v11, s[6:7]
	v_cmp_lt_f32_e64 s[6:7], 0, v15
	s_nop 1
	v_cndmask_b32_e64 v5, v5, v13, s[6:7]
	v_mul_f32_e32 v11, 0x37800000, v5
	v_cndmask_b32_e64 v5, v5, v11, s[4:5]
	v_cmp_class_f32_e64 s[4:5], v4, v3
	s_nop 1
	v_cndmask_b32_e64 v3, v5, v4, s[4:5]
	s_cbranch_vccnz .LBB271_12
; %bb.11:
	global_load_dword v4, v10, s[22:23] offset:12
	s_waitcnt vmcnt(0)
	v_add_f32_e32 v3, v3, v4
.LBB271_12:
	v_cvt_f32_f16_e32 v4, v6
	v_mov_b32_e32 v11, 0x4f800000
	s_mov_b32 s7, 0x3f317217
	s_movk_i32 s6, 0x4d00
	v_mul_f32_e32 v5, 0x3fb8aa3b, v4
	v_exp_f32_e32 v5, v5
	s_nop 0
	v_add_f32_e32 v5, 1.0, v5
	v_cmp_gt_f32_e32 vcc, s8, v5
	s_nop 1
	v_cndmask_b32_e32 v13, 1.0, v11, vcc
	v_mul_f32_e32 v5, v5, v13
	v_log_f32_e32 v5, v5
	v_mov_b32_e32 v13, 0x41b17218
	v_cndmask_b32_e32 v14, 0, v13, vcc
	v_mul_f32_e32 v15, 0x3f317217, v5
	v_fma_f32 v15, v5, s7, -v15
	v_fmac_f32_e32 v15, 0x3377d1cf, v5
	v_fmac_f32_e32 v15, 0x3f317217, v5
	v_cmp_lt_f32_e64 vcc, |v5|, s9
	s_nop 1
	v_cndmask_b32_e32 v5, v5, v15, vcc
	v_sub_f32_e32 v5, v5, v14
	v_cmp_lt_f16_e32 vcc, s6, v6
	s_nop 1
	v_cndmask_b32_e32 v4, v5, v4, vcc
	v_mul_f32_e32 v5, 0x4f800000, v4
	v_cmp_gt_f32_e32 vcc, s10, v4
	s_nop 1
	v_cndmask_b32_e32 v4, v4, v5, vcc
	v_sqrt_f32_e32 v5, v4
	s_nop 0
	v_add_u32_e32 v14, -1, v5
	v_fma_f32 v15, -v14, v5, v4
	v_cmp_ge_f32_e64 s[4:5], 0, v15
	v_add_u32_e32 v15, 1, v5
	s_nop 0
	v_cndmask_b32_e64 v14, v5, v14, s[4:5]
	v_fma_f32 v5, -v15, v5, v4
	v_cmp_lt_f32_e64 s[4:5], 0, v5
	s_nop 1
	v_cndmask_b32_e64 v5, v14, v15, s[4:5]
	v_mul_f32_e32 v14, 0x37800000, v5
	v_cndmask_b32_e32 v14, v5, v14, vcc
	v_mov_b32_e32 v5, 0x260
	v_cmp_class_f32_e64 s[4:5], v4, v5
	s_and_b64 vcc, exec, s[2:3]
	s_nop 0
	v_cndmask_b32_e64 v4, v14, v4, s[4:5]
	s_cbranch_vccnz .LBB271_14
; %bb.13:
	global_load_dword v14, v10, s[22:23] offset:16
	s_waitcnt vmcnt(0)
	v_add_f32_e32 v4, v4, v14
.LBB271_14:
	v_cvt_f32_f16_sdwa v14, v6 dst_sel:DWORD dst_unused:UNUSED_PAD src0_sel:WORD_1
	v_mul_f32_e32 v15, 0x3fb8aa3b, v14
	v_exp_f32_e32 v15, v15
	s_nop 0
	v_add_f32_e32 v15, 1.0, v15
	v_cmp_gt_f32_e32 vcc, s8, v15
	s_nop 1
	v_cndmask_b32_e32 v11, 1.0, v11, vcc
	v_mul_f32_e32 v11, v15, v11
	v_log_f32_e32 v11, v11
	v_cndmask_b32_e32 v13, 0, v13, vcc
	v_mul_f32_e32 v15, 0x3f317217, v11
	v_fma_f32 v15, v11, s7, -v15
	v_fmac_f32_e32 v15, 0x3377d1cf, v11
	v_fmac_f32_e32 v15, 0x3f317217, v11
	v_cmp_lt_f32_e64 vcc, |v11|, s9
	s_nop 1
	v_cndmask_b32_e32 v11, v11, v15, vcc
	v_sub_f32_e32 v11, v11, v13
	v_cmp_gt_f16_sdwa vcc, v6, s6 src0_sel:WORD_1 src1_sel:DWORD
	s_nop 1
	v_cndmask_b32_e32 v6, v11, v14, vcc
	v_mul_f32_e32 v11, 0x4f800000, v6
	v_cmp_gt_f32_e64 s[4:5], s10, v6
	s_and_b64 vcc, exec, s[2:3]
	s_nop 0
	v_cndmask_b32_e64 v6, v6, v11, s[4:5]
	v_sqrt_f32_e32 v11, v6
	s_nop 0
	v_add_u32_e32 v13, -1, v11
	v_add_u32_e32 v14, 1, v11
	v_fma_f32 v15, -v13, v11, v6
	v_fma_f32 v16, -v14, v11, v6
	v_cmp_ge_f32_e64 s[6:7], 0, v15
	s_nop 1
	v_cndmask_b32_e64 v11, v11, v13, s[6:7]
	v_cmp_lt_f32_e64 s[6:7], 0, v16
	s_nop 1
	v_cndmask_b32_e64 v11, v11, v14, s[6:7]
	v_mul_f32_e32 v13, 0x37800000, v11
	v_cndmask_b32_e64 v11, v11, v13, s[4:5]
	v_cmp_class_f32_e64 s[4:5], v6, v5
	s_nop 1
	v_cndmask_b32_e64 v5, v11, v6, s[4:5]
	s_cbranch_vccnz .LBB271_16
; %bb.15:
	global_load_dword v6, v10, s[22:23] offset:20
	s_waitcnt vmcnt(0)
	v_add_f32_e32 v5, v5, v6
.LBB271_16:
	v_cvt_f32_f16_e32 v6, v7
	v_mov_b32_e32 v13, 0x4f800000
	s_mov_b32 s7, 0x3f317217
	s_movk_i32 s6, 0x4d00
	v_mul_f32_e32 v11, 0x3fb8aa3b, v6
	v_exp_f32_e32 v11, v11
	s_nop 0
	v_add_f32_e32 v11, 1.0, v11
	v_cmp_gt_f32_e32 vcc, s8, v11
	s_nop 1
	v_cndmask_b32_e32 v14, 1.0, v13, vcc
	v_mul_f32_e32 v11, v11, v14
	v_log_f32_e32 v11, v11
	v_mov_b32_e32 v14, 0x41b17218
	v_cndmask_b32_e32 v15, 0, v14, vcc
	v_mul_f32_e32 v16, 0x3f317217, v11
	v_fma_f32 v16, v11, s7, -v16
	v_fmac_f32_e32 v16, 0x3377d1cf, v11
	v_fmac_f32_e32 v16, 0x3f317217, v11
	v_cmp_lt_f32_e64 vcc, |v11|, s9
	s_nop 1
	v_cndmask_b32_e32 v11, v11, v16, vcc
	v_sub_f32_e32 v11, v11, v15
	v_cmp_lt_f16_e32 vcc, s6, v7
	s_nop 1
	v_cndmask_b32_e32 v6, v11, v6, vcc
	v_mul_f32_e32 v11, 0x4f800000, v6
	v_cmp_gt_f32_e32 vcc, s10, v6
	s_nop 1
	v_cndmask_b32_e32 v6, v6, v11, vcc
	v_sqrt_f32_e32 v11, v6
	s_nop 0
	v_add_u32_e32 v15, -1, v11
	v_fma_f32 v16, -v15, v11, v6
	v_cmp_ge_f32_e64 s[4:5], 0, v16
	v_add_u32_e32 v16, 1, v11
	s_nop 0
	v_cndmask_b32_e64 v15, v11, v15, s[4:5]
	v_fma_f32 v11, -v16, v11, v6
	v_cmp_lt_f32_e64 s[4:5], 0, v11
	s_nop 1
	v_cndmask_b32_e64 v11, v15, v16, s[4:5]
	v_mul_f32_e32 v15, 0x37800000, v11
	v_cndmask_b32_e32 v15, v11, v15, vcc
	v_mov_b32_e32 v11, 0x260
	v_cmp_class_f32_e64 s[4:5], v6, v11
	s_and_b64 vcc, exec, s[2:3]
	s_nop 0
	v_cndmask_b32_e64 v6, v15, v6, s[4:5]
	s_cbranch_vccnz .LBB271_18
; %bb.17:
	global_load_dword v15, v10, s[22:23] offset:24
	s_waitcnt vmcnt(0)
	v_add_f32_e32 v6, v6, v15
.LBB271_18:
	v_cvt_f32_f16_sdwa v15, v7 dst_sel:DWORD dst_unused:UNUSED_PAD src0_sel:WORD_1
	v_mul_f32_e32 v16, 0x3fb8aa3b, v15
	v_exp_f32_e32 v16, v16
	s_nop 0
	v_add_f32_e32 v16, 1.0, v16
	v_cmp_gt_f32_e32 vcc, s8, v16
	s_nop 1
	v_cndmask_b32_e32 v13, 1.0, v13, vcc
	v_mul_f32_e32 v13, v16, v13
	v_log_f32_e32 v13, v13
	v_cndmask_b32_e32 v14, 0, v14, vcc
	v_mul_f32_e32 v16, 0x3f317217, v13
	v_fma_f32 v16, v13, s7, -v16
	v_fmac_f32_e32 v16, 0x3377d1cf, v13
	v_fmac_f32_e32 v16, 0x3f317217, v13
	v_cmp_lt_f32_e64 vcc, |v13|, s9
	s_nop 1
	v_cndmask_b32_e32 v13, v13, v16, vcc
	v_sub_f32_e32 v13, v13, v14
	v_cmp_gt_f16_sdwa vcc, v7, s6 src0_sel:WORD_1 src1_sel:DWORD
	s_nop 1
	v_cndmask_b32_e32 v7, v13, v15, vcc
	v_mul_f32_e32 v13, 0x4f800000, v7
	v_cmp_gt_f32_e64 s[4:5], s10, v7
	s_and_b64 vcc, exec, s[2:3]
	s_nop 0
	v_cndmask_b32_e64 v7, v7, v13, s[4:5]
	v_sqrt_f32_e32 v13, v7
	s_nop 0
	v_add_u32_e32 v14, -1, v13
	v_add_u32_e32 v15, 1, v13
	v_fma_f32 v16, -v14, v13, v7
	v_fma_f32 v17, -v15, v13, v7
	v_cmp_ge_f32_e64 s[6:7], 0, v16
	s_nop 1
	v_cndmask_b32_e64 v13, v13, v14, s[6:7]
	v_cmp_lt_f32_e64 s[6:7], 0, v17
	s_nop 1
	v_cndmask_b32_e64 v13, v13, v15, s[6:7]
	v_mul_f32_e32 v14, 0x37800000, v13
	v_cndmask_b32_e64 v13, v13, v14, s[4:5]
	v_cmp_class_f32_e64 s[4:5], v7, v11
	s_nop 1
	v_cndmask_b32_e64 v7, v13, v7, s[4:5]
	s_cbranch_vccnz .LBB271_20
; %bb.19:
	global_load_dword v10, v10, s[22:23] offset:28
	s_waitcnt vmcnt(0)
	v_add_f32_e32 v7, v7, v10
.LBB271_20:
	s_load_dwordx4 s[24:27], s[0:1], 0x30
	s_mov_b32 s42, 0
	v_cmp_eq_u32_e64 s[6:7], 0, v9
	s_waitcnt lgkmcnt(0)
	s_bitcmp1_b32 s27, 0
	s_cselect_b64 s[4:5], -1, 0
	s_cmp_gt_i32 s24, 0
	s_cselect_b64 s[38:39], -1, 0
	s_and_b64 vcc, exec, s[38:39]
	s_cbranch_vccz .LBB271_47
; %bb.21:
	v_mbcnt_lo_u32_b32 v10, -1, 0
	v_mbcnt_hi_u32_b32 v10, -1, v10
	v_and_b32_e32 v11, 0x70, v10
	v_add_u32_e32 v11, 16, v11
	v_xor_b32_e32 v13, 8, v10
	v_cmp_lt_i32_e32 vcc, v13, v11
	s_load_dwordx4 s[28:31], s[0:1], 0x20
	v_mul_lo_u32 v14, v8, s24
	v_cndmask_b32_e32 v13, v10, v13, vcc
	v_lshlrev_b32_e32 v15, 2, v13
	v_xor_b32_e32 v13, 4, v10
	v_cmp_lt_i32_e32 vcc, v13, v11
	v_mov_b32_e32 v19, 0x80
	v_mov_b32_e32 v20, 0xc61c4000
	v_cndmask_b32_e32 v13, v10, v13, vcc
	v_lshlrev_b32_e32 v16, 2, v13
	v_xor_b32_e32 v13, 2, v10
	v_cmp_lt_i32_e32 vcc, v13, v11
	v_mov_b32_e32 v21, v8
	s_nop 0
	v_cndmask_b32_e32 v13, v10, v13, vcc
	v_lshlrev_b32_e32 v17, 2, v13
	v_xor_b32_e32 v13, 1, v10
	v_cmp_lt_i32_e32 vcc, v13, v11
	s_nop 1
	v_cndmask_b32_e32 v10, v10, v13, vcc
	v_lshlrev_b32_e32 v18, 2, v10
	v_mov_b32_e32 v13, 0
	s_branch .LBB271_24
.LBB271_22:                             ;   in Loop: Header=BB271_24 Depth=1
	s_or_b64 exec, exec, s[40:41]
.LBB271_23:                             ;   in Loop: Header=BB271_24 Depth=1
	s_cmp_eq_u32 s24, s42
	v_add_u32_e32 v21, s33, v21
	s_cbranch_scc1 .LBB271_48
.LBB271_24:                             ; =>This Inner Loop Header: Depth=1
	v_cmp_gt_f32_e32 vcc, v1, v0
	s_nop 1
	v_cndmask_b32_e32 v11, v0, v1, vcc
	v_cndmask_b32_e64 v10, 0, 1, vcc
	v_cmp_gt_f32_e32 vcc, v2, v11
	s_nop 1
	v_cndmask_b32_e32 v11, v11, v2, vcc
	v_cndmask_b32_e64 v10, v10, 2, vcc
	;; [unrolled: 4-line block ×6, first 2 shown]
	v_cmp_gt_f32_e32 vcc, v7, v11
	s_nop 1
	v_cndmask_b32_e64 v10, v10, 7, vcc
	v_cndmask_b32_e32 v22, v11, v7, vcc
	ds_bpermute_b32 v11, v15, v22
	v_or_b32_e32 v10, v12, v10
	s_waitcnt lgkmcnt(0)
	ds_bpermute_b32 v23, v15, v10
	s_waitcnt lgkmcnt(0)
	v_cmp_lt_f32_e64 s[8:9], v22, v11
	v_cmp_nlt_f32_e32 vcc, v22, v11
	s_and_saveexec_b64 s[10:11], vcc
; %bb.25:                               ;   in Loop: Header=BB271_24 Depth=1
	v_cmp_eq_f32_e32 vcc, v22, v11
	v_cmp_lt_i32_e64 s[0:1], v23, v10
	s_and_b64 s[0:1], vcc, s[0:1]
	s_andn2_b64 s[8:9], s[8:9], exec
	s_and_b64 s[0:1], s[0:1], exec
	s_or_b64 s[8:9], s[8:9], s[0:1]
; %bb.26:                               ;   in Loop: Header=BB271_24 Depth=1
	s_or_b64 exec, exec, s[10:11]
	s_and_saveexec_b64 s[0:1], s[8:9]
; %bb.27:                               ;   in Loop: Header=BB271_24 Depth=1
	v_mov_b32_e32 v22, v11
	v_mov_b32_e32 v10, v23
; %bb.28:                               ;   in Loop: Header=BB271_24 Depth=1
	s_or_b64 exec, exec, s[0:1]
	ds_bpermute_b32 v11, v16, v22
	ds_bpermute_b32 v23, v16, v10
	s_waitcnt lgkmcnt(1)
	v_cmp_lt_f32_e64 s[8:9], v22, v11
	v_cmp_nlt_f32_e32 vcc, v22, v11
	s_and_saveexec_b64 s[10:11], vcc
	s_cbranch_execz .LBB271_30
; %bb.29:                               ;   in Loop: Header=BB271_24 Depth=1
	v_cmp_eq_f32_e32 vcc, v22, v11
	s_waitcnt lgkmcnt(0)
	v_cmp_lt_i32_e64 s[0:1], v23, v10
	s_and_b64 s[0:1], vcc, s[0:1]
	s_andn2_b64 s[8:9], s[8:9], exec
	s_and_b64 s[0:1], s[0:1], exec
	s_or_b64 s[8:9], s[8:9], s[0:1]
.LBB271_30:                             ;   in Loop: Header=BB271_24 Depth=1
	s_or_b64 exec, exec, s[10:11]
	s_and_saveexec_b64 s[0:1], s[8:9]
	s_cbranch_execz .LBB271_32
; %bb.31:                               ;   in Loop: Header=BB271_24 Depth=1
	v_mov_b32_e32 v22, v11
	s_waitcnt lgkmcnt(0)
	v_mov_b32_e32 v10, v23
.LBB271_32:                             ;   in Loop: Header=BB271_24 Depth=1
	s_or_b64 exec, exec, s[0:1]
	ds_bpermute_b32 v11, v17, v22
	s_waitcnt lgkmcnt(1)
	ds_bpermute_b32 v23, v17, v10
	s_waitcnt lgkmcnt(1)
	v_cmp_lt_f32_e64 s[8:9], v22, v11
	v_cmp_nlt_f32_e32 vcc, v22, v11
	s_and_saveexec_b64 s[10:11], vcc
	s_cbranch_execz .LBB271_34
; %bb.33:                               ;   in Loop: Header=BB271_24 Depth=1
	v_cmp_eq_f32_e32 vcc, v22, v11
	s_waitcnt lgkmcnt(0)
	v_cmp_lt_i32_e64 s[0:1], v23, v10
	s_and_b64 s[0:1], vcc, s[0:1]
	s_andn2_b64 s[8:9], s[8:9], exec
	s_and_b64 s[0:1], s[0:1], exec
	s_or_b64 s[8:9], s[8:9], s[0:1]
.LBB271_34:                             ;   in Loop: Header=BB271_24 Depth=1
	s_or_b64 exec, exec, s[10:11]
	s_and_saveexec_b64 s[0:1], s[8:9]
	s_cbranch_execz .LBB271_36
; %bb.35:                               ;   in Loop: Header=BB271_24 Depth=1
	v_mov_b32_e32 v22, v11
	s_waitcnt lgkmcnt(0)
	v_mov_b32_e32 v10, v23
.LBB271_36:                             ;   in Loop: Header=BB271_24 Depth=1
	s_or_b64 exec, exec, s[0:1]
	ds_bpermute_b32 v11, v18, v22
	s_waitcnt lgkmcnt(1)
	ds_bpermute_b32 v23, v18, v10
	s_waitcnt lgkmcnt(1)
	v_cmp_lt_f32_e64 s[8:9], v22, v11
	v_cmp_nlt_f32_e32 vcc, v22, v11
	s_and_saveexec_b64 s[10:11], vcc
	s_cbranch_execnz .LBB271_40
; %bb.37:                               ;   in Loop: Header=BB271_24 Depth=1
	s_or_b64 exec, exec, s[10:11]
	s_and_saveexec_b64 s[0:1], s[8:9]
	s_cbranch_execnz .LBB271_41
.LBB271_38:                             ;   in Loop: Header=BB271_24 Depth=1
	s_or_b64 exec, exec, s[0:1]
	s_and_saveexec_b64 s[8:9], s[6:7]
	s_cbranch_execnz .LBB271_42
.LBB271_39:                             ;   in Loop: Header=BB271_24 Depth=1
	s_or_b64 exec, exec, s[8:9]
	s_add_i32 s42, s42, 1
	s_cmp_ge_i32 s42, s24
	s_cbranch_scc1 .LBB271_23
	s_branch .LBB271_45
.LBB271_40:                             ;   in Loop: Header=BB271_24 Depth=1
	v_cmp_eq_f32_e32 vcc, v22, v11
	s_waitcnt lgkmcnt(0)
	v_cmp_lt_i32_e64 s[0:1], v23, v10
	s_and_b64 s[0:1], vcc, s[0:1]
	s_andn2_b64 s[8:9], s[8:9], exec
	s_and_b64 s[0:1], s[0:1], exec
	s_or_b64 s[8:9], s[8:9], s[0:1]
	s_or_b64 exec, exec, s[10:11]
	s_and_saveexec_b64 s[0:1], s[8:9]
	s_cbranch_execz .LBB271_38
.LBB271_41:                             ;   in Loop: Header=BB271_24 Depth=1
	s_waitcnt lgkmcnt(0)
	v_mov_b32_e32 v10, v23
	v_mov_b32_e32 v22, v11
	s_or_b64 exec, exec, s[0:1]
	s_and_saveexec_b64 s[8:9], s[6:7]
	s_cbranch_execz .LBB271_39
.LBB271_42:                             ;   in Loop: Header=BB271_24 Depth=1
	s_and_b64 vcc, exec, s[2:3]
	s_cbranch_vccnz .LBB271_44
; %bb.43:                               ;   in Loop: Header=BB271_24 Depth=1
	v_ashrrev_i32_e32 v11, 31, v10
	v_lshl_add_u64 v[24:25], v[10:11], 2, s[22:23]
	global_load_dword v11, v[24:25], off
	s_waitcnt vmcnt(0)
	v_sub_f32_e32 v22, v22, v11
.LBB271_44:                             ;   in Loop: Header=BB271_24 Depth=1
	v_add_u32_e32 v24, s42, v14
	v_cmp_le_i32_e32 vcc, s25, v10
	v_cmp_gt_i32_e64 s[0:1], s26, v10
	v_ashrrev_i32_e32 v25, 31, v24
	s_and_b64 s[0:1], vcc, s[0:1]
	v_lshlrev_b64 v[24:25], 2, v[24:25]
	v_lshl_add_u64 v[26:27], s[34:35], 0, v[24:25]
	v_subrev_u32_e32 v11, s25, v10
	s_and_b64 vcc, s[36:37], s[0:1]
	global_store_dword v[26:27], v22, off
	v_cndmask_b32_e32 v11, v19, v11, vcc
	v_lshl_add_u64 v[26:27], s[28:29], 0, v[24:25]
	global_store_dword v[26:27], v11, off
	v_add_f32_e32 v11, v13, v22
	v_lshl_add_u64 v[24:25], s[30:31], 0, v[24:25]
	v_cndmask_b32_e64 v13, v13, v11, s[4:5]
	global_store_dword v[24:25], v21, off
	s_or_b64 exec, exec, s[8:9]
	s_add_i32 s42, s42, 1
	s_cmp_ge_i32 s42, s24
	s_cbranch_scc1 .LBB271_23
.LBB271_45:                             ;   in Loop: Header=BB271_24 Depth=1
	v_ashrrev_i32_e32 v22, 31, v10
	v_lshrrev_b32_e32 v11, 29, v22
	v_add_u32_e32 v11, v10, v11
	v_ashrrev_i32_e32 v11, 3, v11
	s_waitcnt lgkmcnt(0)
	v_lshrrev_b32_e32 v23, 28, v11
	v_add_u32_e32 v23, v11, v23
	v_and_b32_e32 v23, -16, v23
	v_sub_u32_e32 v23, v11, v23
	v_cmp_eq_u32_e32 vcc, v9, v23
	s_and_saveexec_b64 s[40:41], vcc
	s_cbranch_execz .LBB271_22
; %bb.46:                               ;   in Loop: Header=BB271_24 Depth=1
	v_lshrrev_b32_e32 v22, 25, v22
	v_add_u32_e32 v22, v10, v22
	v_lshlrev_b32_e32 v11, 3, v11
	v_sub_u32_e32 v10, v10, v11
	v_ashrrev_i32_e32 v11, 7, v22
	v_lshl_add_u32 v10, v11, 3, v10
	v_cmp_ne_u32_e32 vcc, 6, v10
	v_cmp_ne_u32_e64 s[0:1], 5, v10
	v_cmp_ne_u32_e64 s[8:9], 4, v10
	;; [unrolled: 1-line block ×7, first 2 shown]
	v_cndmask_b32_e32 v6, v20, v6, vcc
	v_cndmask_b32_e64 v5, v20, v5, s[0:1]
	v_cndmask_b32_e64 v7, v20, v7, s[18:19]
	;; [unrolled: 1-line block ×7, first 2 shown]
	s_branch .LBB271_22
.LBB271_47:
	v_mov_b32_e32 v13, 0
.LBB271_48:
	v_cmp_eq_u32_e32 vcc, 0, v9
	s_and_b64 exec, exec, vcc
	s_cbranch_execz .LBB271_61
; %bb.49:
	s_andn2_b64 vcc, exec, s[4:5]
	v_cvt_f32_f64_e32 v0, s[20:21]
	s_cbranch_vccnz .LBB271_51
; %bb.50:
	v_cmp_lt_f32_e32 vcc, 0, v13
	s_nop 1
	v_cndmask_b32_e32 v1, 1.0, v13, vcc
	v_div_scale_f32 v2, s[0:1], v1, v1, v0
	v_rcp_f32_e32 v3, v2
	s_nop 0
	v_fma_f32 v4, -v2, v3, 1.0
	v_fmac_f32_e32 v3, v4, v3
	v_div_scale_f32 v4, vcc, v0, v1, v0
	v_mul_f32_e32 v5, v4, v3
	v_fma_f32 v6, -v2, v5, v4
	v_fmac_f32_e32 v5, v6, v3
	v_fma_f32 v2, -v2, v5, v4
	v_div_fmas_f32 v2, v2, v3, v5
	v_div_fixup_f32 v0, v2, v1, v0
.LBB271_51:
	s_andn2_b64 vcc, exec, s[38:39]
	s_cbranch_vccnz .LBB271_61
; %bb.52:
	v_mul_lo_u32 v2, v8, s24
	s_cmp_gt_u32 s24, 3
	v_ashrrev_i32_e32 v3, 31, v2
	s_cbranch_scc0 .LBB271_56
; %bb.53:
	s_and_b32 s0, s24, 0x7ffffffc
	v_lshl_add_u64 v[4:5], v[2:3], 2, s[34:35]
	v_mov_b32_e32 v1, v0
	v_lshl_add_u64 v[4:5], v[4:5], 0, 8
	s_mov_b32 s1, s0
.LBB271_54:                             ; =>This Inner Loop Header: Depth=1
	global_load_dwordx4 v[6:9], v[4:5], off offset:-8
	s_add_i32 s1, s1, -4
	s_cmp_lg_u32 s1, 0
	s_waitcnt vmcnt(0)
	v_pk_mul_f32 v[6:7], v[0:1], v[6:7]
	v_pk_mul_f32 v[8:9], v[0:1], v[8:9]
	global_store_dwordx4 v[4:5], v[6:9], off offset:-8
	v_lshl_add_u64 v[4:5], v[4:5], 0, 16
	s_cbranch_scc1 .LBB271_54
; %bb.55:
	s_cmp_lg_u32 s0, s24
	s_cselect_b64 s[2:3], -1, 0
	s_branch .LBB271_58
.LBB271_56:
	s_mov_b64 s[2:3], 0
                                        ; implicit-def: $sgpr0
	s_cbranch_execz .LBB271_58
; %bb.57:
	s_mov_b64 s[2:3], -1
	s_mov_b32 s0, 0
.LBB271_58:
	s_andn2_b64 vcc, exec, s[2:3]
	s_cbranch_vccnz .LBB271_61
; %bb.59:
	s_mov_b32 s1, 0
	v_lshl_add_u64 v[2:3], v[2:3], 0, s[0:1]
	s_sub_i32 s2, s24, s0
	v_lshl_add_u64 v[2:3], v[2:3], 2, s[34:35]
.LBB271_60:                             ; =>This Inner Loop Header: Depth=1
	global_load_dword v1, v[2:3], off
	s_add_i32 s2, s2, -1
	s_cmp_lg_u32 s2, 0
	s_waitcnt vmcnt(0)
	v_mul_f32_e32 v1, v0, v1
	global_store_dword v[2:3], v1, off
	v_lshl_add_u64 v[2:3], v[2:3], 0, 4
	s_cbranch_scc1 .LBB271_60
.LBB271_61:
	s_endpgm
	.section	.rodata,"a",@progbits
	.p2align	6, 0x0
	.amdhsa_kernel _ZN4vllm3moe22topkGatingSoftplusSqrtILi8ELi128ELi4ELi16ELi32ELb0Ej6__halfEEvPKT6_PKbPfiPT5_PiiiibdPKfPKS9_SF_
		.amdhsa_group_segment_fixed_size 0
		.amdhsa_private_segment_fixed_size 0
		.amdhsa_kernarg_size 96
		.amdhsa_user_sgpr_count 2
		.amdhsa_user_sgpr_dispatch_ptr 0
		.amdhsa_user_sgpr_queue_ptr 0
		.amdhsa_user_sgpr_kernarg_segment_ptr 1
		.amdhsa_user_sgpr_dispatch_id 0
		.amdhsa_user_sgpr_kernarg_preload_length 0
		.amdhsa_user_sgpr_kernarg_preload_offset 0
		.amdhsa_user_sgpr_private_segment_size 0
		.amdhsa_uses_dynamic_stack 0
		.amdhsa_enable_private_segment 0
		.amdhsa_system_sgpr_workgroup_id_x 1
		.amdhsa_system_sgpr_workgroup_id_y 0
		.amdhsa_system_sgpr_workgroup_id_z 0
		.amdhsa_system_sgpr_workgroup_info 0
		.amdhsa_system_vgpr_workitem_id 1
		.amdhsa_next_free_vgpr 28
		.amdhsa_next_free_sgpr 43
		.amdhsa_accum_offset 28
		.amdhsa_reserve_vcc 1
		.amdhsa_float_round_mode_32 0
		.amdhsa_float_round_mode_16_64 0
		.amdhsa_float_denorm_mode_32 3
		.amdhsa_float_denorm_mode_16_64 3
		.amdhsa_dx10_clamp 1
		.amdhsa_ieee_mode 1
		.amdhsa_fp16_overflow 0
		.amdhsa_tg_split 0
		.amdhsa_exception_fp_ieee_invalid_op 0
		.amdhsa_exception_fp_denorm_src 0
		.amdhsa_exception_fp_ieee_div_zero 0
		.amdhsa_exception_fp_ieee_overflow 0
		.amdhsa_exception_fp_ieee_underflow 0
		.amdhsa_exception_fp_ieee_inexact 0
		.amdhsa_exception_int_div_zero 0
	.end_amdhsa_kernel
	.section	.text._ZN4vllm3moe22topkGatingSoftplusSqrtILi8ELi128ELi4ELi16ELi32ELb0Ej6__halfEEvPKT6_PKbPfiPT5_PiiiibdPKfPKS9_SF_,"axG",@progbits,_ZN4vllm3moe22topkGatingSoftplusSqrtILi8ELi128ELi4ELi16ELi32ELb0Ej6__halfEEvPKT6_PKbPfiPT5_PiiiibdPKfPKS9_SF_,comdat
.Lfunc_end271:
	.size	_ZN4vllm3moe22topkGatingSoftplusSqrtILi8ELi128ELi4ELi16ELi32ELb0Ej6__halfEEvPKT6_PKbPfiPT5_PiiiibdPKfPKS9_SF_, .Lfunc_end271-_ZN4vllm3moe22topkGatingSoftplusSqrtILi8ELi128ELi4ELi16ELi32ELb0Ej6__halfEEvPKT6_PKbPfiPT5_PiiiibdPKfPKS9_SF_
                                        ; -- End function
	.section	.AMDGPU.csdata,"",@progbits
; Kernel info:
; codeLenInByte = 4068
; NumSgprs: 49
; NumVgprs: 28
; NumAgprs: 0
; TotalNumVgprs: 28
; ScratchSize: 0
; MemoryBound: 0
; FloatMode: 240
; IeeeMode: 1
; LDSByteSize: 0 bytes/workgroup (compile time only)
; SGPRBlocks: 6
; VGPRBlocks: 3
; NumSGPRsForWavesPerEU: 49
; NumVGPRsForWavesPerEU: 28
; AccumOffset: 28
; Occupancy: 8
; WaveLimiterHint : 0
; COMPUTE_PGM_RSRC2:SCRATCH_EN: 0
; COMPUTE_PGM_RSRC2:USER_SGPR: 2
; COMPUTE_PGM_RSRC2:TRAP_HANDLER: 0
; COMPUTE_PGM_RSRC2:TGID_X_EN: 1
; COMPUTE_PGM_RSRC2:TGID_Y_EN: 0
; COMPUTE_PGM_RSRC2:TGID_Z_EN: 0
; COMPUTE_PGM_RSRC2:TIDIG_COMP_CNT: 1
; COMPUTE_PGM_RSRC3_GFX90A:ACCUM_OFFSET: 6
; COMPUTE_PGM_RSRC3_GFX90A:TG_SPLIT: 0
	.section	.text._ZN4vllm3moe22topkGatingSoftplusSqrtILi8ELi256ELi4ELi16ELi64ELb1Ej6__halfEEvPKT6_PKbPfiPT5_PiiiibdPKfPKS9_SF_,"axG",@progbits,_ZN4vllm3moe22topkGatingSoftplusSqrtILi8ELi256ELi4ELi16ELi64ELb1Ej6__halfEEvPKT6_PKbPfiPT5_PiiiibdPKfPKS9_SF_,comdat
	.protected	_ZN4vllm3moe22topkGatingSoftplusSqrtILi8ELi256ELi4ELi16ELi64ELb1Ej6__halfEEvPKT6_PKbPfiPT5_PiiiibdPKfPKS9_SF_ ; -- Begin function _ZN4vllm3moe22topkGatingSoftplusSqrtILi8ELi256ELi4ELi16ELi64ELb1Ej6__halfEEvPKT6_PKbPfiPT5_PiiiibdPKfPKS9_SF_
	.globl	_ZN4vllm3moe22topkGatingSoftplusSqrtILi8ELi256ELi4ELi16ELi64ELb1Ej6__halfEEvPKT6_PKbPfiPT5_PiiiibdPKfPKS9_SF_
	.p2align	8
	.type	_ZN4vllm3moe22topkGatingSoftplusSqrtILi8ELi256ELi4ELi16ELi64ELb1Ej6__halfEEvPKT6_PKbPfiPT5_PiiiibdPKfPKS9_SF_,@function
_ZN4vllm3moe22topkGatingSoftplusSqrtILi8ELi256ELi4ELi16ELi64ELb1Ej6__halfEEvPKT6_PKbPfiPT5_PiiiibdPKfPKS9_SF_: ; @_ZN4vllm3moe22topkGatingSoftplusSqrtILi8ELi256ELi4ELi16ELi64ELb1Ej6__halfEEvPKT6_PKbPfiPT5_PiiiibdPKfPKS9_SF_
; %bb.0:
	s_load_dword s3, s[0:1], 0x18
	v_bfe_u32 v1, v0, 10, 10
	v_and_b32_e32 v8, 0x3ff, v0
	s_lshl_b32 s2, s2, 3
	v_lshlrev_b32_e32 v1, 1, v1
	v_lshrrev_b32_e32 v0, 5, v8
	v_add3_u32 v6, s2, v1, v0
	s_waitcnt lgkmcnt(0)
	v_cmp_gt_i32_e32 vcc, s3, v6
	s_and_saveexec_b64 s[2:3], vcc
	s_cbranch_execz .LBB272_32
; %bb.1:
	s_load_dwordx2 s[2:3], s[0:1], 0x0
	s_load_dword s33, s[0:1], 0x30
	v_lshlrev_b32_e32 v0, 8, v6
	v_lshlrev_b32_e32 v2, 3, v8
	v_ashrrev_i32_e32 v1, 31, v0
	v_and_b32_e32 v10, 0xf8, v2
	s_waitcnt lgkmcnt(0)
	v_lshl_add_u64 v[0:1], v[0:1], 1, s[2:3]
	v_lshlrev_b32_e32 v4, 1, v10
	v_mov_b32_e32 v5, 0
	v_lshl_add_u64 v[0:1], v[0:1], 0, v[4:5]
	global_load_dwordx4 v[0:3], v[0:1], off
	s_load_dwordx4 s[8:11], s[0:1], 0x50
	v_ashrrev_i32_e32 v7, 31, v6
	s_mov_b32 s15, 0x800000
	s_mov_b32 s13, 0x3f317217
	;; [unrolled: 1-line block ×3, first 2 shown]
	s_waitcnt lgkmcnt(0)
	v_mov_b32_e32 v12, s8
	v_mov_b32_e32 v13, s9
	v_lshl_add_u64 v[12:13], v[6:7], 2, v[12:13]
	global_load_dword v4, v[12:13], off
	v_mov_b32_e32 v7, 0x4f800000
	v_mov_b32_e32 v9, 0x41b17218
	s_movk_i32 s9, 0x4d00
	s_mov_b32 s12, 0xf800000
	v_mov_b32_e32 v19, 0x260
	s_cmp_gt_i32 s33, 0
	s_mov_b32 s8, 0
	s_waitcnt vmcnt(1)
	v_cvt_f32_f16_e32 v11, v0
	v_cvt_f32_f16_sdwa v16, v0 dst_sel:DWORD dst_unused:UNUSED_PAD src0_sel:WORD_1
	v_cvt_f32_f16_e32 v17, v1
	v_cvt_f32_f16_sdwa v18, v1 dst_sel:DWORD dst_unused:UNUSED_PAD src0_sel:WORD_1
	v_mul_f32_e32 v12, 0x3fb8aa3b, v11
	v_mul_f32_e32 v13, 0x3fb8aa3b, v16
	v_exp_f32_e32 v12, v12
	v_exp_f32_e32 v13, v13
	v_mul_f32_e32 v14, 0x3fb8aa3b, v17
	v_mul_f32_e32 v15, 0x3fb8aa3b, v18
	v_exp_f32_e32 v14, v14
	v_exp_f32_e32 v15, v15
	v_pk_add_f32 v[12:13], v[12:13], 1.0 op_sel_hi:[1,0]
	s_waitcnt vmcnt(0)
	v_mul_lo_u32 v4, v4, s33
	v_cmp_gt_f32_e32 vcc, s15, v13
	v_pk_add_f32 v[14:15], v[14:15], 1.0 op_sel_hi:[1,0]
	v_cmp_gt_f32_e64 s[2:3], s15, v12
	v_cndmask_b32_e32 v20, 1.0, v7, vcc
	v_cmp_gt_f32_e64 s[4:5], s15, v15
	v_cndmask_b32_e64 v21, 1.0, v7, s[2:3]
	v_mul_f32_e32 v13, v13, v20
	v_cndmask_b32_e64 v22, 1.0, v7, s[4:5]
	v_cmp_gt_f32_e64 s[6:7], s15, v14
	v_mul_f32_e32 v12, v12, v21
	v_log_f32_e32 v13, v13
	v_cndmask_b32_e64 v23, 1.0, v7, s[6:7]
	v_mul_f32_e32 v15, v15, v22
	v_log_f32_e32 v12, v12
	v_mul_f32_e32 v14, v14, v23
	v_log_f32_e32 v15, v15
	v_log_f32_e32 v14, v14
	v_mul_f32_e32 v23, 0x3f317217, v13
	v_mul_f32_e32 v24, 0x3f317217, v12
	v_fma_f32 v23, v13, s13, -v23
	v_mul_f32_e32 v25, 0x3f317217, v15
	v_fma_f32 v24, v12, s13, -v24
	v_fmac_f32_e32 v23, 0x3377d1cf, v13
	v_cndmask_b32_e32 v20, 0, v9, vcc
	v_mul_f32_e32 v26, 0x3f317217, v14
	v_fma_f32 v25, v15, s13, -v25
	v_fmac_f32_e32 v24, 0x3377d1cf, v12
	v_fmac_f32_e32 v23, 0x3f317217, v13
	v_cmp_lt_f32_e64 vcc, |v13|, s14
	v_fma_f32 v26, v14, s13, -v26
	v_fmac_f32_e32 v25, 0x3377d1cf, v15
	v_fmac_f32_e32 v24, 0x3f317217, v12
	v_cndmask_b32_e32 v13, v13, v23, vcc
	v_cmp_lt_f32_e64 vcc, |v12|, s14
	v_fmac_f32_e32 v26, 0x3377d1cf, v14
	v_fmac_f32_e32 v25, 0x3f317217, v15
	v_cndmask_b32_e32 v12, v12, v24, vcc
	v_cmp_lt_f32_e64 vcc, |v15|, s14
	v_cndmask_b32_e64 v21, 0, v9, s[2:3]
	v_fmac_f32_e32 v26, 0x3f317217, v14
	v_cndmask_b32_e32 v15, v15, v25, vcc
	v_cmp_lt_f32_e64 vcc, |v14|, s14
	v_sub_f32_e32 v12, v12, v21
	v_sub_f32_e32 v13, v13, v20
	v_cndmask_b32_e32 v14, v14, v26, vcc
	v_cmp_lt_f16_e32 vcc, s9, v0
	v_cndmask_b32_e64 v22, 0, v9, s[4:5]
	v_sub_f32_e32 v15, v15, v22
	v_cndmask_b32_e32 v11, v12, v11, vcc
	v_cmp_gt_f16_sdwa vcc, v0, s9 src0_sel:WORD_1 src1_sel:DWORD
	v_cmp_gt_f32_e64 s[2:3], s12, v11
	s_nop 0
	v_cndmask_b32_e32 v0, v13, v16, vcc
	v_mul_f32_e32 v12, 0x4f800000, v0
	v_cmp_gt_f32_e32 vcc, s12, v0
	v_mul_f32_e32 v13, 0x4f800000, v11
	v_cndmask_b32_e64 v11, v11, v13, s[2:3]
	v_cndmask_b32_e32 v0, v0, v12, vcc
	v_sqrt_f32_e32 v12, v0
	v_sqrt_f32_e32 v13, v11
	v_add_u32_e32 v16, -1, v12
	v_add_u32_e32 v21, -1, v13
	v_fma_f32 v23, -v16, v12, v0
	v_add_u32_e32 v20, 1, v12
	v_fma_f32 v25, -v21, v13, v11
	v_cmp_ge_f32_e64 s[4:5], 0, v23
	v_add_u32_e32 v22, 1, v13
	v_fma_f32 v24, -v20, v12, v0
	v_cndmask_b32_e64 v12, v12, v16, s[4:5]
	v_cmp_ge_f32_e64 s[4:5], 0, v25
	v_fma_f32 v26, -v22, v13, v11
	s_nop 0
	v_cndmask_b32_e64 v13, v13, v21, s[4:5]
	v_cmp_lt_f32_e64 s[4:5], 0, v24
	s_nop 1
	v_cndmask_b32_e64 v12, v12, v20, s[4:5]
	v_cmp_lt_f32_e64 s[4:5], 0, v26
	v_mul_f32_e32 v16, 0x37800000, v12
	v_cndmask_b32_e32 v12, v12, v16, vcc
	v_cndmask_b32_e64 v13, v13, v22, s[4:5]
	v_mul_f32_e32 v20, 0x37800000, v13
	v_cmp_class_f32_e32 vcc, v0, v19
	v_cndmask_b32_e64 v16, v13, v20, s[2:3]
	v_cmp_lt_f16_e64 s[2:3], s9, v1
	v_cndmask_b32_e32 v13, v12, v0, vcc
	v_cmp_class_f32_e32 vcc, v11, v19
	v_cndmask_b32_e64 v0, 0, v9, s[6:7]
	v_sub_f32_e32 v0, v14, v0
	v_cndmask_b32_e32 v12, v16, v11, vcc
	v_cmp_gt_f16_sdwa vcc, v1, s9 src0_sel:WORD_1 src1_sel:DWORD
	v_cndmask_b32_e64 v0, v0, v17, s[2:3]
	v_cvt_f32_f16_e32 v17, v2
	v_cndmask_b32_e32 v11, v15, v18, vcc
	v_mul_f32_e32 v15, 0x4f800000, v11
	v_cmp_gt_f32_e32 vcc, s12, v11
	v_cvt_f32_f16_sdwa v18, v2 dst_sel:DWORD dst_unused:UNUSED_PAD src0_sel:WORD_1
	s_nop 0
	v_cndmask_b32_e32 v11, v11, v15, vcc
	v_sqrt_f32_e32 v15, v11
	s_nop 0
	v_add_u32_e32 v1, -1, v15
	v_fma_f32 v14, -v1, v15, v11
	v_cmp_ge_f32_e64 s[2:3], 0, v14
	v_add_u32_e32 v14, 1, v15
	s_nop 0
	v_cndmask_b32_e64 v1, v15, v1, s[2:3]
	v_fma_f32 v15, -v14, v15, v11
	v_cmp_lt_f32_e64 s[2:3], 0, v15
	v_mul_f32_e32 v15, 0x4f800000, v0
	s_nop 0
	v_cndmask_b32_e64 v1, v1, v14, s[2:3]
	v_cmp_gt_f32_e64 s[2:3], s12, v0
	v_mul_f32_e32 v14, 0x37800000, v1
	v_cndmask_b32_e32 v1, v1, v14, vcc
	v_cndmask_b32_e64 v16, v0, v15, s[2:3]
	v_sqrt_f32_e32 v0, v16
	v_cmp_class_f32_e32 vcc, v11, v19
	v_add_u32_e32 v14, 1, v0
	s_nop 0
	v_cndmask_b32_e32 v15, v1, v11, vcc
	v_add_u32_e32 v1, -1, v0
	v_fma_f32 v11, -v1, v0, v16
	v_cmp_ge_f32_e32 vcc, 0, v11
	v_fma_f32 v20, -v14, v0, v16
	s_nop 0
	v_cndmask_b32_e32 v11, v0, v1, vcc
	v_mul_f32_e32 v0, 0x3fb8aa3b, v17
	v_mul_f32_e32 v1, 0x3fb8aa3b, v18
	v_exp_f32_e32 v0, v0
	v_exp_f32_e32 v1, v1
	v_cmp_lt_f32_e32 vcc, 0, v20
	v_pk_add_f32 v[0:1], v[0:1], 1.0 op_sel_hi:[1,0]
	s_nop 0
	v_cndmask_b32_e32 v11, v11, v14, vcc
	v_mul_f32_e32 v14, 0x37800000, v11
	v_cmp_gt_f32_e32 vcc, s15, v1
	v_cndmask_b32_e64 v11, v11, v14, s[2:3]
	v_cmp_class_f32_e64 s[2:3], v16, v19
	v_cndmask_b32_e32 v14, 1.0, v7, vcc
	v_mul_f32_e32 v1, v1, v14
	v_log_f32_e32 v1, v1
	v_cndmask_b32_e64 v14, v11, v16, s[2:3]
	v_cmp_gt_f32_e64 s[2:3], s15, v0
	scratch_store_dwordx4 off, v[12:15], off
	v_mul_f32_e32 v11, 0x3f317217, v1
	v_fma_f32 v11, v1, s13, -v11
	v_cndmask_b32_e64 v12, 1.0, v7, s[2:3]
	v_mul_f32_e32 v0, v0, v12
	v_log_f32_e32 v0, v0
	v_fmac_f32_e32 v11, 0x3377d1cf, v1
	v_fmac_f32_e32 v11, 0x3f317217, v1
	v_cmp_lt_f32_e64 s[4:5], |v1|, s14
	v_cvt_f32_f16_sdwa v15, v3 dst_sel:DWORD dst_unused:UNUSED_PAD src0_sel:WORD_1
	v_mul_f32_e32 v13, 0x3fb8aa3b, v15
	v_cndmask_b32_e64 v1, v1, v11, s[4:5]
	v_cndmask_b32_e32 v11, 0, v9, vcc
	v_sub_f32_e32 v1, v1, v11
	v_mul_f32_e32 v11, 0x3f317217, v0
	v_fma_f32 v11, v0, s13, -v11
	v_fmac_f32_e32 v11, 0x3377d1cf, v0
	v_fmac_f32_e32 v11, 0x3f317217, v0
	v_cmp_lt_f32_e64 vcc, |v0|, s14
	v_exp_f32_e32 v13, v13
	s_nop 0
	v_cndmask_b32_e32 v0, v0, v11, vcc
	v_cmp_gt_f16_sdwa vcc, v2, s9 src0_sel:WORD_1 src1_sel:DWORD
	v_cndmask_b32_e64 v11, 0, v9, s[2:3]
	v_cmp_lt_f16_e64 s[2:3], s9, v2
	v_cndmask_b32_e32 v1, v1, v18, vcc
	v_mul_f32_e32 v12, 0x4f800000, v1
	v_cmp_gt_f32_e32 vcc, s12, v1
	v_sub_f32_e32 v0, v0, v11
	v_cndmask_b32_e64 v0, v0, v17, s[2:3]
	v_cndmask_b32_e32 v1, v1, v12, vcc
	v_sqrt_f32_e32 v12, v1
	s_nop 0
	v_add_u32_e32 v2, -1, v12
	v_fma_f32 v11, -v2, v12, v1
	v_cmp_ge_f32_e64 s[2:3], 0, v11
	v_add_u32_e32 v11, 1, v12
	s_nop 0
	v_cndmask_b32_e64 v2, v12, v2, s[2:3]
	v_fma_f32 v12, -v11, v12, v1
	v_cmp_lt_f32_e64 s[2:3], 0, v12
	v_mul_f32_e32 v12, 0x4f800000, v0
	s_nop 0
	v_cndmask_b32_e64 v2, v2, v11, s[2:3]
	v_cmp_gt_f32_e64 s[2:3], s12, v0
	v_mul_f32_e32 v11, 0x37800000, v2
	v_cndmask_b32_e32 v2, v2, v11, vcc
	v_cndmask_b32_e64 v0, v0, v12, s[2:3]
	v_sqrt_f32_e32 v12, v0
	v_cmp_class_f32_e32 vcc, v1, v19
	v_add_u32_e32 v14, 1, v12
	s_nop 0
	v_cndmask_b32_e32 v1, v2, v1, vcc
	v_add_u32_e32 v2, -1, v12
	v_fma_f32 v11, -v2, v12, v0
	v_cmp_ge_f32_e32 vcc, 0, v11
	v_cvt_f32_f16_e32 v11, v3
	v_fma_f32 v16, -v14, v12, v0
	v_cndmask_b32_e32 v2, v12, v2, vcc
	v_cmp_lt_f32_e32 vcc, 0, v16
	v_mul_f32_e32 v12, 0x3fb8aa3b, v11
	v_exp_f32_e32 v12, v12
	v_cndmask_b32_e32 v2, v2, v14, vcc
	v_mul_f32_e32 v14, 0x37800000, v2
	v_cndmask_b32_e64 v2, v2, v14, s[2:3]
	v_pk_add_f32 v[12:13], v[12:13], 1.0 op_sel_hi:[1,0]
	v_cmp_class_f32_e64 s[2:3], v0, v19
	v_cmp_gt_f32_e32 vcc, s15, v13
	s_nop 0
	v_cndmask_b32_e64 v0, v2, v0, s[2:3]
	v_cndmask_b32_e32 v16, 1.0, v7, vcc
	v_mul_f32_e32 v13, v13, v16
	v_log_f32_e32 v13, v13
	v_cmp_gt_f32_e64 s[2:3], s15, v12
	v_mul_f32_e32 v2, 0x3f317217, v13
	s_nop 0
	v_cndmask_b32_e64 v7, 1.0, v7, s[2:3]
	v_mul_f32_e32 v7, v12, v7
	v_fma_f32 v2, v13, s13, -v2
	v_log_f32_e32 v7, v7
	v_fmac_f32_e32 v2, 0x3377d1cf, v13
	v_fmac_f32_e32 v2, 0x3f317217, v13
	v_cmp_lt_f32_e64 s[4:5], |v13|, s14
	v_cndmask_b32_e32 v12, 0, v9, vcc
	v_cmp_lt_f32_e64 vcc, |v7|, s14
	v_cndmask_b32_e64 v2, v13, v2, s[4:5]
	v_sub_f32_e32 v2, v2, v12
	v_mul_f32_e32 v12, 0x3f317217, v7
	v_fma_f32 v12, v7, s13, -v12
	v_fmac_f32_e32 v12, 0x3377d1cf, v7
	v_fmac_f32_e32 v12, 0x3f317217, v7
	v_cndmask_b32_e32 v7, v7, v12, vcc
	v_cmp_gt_f16_sdwa vcc, v3, s9 src0_sel:WORD_1 src1_sel:DWORD
	v_cndmask_b32_e64 v9, 0, v9, s[2:3]
	v_sub_f32_e32 v7, v7, v9
	v_cndmask_b32_e32 v2, v2, v15, vcc
	v_mul_f32_e32 v12, 0x4f800000, v2
	v_cmp_gt_f32_e32 vcc, s12, v2
	v_cmp_lt_f16_e64 s[2:3], s9, v3
	s_cselect_b64 s[4:5], -1, 0
	v_cndmask_b32_e32 v2, v2, v12, vcc
	v_sqrt_f32_e32 v12, v2
	v_cndmask_b32_e64 v3, v7, v11, s[2:3]
	s_cmp_lt_i32 s33, 1
	v_add_u32_e32 v7, -1, v12
	v_fma_f32 v9, -v7, v12, v2
	v_cmp_ge_f32_e64 s[2:3], 0, v9
	v_add_u32_e32 v9, 1, v12
	v_fma_f32 v11, -v9, v12, v2
	v_cndmask_b32_e64 v7, v12, v7, s[2:3]
	v_cmp_lt_f32_e64 s[2:3], 0, v11
	v_mul_f32_e32 v11, 0x4f800000, v3
	s_nop 0
	v_cndmask_b32_e64 v7, v7, v9, s[2:3]
	v_cmp_gt_f32_e64 s[2:3], s12, v3
	v_mul_f32_e32 v9, 0x37800000, v7
	s_nop 0
	v_cndmask_b32_e64 v11, v3, v11, s[2:3]
	v_sqrt_f32_e32 v12, v11
	v_cndmask_b32_e32 v3, v7, v9, vcc
	v_cmp_class_f32_e32 vcc, v2, v19
	s_nop 1
	v_cndmask_b32_e32 v3, v3, v2, vcc
	v_add_u32_e32 v2, -1, v12
	v_fma_f32 v7, -v2, v12, v11
	v_cmp_ge_f32_e32 vcc, 0, v7
	v_add_u32_e32 v7, 1, v12
	v_fma_f32 v9, -v7, v12, v11
	v_cndmask_b32_e32 v2, v12, v2, vcc
	v_cmp_lt_f32_e32 vcc, 0, v9
	s_nop 1
	v_cndmask_b32_e32 v2, v2, v7, vcc
	v_mul_f32_e32 v7, 0x37800000, v2
	v_cndmask_b32_e64 v2, v2, v7, s[2:3]
	v_cmp_class_f32_e32 vcc, v11, v19
	s_nop 1
	v_cndmask_b32_e32 v2, v2, v11, vcc
	scratch_store_dwordx4 off, v[0:3], off offset:16
	s_nop 1
	v_lshl_add_u64 v[2:3], v[4:5], 2, s[10:11]
	v_mul_lo_u32 v0, v6, s33
	s_cbranch_scc1 .LBB272_29
; %bb.2:
	s_load_dwordx2 s[6:7], s[0:1], 0x20
	s_cmp_lt_u32 s33, 4
	v_and_b32_e32 v4, 31, v8
	s_cbranch_scc1 .LBB272_21
; %bb.3:
	v_lshlrev_b32_e32 v5, 3, v4
	s_mov_b32 s11, 0
	s_and_b32 s8, s33, 0x7ffffffc
	v_ashrrev_i32_e32 v1, 31, v0
	v_sub_u32_e32 v11, 0, v5
	v_mov_b32_e32 v5, 0
	s_mov_b32 s10, s11
	s_branch .LBB272_5
.LBB272_4:                              ;   in Loop: Header=BB272_5 Depth=1
	s_or_b64 exec, exec, s[12:13]
	s_add_i32 s10, s10, 4
	s_cmp_eq_u32 s10, s8
	s_cbranch_scc1 .LBB272_22
.LBB272_5:                              ; =>This Loop Header: Depth=1
                                        ;     Child Loop BB272_7 Depth 2
                                        ;     Child Loop BB272_11 Depth 2
	;; [unrolled: 1-line block ×4, first 2 shown]
	v_lshl_add_u64 v[6:7], s[10:11], 2, v[2:3]
	global_load_dword v12, v[6:7], off
	v_add_u32_e32 v8, s10, v0
	v_ashrrev_i32_e32 v9, 31, v8
	v_mov_b32_e32 v13, 0
	s_mov_b64 s[12:13], 0
	s_waitcnt lgkmcnt(0)
	v_lshl_add_u64 v[8:9], v[8:9], 2, s[6:7]
	s_mov_b32 s9, 0
	s_waitcnt vmcnt(0)
	v_add_u32_e32 v14, v11, v12
	s_branch .LBB272_7
.LBB272_6:                              ;   in Loop: Header=BB272_7 Depth=2
	s_or_b64 exec, exec, s[14:15]
	s_add_i32 s16, s9, 1
	s_cmp_gt_u32 s9, 6
	s_cselect_b64 s[2:3], -1, 0
	s_xor_b64 s[14:15], vcc, -1
	s_or_b64 s[2:3], s[14:15], s[2:3]
	s_and_b64 s[2:3], exec, s[2:3]
	v_add_u32_e32 v13, 4, v13
	s_or_b64 s[12:13], s[2:3], s[12:13]
	s_mov_b32 s9, s16
	s_andn2_b64 exec, exec, s[12:13]
	s_cbranch_execz .LBB272_9
.LBB272_7:                              ;   Parent Loop BB272_5 Depth=1
                                        ; =>  This Inner Loop Header: Depth=2
	v_cmp_ne_u32_e32 vcc, s9, v14
	v_cmp_eq_u32_e64 s[2:3], s9, v14
	s_and_saveexec_b64 s[14:15], s[2:3]
	s_cbranch_execz .LBB272_6
; %bb.8:                                ;   in Loop: Header=BB272_7 Depth=2
	scratch_load_dword v15, v13, off
	s_waitcnt vmcnt(0)
	v_add_f32_e32 v5, v5, v15
	global_store_dword v[8:9], v12, off
	s_branch .LBB272_6
.LBB272_9:                              ;   in Loop: Header=BB272_5 Depth=1
	s_or_b64 exec, exec, s[12:13]
	global_load_dword v12, v[6:7], off offset:4
	s_ashr_i32 s3, s10, 31
	s_mov_b32 s2, s10
	v_lshl_add_u64 v[8:9], s[2:3], 0, v[0:1]
	v_mov_b32_e32 v13, 0
	s_mov_b32 s9, 0
	v_lshl_add_u64 v[8:9], v[8:9], 2, s[6:7]
	s_mov_b64 s[12:13], 0
	s_waitcnt vmcnt(0)
	v_add_u32_e32 v14, v11, v12
	s_branch .LBB272_11
.LBB272_10:                             ;   in Loop: Header=BB272_11 Depth=2
	s_or_b64 exec, exec, s[14:15]
	s_add_i32 s16, s9, 1
	s_cmp_gt_u32 s9, 6
	s_cselect_b64 s[2:3], -1, 0
	s_xor_b64 s[14:15], vcc, -1
	s_or_b64 s[2:3], s[14:15], s[2:3]
	s_and_b64 s[2:3], exec, s[2:3]
	v_add_u32_e32 v13, 4, v13
	s_or_b64 s[12:13], s[2:3], s[12:13]
	s_mov_b32 s9, s16
	s_andn2_b64 exec, exec, s[12:13]
	s_cbranch_execz .LBB272_13
.LBB272_11:                             ;   Parent Loop BB272_5 Depth=1
                                        ; =>  This Inner Loop Header: Depth=2
	v_cmp_ne_u32_e32 vcc, s9, v14
	v_cmp_eq_u32_e64 s[2:3], s9, v14
	s_and_saveexec_b64 s[14:15], s[2:3]
	s_cbranch_execz .LBB272_10
; %bb.12:                               ;   in Loop: Header=BB272_11 Depth=2
	scratch_load_dword v15, v13, off
	s_waitcnt vmcnt(0)
	v_add_f32_e32 v5, v5, v15
	global_store_dword v[8:9], v12, off offset:4
	s_branch .LBB272_10
.LBB272_13:                             ;   in Loop: Header=BB272_5 Depth=1
	s_or_b64 exec, exec, s[12:13]
	global_load_dword v12, v[6:7], off offset:8
	v_mov_b32_e32 v13, 0
	s_mov_b32 s9, 0
	s_mov_b64 s[12:13], 0
	s_waitcnt vmcnt(0)
	v_add_u32_e32 v14, v11, v12
	s_branch .LBB272_15
.LBB272_14:                             ;   in Loop: Header=BB272_15 Depth=2
	s_or_b64 exec, exec, s[14:15]
	s_add_i32 s16, s9, 1
	s_cmp_gt_u32 s9, 6
	s_cselect_b64 s[2:3], -1, 0
	s_xor_b64 s[14:15], vcc, -1
	s_or_b64 s[2:3], s[14:15], s[2:3]
	s_and_b64 s[2:3], exec, s[2:3]
	v_add_u32_e32 v13, 4, v13
	s_or_b64 s[12:13], s[2:3], s[12:13]
	s_mov_b32 s9, s16
	s_andn2_b64 exec, exec, s[12:13]
	s_cbranch_execz .LBB272_17
.LBB272_15:                             ;   Parent Loop BB272_5 Depth=1
                                        ; =>  This Inner Loop Header: Depth=2
	v_cmp_ne_u32_e32 vcc, s9, v14
	v_cmp_eq_u32_e64 s[2:3], s9, v14
	s_and_saveexec_b64 s[14:15], s[2:3]
	s_cbranch_execz .LBB272_14
; %bb.16:                               ;   in Loop: Header=BB272_15 Depth=2
	scratch_load_dword v15, v13, off
	s_waitcnt vmcnt(0)
	v_add_f32_e32 v5, v5, v15
	global_store_dword v[8:9], v12, off offset:8
	s_branch .LBB272_14
.LBB272_17:                             ;   in Loop: Header=BB272_5 Depth=1
	s_or_b64 exec, exec, s[12:13]
	global_load_dword v6, v[6:7], off offset:12
	v_mov_b32_e32 v7, 0
	s_mov_b32 s9, 0
	s_mov_b64 s[12:13], 0
	s_waitcnt vmcnt(0)
	v_add_u32_e32 v12, v11, v6
	s_branch .LBB272_19
.LBB272_18:                             ;   in Loop: Header=BB272_19 Depth=2
	s_or_b64 exec, exec, s[14:15]
	s_add_i32 s16, s9, 1
	s_cmp_gt_u32 s9, 6
	s_cselect_b64 s[2:3], -1, 0
	s_xor_b64 s[14:15], vcc, -1
	s_or_b64 s[2:3], s[14:15], s[2:3]
	s_and_b64 s[2:3], exec, s[2:3]
	v_add_u32_e32 v7, 4, v7
	s_or_b64 s[12:13], s[2:3], s[12:13]
	s_mov_b32 s9, s16
	s_andn2_b64 exec, exec, s[12:13]
	s_cbranch_execz .LBB272_4
.LBB272_19:                             ;   Parent Loop BB272_5 Depth=1
                                        ; =>  This Inner Loop Header: Depth=2
	v_cmp_ne_u32_e32 vcc, s9, v12
	v_cmp_eq_u32_e64 s[2:3], s9, v12
	s_and_saveexec_b64 s[14:15], s[2:3]
	s_cbranch_execz .LBB272_18
; %bb.20:                               ;   in Loop: Header=BB272_19 Depth=2
	scratch_load_dword v13, v7, off
	s_waitcnt vmcnt(0)
	v_add_f32_e32 v5, v5, v13
	global_store_dword v[8:9], v6, off offset:12
	s_branch .LBB272_18
.LBB272_21:
	v_mov_b32_e32 v5, 0
.LBB272_22:
	s_and_b32 s14, s33, 3
	s_cmp_eq_u32 s14, 0
	s_mov_b32 s9, 0
	s_cbranch_scc1 .LBB272_29
; %bb.23:
	v_lshlrev_b32_e32 v1, 3, v4
	v_sub_u32_e32 v1, 0, v1
	s_mov_b32 s15, s9
	s_branch .LBB272_25
.LBB272_24:                             ;   in Loop: Header=BB272_25 Depth=1
	s_or_b64 exec, exec, s[10:11]
	s_add_i32 s8, s8, 1
	s_add_i32 s15, s15, 1
	s_cmp_lg_u32 s15, s14
	s_cbranch_scc0 .LBB272_29
.LBB272_25:                             ; =>This Loop Header: Depth=1
                                        ;     Child Loop BB272_27 Depth 2
	v_lshl_add_u64 v[6:7], s[8:9], 2, v[2:3]
	global_load_dword v4, v[6:7], off
	v_add_u32_e32 v6, s8, v0
	v_ashrrev_i32_e32 v7, 31, v6
	v_mov_b32_e32 v8, 0
	s_mov_b32 s16, 0
	s_waitcnt lgkmcnt(0)
	v_lshl_add_u64 v[6:7], v[6:7], 2, s[6:7]
	s_mov_b64 s[10:11], 0
	s_waitcnt vmcnt(0)
	v_add_u32_e32 v9, v1, v4
	s_branch .LBB272_27
.LBB272_26:                             ;   in Loop: Header=BB272_27 Depth=2
	s_or_b64 exec, exec, s[12:13]
	s_add_i32 s17, s16, 1
	s_cmp_gt_u32 s16, 6
	s_cselect_b64 s[2:3], -1, 0
	s_xor_b64 s[12:13], vcc, -1
	s_or_b64 s[2:3], s[12:13], s[2:3]
	s_and_b64 s[2:3], exec, s[2:3]
	v_add_u32_e32 v8, 4, v8
	s_or_b64 s[10:11], s[2:3], s[10:11]
	s_mov_b32 s16, s17
	s_andn2_b64 exec, exec, s[10:11]
	s_cbranch_execz .LBB272_24
.LBB272_27:                             ;   Parent Loop BB272_25 Depth=1
                                        ; =>  This Inner Loop Header: Depth=2
	v_cmp_ne_u32_e32 vcc, s16, v9
	v_cmp_eq_u32_e64 s[2:3], s16, v9
	s_and_saveexec_b64 s[12:13], s[2:3]
	s_cbranch_execz .LBB272_26
; %bb.28:                               ;   in Loop: Header=BB272_27 Depth=2
	scratch_load_dword v11, v8, off
	s_waitcnt vmcnt(0)
	v_add_f32_e32 v5, v5, v11
	global_store_dword v[6:7], v4, off
	s_branch .LBB272_26
.LBB272_29:
	s_waitcnt lgkmcnt(0)
	s_load_dword s6, s[0:1], 0x3c
	s_waitcnt lgkmcnt(0)
	s_bitcmp1_b32 s6, 0
	s_cselect_b64 s[2:3], -1, 0
	s_bitcmp0_b32 s6, 0
	s_cbranch_scc0 .LBB272_33
; %bb.30:
	s_load_dwordx2 s[6:7], s[0:1], 0x40
	s_andn2_b64 vcc, exec, s[2:3]
	s_waitcnt lgkmcnt(0)
	v_cvt_f32_f64_e32 v8, s[6:7]
	s_cbranch_vccz .LBB272_34
.LBB272_31:
	s_andn2_b64 vcc, exec, s[4:5]
	s_cbranch_vccz .LBB272_35
.LBB272_32:
	s_endpgm
.LBB272_33:
	v_mbcnt_lo_u32_b32 v1, -1, 0
	v_mbcnt_hi_u32_b32 v1, -1, v1
	v_and_b32_e32 v4, 0x60, v1
	v_add_u32_e32 v4, 32, v4
	v_xor_b32_e32 v6, 16, v1
	v_cmp_lt_i32_e32 vcc, v6, v4
	v_xor_b32_e32 v7, 8, v1
	s_nop 0
	v_cndmask_b32_e32 v6, v1, v6, vcc
	v_lshlrev_b32_e32 v6, 2, v6
	ds_bpermute_b32 v6, v6, v5
	v_cmp_lt_i32_e32 vcc, v7, v4
	s_waitcnt lgkmcnt(0)
	v_add_f32_e32 v5, v5, v6
	v_cndmask_b32_e32 v6, v1, v7, vcc
	v_lshlrev_b32_e32 v6, 2, v6
	ds_bpermute_b32 v6, v6, v5
	v_xor_b32_e32 v7, 4, v1
	v_cmp_lt_i32_e32 vcc, v7, v4
	s_waitcnt lgkmcnt(0)
	v_add_f32_e32 v5, v5, v6
	v_cndmask_b32_e32 v6, v1, v7, vcc
	v_lshlrev_b32_e32 v6, 2, v6
	ds_bpermute_b32 v6, v6, v5
	v_xor_b32_e32 v7, 2, v1
	;; [unrolled: 7-line block ×3, first 2 shown]
	v_cmp_lt_i32_e32 vcc, v7, v4
	s_waitcnt lgkmcnt(0)
	v_add_f32_e32 v5, v5, v6
	v_cndmask_b32_e32 v1, v1, v7, vcc
	v_lshlrev_b32_e32 v1, 2, v1
	ds_bpermute_b32 v1, v1, v5
	s_waitcnt lgkmcnt(0)
	v_add_f32_e32 v5, v5, v1
	s_load_dwordx2 s[6:7], s[0:1], 0x40
	s_andn2_b64 vcc, exec, s[2:3]
	s_waitcnt lgkmcnt(0)
	v_cvt_f32_f64_e32 v8, s[6:7]
	s_cbranch_vccnz .LBB272_31
.LBB272_34:
	v_cmp_lt_f32_e32 vcc, 0, v5
	s_nop 1
	v_cndmask_b32_e32 v1, 1.0, v5, vcc
	v_div_scale_f32 v4, s[2:3], v1, v1, v8
	v_rcp_f32_e32 v5, v4
	s_nop 0
	v_fma_f32 v6, -v4, v5, 1.0
	v_fmac_f32_e32 v5, v6, v5
	v_div_scale_f32 v6, vcc, v8, v1, v8
	v_mul_f32_e32 v7, v6, v5
	v_fma_f32 v9, -v4, v7, v6
	v_fmac_f32_e32 v7, v9, v5
	v_fma_f32 v4, -v4, v7, v6
	v_div_fmas_f32 v4, v4, v5, v7
	v_div_fixup_f32 v8, v4, v1, v8
	s_andn2_b64 vcc, exec, s[4:5]
	s_cbranch_vccnz .LBB272_32
.LBB272_35:
	s_load_dwordx2 s[12:13], s[0:1], 0x10
	v_mov_b32_e32 v1, 0
	v_or_b32_e32 v20, 4, v1
	v_or_b32_e32 v18, 8, v1
	;; [unrolled: 1-line block ×3, first 2 shown]
	v_add_u32_e32 v14, 16, v1
	v_add_u32_e32 v12, 20, v1
	;; [unrolled: 1-line block ×4, first 2 shown]
	v_or_b32_e32 v23, 1, v10
	v_or_b32_e32 v22, 2, v10
	;; [unrolled: 1-line block ×7, first 2 shown]
	s_cmp_eq_u32 s33, 1
	s_mov_b32 s14, 0
	s_cbranch_scc1 .LBB272_70
; %bb.36:
	v_ashrrev_i32_e32 v1, 31, v0
	s_waitcnt lgkmcnt(0)
	v_lshl_add_u64 v[4:5], v[0:1], 2, s[12:13]
	s_and_b32 s14, s33, 0x7ffffffe
	v_lshl_add_u64 v[4:5], v[4:5], 0, 4
	v_lshl_add_u64 v[6:7], v[2:3], 0, 4
	s_mov_b32 s15, 0
	s_branch .LBB272_38
.LBB272_37:                             ;   in Loop: Header=BB272_38 Depth=1
	s_or_b64 exec, exec, s[0:1]
	s_add_i32 s15, s15, 2
	v_lshl_add_u64 v[4:5], v[4:5], 0, 8
	s_cmp_eq_u32 s14, s15
	v_lshl_add_u64 v[6:7], v[6:7], 0, 8
	s_cbranch_scc1 .LBB272_70
.LBB272_38:                             ; =>This Inner Loop Header: Depth=1
	global_load_dword v24, v[6:7], off offset:-4
	v_mov_b32_e32 v1, 0
	s_waitcnt vmcnt(0)
	v_cmp_eq_u32_e32 vcc, v24, v10
	v_cmp_ne_u32_e64 s[0:1], v24, v10
	s_and_saveexec_b64 s[16:17], s[0:1]
	s_cbranch_execz .LBB272_52
; %bb.39:                               ;   in Loop: Header=BB272_38 Depth=1
	v_cmp_eq_u32_e64 s[0:1], v24, v23
	v_cmp_ne_u32_e64 s[2:3], v24, v23
	v_mov_b32_e32 v1, v20
	s_and_saveexec_b64 s[18:19], s[2:3]
	s_cbranch_execz .LBB272_51
; %bb.40:                               ;   in Loop: Header=BB272_38 Depth=1
	v_cmp_eq_u32_e64 s[2:3], v24, v22
	v_cmp_ne_u32_e64 s[4:5], v24, v22
	v_mov_b32_e32 v1, v18
	s_and_saveexec_b64 s[20:21], s[4:5]
	s_cbranch_execz .LBB272_50
; %bb.41:                               ;   in Loop: Header=BB272_38 Depth=1
	v_cmp_eq_u32_e64 s[4:5], v24, v21
	v_cmp_ne_u32_e64 s[6:7], v24, v21
	v_mov_b32_e32 v1, v16
	s_and_saveexec_b64 s[22:23], s[6:7]
	s_cbranch_execz .LBB272_49
; %bb.42:                               ;   in Loop: Header=BB272_38 Depth=1
	v_cmp_eq_u32_e64 s[6:7], v24, v19
	v_cmp_ne_u32_e64 s[8:9], v24, v19
	v_mov_b32_e32 v1, v14
	s_and_saveexec_b64 s[24:25], s[8:9]
	s_cbranch_execz .LBB272_48
; %bb.43:                               ;   in Loop: Header=BB272_38 Depth=1
	v_cmp_eq_u32_e64 s[8:9], v24, v17
	v_cmp_ne_u32_e64 s[10:11], v24, v17
	v_mov_b32_e32 v1, v12
	s_and_saveexec_b64 s[26:27], s[10:11]
	s_cbranch_execz .LBB272_47
; %bb.44:                               ;   in Loop: Header=BB272_38 Depth=1
	v_cmp_eq_u32_e64 s[28:29], v24, v15
	v_cmp_ne_u32_e64 s[10:11], v24, v15
	v_mov_b32_e32 v1, v9
	s_and_saveexec_b64 s[30:31], s[10:11]
	s_xor_b64 s[30:31], exec, s[30:31]
; %bb.45:                               ;   in Loop: Header=BB272_38 Depth=1
	v_cmp_eq_u32_e64 s[10:11], v24, v13
	s_andn2_b64 s[28:29], s[28:29], exec
	s_and_b64 s[10:11], s[10:11], exec
	s_or_b64 s[28:29], s[28:29], s[10:11]
	v_mov_b32_e32 v1, v11
; %bb.46:                               ;   in Loop: Header=BB272_38 Depth=1
	s_or_b64 exec, exec, s[30:31]
	s_andn2_b64 s[8:9], s[8:9], exec
	s_and_b64 s[10:11], s[28:29], exec
	s_or_b64 s[8:9], s[8:9], s[10:11]
.LBB272_47:                             ;   in Loop: Header=BB272_38 Depth=1
	s_or_b64 exec, exec, s[26:27]
	s_andn2_b64 s[6:7], s[6:7], exec
	s_and_b64 s[8:9], s[8:9], exec
	s_or_b64 s[6:7], s[6:7], s[8:9]
.LBB272_48:                             ;   in Loop: Header=BB272_38 Depth=1
	s_or_b64 exec, exec, s[24:25]
	s_andn2_b64 s[4:5], s[4:5], exec
	s_and_b64 s[6:7], s[6:7], exec
	s_or_b64 s[4:5], s[4:5], s[6:7]
.LBB272_49:                             ;   in Loop: Header=BB272_38 Depth=1
	s_or_b64 exec, exec, s[22:23]
	s_andn2_b64 s[2:3], s[2:3], exec
	s_and_b64 s[4:5], s[4:5], exec
	s_or_b64 s[2:3], s[2:3], s[4:5]
.LBB272_50:                             ;   in Loop: Header=BB272_38 Depth=1
	s_or_b64 exec, exec, s[20:21]
	s_andn2_b64 s[0:1], s[0:1], exec
	s_and_b64 s[2:3], s[2:3], exec
	s_or_b64 s[0:1], s[0:1], s[2:3]
.LBB272_51:                             ;   in Loop: Header=BB272_38 Depth=1
	s_or_b64 exec, exec, s[18:19]
	s_andn2_b64 s[2:3], vcc, exec
	s_and_b64 s[0:1], s[0:1], exec
	s_or_b64 vcc, s[2:3], s[0:1]
.LBB272_52:                             ;   in Loop: Header=BB272_38 Depth=1
	s_or_b64 exec, exec, s[16:17]
	s_and_saveexec_b64 s[0:1], vcc
	s_cbranch_execz .LBB272_54
; %bb.53:                               ;   in Loop: Header=BB272_38 Depth=1
	scratch_load_dword v1, v1, off
	v_add_u32_e32 v24, s15, v0
	v_ashrrev_i32_e32 v25, 31, v24
	v_lshl_add_u64 v[24:25], v[24:25], 2, s[12:13]
	s_waitcnt vmcnt(0)
	v_mul_f32_e32 v1, v8, v1
	global_store_dword v[24:25], v1, off
.LBB272_54:                             ;   in Loop: Header=BB272_38 Depth=1
	s_or_b64 exec, exec, s[0:1]
	global_load_dword v24, v[6:7], off
	v_mov_b32_e32 v1, 0
	s_waitcnt vmcnt(0)
	v_cmp_eq_u32_e64 s[8:9], v24, v10
	v_cmp_ne_u32_e32 vcc, v24, v10
	s_and_saveexec_b64 s[10:11], vcc
	s_cbranch_execz .LBB272_68
; %bb.55:                               ;   in Loop: Header=BB272_38 Depth=1
	v_cmp_eq_u32_e32 vcc, v24, v23
	v_cmp_ne_u32_e64 s[0:1], v24, v23
	v_mov_b32_e32 v1, v20
	s_and_saveexec_b64 s[16:17], s[0:1]
	s_cbranch_execz .LBB272_67
; %bb.56:                               ;   in Loop: Header=BB272_38 Depth=1
	v_cmp_eq_u32_e64 s[0:1], v24, v22
	v_cmp_ne_u32_e64 s[2:3], v24, v22
	v_mov_b32_e32 v1, v18
	s_and_saveexec_b64 s[18:19], s[2:3]
	s_cbranch_execz .LBB272_66
; %bb.57:                               ;   in Loop: Header=BB272_38 Depth=1
	v_cmp_eq_u32_e64 s[2:3], v24, v21
	;; [unrolled: 6-line block ×5, first 2 shown]
	v_cmp_ne_u32_e64 s[6:7], v24, v15
	v_mov_b32_e32 v1, v9
	s_and_saveexec_b64 s[30:31], s[6:7]
; %bb.61:                               ;   in Loop: Header=BB272_38 Depth=1
	v_cmp_eq_u32_e64 s[6:7], v24, v13
	s_andn2_b64 s[28:29], s[28:29], exec
	s_and_b64 s[6:7], s[6:7], exec
	s_or_b64 s[28:29], s[28:29], s[6:7]
	v_mov_b32_e32 v1, v11
; %bb.62:                               ;   in Loop: Header=BB272_38 Depth=1
	s_or_b64 exec, exec, s[30:31]
	s_andn2_b64 s[6:7], s[24:25], exec
	s_and_b64 s[24:25], s[28:29], exec
	s_or_b64 s[24:25], s[6:7], s[24:25]
.LBB272_63:                             ;   in Loop: Header=BB272_38 Depth=1
	s_or_b64 exec, exec, s[26:27]
	s_andn2_b64 s[4:5], s[4:5], exec
	s_and_b64 s[6:7], s[24:25], exec
	s_or_b64 s[4:5], s[4:5], s[6:7]
.LBB272_64:                             ;   in Loop: Header=BB272_38 Depth=1
	s_or_b64 exec, exec, s[22:23]
	s_andn2_b64 s[2:3], s[2:3], exec
	s_and_b64 s[4:5], s[4:5], exec
	s_or_b64 s[2:3], s[2:3], s[4:5]
.LBB272_65:                             ;   in Loop: Header=BB272_38 Depth=1
	s_or_b64 exec, exec, s[20:21]
	s_andn2_b64 s[0:1], s[0:1], exec
	s_and_b64 s[2:3], s[2:3], exec
	s_or_b64 s[0:1], s[0:1], s[2:3]
.LBB272_66:                             ;   in Loop: Header=BB272_38 Depth=1
	s_or_b64 exec, exec, s[18:19]
	s_andn2_b64 s[2:3], vcc, exec
	s_and_b64 s[0:1], s[0:1], exec
	s_or_b64 vcc, s[2:3], s[0:1]
.LBB272_67:                             ;   in Loop: Header=BB272_38 Depth=1
	s_or_b64 exec, exec, s[16:17]
	s_andn2_b64 s[0:1], s[8:9], exec
	s_and_b64 s[2:3], vcc, exec
	s_or_b64 s[8:9], s[0:1], s[2:3]
.LBB272_68:                             ;   in Loop: Header=BB272_38 Depth=1
	s_or_b64 exec, exec, s[10:11]
	s_and_saveexec_b64 s[0:1], s[8:9]
	s_cbranch_execz .LBB272_37
; %bb.69:                               ;   in Loop: Header=BB272_38 Depth=1
	scratch_load_dword v1, v1, off
	s_waitcnt vmcnt(0)
	v_mul_f32_e32 v1, v8, v1
	global_store_dword v[4:5], v1, off
	s_branch .LBB272_37
.LBB272_70:
	s_bitcmp0_b32 s33, 0
	s_mov_b32 s15, 0
	s_cbranch_scc1 .LBB272_32
; %bb.71:
	v_lshl_add_u64 v[2:3], s[14:15], 2, v[2:3]
	global_load_dword v1, v[2:3], off
	v_mov_b32_e32 v2, 0
	s_waitcnt vmcnt(0)
	v_cmp_eq_u32_e64 s[8:9], v1, v10
	v_cmp_ne_u32_e32 vcc, v1, v10
	s_and_saveexec_b64 s[10:11], vcc
	s_cbranch_execz .LBB272_85
; %bb.72:
	v_cmp_eq_u32_e32 vcc, v1, v23
	v_cmp_ne_u32_e64 s[0:1], v1, v23
	s_and_saveexec_b64 s[16:17], s[0:1]
	s_cbranch_execz .LBB272_84
; %bb.73:
	v_cmp_eq_u32_e64 s[0:1], v1, v22
	v_cmp_ne_u32_e64 s[2:3], v1, v22
	s_and_saveexec_b64 s[18:19], s[2:3]
	s_cbranch_execz .LBB272_83
; %bb.74:
	v_cmp_eq_u32_e64 s[2:3], v1, v21
	;; [unrolled: 5-line block ×5, first 2 shown]
	v_cmp_ne_u32_e64 s[6:7], v1, v15
	s_and_saveexec_b64 s[30:31], s[6:7]
; %bb.78:
	v_cmp_eq_u32_e64 s[6:7], v1, v13
	s_andn2_b64 s[28:29], s[28:29], exec
	s_and_b64 s[6:7], s[6:7], exec
	s_or_b64 s[28:29], s[28:29], s[6:7]
	v_mov_b32_e32 v9, v11
; %bb.79:
	s_or_b64 exec, exec, s[30:31]
	s_andn2_b64 s[6:7], s[24:25], exec
	s_and_b64 s[24:25], s[28:29], exec
	s_or_b64 s[24:25], s[6:7], s[24:25]
	v_mov_b32_e32 v12, v9
.LBB272_80:
	s_or_b64 exec, exec, s[26:27]
	s_andn2_b64 s[4:5], s[4:5], exec
	s_and_b64 s[6:7], s[24:25], exec
	s_or_b64 s[4:5], s[4:5], s[6:7]
	v_mov_b32_e32 v14, v12
.LBB272_81:
	s_or_b64 exec, exec, s[22:23]
	s_andn2_b64 s[2:3], s[2:3], exec
	s_and_b64 s[4:5], s[4:5], exec
	s_or_b64 s[2:3], s[2:3], s[4:5]
	v_mov_b32_e32 v16, v14
.LBB272_82:
	s_or_b64 exec, exec, s[20:21]
	s_andn2_b64 s[0:1], s[0:1], exec
	s_and_b64 s[2:3], s[2:3], exec
	s_or_b64 s[0:1], s[0:1], s[2:3]
	v_mov_b32_e32 v18, v16
.LBB272_83:
	s_or_b64 exec, exec, s[18:19]
	s_andn2_b64 s[2:3], vcc, exec
	s_and_b64 s[0:1], s[0:1], exec
	s_or_b64 vcc, s[2:3], s[0:1]
	v_mov_b32_e32 v20, v18
.LBB272_84:
	s_or_b64 exec, exec, s[16:17]
	s_andn2_b64 s[0:1], s[8:9], exec
	s_and_b64 s[2:3], vcc, exec
	s_or_b64 s[8:9], s[0:1], s[2:3]
	v_mov_b32_e32 v2, v20
.LBB272_85:
	s_or_b64 exec, exec, s[10:11]
	s_and_b64 exec, exec, s[8:9]
	s_cbranch_execz .LBB272_32
; %bb.86:
	scratch_load_dword v2, v2, off
	v_add_u32_e32 v0, s14, v0
	v_ashrrev_i32_e32 v1, 31, v0
	s_waitcnt lgkmcnt(0)
	v_lshl_add_u64 v[0:1], v[0:1], 2, s[12:13]
	s_waitcnt vmcnt(0)
	v_mul_f32_e32 v2, v8, v2
	global_store_dword v[0:1], v2, off
	s_endpgm
	.section	.rodata,"a",@progbits
	.p2align	6, 0x0
	.amdhsa_kernel _ZN4vllm3moe22topkGatingSoftplusSqrtILi8ELi256ELi4ELi16ELi64ELb1Ej6__halfEEvPKT6_PKbPfiPT5_PiiiibdPKfPKS9_SF_
		.amdhsa_group_segment_fixed_size 0
		.amdhsa_private_segment_fixed_size 48
		.amdhsa_kernarg_size 96
		.amdhsa_user_sgpr_count 2
		.amdhsa_user_sgpr_dispatch_ptr 0
		.amdhsa_user_sgpr_queue_ptr 0
		.amdhsa_user_sgpr_kernarg_segment_ptr 1
		.amdhsa_user_sgpr_dispatch_id 0
		.amdhsa_user_sgpr_kernarg_preload_length 0
		.amdhsa_user_sgpr_kernarg_preload_offset 0
		.amdhsa_user_sgpr_private_segment_size 0
		.amdhsa_uses_dynamic_stack 0
		.amdhsa_enable_private_segment 1
		.amdhsa_system_sgpr_workgroup_id_x 1
		.amdhsa_system_sgpr_workgroup_id_y 0
		.amdhsa_system_sgpr_workgroup_id_z 0
		.amdhsa_system_sgpr_workgroup_info 0
		.amdhsa_system_vgpr_workitem_id 1
		.amdhsa_next_free_vgpr 27
		.amdhsa_next_free_sgpr 34
		.amdhsa_accum_offset 28
		.amdhsa_reserve_vcc 1
		.amdhsa_float_round_mode_32 0
		.amdhsa_float_round_mode_16_64 0
		.amdhsa_float_denorm_mode_32 3
		.amdhsa_float_denorm_mode_16_64 3
		.amdhsa_dx10_clamp 1
		.amdhsa_ieee_mode 1
		.amdhsa_fp16_overflow 0
		.amdhsa_tg_split 0
		.amdhsa_exception_fp_ieee_invalid_op 0
		.amdhsa_exception_fp_denorm_src 0
		.amdhsa_exception_fp_ieee_div_zero 0
		.amdhsa_exception_fp_ieee_overflow 0
		.amdhsa_exception_fp_ieee_underflow 0
		.amdhsa_exception_fp_ieee_inexact 0
		.amdhsa_exception_int_div_zero 0
	.end_amdhsa_kernel
	.section	.text._ZN4vllm3moe22topkGatingSoftplusSqrtILi8ELi256ELi4ELi16ELi64ELb1Ej6__halfEEvPKT6_PKbPfiPT5_PiiiibdPKfPKS9_SF_,"axG",@progbits,_ZN4vllm3moe22topkGatingSoftplusSqrtILi8ELi256ELi4ELi16ELi64ELb1Ej6__halfEEvPKT6_PKbPfiPT5_PiiiibdPKfPKS9_SF_,comdat
.Lfunc_end272:
	.size	_ZN4vllm3moe22topkGatingSoftplusSqrtILi8ELi256ELi4ELi16ELi64ELb1Ej6__halfEEvPKT6_PKbPfiPT5_PiiiibdPKfPKS9_SF_, .Lfunc_end272-_ZN4vllm3moe22topkGatingSoftplusSqrtILi8ELi256ELi4ELi16ELi64ELb1Ej6__halfEEvPKT6_PKbPfiPT5_PiiiibdPKfPKS9_SF_
                                        ; -- End function
	.section	.AMDGPU.csdata,"",@progbits
; Kernel info:
; codeLenInByte = 4600
; NumSgprs: 40
; NumVgprs: 27
; NumAgprs: 0
; TotalNumVgprs: 27
; ScratchSize: 48
; MemoryBound: 0
; FloatMode: 240
; IeeeMode: 1
; LDSByteSize: 0 bytes/workgroup (compile time only)
; SGPRBlocks: 4
; VGPRBlocks: 3
; NumSGPRsForWavesPerEU: 40
; NumVGPRsForWavesPerEU: 27
; AccumOffset: 28
; Occupancy: 8
; WaveLimiterHint : 1
; COMPUTE_PGM_RSRC2:SCRATCH_EN: 1
; COMPUTE_PGM_RSRC2:USER_SGPR: 2
; COMPUTE_PGM_RSRC2:TRAP_HANDLER: 0
; COMPUTE_PGM_RSRC2:TGID_X_EN: 1
; COMPUTE_PGM_RSRC2:TGID_Y_EN: 0
; COMPUTE_PGM_RSRC2:TGID_Z_EN: 0
; COMPUTE_PGM_RSRC2:TIDIG_COMP_CNT: 1
; COMPUTE_PGM_RSRC3_GFX90A:ACCUM_OFFSET: 6
; COMPUTE_PGM_RSRC3_GFX90A:TG_SPLIT: 0
	.section	.text._ZN4vllm3moe22topkGatingSoftplusSqrtILi8ELi256ELi4ELi16ELi64ELb0Ej6__halfEEvPKT6_PKbPfiPT5_PiiiibdPKfPKS9_SF_,"axG",@progbits,_ZN4vllm3moe22topkGatingSoftplusSqrtILi8ELi256ELi4ELi16ELi64ELb0Ej6__halfEEvPKT6_PKbPfiPT5_PiiiibdPKfPKS9_SF_,comdat
	.protected	_ZN4vllm3moe22topkGatingSoftplusSqrtILi8ELi256ELi4ELi16ELi64ELb0Ej6__halfEEvPKT6_PKbPfiPT5_PiiiibdPKfPKS9_SF_ ; -- Begin function _ZN4vllm3moe22topkGatingSoftplusSqrtILi8ELi256ELi4ELi16ELi64ELb0Ej6__halfEEvPKT6_PKbPfiPT5_PiiiibdPKfPKS9_SF_
	.globl	_ZN4vllm3moe22topkGatingSoftplusSqrtILi8ELi256ELi4ELi16ELi64ELb0Ej6__halfEEvPKT6_PKbPfiPT5_PiiiibdPKfPKS9_SF_
	.p2align	8
	.type	_ZN4vllm3moe22topkGatingSoftplusSqrtILi8ELi256ELi4ELi16ELi64ELb0Ej6__halfEEvPKT6_PKbPfiPT5_PiiiibdPKfPKS9_SF_,@function
_ZN4vllm3moe22topkGatingSoftplusSqrtILi8ELi256ELi4ELi16ELi64ELb0Ej6__halfEEvPKT6_PKbPfiPT5_PiiiibdPKfPKS9_SF_: ; @_ZN4vllm3moe22topkGatingSoftplusSqrtILi8ELi256ELi4ELi16ELi64ELb0Ej6__halfEEvPKT6_PKbPfiPT5_PiiiibdPKfPKS9_SF_
; %bb.0:
	s_load_dword s33, s[0:1], 0x18
	v_bfe_u32 v1, v0, 10, 10
	v_and_b32_e32 v0, 0x3ff, v0
	s_lshl_b32 s2, s2, 3
	v_lshlrev_b32_e32 v1, 1, v1
	v_lshrrev_b32_e32 v2, 5, v0
	v_add3_u32 v8, s2, v1, v2
	s_waitcnt lgkmcnt(0)
	v_cmp_gt_i32_e32 vcc, s33, v8
	s_and_saveexec_b64 s[2:3], vcc
	s_cbranch_execz .LBB273_65
; %bb.1:
	s_load_dwordx4 s[4:7], s[0:1], 0x0
	s_load_dwordx2 s[34:35], s[0:1], 0x10
	s_waitcnt lgkmcnt(0)
	s_cmp_eq_u64 s[6:7], 0
	s_cbranch_scc1 .LBB273_3
; %bb.2:
	v_ashrrev_i32_e32 v9, 31, v8
	v_lshl_add_u64 v[2:3], s[6:7], 0, v[8:9]
	global_load_ubyte v1, v[2:3], off
	s_waitcnt vmcnt(0)
	v_and_b32_e32 v1, 1, v1
	v_cmp_eq_u32_e32 vcc, 1, v1
	s_xor_b64 s[2:3], vcc, -1
	s_orn2_b64 s[36:37], s[2:3], exec
	s_branch .LBB273_4
.LBB273_3:
	s_mov_b64 s[36:37], -1
.LBB273_4:
	v_lshlrev_b32_e32 v4, 8, v8
	v_mov_b32_e32 v2, s4
	v_mov_b32_e32 v3, s5
	v_ashrrev_i32_e32 v5, 31, v4
	v_and_b32_e32 v9, 31, v0
	v_lshl_add_u64 v[2:3], v[4:5], 1, v[2:3]
	v_mov_b32_e32 v1, 0
	v_lshlrev_b32_e32 v0, 4, v9
	v_lshl_add_u64 v[0:1], v[2:3], 0, v[0:1]
	global_load_dwordx4 v[4:7], v[0:1], off
	s_mov_b32 s12, 0x800000
	v_mov_b32_e32 v2, 0x4f800000
	s_mov_b32 s9, 0x3f317217
	s_mov_b32 s10, 0x7f800000
	v_mov_b32_e32 v3, 0x41b17218
	s_movk_i32 s8, 0x4d00
	s_mov_b32 s11, 0xf800000
	s_load_dwordx4 s[20:23], s[0:1], 0x40
	v_lshlrev_b32_e32 v12, 3, v9
	s_waitcnt lgkmcnt(0)
	s_cmp_lg_u64 s[22:23], 0
	s_cselect_b64 s[6:7], -1, 0
	s_and_b64 s[2:3], exec, s[6:7]
	s_waitcnt vmcnt(0)
	v_cvt_f32_f16_e32 v0, v4
	v_mul_f32_e32 v1, 0x3fb8aa3b, v0
	v_exp_f32_e32 v10, v1
	v_mov_b32_e32 v1, 0x260
	v_add_f32_e32 v10, 1.0, v10
	v_cmp_gt_f32_e32 vcc, s12, v10
	s_nop 1
	v_cndmask_b32_e32 v11, 1.0, v2, vcc
	v_mul_f32_e32 v10, v10, v11
	v_log_f32_e32 v11, v10
	v_cndmask_b32_e32 v13, 0, v3, vcc
	v_lshlrev_b32_e32 v10, 2, v12
	v_mul_f32_e32 v14, 0x3f317217, v11
	v_fma_f32 v14, v11, s9, -v14
	v_fmac_f32_e32 v14, 0x3377d1cf, v11
	v_fmac_f32_e32 v14, 0x3f317217, v11
	v_cmp_lt_f32_e64 vcc, |v11|, s10
	s_nop 1
	v_cndmask_b32_e32 v11, v11, v14, vcc
	v_sub_f32_e32 v11, v11, v13
	v_cmp_lt_f16_e32 vcc, s8, v4
	s_nop 1
	v_cndmask_b32_e32 v0, v11, v0, vcc
	v_mul_f32_e32 v11, 0x4f800000, v0
	v_cmp_gt_f32_e32 vcc, s11, v0
	s_nop 1
	v_cndmask_b32_e32 v0, v0, v11, vcc
	v_sqrt_f32_e32 v11, v0
	s_nop 0
	v_add_u32_e32 v13, -1, v11
	v_add_u32_e32 v14, 1, v11
	v_fma_f32 v15, -v13, v11, v0
	v_fma_f32 v16, -v14, v11, v0
	v_cmp_ge_f32_e64 s[4:5], 0, v15
	s_nop 1
	v_cndmask_b32_e64 v11, v11, v13, s[4:5]
	v_cmp_lt_f32_e64 s[4:5], 0, v16
	s_nop 1
	v_cndmask_b32_e64 v11, v11, v14, s[4:5]
	v_mul_f32_e32 v13, 0x37800000, v11
	v_cndmask_b32_e32 v11, v11, v13, vcc
	v_cmp_class_f32_e32 vcc, v0, v1
	s_nop 1
	v_cndmask_b32_e32 v0, v11, v0, vcc
	s_mov_b64 vcc, s[2:3]
	s_cbranch_vccz .LBB273_6
; %bb.5:
	global_load_dword v11, v10, s[22:23]
	s_waitcnt vmcnt(0)
	v_add_f32_e32 v0, v0, v11
.LBB273_6:
	v_cvt_f32_f16_sdwa v11, v4 dst_sel:DWORD dst_unused:UNUSED_PAD src0_sel:WORD_1
	v_mul_f32_e32 v13, 0x3fb8aa3b, v11
	v_exp_f32_e32 v13, v13
	s_nop 0
	v_add_f32_e32 v13, 1.0, v13
	v_cmp_gt_f32_e32 vcc, s12, v13
	s_nop 1
	v_cndmask_b32_e32 v2, 1.0, v2, vcc
	v_mul_f32_e32 v2, v13, v2
	v_log_f32_e32 v2, v2
	v_cndmask_b32_e32 v3, 0, v3, vcc
	v_mul_f32_e32 v13, 0x3f317217, v2
	v_fma_f32 v13, v2, s9, -v13
	v_fmac_f32_e32 v13, 0x3377d1cf, v2
	v_fmac_f32_e32 v13, 0x3f317217, v2
	v_cmp_lt_f32_e64 vcc, |v2|, s10
	s_nop 1
	v_cndmask_b32_e32 v2, v2, v13, vcc
	v_sub_f32_e32 v2, v2, v3
	v_cmp_gt_f16_sdwa vcc, v4, s8 src0_sel:WORD_1 src1_sel:DWORD
	v_cndmask_b32_e64 v4, 0, 1, s[6:7]
	v_cmp_ne_u32_e64 s[2:3], 1, v4
	v_cndmask_b32_e32 v2, v2, v11, vcc
	v_mul_f32_e32 v3, 0x4f800000, v2
	v_cmp_gt_f32_e64 s[4:5], s11, v2
	s_andn2_b64 vcc, exec, s[6:7]
	s_nop 0
	v_cndmask_b32_e64 v2, v2, v3, s[4:5]
	v_sqrt_f32_e32 v3, v2
	s_nop 0
	v_add_u32_e32 v4, -1, v3
	v_add_u32_e32 v11, 1, v3
	v_fma_f32 v13, -v4, v3, v2
	v_fma_f32 v14, -v11, v3, v2
	v_cmp_ge_f32_e64 s[6:7], 0, v13
	s_nop 1
	v_cndmask_b32_e64 v3, v3, v4, s[6:7]
	v_cmp_lt_f32_e64 s[6:7], 0, v14
	s_nop 1
	v_cndmask_b32_e64 v3, v3, v11, s[6:7]
	v_mul_f32_e32 v4, 0x37800000, v3
	v_cndmask_b32_e64 v3, v3, v4, s[4:5]
	v_cmp_class_f32_e64 s[4:5], v2, v1
	s_nop 1
	v_cndmask_b32_e64 v1, v3, v2, s[4:5]
	s_cbranch_vccnz .LBB273_8
; %bb.7:
	global_load_dword v2, v10, s[22:23] offset:4
	s_waitcnt vmcnt(0)
	v_add_f32_e32 v1, v1, v2
.LBB273_8:
	v_cvt_f32_f16_e32 v2, v5
	s_mov_b32 s8, 0x800000
	v_mov_b32_e32 v4, 0x4f800000
	s_mov_b32 s7, 0x3f317217
	v_mul_f32_e32 v3, 0x3fb8aa3b, v2
	v_exp_f32_e32 v3, v3
	s_mov_b32 s9, 0x7f800000
	s_movk_i32 s6, 0x4d00
	s_mov_b32 s10, 0xf800000
	v_add_f32_e32 v3, 1.0, v3
	v_cmp_gt_f32_e32 vcc, s8, v3
	s_nop 1
	v_cndmask_b32_e32 v11, 1.0, v4, vcc
	v_mul_f32_e32 v3, v3, v11
	v_log_f32_e32 v3, v3
	v_mov_b32_e32 v11, 0x41b17218
	v_cndmask_b32_e32 v13, 0, v11, vcc
	v_mul_f32_e32 v14, 0x3f317217, v3
	v_fma_f32 v14, v3, s7, -v14
	v_fmac_f32_e32 v14, 0x3377d1cf, v3
	v_fmac_f32_e32 v14, 0x3f317217, v3
	v_cmp_lt_f32_e64 vcc, |v3|, s9
	s_nop 1
	v_cndmask_b32_e32 v3, v3, v14, vcc
	v_sub_f32_e32 v3, v3, v13
	v_cmp_lt_f16_e32 vcc, s6, v5
	s_nop 1
	v_cndmask_b32_e32 v2, v3, v2, vcc
	v_mul_f32_e32 v3, 0x4f800000, v2
	v_cmp_gt_f32_e32 vcc, s10, v2
	s_nop 1
	v_cndmask_b32_e32 v2, v2, v3, vcc
	v_sqrt_f32_e32 v3, v2
	s_nop 0
	v_add_u32_e32 v13, -1, v3
	v_fma_f32 v14, -v13, v3, v2
	v_cmp_ge_f32_e64 s[4:5], 0, v14
	v_add_u32_e32 v14, 1, v3
	s_nop 0
	v_cndmask_b32_e64 v13, v3, v13, s[4:5]
	v_fma_f32 v3, -v14, v3, v2
	v_cmp_lt_f32_e64 s[4:5], 0, v3
	s_nop 1
	v_cndmask_b32_e64 v3, v13, v14, s[4:5]
	v_mul_f32_e32 v13, 0x37800000, v3
	v_cndmask_b32_e32 v13, v3, v13, vcc
	v_mov_b32_e32 v3, 0x260
	v_cmp_class_f32_e64 s[4:5], v2, v3
	s_and_b64 vcc, exec, s[2:3]
	s_nop 0
	v_cndmask_b32_e64 v2, v13, v2, s[4:5]
	s_cbranch_vccnz .LBB273_10
; %bb.9:
	global_load_dword v13, v10, s[22:23] offset:8
	s_waitcnt vmcnt(0)
	v_add_f32_e32 v2, v2, v13
.LBB273_10:
	v_cvt_f32_f16_sdwa v13, v5 dst_sel:DWORD dst_unused:UNUSED_PAD src0_sel:WORD_1
	v_mul_f32_e32 v14, 0x3fb8aa3b, v13
	v_exp_f32_e32 v14, v14
	s_nop 0
	v_add_f32_e32 v14, 1.0, v14
	v_cmp_gt_f32_e32 vcc, s8, v14
	s_nop 1
	v_cndmask_b32_e32 v4, 1.0, v4, vcc
	v_mul_f32_e32 v4, v14, v4
	v_log_f32_e32 v4, v4
	v_cndmask_b32_e32 v11, 0, v11, vcc
	v_mul_f32_e32 v14, 0x3f317217, v4
	v_fma_f32 v14, v4, s7, -v14
	v_fmac_f32_e32 v14, 0x3377d1cf, v4
	v_fmac_f32_e32 v14, 0x3f317217, v4
	v_cmp_lt_f32_e64 vcc, |v4|, s9
	s_nop 1
	v_cndmask_b32_e32 v4, v4, v14, vcc
	v_sub_f32_e32 v4, v4, v11
	v_cmp_gt_f16_sdwa vcc, v5, s6 src0_sel:WORD_1 src1_sel:DWORD
	s_nop 1
	v_cndmask_b32_e32 v4, v4, v13, vcc
	v_mul_f32_e32 v5, 0x4f800000, v4
	v_cmp_gt_f32_e64 s[4:5], s10, v4
	s_and_b64 vcc, exec, s[2:3]
	s_nop 0
	v_cndmask_b32_e64 v4, v4, v5, s[4:5]
	v_sqrt_f32_e32 v5, v4
	s_nop 0
	v_add_u32_e32 v11, -1, v5
	v_add_u32_e32 v13, 1, v5
	v_fma_f32 v14, -v11, v5, v4
	v_fma_f32 v15, -v13, v5, v4
	v_cmp_ge_f32_e64 s[6:7], 0, v14
	s_nop 1
	v_cndmask_b32_e64 v5, v5, v11, s[6:7]
	v_cmp_lt_f32_e64 s[6:7], 0, v15
	s_nop 1
	v_cndmask_b32_e64 v5, v5, v13, s[6:7]
	v_mul_f32_e32 v11, 0x37800000, v5
	v_cndmask_b32_e64 v5, v5, v11, s[4:5]
	v_cmp_class_f32_e64 s[4:5], v4, v3
	s_nop 1
	v_cndmask_b32_e64 v3, v5, v4, s[4:5]
	s_cbranch_vccnz .LBB273_12
; %bb.11:
	global_load_dword v4, v10, s[22:23] offset:12
	s_waitcnt vmcnt(0)
	v_add_f32_e32 v3, v3, v4
.LBB273_12:
	v_cvt_f32_f16_e32 v4, v6
	v_mov_b32_e32 v11, 0x4f800000
	s_mov_b32 s7, 0x3f317217
	s_movk_i32 s6, 0x4d00
	v_mul_f32_e32 v5, 0x3fb8aa3b, v4
	v_exp_f32_e32 v5, v5
	s_nop 0
	v_add_f32_e32 v5, 1.0, v5
	v_cmp_gt_f32_e32 vcc, s8, v5
	s_nop 1
	v_cndmask_b32_e32 v13, 1.0, v11, vcc
	v_mul_f32_e32 v5, v5, v13
	v_log_f32_e32 v5, v5
	v_mov_b32_e32 v13, 0x41b17218
	v_cndmask_b32_e32 v14, 0, v13, vcc
	v_mul_f32_e32 v15, 0x3f317217, v5
	v_fma_f32 v15, v5, s7, -v15
	v_fmac_f32_e32 v15, 0x3377d1cf, v5
	v_fmac_f32_e32 v15, 0x3f317217, v5
	v_cmp_lt_f32_e64 vcc, |v5|, s9
	s_nop 1
	v_cndmask_b32_e32 v5, v5, v15, vcc
	v_sub_f32_e32 v5, v5, v14
	v_cmp_lt_f16_e32 vcc, s6, v6
	s_nop 1
	v_cndmask_b32_e32 v4, v5, v4, vcc
	v_mul_f32_e32 v5, 0x4f800000, v4
	v_cmp_gt_f32_e32 vcc, s10, v4
	s_nop 1
	v_cndmask_b32_e32 v4, v4, v5, vcc
	v_sqrt_f32_e32 v5, v4
	s_nop 0
	v_add_u32_e32 v14, -1, v5
	v_fma_f32 v15, -v14, v5, v4
	v_cmp_ge_f32_e64 s[4:5], 0, v15
	v_add_u32_e32 v15, 1, v5
	s_nop 0
	v_cndmask_b32_e64 v14, v5, v14, s[4:5]
	v_fma_f32 v5, -v15, v5, v4
	v_cmp_lt_f32_e64 s[4:5], 0, v5
	s_nop 1
	v_cndmask_b32_e64 v5, v14, v15, s[4:5]
	v_mul_f32_e32 v14, 0x37800000, v5
	v_cndmask_b32_e32 v14, v5, v14, vcc
	v_mov_b32_e32 v5, 0x260
	v_cmp_class_f32_e64 s[4:5], v4, v5
	s_and_b64 vcc, exec, s[2:3]
	s_nop 0
	v_cndmask_b32_e64 v4, v14, v4, s[4:5]
	s_cbranch_vccnz .LBB273_14
; %bb.13:
	global_load_dword v14, v10, s[22:23] offset:16
	s_waitcnt vmcnt(0)
	v_add_f32_e32 v4, v4, v14
.LBB273_14:
	v_cvt_f32_f16_sdwa v14, v6 dst_sel:DWORD dst_unused:UNUSED_PAD src0_sel:WORD_1
	v_mul_f32_e32 v15, 0x3fb8aa3b, v14
	v_exp_f32_e32 v15, v15
	s_nop 0
	v_add_f32_e32 v15, 1.0, v15
	v_cmp_gt_f32_e32 vcc, s8, v15
	s_nop 1
	v_cndmask_b32_e32 v11, 1.0, v11, vcc
	v_mul_f32_e32 v11, v15, v11
	v_log_f32_e32 v11, v11
	v_cndmask_b32_e32 v13, 0, v13, vcc
	v_mul_f32_e32 v15, 0x3f317217, v11
	v_fma_f32 v15, v11, s7, -v15
	v_fmac_f32_e32 v15, 0x3377d1cf, v11
	v_fmac_f32_e32 v15, 0x3f317217, v11
	v_cmp_lt_f32_e64 vcc, |v11|, s9
	s_nop 1
	v_cndmask_b32_e32 v11, v11, v15, vcc
	v_sub_f32_e32 v11, v11, v13
	v_cmp_gt_f16_sdwa vcc, v6, s6 src0_sel:WORD_1 src1_sel:DWORD
	s_nop 1
	v_cndmask_b32_e32 v6, v11, v14, vcc
	v_mul_f32_e32 v11, 0x4f800000, v6
	v_cmp_gt_f32_e64 s[4:5], s10, v6
	s_and_b64 vcc, exec, s[2:3]
	s_nop 0
	v_cndmask_b32_e64 v6, v6, v11, s[4:5]
	v_sqrt_f32_e32 v11, v6
	s_nop 0
	v_add_u32_e32 v13, -1, v11
	v_add_u32_e32 v14, 1, v11
	v_fma_f32 v15, -v13, v11, v6
	v_fma_f32 v16, -v14, v11, v6
	v_cmp_ge_f32_e64 s[6:7], 0, v15
	s_nop 1
	v_cndmask_b32_e64 v11, v11, v13, s[6:7]
	v_cmp_lt_f32_e64 s[6:7], 0, v16
	s_nop 1
	v_cndmask_b32_e64 v11, v11, v14, s[6:7]
	v_mul_f32_e32 v13, 0x37800000, v11
	v_cndmask_b32_e64 v11, v11, v13, s[4:5]
	v_cmp_class_f32_e64 s[4:5], v6, v5
	s_nop 1
	v_cndmask_b32_e64 v5, v11, v6, s[4:5]
	s_cbranch_vccnz .LBB273_16
; %bb.15:
	global_load_dword v6, v10, s[22:23] offset:20
	s_waitcnt vmcnt(0)
	v_add_f32_e32 v5, v5, v6
.LBB273_16:
	v_cvt_f32_f16_e32 v6, v7
	v_mov_b32_e32 v13, 0x4f800000
	s_mov_b32 s7, 0x3f317217
	s_movk_i32 s6, 0x4d00
	v_mul_f32_e32 v11, 0x3fb8aa3b, v6
	v_exp_f32_e32 v11, v11
	s_nop 0
	v_add_f32_e32 v11, 1.0, v11
	v_cmp_gt_f32_e32 vcc, s8, v11
	s_nop 1
	v_cndmask_b32_e32 v14, 1.0, v13, vcc
	v_mul_f32_e32 v11, v11, v14
	v_log_f32_e32 v11, v11
	v_mov_b32_e32 v14, 0x41b17218
	v_cndmask_b32_e32 v15, 0, v14, vcc
	v_mul_f32_e32 v16, 0x3f317217, v11
	v_fma_f32 v16, v11, s7, -v16
	v_fmac_f32_e32 v16, 0x3377d1cf, v11
	v_fmac_f32_e32 v16, 0x3f317217, v11
	v_cmp_lt_f32_e64 vcc, |v11|, s9
	s_nop 1
	v_cndmask_b32_e32 v11, v11, v16, vcc
	v_sub_f32_e32 v11, v11, v15
	v_cmp_lt_f16_e32 vcc, s6, v7
	s_nop 1
	v_cndmask_b32_e32 v6, v11, v6, vcc
	v_mul_f32_e32 v11, 0x4f800000, v6
	v_cmp_gt_f32_e32 vcc, s10, v6
	s_nop 1
	v_cndmask_b32_e32 v6, v6, v11, vcc
	v_sqrt_f32_e32 v11, v6
	s_nop 0
	v_add_u32_e32 v15, -1, v11
	v_fma_f32 v16, -v15, v11, v6
	v_cmp_ge_f32_e64 s[4:5], 0, v16
	v_add_u32_e32 v16, 1, v11
	s_nop 0
	v_cndmask_b32_e64 v15, v11, v15, s[4:5]
	v_fma_f32 v11, -v16, v11, v6
	v_cmp_lt_f32_e64 s[4:5], 0, v11
	s_nop 1
	v_cndmask_b32_e64 v11, v15, v16, s[4:5]
	v_mul_f32_e32 v15, 0x37800000, v11
	v_cndmask_b32_e32 v15, v11, v15, vcc
	v_mov_b32_e32 v11, 0x260
	v_cmp_class_f32_e64 s[4:5], v6, v11
	s_and_b64 vcc, exec, s[2:3]
	s_nop 0
	v_cndmask_b32_e64 v6, v15, v6, s[4:5]
	s_cbranch_vccnz .LBB273_18
; %bb.17:
	global_load_dword v15, v10, s[22:23] offset:24
	s_waitcnt vmcnt(0)
	v_add_f32_e32 v6, v6, v15
.LBB273_18:
	v_cvt_f32_f16_sdwa v15, v7 dst_sel:DWORD dst_unused:UNUSED_PAD src0_sel:WORD_1
	v_mul_f32_e32 v16, 0x3fb8aa3b, v15
	v_exp_f32_e32 v16, v16
	s_nop 0
	v_add_f32_e32 v16, 1.0, v16
	v_cmp_gt_f32_e32 vcc, s8, v16
	s_nop 1
	v_cndmask_b32_e32 v13, 1.0, v13, vcc
	v_mul_f32_e32 v13, v16, v13
	v_log_f32_e32 v13, v13
	v_cndmask_b32_e32 v14, 0, v14, vcc
	v_mul_f32_e32 v16, 0x3f317217, v13
	v_fma_f32 v16, v13, s7, -v16
	v_fmac_f32_e32 v16, 0x3377d1cf, v13
	v_fmac_f32_e32 v16, 0x3f317217, v13
	v_cmp_lt_f32_e64 vcc, |v13|, s9
	s_nop 1
	v_cndmask_b32_e32 v13, v13, v16, vcc
	v_sub_f32_e32 v13, v13, v14
	v_cmp_gt_f16_sdwa vcc, v7, s6 src0_sel:WORD_1 src1_sel:DWORD
	s_nop 1
	v_cndmask_b32_e32 v7, v13, v15, vcc
	v_mul_f32_e32 v13, 0x4f800000, v7
	v_cmp_gt_f32_e64 s[4:5], s10, v7
	s_and_b64 vcc, exec, s[2:3]
	s_nop 0
	v_cndmask_b32_e64 v7, v7, v13, s[4:5]
	v_sqrt_f32_e32 v13, v7
	s_nop 0
	v_add_u32_e32 v14, -1, v13
	v_add_u32_e32 v15, 1, v13
	v_fma_f32 v16, -v14, v13, v7
	v_fma_f32 v17, -v15, v13, v7
	v_cmp_ge_f32_e64 s[6:7], 0, v16
	s_nop 1
	v_cndmask_b32_e64 v13, v13, v14, s[6:7]
	v_cmp_lt_f32_e64 s[6:7], 0, v17
	s_nop 1
	v_cndmask_b32_e64 v13, v13, v15, s[6:7]
	v_mul_f32_e32 v14, 0x37800000, v13
	v_cndmask_b32_e64 v13, v13, v14, s[4:5]
	v_cmp_class_f32_e64 s[4:5], v7, v11
	s_nop 1
	v_cndmask_b32_e64 v7, v13, v7, s[4:5]
	s_cbranch_vccnz .LBB273_20
; %bb.19:
	global_load_dword v10, v10, s[22:23] offset:28
	s_waitcnt vmcnt(0)
	v_add_f32_e32 v7, v7, v10
.LBB273_20:
	s_load_dwordx4 s[24:27], s[0:1], 0x30
	s_mov_b32 s42, 0
	v_cmp_eq_u32_e64 s[6:7], 0, v9
	s_waitcnt lgkmcnt(0)
	s_bitcmp1_b32 s27, 0
	s_cselect_b64 s[4:5], -1, 0
	s_cmp_gt_i32 s24, 0
	s_cselect_b64 s[38:39], -1, 0
	s_and_b64 vcc, exec, s[38:39]
	s_cbranch_vccz .LBB273_51
; %bb.21:
	v_mbcnt_lo_u32_b32 v10, -1, 0
	v_mbcnt_hi_u32_b32 v10, -1, v10
	v_and_b32_e32 v11, 0x60, v10
	v_add_u32_e32 v11, 32, v11
	v_xor_b32_e32 v13, 16, v10
	v_cmp_lt_i32_e32 vcc, v13, v11
	s_load_dwordx4 s[28:31], s[0:1], 0x20
	v_mul_lo_u32 v14, v8, s24
	v_cndmask_b32_e32 v13, v10, v13, vcc
	v_lshlrev_b32_e32 v15, 2, v13
	v_xor_b32_e32 v13, 8, v10
	v_cmp_lt_i32_e32 vcc, v13, v11
	v_mov_b32_e32 v20, 0x100
	v_mov_b32_e32 v21, 0xc61c4000
	v_cndmask_b32_e32 v13, v10, v13, vcc
	v_lshlrev_b32_e32 v16, 2, v13
	v_xor_b32_e32 v13, 4, v10
	v_cmp_lt_i32_e32 vcc, v13, v11
	v_mov_b32_e32 v22, v8
	s_nop 0
	v_cndmask_b32_e32 v13, v10, v13, vcc
	v_lshlrev_b32_e32 v17, 2, v13
	v_xor_b32_e32 v13, 2, v10
	v_cmp_lt_i32_e32 vcc, v13, v11
	s_nop 1
	v_cndmask_b32_e32 v13, v10, v13, vcc
	v_lshlrev_b32_e32 v18, 2, v13
	v_xor_b32_e32 v13, 1, v10
	v_cmp_lt_i32_e32 vcc, v13, v11
	s_nop 1
	v_cndmask_b32_e32 v10, v10, v13, vcc
	v_lshlrev_b32_e32 v19, 2, v10
	v_mov_b32_e32 v13, 0
	s_branch .LBB273_24
.LBB273_22:                             ;   in Loop: Header=BB273_24 Depth=1
	s_or_b64 exec, exec, s[40:41]
.LBB273_23:                             ;   in Loop: Header=BB273_24 Depth=1
	s_cmp_eq_u32 s24, s42
	v_add_u32_e32 v22, s33, v22
	s_cbranch_scc1 .LBB273_52
.LBB273_24:                             ; =>This Inner Loop Header: Depth=1
	v_cmp_gt_f32_e32 vcc, v1, v0
	s_nop 1
	v_cndmask_b32_e32 v11, v0, v1, vcc
	v_cndmask_b32_e64 v10, 0, 1, vcc
	v_cmp_gt_f32_e32 vcc, v2, v11
	s_nop 1
	v_cndmask_b32_e32 v11, v11, v2, vcc
	v_cndmask_b32_e64 v10, v10, 2, vcc
	;; [unrolled: 4-line block ×6, first 2 shown]
	v_cmp_gt_f32_e32 vcc, v7, v11
	s_nop 1
	v_cndmask_b32_e64 v10, v10, 7, vcc
	v_cndmask_b32_e32 v23, v11, v7, vcc
	ds_bpermute_b32 v11, v15, v23
	v_or_b32_e32 v10, v12, v10
	s_waitcnt lgkmcnt(0)
	ds_bpermute_b32 v24, v15, v10
	s_waitcnt lgkmcnt(0)
	v_cmp_lt_f32_e64 s[8:9], v23, v11
	v_cmp_nlt_f32_e32 vcc, v23, v11
	s_and_saveexec_b64 s[10:11], vcc
; %bb.25:                               ;   in Loop: Header=BB273_24 Depth=1
	v_cmp_eq_f32_e32 vcc, v23, v11
	v_cmp_lt_i32_e64 s[0:1], v24, v10
	s_and_b64 s[0:1], vcc, s[0:1]
	s_andn2_b64 s[8:9], s[8:9], exec
	s_and_b64 s[0:1], s[0:1], exec
	s_or_b64 s[8:9], s[8:9], s[0:1]
; %bb.26:                               ;   in Loop: Header=BB273_24 Depth=1
	s_or_b64 exec, exec, s[10:11]
	s_and_saveexec_b64 s[0:1], s[8:9]
; %bb.27:                               ;   in Loop: Header=BB273_24 Depth=1
	v_mov_b32_e32 v23, v11
	v_mov_b32_e32 v10, v24
; %bb.28:                               ;   in Loop: Header=BB273_24 Depth=1
	s_or_b64 exec, exec, s[0:1]
	ds_bpermute_b32 v11, v16, v23
	ds_bpermute_b32 v24, v16, v10
	s_waitcnt lgkmcnt(1)
	v_cmp_lt_f32_e64 s[8:9], v23, v11
	v_cmp_nlt_f32_e32 vcc, v23, v11
	s_and_saveexec_b64 s[10:11], vcc
	s_cbranch_execz .LBB273_30
; %bb.29:                               ;   in Loop: Header=BB273_24 Depth=1
	v_cmp_eq_f32_e32 vcc, v23, v11
	s_waitcnt lgkmcnt(0)
	v_cmp_lt_i32_e64 s[0:1], v24, v10
	s_and_b64 s[0:1], vcc, s[0:1]
	s_andn2_b64 s[8:9], s[8:9], exec
	s_and_b64 s[0:1], s[0:1], exec
	s_or_b64 s[8:9], s[8:9], s[0:1]
.LBB273_30:                             ;   in Loop: Header=BB273_24 Depth=1
	s_or_b64 exec, exec, s[10:11]
	s_and_saveexec_b64 s[0:1], s[8:9]
	s_cbranch_execz .LBB273_32
; %bb.31:                               ;   in Loop: Header=BB273_24 Depth=1
	v_mov_b32_e32 v23, v11
	s_waitcnt lgkmcnt(0)
	v_mov_b32_e32 v10, v24
.LBB273_32:                             ;   in Loop: Header=BB273_24 Depth=1
	s_or_b64 exec, exec, s[0:1]
	ds_bpermute_b32 v11, v17, v23
	s_waitcnt lgkmcnt(1)
	ds_bpermute_b32 v24, v17, v10
	s_waitcnt lgkmcnt(1)
	v_cmp_lt_f32_e64 s[8:9], v23, v11
	v_cmp_nlt_f32_e32 vcc, v23, v11
	s_and_saveexec_b64 s[10:11], vcc
	s_cbranch_execz .LBB273_34
; %bb.33:                               ;   in Loop: Header=BB273_24 Depth=1
	v_cmp_eq_f32_e32 vcc, v23, v11
	s_waitcnt lgkmcnt(0)
	v_cmp_lt_i32_e64 s[0:1], v24, v10
	s_and_b64 s[0:1], vcc, s[0:1]
	s_andn2_b64 s[8:9], s[8:9], exec
	s_and_b64 s[0:1], s[0:1], exec
	s_or_b64 s[8:9], s[8:9], s[0:1]
.LBB273_34:                             ;   in Loop: Header=BB273_24 Depth=1
	s_or_b64 exec, exec, s[10:11]
	s_and_saveexec_b64 s[0:1], s[8:9]
	s_cbranch_execz .LBB273_36
; %bb.35:                               ;   in Loop: Header=BB273_24 Depth=1
	v_mov_b32_e32 v23, v11
	s_waitcnt lgkmcnt(0)
	v_mov_b32_e32 v10, v24
.LBB273_36:                             ;   in Loop: Header=BB273_24 Depth=1
	s_or_b64 exec, exec, s[0:1]
	ds_bpermute_b32 v11, v18, v23
	s_waitcnt lgkmcnt(1)
	;; [unrolled: 26-line block ×3, first 2 shown]
	ds_bpermute_b32 v24, v19, v10
	s_waitcnt lgkmcnt(1)
	v_cmp_lt_f32_e64 s[8:9], v23, v11
	v_cmp_nlt_f32_e32 vcc, v23, v11
	s_and_saveexec_b64 s[10:11], vcc
	s_cbranch_execnz .LBB273_44
; %bb.41:                               ;   in Loop: Header=BB273_24 Depth=1
	s_or_b64 exec, exec, s[10:11]
	s_and_saveexec_b64 s[0:1], s[8:9]
	s_cbranch_execnz .LBB273_45
.LBB273_42:                             ;   in Loop: Header=BB273_24 Depth=1
	s_or_b64 exec, exec, s[0:1]
	s_and_saveexec_b64 s[8:9], s[6:7]
	s_cbranch_execnz .LBB273_46
.LBB273_43:                             ;   in Loop: Header=BB273_24 Depth=1
	s_or_b64 exec, exec, s[8:9]
	s_add_i32 s42, s42, 1
	s_cmp_ge_i32 s42, s24
	s_cbranch_scc1 .LBB273_23
	s_branch .LBB273_49
.LBB273_44:                             ;   in Loop: Header=BB273_24 Depth=1
	v_cmp_eq_f32_e32 vcc, v23, v11
	s_waitcnt lgkmcnt(0)
	v_cmp_lt_i32_e64 s[0:1], v24, v10
	s_and_b64 s[0:1], vcc, s[0:1]
	s_andn2_b64 s[8:9], s[8:9], exec
	s_and_b64 s[0:1], s[0:1], exec
	s_or_b64 s[8:9], s[8:9], s[0:1]
	s_or_b64 exec, exec, s[10:11]
	s_and_saveexec_b64 s[0:1], s[8:9]
	s_cbranch_execz .LBB273_42
.LBB273_45:                             ;   in Loop: Header=BB273_24 Depth=1
	s_waitcnt lgkmcnt(0)
	v_mov_b32_e32 v10, v24
	v_mov_b32_e32 v23, v11
	s_or_b64 exec, exec, s[0:1]
	s_and_saveexec_b64 s[8:9], s[6:7]
	s_cbranch_execz .LBB273_43
.LBB273_46:                             ;   in Loop: Header=BB273_24 Depth=1
	s_and_b64 vcc, exec, s[2:3]
	s_cbranch_vccnz .LBB273_48
; %bb.47:                               ;   in Loop: Header=BB273_24 Depth=1
	v_ashrrev_i32_e32 v11, 31, v10
	s_waitcnt lgkmcnt(0)
	v_lshl_add_u64 v[24:25], v[10:11], 2, s[22:23]
	global_load_dword v11, v[24:25], off
	s_waitcnt vmcnt(0)
	v_sub_f32_e32 v23, v23, v11
.LBB273_48:                             ;   in Loop: Header=BB273_24 Depth=1
	s_waitcnt lgkmcnt(0)
	v_add_u32_e32 v24, s42, v14
	v_cmp_le_i32_e32 vcc, s25, v10
	v_cmp_gt_i32_e64 s[0:1], s26, v10
	v_ashrrev_i32_e32 v25, 31, v24
	s_and_b64 s[0:1], vcc, s[0:1]
	v_lshlrev_b64 v[24:25], 2, v[24:25]
	v_lshl_add_u64 v[26:27], s[34:35], 0, v[24:25]
	v_subrev_u32_e32 v11, s25, v10
	s_and_b64 vcc, s[36:37], s[0:1]
	global_store_dword v[26:27], v23, off
	v_cndmask_b32_e32 v11, v20, v11, vcc
	v_lshl_add_u64 v[26:27], s[28:29], 0, v[24:25]
	global_store_dword v[26:27], v11, off
	v_add_f32_e32 v11, v13, v23
	v_lshl_add_u64 v[24:25], s[30:31], 0, v[24:25]
	v_cndmask_b32_e64 v13, v13, v11, s[4:5]
	global_store_dword v[24:25], v22, off
	s_or_b64 exec, exec, s[8:9]
	s_add_i32 s42, s42, 1
	s_cmp_ge_i32 s42, s24
	s_cbranch_scc1 .LBB273_23
.LBB273_49:                             ;   in Loop: Header=BB273_24 Depth=1
	v_ashrrev_i32_e32 v11, 31, v10
	v_lshrrev_b32_e32 v23, 29, v11
	s_waitcnt lgkmcnt(0)
	v_add_u32_e32 v24, v10, v23
	v_ashrrev_i32_e32 v23, 3, v24
	v_ashrrev_i32_e32 v24, 31, v24
	v_lshrrev_b32_e32 v24, 27, v24
	v_add_u32_e32 v24, v23, v24
	v_and_b32_e32 v24, 0xffffffe0, v24
	v_sub_u32_e32 v24, v23, v24
	v_cmp_eq_u32_e32 vcc, v9, v24
	s_and_saveexec_b64 s[40:41], vcc
	s_cbranch_execz .LBB273_22
; %bb.50:                               ;   in Loop: Header=BB273_24 Depth=1
	v_add_u32_sdwa v11, v10, v11 dst_sel:DWORD dst_unused:UNUSED_PAD src0_sel:DWORD src1_sel:BYTE_3
	v_lshlrev_b32_e32 v23, 3, v23
	v_sub_u32_e32 v10, v10, v23
	v_ashrrev_i32_e32 v11, 8, v11
	v_lshl_add_u32 v10, v11, 3, v10
	v_cmp_ne_u32_e32 vcc, 6, v10
	v_cmp_ne_u32_e64 s[0:1], 5, v10
	v_cmp_ne_u32_e64 s[8:9], 4, v10
	;; [unrolled: 1-line block ×7, first 2 shown]
	v_cndmask_b32_e32 v6, v21, v6, vcc
	v_cndmask_b32_e64 v5, v21, v5, s[0:1]
	v_cndmask_b32_e64 v7, v21, v7, s[18:19]
	;; [unrolled: 1-line block ×7, first 2 shown]
	s_branch .LBB273_22
.LBB273_51:
	v_mov_b32_e32 v13, 0
.LBB273_52:
	v_cmp_eq_u32_e32 vcc, 0, v9
	s_and_b64 exec, exec, vcc
	s_cbranch_execz .LBB273_65
; %bb.53:
	s_andn2_b64 vcc, exec, s[4:5]
	v_cvt_f32_f64_e32 v0, s[20:21]
	s_cbranch_vccnz .LBB273_55
; %bb.54:
	v_cmp_lt_f32_e32 vcc, 0, v13
	s_nop 1
	v_cndmask_b32_e32 v1, 1.0, v13, vcc
	v_div_scale_f32 v2, s[0:1], v1, v1, v0
	v_rcp_f32_e32 v3, v2
	s_nop 0
	v_fma_f32 v4, -v2, v3, 1.0
	v_fmac_f32_e32 v3, v4, v3
	v_div_scale_f32 v4, vcc, v0, v1, v0
	v_mul_f32_e32 v5, v4, v3
	v_fma_f32 v6, -v2, v5, v4
	v_fmac_f32_e32 v5, v6, v3
	v_fma_f32 v2, -v2, v5, v4
	v_div_fmas_f32 v2, v2, v3, v5
	v_div_fixup_f32 v0, v2, v1, v0
.LBB273_55:
	s_andn2_b64 vcc, exec, s[38:39]
	s_cbranch_vccnz .LBB273_65
; %bb.56:
	v_mul_lo_u32 v2, v8, s24
	s_cmp_gt_u32 s24, 3
	v_ashrrev_i32_e32 v3, 31, v2
	s_cbranch_scc0 .LBB273_60
; %bb.57:
	s_and_b32 s0, s24, 0x7ffffffc
	v_lshl_add_u64 v[4:5], v[2:3], 2, s[34:35]
	v_mov_b32_e32 v1, v0
	v_lshl_add_u64 v[4:5], v[4:5], 0, 8
	s_mov_b32 s1, s0
.LBB273_58:                             ; =>This Inner Loop Header: Depth=1
	global_load_dwordx4 v[6:9], v[4:5], off offset:-8
	s_add_i32 s1, s1, -4
	s_cmp_lg_u32 s1, 0
	s_waitcnt vmcnt(0)
	v_pk_mul_f32 v[6:7], v[0:1], v[6:7]
	v_pk_mul_f32 v[8:9], v[0:1], v[8:9]
	global_store_dwordx4 v[4:5], v[6:9], off offset:-8
	v_lshl_add_u64 v[4:5], v[4:5], 0, 16
	s_cbranch_scc1 .LBB273_58
; %bb.59:
	s_cmp_lg_u32 s0, s24
	s_cselect_b64 s[2:3], -1, 0
	s_branch .LBB273_62
.LBB273_60:
	s_mov_b64 s[2:3], 0
                                        ; implicit-def: $sgpr0
	s_cbranch_execz .LBB273_62
; %bb.61:
	s_mov_b64 s[2:3], -1
	s_mov_b32 s0, 0
.LBB273_62:
	s_andn2_b64 vcc, exec, s[2:3]
	s_cbranch_vccnz .LBB273_65
; %bb.63:
	s_mov_b32 s1, 0
	v_lshl_add_u64 v[2:3], v[2:3], 0, s[0:1]
	s_sub_i32 s2, s24, s0
	v_lshl_add_u64 v[2:3], v[2:3], 2, s[34:35]
.LBB273_64:                             ; =>This Inner Loop Header: Depth=1
	global_load_dword v1, v[2:3], off
	s_add_i32 s2, s2, -1
	s_cmp_lg_u32 s2, 0
	s_waitcnt vmcnt(0)
	v_mul_f32_e32 v1, v0, v1
	global_store_dword v[2:3], v1, off
	v_lshl_add_u64 v[2:3], v[2:3], 0, 4
	s_cbranch_scc1 .LBB273_64
.LBB273_65:
	s_endpgm
	.section	.rodata,"a",@progbits
	.p2align	6, 0x0
	.amdhsa_kernel _ZN4vllm3moe22topkGatingSoftplusSqrtILi8ELi256ELi4ELi16ELi64ELb0Ej6__halfEEvPKT6_PKbPfiPT5_PiiiibdPKfPKS9_SF_
		.amdhsa_group_segment_fixed_size 0
		.amdhsa_private_segment_fixed_size 0
		.amdhsa_kernarg_size 96
		.amdhsa_user_sgpr_count 2
		.amdhsa_user_sgpr_dispatch_ptr 0
		.amdhsa_user_sgpr_queue_ptr 0
		.amdhsa_user_sgpr_kernarg_segment_ptr 1
		.amdhsa_user_sgpr_dispatch_id 0
		.amdhsa_user_sgpr_kernarg_preload_length 0
		.amdhsa_user_sgpr_kernarg_preload_offset 0
		.amdhsa_user_sgpr_private_segment_size 0
		.amdhsa_uses_dynamic_stack 0
		.amdhsa_enable_private_segment 0
		.amdhsa_system_sgpr_workgroup_id_x 1
		.amdhsa_system_sgpr_workgroup_id_y 0
		.amdhsa_system_sgpr_workgroup_id_z 0
		.amdhsa_system_sgpr_workgroup_info 0
		.amdhsa_system_vgpr_workitem_id 1
		.amdhsa_next_free_vgpr 28
		.amdhsa_next_free_sgpr 43
		.amdhsa_accum_offset 28
		.amdhsa_reserve_vcc 1
		.amdhsa_float_round_mode_32 0
		.amdhsa_float_round_mode_16_64 0
		.amdhsa_float_denorm_mode_32 3
		.amdhsa_float_denorm_mode_16_64 3
		.amdhsa_dx10_clamp 1
		.amdhsa_ieee_mode 1
		.amdhsa_fp16_overflow 0
		.amdhsa_tg_split 0
		.amdhsa_exception_fp_ieee_invalid_op 0
		.amdhsa_exception_fp_denorm_src 0
		.amdhsa_exception_fp_ieee_div_zero 0
		.amdhsa_exception_fp_ieee_overflow 0
		.amdhsa_exception_fp_ieee_underflow 0
		.amdhsa_exception_fp_ieee_inexact 0
		.amdhsa_exception_int_div_zero 0
	.end_amdhsa_kernel
	.section	.text._ZN4vllm3moe22topkGatingSoftplusSqrtILi8ELi256ELi4ELi16ELi64ELb0Ej6__halfEEvPKT6_PKbPfiPT5_PiiiibdPKfPKS9_SF_,"axG",@progbits,_ZN4vllm3moe22topkGatingSoftplusSqrtILi8ELi256ELi4ELi16ELi64ELb0Ej6__halfEEvPKT6_PKbPfiPT5_PiiiibdPKfPKS9_SF_,comdat
.Lfunc_end273:
	.size	_ZN4vllm3moe22topkGatingSoftplusSqrtILi8ELi256ELi4ELi16ELi64ELb0Ej6__halfEEvPKT6_PKbPfiPT5_PiiiibdPKfPKS9_SF_, .Lfunc_end273-_ZN4vllm3moe22topkGatingSoftplusSqrtILi8ELi256ELi4ELi16ELi64ELb0Ej6__halfEEvPKT6_PKbPfiPT5_PiiiibdPKfPKS9_SF_
                                        ; -- End function
	.section	.AMDGPU.csdata,"",@progbits
; Kernel info:
; codeLenInByte = 4208
; NumSgprs: 49
; NumVgprs: 28
; NumAgprs: 0
; TotalNumVgprs: 28
; ScratchSize: 0
; MemoryBound: 0
; FloatMode: 240
; IeeeMode: 1
; LDSByteSize: 0 bytes/workgroup (compile time only)
; SGPRBlocks: 6
; VGPRBlocks: 3
; NumSGPRsForWavesPerEU: 49
; NumVGPRsForWavesPerEU: 28
; AccumOffset: 28
; Occupancy: 8
; WaveLimiterHint : 0
; COMPUTE_PGM_RSRC2:SCRATCH_EN: 0
; COMPUTE_PGM_RSRC2:USER_SGPR: 2
; COMPUTE_PGM_RSRC2:TRAP_HANDLER: 0
; COMPUTE_PGM_RSRC2:TGID_X_EN: 1
; COMPUTE_PGM_RSRC2:TGID_Y_EN: 0
; COMPUTE_PGM_RSRC2:TGID_Z_EN: 0
; COMPUTE_PGM_RSRC2:TIDIG_COMP_CNT: 1
; COMPUTE_PGM_RSRC3_GFX90A:ACCUM_OFFSET: 6
; COMPUTE_PGM_RSRC3_GFX90A:TG_SPLIT: 0
	.section	.text._ZN4vllm3moe22topkGatingSoftplusSqrtILi8ELi256ELi4ELi16ELi32ELb1Ej6__halfEEvPKT6_PKbPfiPT5_PiiiibdPKfPKS9_SF_,"axG",@progbits,_ZN4vllm3moe22topkGatingSoftplusSqrtILi8ELi256ELi4ELi16ELi32ELb1Ej6__halfEEvPKT6_PKbPfiPT5_PiiiibdPKfPKS9_SF_,comdat
	.protected	_ZN4vllm3moe22topkGatingSoftplusSqrtILi8ELi256ELi4ELi16ELi32ELb1Ej6__halfEEvPKT6_PKbPfiPT5_PiiiibdPKfPKS9_SF_ ; -- Begin function _ZN4vllm3moe22topkGatingSoftplusSqrtILi8ELi256ELi4ELi16ELi32ELb1Ej6__halfEEvPKT6_PKbPfiPT5_PiiiibdPKfPKS9_SF_
	.globl	_ZN4vllm3moe22topkGatingSoftplusSqrtILi8ELi256ELi4ELi16ELi32ELb1Ej6__halfEEvPKT6_PKbPfiPT5_PiiiibdPKfPKS9_SF_
	.p2align	8
	.type	_ZN4vllm3moe22topkGatingSoftplusSqrtILi8ELi256ELi4ELi16ELi32ELb1Ej6__halfEEvPKT6_PKbPfiPT5_PiiiibdPKfPKS9_SF_,@function
_ZN4vllm3moe22topkGatingSoftplusSqrtILi8ELi256ELi4ELi16ELi32ELb1Ej6__halfEEvPKT6_PKbPfiPT5_PiiiibdPKfPKS9_SF_: ; @_ZN4vllm3moe22topkGatingSoftplusSqrtILi8ELi256ELi4ELi16ELi32ELb1Ej6__halfEEvPKT6_PKbPfiPT5_PiiiibdPKfPKS9_SF_
; %bb.0:
	s_load_dword s3, s[0:1], 0x18
	v_and_b32_e32 v8, 0x3ff, v0
	s_lshl_b32 s2, s2, 2
	v_lshrrev_b32_e32 v1, 5, v8
	v_bfe_u32 v0, v0, 10, 10
	v_add3_u32 v6, s2, v0, v1
	s_waitcnt lgkmcnt(0)
	v_cmp_gt_i32_e32 vcc, s3, v6
	s_and_saveexec_b64 s[2:3], vcc
	s_cbranch_execz .LBB274_32
; %bb.1:
	s_load_dwordx2 s[2:3], s[0:1], 0x0
	s_load_dword s33, s[0:1], 0x30
	v_lshlrev_b32_e32 v0, 8, v6
	v_lshlrev_b32_e32 v2, 3, v8
	v_ashrrev_i32_e32 v1, 31, v0
	v_and_b32_e32 v10, 0xf8, v2
	s_waitcnt lgkmcnt(0)
	v_lshl_add_u64 v[0:1], v[0:1], 1, s[2:3]
	v_lshlrev_b32_e32 v4, 1, v10
	v_mov_b32_e32 v5, 0
	v_lshl_add_u64 v[0:1], v[0:1], 0, v[4:5]
	global_load_dwordx4 v[0:3], v[0:1], off
	s_load_dwordx4 s[8:11], s[0:1], 0x50
	v_ashrrev_i32_e32 v7, 31, v6
	s_mov_b32 s15, 0x800000
	s_mov_b32 s13, 0x3f317217
	;; [unrolled: 1-line block ×3, first 2 shown]
	s_waitcnt lgkmcnt(0)
	v_mov_b32_e32 v12, s8
	v_mov_b32_e32 v13, s9
	v_lshl_add_u64 v[12:13], v[6:7], 2, v[12:13]
	global_load_dword v4, v[12:13], off
	v_mov_b32_e32 v7, 0x4f800000
	v_mov_b32_e32 v9, 0x41b17218
	s_movk_i32 s9, 0x4d00
	s_mov_b32 s12, 0xf800000
	v_mov_b32_e32 v19, 0x260
	s_cmp_gt_i32 s33, 0
	s_mov_b32 s8, 0
	s_waitcnt vmcnt(1)
	v_cvt_f32_f16_e32 v11, v0
	v_cvt_f32_f16_sdwa v16, v0 dst_sel:DWORD dst_unused:UNUSED_PAD src0_sel:WORD_1
	v_cvt_f32_f16_e32 v17, v1
	v_cvt_f32_f16_sdwa v18, v1 dst_sel:DWORD dst_unused:UNUSED_PAD src0_sel:WORD_1
	v_mul_f32_e32 v12, 0x3fb8aa3b, v11
	v_mul_f32_e32 v13, 0x3fb8aa3b, v16
	v_exp_f32_e32 v12, v12
	v_exp_f32_e32 v13, v13
	v_mul_f32_e32 v14, 0x3fb8aa3b, v17
	v_mul_f32_e32 v15, 0x3fb8aa3b, v18
	v_exp_f32_e32 v14, v14
	v_exp_f32_e32 v15, v15
	v_pk_add_f32 v[12:13], v[12:13], 1.0 op_sel_hi:[1,0]
	s_waitcnt vmcnt(0)
	v_mul_lo_u32 v4, v4, s33
	v_cmp_gt_f32_e32 vcc, s15, v13
	v_pk_add_f32 v[14:15], v[14:15], 1.0 op_sel_hi:[1,0]
	v_cmp_gt_f32_e64 s[2:3], s15, v12
	v_cndmask_b32_e32 v20, 1.0, v7, vcc
	v_cmp_gt_f32_e64 s[4:5], s15, v15
	v_cndmask_b32_e64 v21, 1.0, v7, s[2:3]
	v_mul_f32_e32 v13, v13, v20
	v_cndmask_b32_e64 v22, 1.0, v7, s[4:5]
	v_cmp_gt_f32_e64 s[6:7], s15, v14
	v_mul_f32_e32 v12, v12, v21
	v_log_f32_e32 v13, v13
	v_cndmask_b32_e64 v23, 1.0, v7, s[6:7]
	v_mul_f32_e32 v15, v15, v22
	v_log_f32_e32 v12, v12
	v_mul_f32_e32 v14, v14, v23
	v_log_f32_e32 v15, v15
	v_log_f32_e32 v14, v14
	v_mul_f32_e32 v23, 0x3f317217, v13
	v_mul_f32_e32 v24, 0x3f317217, v12
	v_fma_f32 v23, v13, s13, -v23
	v_mul_f32_e32 v25, 0x3f317217, v15
	v_fma_f32 v24, v12, s13, -v24
	v_fmac_f32_e32 v23, 0x3377d1cf, v13
	v_cndmask_b32_e32 v20, 0, v9, vcc
	v_mul_f32_e32 v26, 0x3f317217, v14
	v_fma_f32 v25, v15, s13, -v25
	v_fmac_f32_e32 v24, 0x3377d1cf, v12
	v_fmac_f32_e32 v23, 0x3f317217, v13
	v_cmp_lt_f32_e64 vcc, |v13|, s14
	v_fma_f32 v26, v14, s13, -v26
	v_fmac_f32_e32 v25, 0x3377d1cf, v15
	v_fmac_f32_e32 v24, 0x3f317217, v12
	v_cndmask_b32_e32 v13, v13, v23, vcc
	v_cmp_lt_f32_e64 vcc, |v12|, s14
	v_fmac_f32_e32 v26, 0x3377d1cf, v14
	v_fmac_f32_e32 v25, 0x3f317217, v15
	v_cndmask_b32_e32 v12, v12, v24, vcc
	v_cmp_lt_f32_e64 vcc, |v15|, s14
	v_cndmask_b32_e64 v21, 0, v9, s[2:3]
	v_fmac_f32_e32 v26, 0x3f317217, v14
	v_cndmask_b32_e32 v15, v15, v25, vcc
	v_cmp_lt_f32_e64 vcc, |v14|, s14
	v_sub_f32_e32 v12, v12, v21
	v_sub_f32_e32 v13, v13, v20
	v_cndmask_b32_e32 v14, v14, v26, vcc
	v_cmp_lt_f16_e32 vcc, s9, v0
	v_cndmask_b32_e64 v22, 0, v9, s[4:5]
	v_sub_f32_e32 v15, v15, v22
	v_cndmask_b32_e32 v11, v12, v11, vcc
	v_cmp_gt_f16_sdwa vcc, v0, s9 src0_sel:WORD_1 src1_sel:DWORD
	v_cmp_gt_f32_e64 s[2:3], s12, v11
	s_nop 0
	v_cndmask_b32_e32 v0, v13, v16, vcc
	v_mul_f32_e32 v12, 0x4f800000, v0
	v_cmp_gt_f32_e32 vcc, s12, v0
	v_mul_f32_e32 v13, 0x4f800000, v11
	v_cndmask_b32_e64 v11, v11, v13, s[2:3]
	v_cndmask_b32_e32 v0, v0, v12, vcc
	v_sqrt_f32_e32 v12, v0
	v_sqrt_f32_e32 v13, v11
	v_add_u32_e32 v16, -1, v12
	v_add_u32_e32 v21, -1, v13
	v_fma_f32 v23, -v16, v12, v0
	v_add_u32_e32 v20, 1, v12
	v_fma_f32 v25, -v21, v13, v11
	v_cmp_ge_f32_e64 s[4:5], 0, v23
	v_add_u32_e32 v22, 1, v13
	v_fma_f32 v24, -v20, v12, v0
	v_cndmask_b32_e64 v12, v12, v16, s[4:5]
	v_cmp_ge_f32_e64 s[4:5], 0, v25
	v_fma_f32 v26, -v22, v13, v11
	s_nop 0
	v_cndmask_b32_e64 v13, v13, v21, s[4:5]
	v_cmp_lt_f32_e64 s[4:5], 0, v24
	s_nop 1
	v_cndmask_b32_e64 v12, v12, v20, s[4:5]
	v_cmp_lt_f32_e64 s[4:5], 0, v26
	v_mul_f32_e32 v16, 0x37800000, v12
	v_cndmask_b32_e32 v12, v12, v16, vcc
	v_cndmask_b32_e64 v13, v13, v22, s[4:5]
	v_mul_f32_e32 v20, 0x37800000, v13
	v_cmp_class_f32_e32 vcc, v0, v19
	v_cndmask_b32_e64 v16, v13, v20, s[2:3]
	v_cmp_lt_f16_e64 s[2:3], s9, v1
	v_cndmask_b32_e32 v13, v12, v0, vcc
	v_cmp_class_f32_e32 vcc, v11, v19
	v_cndmask_b32_e64 v0, 0, v9, s[6:7]
	v_sub_f32_e32 v0, v14, v0
	v_cndmask_b32_e32 v12, v16, v11, vcc
	v_cmp_gt_f16_sdwa vcc, v1, s9 src0_sel:WORD_1 src1_sel:DWORD
	v_cndmask_b32_e64 v0, v0, v17, s[2:3]
	v_cvt_f32_f16_e32 v17, v2
	v_cndmask_b32_e32 v11, v15, v18, vcc
	v_mul_f32_e32 v15, 0x4f800000, v11
	v_cmp_gt_f32_e32 vcc, s12, v11
	v_cvt_f32_f16_sdwa v18, v2 dst_sel:DWORD dst_unused:UNUSED_PAD src0_sel:WORD_1
	s_nop 0
	v_cndmask_b32_e32 v11, v11, v15, vcc
	v_sqrt_f32_e32 v15, v11
	s_nop 0
	v_add_u32_e32 v1, -1, v15
	v_fma_f32 v14, -v1, v15, v11
	v_cmp_ge_f32_e64 s[2:3], 0, v14
	v_add_u32_e32 v14, 1, v15
	s_nop 0
	v_cndmask_b32_e64 v1, v15, v1, s[2:3]
	v_fma_f32 v15, -v14, v15, v11
	v_cmp_lt_f32_e64 s[2:3], 0, v15
	v_mul_f32_e32 v15, 0x4f800000, v0
	s_nop 0
	v_cndmask_b32_e64 v1, v1, v14, s[2:3]
	v_cmp_gt_f32_e64 s[2:3], s12, v0
	v_mul_f32_e32 v14, 0x37800000, v1
	v_cndmask_b32_e32 v1, v1, v14, vcc
	v_cndmask_b32_e64 v16, v0, v15, s[2:3]
	v_sqrt_f32_e32 v0, v16
	v_cmp_class_f32_e32 vcc, v11, v19
	v_add_u32_e32 v14, 1, v0
	s_nop 0
	v_cndmask_b32_e32 v15, v1, v11, vcc
	v_add_u32_e32 v1, -1, v0
	v_fma_f32 v11, -v1, v0, v16
	v_cmp_ge_f32_e32 vcc, 0, v11
	v_fma_f32 v20, -v14, v0, v16
	s_nop 0
	v_cndmask_b32_e32 v11, v0, v1, vcc
	v_mul_f32_e32 v0, 0x3fb8aa3b, v17
	v_mul_f32_e32 v1, 0x3fb8aa3b, v18
	v_exp_f32_e32 v0, v0
	v_exp_f32_e32 v1, v1
	v_cmp_lt_f32_e32 vcc, 0, v20
	v_pk_add_f32 v[0:1], v[0:1], 1.0 op_sel_hi:[1,0]
	s_nop 0
	v_cndmask_b32_e32 v11, v11, v14, vcc
	v_mul_f32_e32 v14, 0x37800000, v11
	v_cmp_gt_f32_e32 vcc, s15, v1
	v_cndmask_b32_e64 v11, v11, v14, s[2:3]
	v_cmp_class_f32_e64 s[2:3], v16, v19
	v_cndmask_b32_e32 v14, 1.0, v7, vcc
	v_mul_f32_e32 v1, v1, v14
	v_log_f32_e32 v1, v1
	v_cndmask_b32_e64 v14, v11, v16, s[2:3]
	v_cmp_gt_f32_e64 s[2:3], s15, v0
	scratch_store_dwordx4 off, v[12:15], off
	v_mul_f32_e32 v11, 0x3f317217, v1
	v_fma_f32 v11, v1, s13, -v11
	v_cndmask_b32_e64 v12, 1.0, v7, s[2:3]
	v_mul_f32_e32 v0, v0, v12
	v_log_f32_e32 v0, v0
	v_fmac_f32_e32 v11, 0x3377d1cf, v1
	v_fmac_f32_e32 v11, 0x3f317217, v1
	v_cmp_lt_f32_e64 s[4:5], |v1|, s14
	v_cvt_f32_f16_sdwa v15, v3 dst_sel:DWORD dst_unused:UNUSED_PAD src0_sel:WORD_1
	v_mul_f32_e32 v13, 0x3fb8aa3b, v15
	v_cndmask_b32_e64 v1, v1, v11, s[4:5]
	v_cndmask_b32_e32 v11, 0, v9, vcc
	v_sub_f32_e32 v1, v1, v11
	v_mul_f32_e32 v11, 0x3f317217, v0
	v_fma_f32 v11, v0, s13, -v11
	v_fmac_f32_e32 v11, 0x3377d1cf, v0
	v_fmac_f32_e32 v11, 0x3f317217, v0
	v_cmp_lt_f32_e64 vcc, |v0|, s14
	v_exp_f32_e32 v13, v13
	s_nop 0
	v_cndmask_b32_e32 v0, v0, v11, vcc
	v_cmp_gt_f16_sdwa vcc, v2, s9 src0_sel:WORD_1 src1_sel:DWORD
	v_cndmask_b32_e64 v11, 0, v9, s[2:3]
	v_cmp_lt_f16_e64 s[2:3], s9, v2
	v_cndmask_b32_e32 v1, v1, v18, vcc
	v_mul_f32_e32 v12, 0x4f800000, v1
	v_cmp_gt_f32_e32 vcc, s12, v1
	v_sub_f32_e32 v0, v0, v11
	v_cndmask_b32_e64 v0, v0, v17, s[2:3]
	v_cndmask_b32_e32 v1, v1, v12, vcc
	v_sqrt_f32_e32 v12, v1
	s_nop 0
	v_add_u32_e32 v2, -1, v12
	v_fma_f32 v11, -v2, v12, v1
	v_cmp_ge_f32_e64 s[2:3], 0, v11
	v_add_u32_e32 v11, 1, v12
	s_nop 0
	v_cndmask_b32_e64 v2, v12, v2, s[2:3]
	v_fma_f32 v12, -v11, v12, v1
	v_cmp_lt_f32_e64 s[2:3], 0, v12
	v_mul_f32_e32 v12, 0x4f800000, v0
	s_nop 0
	v_cndmask_b32_e64 v2, v2, v11, s[2:3]
	v_cmp_gt_f32_e64 s[2:3], s12, v0
	v_mul_f32_e32 v11, 0x37800000, v2
	v_cndmask_b32_e32 v2, v2, v11, vcc
	v_cndmask_b32_e64 v0, v0, v12, s[2:3]
	v_sqrt_f32_e32 v12, v0
	v_cmp_class_f32_e32 vcc, v1, v19
	v_add_u32_e32 v14, 1, v12
	s_nop 0
	v_cndmask_b32_e32 v1, v2, v1, vcc
	v_add_u32_e32 v2, -1, v12
	v_fma_f32 v11, -v2, v12, v0
	v_cmp_ge_f32_e32 vcc, 0, v11
	v_cvt_f32_f16_e32 v11, v3
	v_fma_f32 v16, -v14, v12, v0
	v_cndmask_b32_e32 v2, v12, v2, vcc
	v_cmp_lt_f32_e32 vcc, 0, v16
	v_mul_f32_e32 v12, 0x3fb8aa3b, v11
	v_exp_f32_e32 v12, v12
	v_cndmask_b32_e32 v2, v2, v14, vcc
	v_mul_f32_e32 v14, 0x37800000, v2
	v_cndmask_b32_e64 v2, v2, v14, s[2:3]
	v_pk_add_f32 v[12:13], v[12:13], 1.0 op_sel_hi:[1,0]
	v_cmp_class_f32_e64 s[2:3], v0, v19
	v_cmp_gt_f32_e32 vcc, s15, v13
	s_nop 0
	v_cndmask_b32_e64 v0, v2, v0, s[2:3]
	v_cndmask_b32_e32 v16, 1.0, v7, vcc
	v_mul_f32_e32 v13, v13, v16
	v_log_f32_e32 v13, v13
	v_cmp_gt_f32_e64 s[2:3], s15, v12
	v_mul_f32_e32 v2, 0x3f317217, v13
	s_nop 0
	v_cndmask_b32_e64 v7, 1.0, v7, s[2:3]
	v_mul_f32_e32 v7, v12, v7
	v_fma_f32 v2, v13, s13, -v2
	v_log_f32_e32 v7, v7
	v_fmac_f32_e32 v2, 0x3377d1cf, v13
	v_fmac_f32_e32 v2, 0x3f317217, v13
	v_cmp_lt_f32_e64 s[4:5], |v13|, s14
	v_cndmask_b32_e32 v12, 0, v9, vcc
	v_cmp_lt_f32_e64 vcc, |v7|, s14
	v_cndmask_b32_e64 v2, v13, v2, s[4:5]
	v_sub_f32_e32 v2, v2, v12
	v_mul_f32_e32 v12, 0x3f317217, v7
	v_fma_f32 v12, v7, s13, -v12
	v_fmac_f32_e32 v12, 0x3377d1cf, v7
	v_fmac_f32_e32 v12, 0x3f317217, v7
	v_cndmask_b32_e32 v7, v7, v12, vcc
	v_cmp_gt_f16_sdwa vcc, v3, s9 src0_sel:WORD_1 src1_sel:DWORD
	v_cndmask_b32_e64 v9, 0, v9, s[2:3]
	v_sub_f32_e32 v7, v7, v9
	v_cndmask_b32_e32 v2, v2, v15, vcc
	v_mul_f32_e32 v12, 0x4f800000, v2
	v_cmp_gt_f32_e32 vcc, s12, v2
	v_cmp_lt_f16_e64 s[2:3], s9, v3
	s_cselect_b64 s[4:5], -1, 0
	v_cndmask_b32_e32 v2, v2, v12, vcc
	v_sqrt_f32_e32 v12, v2
	v_cndmask_b32_e64 v3, v7, v11, s[2:3]
	s_cmp_lt_i32 s33, 1
	v_add_u32_e32 v7, -1, v12
	v_fma_f32 v9, -v7, v12, v2
	v_cmp_ge_f32_e64 s[2:3], 0, v9
	v_add_u32_e32 v9, 1, v12
	v_fma_f32 v11, -v9, v12, v2
	v_cndmask_b32_e64 v7, v12, v7, s[2:3]
	v_cmp_lt_f32_e64 s[2:3], 0, v11
	v_mul_f32_e32 v11, 0x4f800000, v3
	s_nop 0
	v_cndmask_b32_e64 v7, v7, v9, s[2:3]
	v_cmp_gt_f32_e64 s[2:3], s12, v3
	v_mul_f32_e32 v9, 0x37800000, v7
	s_nop 0
	v_cndmask_b32_e64 v11, v3, v11, s[2:3]
	v_sqrt_f32_e32 v12, v11
	v_cndmask_b32_e32 v3, v7, v9, vcc
	v_cmp_class_f32_e32 vcc, v2, v19
	s_nop 1
	v_cndmask_b32_e32 v3, v3, v2, vcc
	v_add_u32_e32 v2, -1, v12
	v_fma_f32 v7, -v2, v12, v11
	v_cmp_ge_f32_e32 vcc, 0, v7
	v_add_u32_e32 v7, 1, v12
	v_fma_f32 v9, -v7, v12, v11
	v_cndmask_b32_e32 v2, v12, v2, vcc
	v_cmp_lt_f32_e32 vcc, 0, v9
	s_nop 1
	v_cndmask_b32_e32 v2, v2, v7, vcc
	v_mul_f32_e32 v7, 0x37800000, v2
	v_cndmask_b32_e64 v2, v2, v7, s[2:3]
	v_cmp_class_f32_e32 vcc, v11, v19
	s_nop 1
	v_cndmask_b32_e32 v2, v2, v11, vcc
	scratch_store_dwordx4 off, v[0:3], off offset:16
	s_nop 1
	v_lshl_add_u64 v[2:3], v[4:5], 2, s[10:11]
	v_mul_lo_u32 v0, v6, s33
	s_cbranch_scc1 .LBB274_29
; %bb.2:
	s_load_dwordx2 s[6:7], s[0:1], 0x20
	s_cmp_lt_u32 s33, 4
	v_and_b32_e32 v4, 31, v8
	s_cbranch_scc1 .LBB274_21
; %bb.3:
	v_lshlrev_b32_e32 v5, 3, v4
	s_mov_b32 s11, 0
	s_and_b32 s8, s33, 0x7ffffffc
	v_ashrrev_i32_e32 v1, 31, v0
	v_sub_u32_e32 v11, 0, v5
	v_mov_b32_e32 v5, 0
	s_mov_b32 s10, s11
	s_branch .LBB274_5
.LBB274_4:                              ;   in Loop: Header=BB274_5 Depth=1
	s_or_b64 exec, exec, s[12:13]
	s_add_i32 s10, s10, 4
	s_cmp_eq_u32 s10, s8
	s_cbranch_scc1 .LBB274_22
.LBB274_5:                              ; =>This Loop Header: Depth=1
                                        ;     Child Loop BB274_7 Depth 2
                                        ;     Child Loop BB274_11 Depth 2
	;; [unrolled: 1-line block ×4, first 2 shown]
	v_lshl_add_u64 v[6:7], s[10:11], 2, v[2:3]
	global_load_dword v12, v[6:7], off
	v_add_u32_e32 v8, s10, v0
	v_ashrrev_i32_e32 v9, 31, v8
	v_mov_b32_e32 v13, 0
	s_mov_b64 s[12:13], 0
	s_waitcnt lgkmcnt(0)
	v_lshl_add_u64 v[8:9], v[8:9], 2, s[6:7]
	s_mov_b32 s9, 0
	s_waitcnt vmcnt(0)
	v_add_u32_e32 v14, v11, v12
	s_branch .LBB274_7
.LBB274_6:                              ;   in Loop: Header=BB274_7 Depth=2
	s_or_b64 exec, exec, s[14:15]
	s_add_i32 s16, s9, 1
	s_cmp_gt_u32 s9, 6
	s_cselect_b64 s[2:3], -1, 0
	s_xor_b64 s[14:15], vcc, -1
	s_or_b64 s[2:3], s[14:15], s[2:3]
	s_and_b64 s[2:3], exec, s[2:3]
	v_add_u32_e32 v13, 4, v13
	s_or_b64 s[12:13], s[2:3], s[12:13]
	s_mov_b32 s9, s16
	s_andn2_b64 exec, exec, s[12:13]
	s_cbranch_execz .LBB274_9
.LBB274_7:                              ;   Parent Loop BB274_5 Depth=1
                                        ; =>  This Inner Loop Header: Depth=2
	v_cmp_ne_u32_e32 vcc, s9, v14
	v_cmp_eq_u32_e64 s[2:3], s9, v14
	s_and_saveexec_b64 s[14:15], s[2:3]
	s_cbranch_execz .LBB274_6
; %bb.8:                                ;   in Loop: Header=BB274_7 Depth=2
	scratch_load_dword v15, v13, off
	s_waitcnt vmcnt(0)
	v_add_f32_e32 v5, v5, v15
	global_store_dword v[8:9], v12, off
	s_branch .LBB274_6
.LBB274_9:                              ;   in Loop: Header=BB274_5 Depth=1
	s_or_b64 exec, exec, s[12:13]
	global_load_dword v12, v[6:7], off offset:4
	s_ashr_i32 s3, s10, 31
	s_mov_b32 s2, s10
	v_lshl_add_u64 v[8:9], s[2:3], 0, v[0:1]
	v_mov_b32_e32 v13, 0
	s_mov_b32 s9, 0
	v_lshl_add_u64 v[8:9], v[8:9], 2, s[6:7]
	s_mov_b64 s[12:13], 0
	s_waitcnt vmcnt(0)
	v_add_u32_e32 v14, v11, v12
	s_branch .LBB274_11
.LBB274_10:                             ;   in Loop: Header=BB274_11 Depth=2
	s_or_b64 exec, exec, s[14:15]
	s_add_i32 s16, s9, 1
	s_cmp_gt_u32 s9, 6
	s_cselect_b64 s[2:3], -1, 0
	s_xor_b64 s[14:15], vcc, -1
	s_or_b64 s[2:3], s[14:15], s[2:3]
	s_and_b64 s[2:3], exec, s[2:3]
	v_add_u32_e32 v13, 4, v13
	s_or_b64 s[12:13], s[2:3], s[12:13]
	s_mov_b32 s9, s16
	s_andn2_b64 exec, exec, s[12:13]
	s_cbranch_execz .LBB274_13
.LBB274_11:                             ;   Parent Loop BB274_5 Depth=1
                                        ; =>  This Inner Loop Header: Depth=2
	v_cmp_ne_u32_e32 vcc, s9, v14
	v_cmp_eq_u32_e64 s[2:3], s9, v14
	s_and_saveexec_b64 s[14:15], s[2:3]
	s_cbranch_execz .LBB274_10
; %bb.12:                               ;   in Loop: Header=BB274_11 Depth=2
	scratch_load_dword v15, v13, off
	s_waitcnt vmcnt(0)
	v_add_f32_e32 v5, v5, v15
	global_store_dword v[8:9], v12, off offset:4
	s_branch .LBB274_10
.LBB274_13:                             ;   in Loop: Header=BB274_5 Depth=1
	s_or_b64 exec, exec, s[12:13]
	global_load_dword v12, v[6:7], off offset:8
	v_mov_b32_e32 v13, 0
	s_mov_b32 s9, 0
	s_mov_b64 s[12:13], 0
	s_waitcnt vmcnt(0)
	v_add_u32_e32 v14, v11, v12
	s_branch .LBB274_15
.LBB274_14:                             ;   in Loop: Header=BB274_15 Depth=2
	s_or_b64 exec, exec, s[14:15]
	s_add_i32 s16, s9, 1
	s_cmp_gt_u32 s9, 6
	s_cselect_b64 s[2:3], -1, 0
	s_xor_b64 s[14:15], vcc, -1
	s_or_b64 s[2:3], s[14:15], s[2:3]
	s_and_b64 s[2:3], exec, s[2:3]
	v_add_u32_e32 v13, 4, v13
	s_or_b64 s[12:13], s[2:3], s[12:13]
	s_mov_b32 s9, s16
	s_andn2_b64 exec, exec, s[12:13]
	s_cbranch_execz .LBB274_17
.LBB274_15:                             ;   Parent Loop BB274_5 Depth=1
                                        ; =>  This Inner Loop Header: Depth=2
	v_cmp_ne_u32_e32 vcc, s9, v14
	v_cmp_eq_u32_e64 s[2:3], s9, v14
	s_and_saveexec_b64 s[14:15], s[2:3]
	s_cbranch_execz .LBB274_14
; %bb.16:                               ;   in Loop: Header=BB274_15 Depth=2
	scratch_load_dword v15, v13, off
	s_waitcnt vmcnt(0)
	v_add_f32_e32 v5, v5, v15
	global_store_dword v[8:9], v12, off offset:8
	s_branch .LBB274_14
.LBB274_17:                             ;   in Loop: Header=BB274_5 Depth=1
	s_or_b64 exec, exec, s[12:13]
	global_load_dword v6, v[6:7], off offset:12
	v_mov_b32_e32 v7, 0
	s_mov_b32 s9, 0
	s_mov_b64 s[12:13], 0
	s_waitcnt vmcnt(0)
	v_add_u32_e32 v12, v11, v6
	s_branch .LBB274_19
.LBB274_18:                             ;   in Loop: Header=BB274_19 Depth=2
	s_or_b64 exec, exec, s[14:15]
	s_add_i32 s16, s9, 1
	s_cmp_gt_u32 s9, 6
	s_cselect_b64 s[2:3], -1, 0
	s_xor_b64 s[14:15], vcc, -1
	s_or_b64 s[2:3], s[14:15], s[2:3]
	s_and_b64 s[2:3], exec, s[2:3]
	v_add_u32_e32 v7, 4, v7
	s_or_b64 s[12:13], s[2:3], s[12:13]
	s_mov_b32 s9, s16
	s_andn2_b64 exec, exec, s[12:13]
	s_cbranch_execz .LBB274_4
.LBB274_19:                             ;   Parent Loop BB274_5 Depth=1
                                        ; =>  This Inner Loop Header: Depth=2
	v_cmp_ne_u32_e32 vcc, s9, v12
	v_cmp_eq_u32_e64 s[2:3], s9, v12
	s_and_saveexec_b64 s[14:15], s[2:3]
	s_cbranch_execz .LBB274_18
; %bb.20:                               ;   in Loop: Header=BB274_19 Depth=2
	scratch_load_dword v13, v7, off
	s_waitcnt vmcnt(0)
	v_add_f32_e32 v5, v5, v13
	global_store_dword v[8:9], v6, off offset:12
	s_branch .LBB274_18
.LBB274_21:
	v_mov_b32_e32 v5, 0
.LBB274_22:
	s_and_b32 s14, s33, 3
	s_cmp_eq_u32 s14, 0
	s_mov_b32 s9, 0
	s_cbranch_scc1 .LBB274_29
; %bb.23:
	v_lshlrev_b32_e32 v1, 3, v4
	v_sub_u32_e32 v1, 0, v1
	s_mov_b32 s15, s9
	s_branch .LBB274_25
.LBB274_24:                             ;   in Loop: Header=BB274_25 Depth=1
	s_or_b64 exec, exec, s[10:11]
	s_add_i32 s8, s8, 1
	s_add_i32 s15, s15, 1
	s_cmp_lg_u32 s15, s14
	s_cbranch_scc0 .LBB274_29
.LBB274_25:                             ; =>This Loop Header: Depth=1
                                        ;     Child Loop BB274_27 Depth 2
	v_lshl_add_u64 v[6:7], s[8:9], 2, v[2:3]
	global_load_dword v4, v[6:7], off
	v_add_u32_e32 v6, s8, v0
	v_ashrrev_i32_e32 v7, 31, v6
	v_mov_b32_e32 v8, 0
	s_mov_b32 s16, 0
	s_waitcnt lgkmcnt(0)
	v_lshl_add_u64 v[6:7], v[6:7], 2, s[6:7]
	s_mov_b64 s[10:11], 0
	s_waitcnt vmcnt(0)
	v_add_u32_e32 v9, v1, v4
	s_branch .LBB274_27
.LBB274_26:                             ;   in Loop: Header=BB274_27 Depth=2
	s_or_b64 exec, exec, s[12:13]
	s_add_i32 s17, s16, 1
	s_cmp_gt_u32 s16, 6
	s_cselect_b64 s[2:3], -1, 0
	s_xor_b64 s[12:13], vcc, -1
	s_or_b64 s[2:3], s[12:13], s[2:3]
	s_and_b64 s[2:3], exec, s[2:3]
	v_add_u32_e32 v8, 4, v8
	s_or_b64 s[10:11], s[2:3], s[10:11]
	s_mov_b32 s16, s17
	s_andn2_b64 exec, exec, s[10:11]
	s_cbranch_execz .LBB274_24
.LBB274_27:                             ;   Parent Loop BB274_25 Depth=1
                                        ; =>  This Inner Loop Header: Depth=2
	v_cmp_ne_u32_e32 vcc, s16, v9
	v_cmp_eq_u32_e64 s[2:3], s16, v9
	s_and_saveexec_b64 s[12:13], s[2:3]
	s_cbranch_execz .LBB274_26
; %bb.28:                               ;   in Loop: Header=BB274_27 Depth=2
	scratch_load_dword v11, v8, off
	s_waitcnt vmcnt(0)
	v_add_f32_e32 v5, v5, v11
	global_store_dword v[6:7], v4, off
	s_branch .LBB274_26
.LBB274_29:
	s_waitcnt lgkmcnt(0)
	s_load_dword s6, s[0:1], 0x3c
	s_waitcnt lgkmcnt(0)
	s_bitcmp1_b32 s6, 0
	s_cselect_b64 s[2:3], -1, 0
	s_bitcmp0_b32 s6, 0
	s_cbranch_scc0 .LBB274_33
; %bb.30:
	s_load_dwordx2 s[6:7], s[0:1], 0x40
	s_andn2_b64 vcc, exec, s[2:3]
	s_waitcnt lgkmcnt(0)
	v_cvt_f32_f64_e32 v8, s[6:7]
	s_cbranch_vccz .LBB274_34
.LBB274_31:
	s_andn2_b64 vcc, exec, s[4:5]
	s_cbranch_vccz .LBB274_35
.LBB274_32:
	s_endpgm
.LBB274_33:
	v_mbcnt_lo_u32_b32 v1, -1, 0
	v_mbcnt_hi_u32_b32 v1, -1, v1
	v_and_b32_e32 v4, 0x60, v1
	v_add_u32_e32 v4, 32, v4
	v_xor_b32_e32 v6, 16, v1
	v_cmp_lt_i32_e32 vcc, v6, v4
	v_xor_b32_e32 v7, 8, v1
	s_nop 0
	v_cndmask_b32_e32 v6, v1, v6, vcc
	v_lshlrev_b32_e32 v6, 2, v6
	ds_bpermute_b32 v6, v6, v5
	v_cmp_lt_i32_e32 vcc, v7, v4
	s_waitcnt lgkmcnt(0)
	v_add_f32_e32 v5, v5, v6
	v_cndmask_b32_e32 v6, v1, v7, vcc
	v_lshlrev_b32_e32 v6, 2, v6
	ds_bpermute_b32 v6, v6, v5
	v_xor_b32_e32 v7, 4, v1
	v_cmp_lt_i32_e32 vcc, v7, v4
	s_waitcnt lgkmcnt(0)
	v_add_f32_e32 v5, v5, v6
	v_cndmask_b32_e32 v6, v1, v7, vcc
	v_lshlrev_b32_e32 v6, 2, v6
	ds_bpermute_b32 v6, v6, v5
	v_xor_b32_e32 v7, 2, v1
	;; [unrolled: 7-line block ×3, first 2 shown]
	v_cmp_lt_i32_e32 vcc, v7, v4
	s_waitcnt lgkmcnt(0)
	v_add_f32_e32 v5, v5, v6
	v_cndmask_b32_e32 v1, v1, v7, vcc
	v_lshlrev_b32_e32 v1, 2, v1
	ds_bpermute_b32 v1, v1, v5
	s_waitcnt lgkmcnt(0)
	v_add_f32_e32 v5, v5, v1
	s_load_dwordx2 s[6:7], s[0:1], 0x40
	s_andn2_b64 vcc, exec, s[2:3]
	s_waitcnt lgkmcnt(0)
	v_cvt_f32_f64_e32 v8, s[6:7]
	s_cbranch_vccnz .LBB274_31
.LBB274_34:
	v_cmp_lt_f32_e32 vcc, 0, v5
	s_nop 1
	v_cndmask_b32_e32 v1, 1.0, v5, vcc
	v_div_scale_f32 v4, s[2:3], v1, v1, v8
	v_rcp_f32_e32 v5, v4
	s_nop 0
	v_fma_f32 v6, -v4, v5, 1.0
	v_fmac_f32_e32 v5, v6, v5
	v_div_scale_f32 v6, vcc, v8, v1, v8
	v_mul_f32_e32 v7, v6, v5
	v_fma_f32 v9, -v4, v7, v6
	v_fmac_f32_e32 v7, v9, v5
	v_fma_f32 v4, -v4, v7, v6
	v_div_fmas_f32 v4, v4, v5, v7
	v_div_fixup_f32 v8, v4, v1, v8
	s_andn2_b64 vcc, exec, s[4:5]
	s_cbranch_vccnz .LBB274_32
.LBB274_35:
	s_load_dwordx2 s[12:13], s[0:1], 0x10
	v_mov_b32_e32 v1, 0
	v_or_b32_e32 v20, 4, v1
	v_or_b32_e32 v18, 8, v1
	;; [unrolled: 1-line block ×3, first 2 shown]
	v_add_u32_e32 v14, 16, v1
	v_add_u32_e32 v12, 20, v1
	;; [unrolled: 1-line block ×4, first 2 shown]
	v_or_b32_e32 v23, 1, v10
	v_or_b32_e32 v22, 2, v10
	;; [unrolled: 1-line block ×7, first 2 shown]
	s_cmp_eq_u32 s33, 1
	s_mov_b32 s14, 0
	s_cbranch_scc1 .LBB274_70
; %bb.36:
	v_ashrrev_i32_e32 v1, 31, v0
	s_waitcnt lgkmcnt(0)
	v_lshl_add_u64 v[4:5], v[0:1], 2, s[12:13]
	s_and_b32 s14, s33, 0x7ffffffe
	v_lshl_add_u64 v[4:5], v[4:5], 0, 4
	v_lshl_add_u64 v[6:7], v[2:3], 0, 4
	s_mov_b32 s15, 0
	s_branch .LBB274_38
.LBB274_37:                             ;   in Loop: Header=BB274_38 Depth=1
	s_or_b64 exec, exec, s[0:1]
	s_add_i32 s15, s15, 2
	v_lshl_add_u64 v[4:5], v[4:5], 0, 8
	s_cmp_eq_u32 s14, s15
	v_lshl_add_u64 v[6:7], v[6:7], 0, 8
	s_cbranch_scc1 .LBB274_70
.LBB274_38:                             ; =>This Inner Loop Header: Depth=1
	global_load_dword v24, v[6:7], off offset:-4
	v_mov_b32_e32 v1, 0
	s_waitcnt vmcnt(0)
	v_cmp_eq_u32_e32 vcc, v24, v10
	v_cmp_ne_u32_e64 s[0:1], v24, v10
	s_and_saveexec_b64 s[16:17], s[0:1]
	s_cbranch_execz .LBB274_52
; %bb.39:                               ;   in Loop: Header=BB274_38 Depth=1
	v_cmp_eq_u32_e64 s[0:1], v24, v23
	v_cmp_ne_u32_e64 s[2:3], v24, v23
	v_mov_b32_e32 v1, v20
	s_and_saveexec_b64 s[18:19], s[2:3]
	s_cbranch_execz .LBB274_51
; %bb.40:                               ;   in Loop: Header=BB274_38 Depth=1
	v_cmp_eq_u32_e64 s[2:3], v24, v22
	v_cmp_ne_u32_e64 s[4:5], v24, v22
	v_mov_b32_e32 v1, v18
	;; [unrolled: 6-line block ×6, first 2 shown]
	s_and_saveexec_b64 s[30:31], s[10:11]
	s_xor_b64 s[30:31], exec, s[30:31]
; %bb.45:                               ;   in Loop: Header=BB274_38 Depth=1
	v_cmp_eq_u32_e64 s[10:11], v24, v13
	s_andn2_b64 s[28:29], s[28:29], exec
	s_and_b64 s[10:11], s[10:11], exec
	s_or_b64 s[28:29], s[28:29], s[10:11]
	v_mov_b32_e32 v1, v11
; %bb.46:                               ;   in Loop: Header=BB274_38 Depth=1
	s_or_b64 exec, exec, s[30:31]
	s_andn2_b64 s[8:9], s[8:9], exec
	s_and_b64 s[10:11], s[28:29], exec
	s_or_b64 s[8:9], s[8:9], s[10:11]
.LBB274_47:                             ;   in Loop: Header=BB274_38 Depth=1
	s_or_b64 exec, exec, s[26:27]
	s_andn2_b64 s[6:7], s[6:7], exec
	s_and_b64 s[8:9], s[8:9], exec
	s_or_b64 s[6:7], s[6:7], s[8:9]
.LBB274_48:                             ;   in Loop: Header=BB274_38 Depth=1
	s_or_b64 exec, exec, s[24:25]
	s_andn2_b64 s[4:5], s[4:5], exec
	s_and_b64 s[6:7], s[6:7], exec
	s_or_b64 s[4:5], s[4:5], s[6:7]
.LBB274_49:                             ;   in Loop: Header=BB274_38 Depth=1
	s_or_b64 exec, exec, s[22:23]
	s_andn2_b64 s[2:3], s[2:3], exec
	s_and_b64 s[4:5], s[4:5], exec
	s_or_b64 s[2:3], s[2:3], s[4:5]
.LBB274_50:                             ;   in Loop: Header=BB274_38 Depth=1
	s_or_b64 exec, exec, s[20:21]
	s_andn2_b64 s[0:1], s[0:1], exec
	s_and_b64 s[2:3], s[2:3], exec
	s_or_b64 s[0:1], s[0:1], s[2:3]
.LBB274_51:                             ;   in Loop: Header=BB274_38 Depth=1
	s_or_b64 exec, exec, s[18:19]
	s_andn2_b64 s[2:3], vcc, exec
	s_and_b64 s[0:1], s[0:1], exec
	s_or_b64 vcc, s[2:3], s[0:1]
.LBB274_52:                             ;   in Loop: Header=BB274_38 Depth=1
	s_or_b64 exec, exec, s[16:17]
	s_and_saveexec_b64 s[0:1], vcc
	s_cbranch_execz .LBB274_54
; %bb.53:                               ;   in Loop: Header=BB274_38 Depth=1
	scratch_load_dword v1, v1, off
	v_add_u32_e32 v24, s15, v0
	v_ashrrev_i32_e32 v25, 31, v24
	v_lshl_add_u64 v[24:25], v[24:25], 2, s[12:13]
	s_waitcnt vmcnt(0)
	v_mul_f32_e32 v1, v8, v1
	global_store_dword v[24:25], v1, off
.LBB274_54:                             ;   in Loop: Header=BB274_38 Depth=1
	s_or_b64 exec, exec, s[0:1]
	global_load_dword v24, v[6:7], off
	v_mov_b32_e32 v1, 0
	s_waitcnt vmcnt(0)
	v_cmp_eq_u32_e64 s[8:9], v24, v10
	v_cmp_ne_u32_e32 vcc, v24, v10
	s_and_saveexec_b64 s[10:11], vcc
	s_cbranch_execz .LBB274_68
; %bb.55:                               ;   in Loop: Header=BB274_38 Depth=1
	v_cmp_eq_u32_e32 vcc, v24, v23
	v_cmp_ne_u32_e64 s[0:1], v24, v23
	v_mov_b32_e32 v1, v20
	s_and_saveexec_b64 s[16:17], s[0:1]
	s_cbranch_execz .LBB274_67
; %bb.56:                               ;   in Loop: Header=BB274_38 Depth=1
	v_cmp_eq_u32_e64 s[0:1], v24, v22
	v_cmp_ne_u32_e64 s[2:3], v24, v22
	v_mov_b32_e32 v1, v18
	s_and_saveexec_b64 s[18:19], s[2:3]
	s_cbranch_execz .LBB274_66
; %bb.57:                               ;   in Loop: Header=BB274_38 Depth=1
	v_cmp_eq_u32_e64 s[2:3], v24, v21
	;; [unrolled: 6-line block ×5, first 2 shown]
	v_cmp_ne_u32_e64 s[6:7], v24, v15
	v_mov_b32_e32 v1, v9
	s_and_saveexec_b64 s[30:31], s[6:7]
; %bb.61:                               ;   in Loop: Header=BB274_38 Depth=1
	v_cmp_eq_u32_e64 s[6:7], v24, v13
	s_andn2_b64 s[28:29], s[28:29], exec
	s_and_b64 s[6:7], s[6:7], exec
	s_or_b64 s[28:29], s[28:29], s[6:7]
	v_mov_b32_e32 v1, v11
; %bb.62:                               ;   in Loop: Header=BB274_38 Depth=1
	s_or_b64 exec, exec, s[30:31]
	s_andn2_b64 s[6:7], s[24:25], exec
	s_and_b64 s[24:25], s[28:29], exec
	s_or_b64 s[24:25], s[6:7], s[24:25]
.LBB274_63:                             ;   in Loop: Header=BB274_38 Depth=1
	s_or_b64 exec, exec, s[26:27]
	s_andn2_b64 s[4:5], s[4:5], exec
	s_and_b64 s[6:7], s[24:25], exec
	s_or_b64 s[4:5], s[4:5], s[6:7]
.LBB274_64:                             ;   in Loop: Header=BB274_38 Depth=1
	s_or_b64 exec, exec, s[22:23]
	s_andn2_b64 s[2:3], s[2:3], exec
	s_and_b64 s[4:5], s[4:5], exec
	s_or_b64 s[2:3], s[2:3], s[4:5]
.LBB274_65:                             ;   in Loop: Header=BB274_38 Depth=1
	s_or_b64 exec, exec, s[20:21]
	s_andn2_b64 s[0:1], s[0:1], exec
	s_and_b64 s[2:3], s[2:3], exec
	s_or_b64 s[0:1], s[0:1], s[2:3]
.LBB274_66:                             ;   in Loop: Header=BB274_38 Depth=1
	s_or_b64 exec, exec, s[18:19]
	s_andn2_b64 s[2:3], vcc, exec
	s_and_b64 s[0:1], s[0:1], exec
	s_or_b64 vcc, s[2:3], s[0:1]
.LBB274_67:                             ;   in Loop: Header=BB274_38 Depth=1
	s_or_b64 exec, exec, s[16:17]
	s_andn2_b64 s[0:1], s[8:9], exec
	s_and_b64 s[2:3], vcc, exec
	s_or_b64 s[8:9], s[0:1], s[2:3]
.LBB274_68:                             ;   in Loop: Header=BB274_38 Depth=1
	s_or_b64 exec, exec, s[10:11]
	s_and_saveexec_b64 s[0:1], s[8:9]
	s_cbranch_execz .LBB274_37
; %bb.69:                               ;   in Loop: Header=BB274_38 Depth=1
	scratch_load_dword v1, v1, off
	s_waitcnt vmcnt(0)
	v_mul_f32_e32 v1, v8, v1
	global_store_dword v[4:5], v1, off
	s_branch .LBB274_37
.LBB274_70:
	s_bitcmp0_b32 s33, 0
	s_mov_b32 s15, 0
	s_cbranch_scc1 .LBB274_32
; %bb.71:
	v_lshl_add_u64 v[2:3], s[14:15], 2, v[2:3]
	global_load_dword v1, v[2:3], off
	v_mov_b32_e32 v2, 0
	s_waitcnt vmcnt(0)
	v_cmp_eq_u32_e64 s[8:9], v1, v10
	v_cmp_ne_u32_e32 vcc, v1, v10
	s_and_saveexec_b64 s[10:11], vcc
	s_cbranch_execz .LBB274_85
; %bb.72:
	v_cmp_eq_u32_e32 vcc, v1, v23
	v_cmp_ne_u32_e64 s[0:1], v1, v23
	s_and_saveexec_b64 s[16:17], s[0:1]
	s_cbranch_execz .LBB274_84
; %bb.73:
	v_cmp_eq_u32_e64 s[0:1], v1, v22
	v_cmp_ne_u32_e64 s[2:3], v1, v22
	s_and_saveexec_b64 s[18:19], s[2:3]
	s_cbranch_execz .LBB274_83
; %bb.74:
	v_cmp_eq_u32_e64 s[2:3], v1, v21
	;; [unrolled: 5-line block ×5, first 2 shown]
	v_cmp_ne_u32_e64 s[6:7], v1, v15
	s_and_saveexec_b64 s[30:31], s[6:7]
; %bb.78:
	v_cmp_eq_u32_e64 s[6:7], v1, v13
	s_andn2_b64 s[28:29], s[28:29], exec
	s_and_b64 s[6:7], s[6:7], exec
	s_or_b64 s[28:29], s[28:29], s[6:7]
	v_mov_b32_e32 v9, v11
; %bb.79:
	s_or_b64 exec, exec, s[30:31]
	s_andn2_b64 s[6:7], s[24:25], exec
	s_and_b64 s[24:25], s[28:29], exec
	s_or_b64 s[24:25], s[6:7], s[24:25]
	v_mov_b32_e32 v12, v9
.LBB274_80:
	s_or_b64 exec, exec, s[26:27]
	s_andn2_b64 s[4:5], s[4:5], exec
	s_and_b64 s[6:7], s[24:25], exec
	s_or_b64 s[4:5], s[4:5], s[6:7]
	v_mov_b32_e32 v14, v12
.LBB274_81:
	s_or_b64 exec, exec, s[22:23]
	s_andn2_b64 s[2:3], s[2:3], exec
	s_and_b64 s[4:5], s[4:5], exec
	s_or_b64 s[2:3], s[2:3], s[4:5]
	v_mov_b32_e32 v16, v14
.LBB274_82:
	s_or_b64 exec, exec, s[20:21]
	s_andn2_b64 s[0:1], s[0:1], exec
	s_and_b64 s[2:3], s[2:3], exec
	s_or_b64 s[0:1], s[0:1], s[2:3]
	v_mov_b32_e32 v18, v16
.LBB274_83:
	s_or_b64 exec, exec, s[18:19]
	s_andn2_b64 s[2:3], vcc, exec
	s_and_b64 s[0:1], s[0:1], exec
	s_or_b64 vcc, s[2:3], s[0:1]
	v_mov_b32_e32 v20, v18
.LBB274_84:
	s_or_b64 exec, exec, s[16:17]
	s_andn2_b64 s[0:1], s[8:9], exec
	s_and_b64 s[2:3], vcc, exec
	s_or_b64 s[8:9], s[0:1], s[2:3]
	v_mov_b32_e32 v2, v20
.LBB274_85:
	s_or_b64 exec, exec, s[10:11]
	s_and_b64 exec, exec, s[8:9]
	s_cbranch_execz .LBB274_32
; %bb.86:
	scratch_load_dword v2, v2, off
	v_add_u32_e32 v0, s14, v0
	v_ashrrev_i32_e32 v1, 31, v0
	s_waitcnt lgkmcnt(0)
	v_lshl_add_u64 v[0:1], v[0:1], 2, s[12:13]
	s_waitcnt vmcnt(0)
	v_mul_f32_e32 v2, v8, v2
	global_store_dword v[0:1], v2, off
	s_endpgm
	.section	.rodata,"a",@progbits
	.p2align	6, 0x0
	.amdhsa_kernel _ZN4vllm3moe22topkGatingSoftplusSqrtILi8ELi256ELi4ELi16ELi32ELb1Ej6__halfEEvPKT6_PKbPfiPT5_PiiiibdPKfPKS9_SF_
		.amdhsa_group_segment_fixed_size 0
		.amdhsa_private_segment_fixed_size 48
		.amdhsa_kernarg_size 96
		.amdhsa_user_sgpr_count 2
		.amdhsa_user_sgpr_dispatch_ptr 0
		.amdhsa_user_sgpr_queue_ptr 0
		.amdhsa_user_sgpr_kernarg_segment_ptr 1
		.amdhsa_user_sgpr_dispatch_id 0
		.amdhsa_user_sgpr_kernarg_preload_length 0
		.amdhsa_user_sgpr_kernarg_preload_offset 0
		.amdhsa_user_sgpr_private_segment_size 0
		.amdhsa_uses_dynamic_stack 0
		.amdhsa_enable_private_segment 1
		.amdhsa_system_sgpr_workgroup_id_x 1
		.amdhsa_system_sgpr_workgroup_id_y 0
		.amdhsa_system_sgpr_workgroup_id_z 0
		.amdhsa_system_sgpr_workgroup_info 0
		.amdhsa_system_vgpr_workitem_id 1
		.amdhsa_next_free_vgpr 27
		.amdhsa_next_free_sgpr 34
		.amdhsa_accum_offset 28
		.amdhsa_reserve_vcc 1
		.amdhsa_float_round_mode_32 0
		.amdhsa_float_round_mode_16_64 0
		.amdhsa_float_denorm_mode_32 3
		.amdhsa_float_denorm_mode_16_64 3
		.amdhsa_dx10_clamp 1
		.amdhsa_ieee_mode 1
		.amdhsa_fp16_overflow 0
		.amdhsa_tg_split 0
		.amdhsa_exception_fp_ieee_invalid_op 0
		.amdhsa_exception_fp_denorm_src 0
		.amdhsa_exception_fp_ieee_div_zero 0
		.amdhsa_exception_fp_ieee_overflow 0
		.amdhsa_exception_fp_ieee_underflow 0
		.amdhsa_exception_fp_ieee_inexact 0
		.amdhsa_exception_int_div_zero 0
	.end_amdhsa_kernel
	.section	.text._ZN4vllm3moe22topkGatingSoftplusSqrtILi8ELi256ELi4ELi16ELi32ELb1Ej6__halfEEvPKT6_PKbPfiPT5_PiiiibdPKfPKS9_SF_,"axG",@progbits,_ZN4vllm3moe22topkGatingSoftplusSqrtILi8ELi256ELi4ELi16ELi32ELb1Ej6__halfEEvPKT6_PKbPfiPT5_PiiiibdPKfPKS9_SF_,comdat
.Lfunc_end274:
	.size	_ZN4vllm3moe22topkGatingSoftplusSqrtILi8ELi256ELi4ELi16ELi32ELb1Ej6__halfEEvPKT6_PKbPfiPT5_PiiiibdPKfPKS9_SF_, .Lfunc_end274-_ZN4vllm3moe22topkGatingSoftplusSqrtILi8ELi256ELi4ELi16ELi32ELb1Ej6__halfEEvPKT6_PKbPfiPT5_PiiiibdPKfPKS9_SF_
                                        ; -- End function
	.section	.AMDGPU.csdata,"",@progbits
; Kernel info:
; codeLenInByte = 4596
; NumSgprs: 40
; NumVgprs: 27
; NumAgprs: 0
; TotalNumVgprs: 27
; ScratchSize: 48
; MemoryBound: 0
; FloatMode: 240
; IeeeMode: 1
; LDSByteSize: 0 bytes/workgroup (compile time only)
; SGPRBlocks: 4
; VGPRBlocks: 3
; NumSGPRsForWavesPerEU: 40
; NumVGPRsForWavesPerEU: 27
; AccumOffset: 28
; Occupancy: 8
; WaveLimiterHint : 1
; COMPUTE_PGM_RSRC2:SCRATCH_EN: 1
; COMPUTE_PGM_RSRC2:USER_SGPR: 2
; COMPUTE_PGM_RSRC2:TRAP_HANDLER: 0
; COMPUTE_PGM_RSRC2:TGID_X_EN: 1
; COMPUTE_PGM_RSRC2:TGID_Y_EN: 0
; COMPUTE_PGM_RSRC2:TGID_Z_EN: 0
; COMPUTE_PGM_RSRC2:TIDIG_COMP_CNT: 1
; COMPUTE_PGM_RSRC3_GFX90A:ACCUM_OFFSET: 6
; COMPUTE_PGM_RSRC3_GFX90A:TG_SPLIT: 0
	.section	.text._ZN4vllm3moe22topkGatingSoftplusSqrtILi8ELi256ELi4ELi16ELi32ELb0Ej6__halfEEvPKT6_PKbPfiPT5_PiiiibdPKfPKS9_SF_,"axG",@progbits,_ZN4vllm3moe22topkGatingSoftplusSqrtILi8ELi256ELi4ELi16ELi32ELb0Ej6__halfEEvPKT6_PKbPfiPT5_PiiiibdPKfPKS9_SF_,comdat
	.protected	_ZN4vllm3moe22topkGatingSoftplusSqrtILi8ELi256ELi4ELi16ELi32ELb0Ej6__halfEEvPKT6_PKbPfiPT5_PiiiibdPKfPKS9_SF_ ; -- Begin function _ZN4vllm3moe22topkGatingSoftplusSqrtILi8ELi256ELi4ELi16ELi32ELb0Ej6__halfEEvPKT6_PKbPfiPT5_PiiiibdPKfPKS9_SF_
	.globl	_ZN4vllm3moe22topkGatingSoftplusSqrtILi8ELi256ELi4ELi16ELi32ELb0Ej6__halfEEvPKT6_PKbPfiPT5_PiiiibdPKfPKS9_SF_
	.p2align	8
	.type	_ZN4vllm3moe22topkGatingSoftplusSqrtILi8ELi256ELi4ELi16ELi32ELb0Ej6__halfEEvPKT6_PKbPfiPT5_PiiiibdPKfPKS9_SF_,@function
_ZN4vllm3moe22topkGatingSoftplusSqrtILi8ELi256ELi4ELi16ELi32ELb0Ej6__halfEEvPKT6_PKbPfiPT5_PiiiibdPKfPKS9_SF_: ; @_ZN4vllm3moe22topkGatingSoftplusSqrtILi8ELi256ELi4ELi16ELi32ELb0Ej6__halfEEvPKT6_PKbPfiPT5_PiiiibdPKfPKS9_SF_
; %bb.0:
	s_load_dword s33, s[0:1], 0x18
	v_and_b32_e32 v1, 0x3ff, v0
	s_lshl_b32 s2, s2, 2
	v_lshrrev_b32_e32 v2, 5, v1
	v_bfe_u32 v0, v0, 10, 10
	v_add3_u32 v8, s2, v0, v2
	s_waitcnt lgkmcnt(0)
	v_cmp_gt_i32_e32 vcc, s33, v8
	s_and_saveexec_b64 s[2:3], vcc
	s_cbranch_execz .LBB275_65
; %bb.1:
	s_load_dwordx4 s[4:7], s[0:1], 0x0
	s_load_dwordx2 s[34:35], s[0:1], 0x10
	s_waitcnt lgkmcnt(0)
	s_cmp_eq_u64 s[6:7], 0
	s_cbranch_scc1 .LBB275_3
; %bb.2:
	v_ashrrev_i32_e32 v9, 31, v8
	v_lshl_add_u64 v[2:3], s[6:7], 0, v[8:9]
	global_load_ubyte v0, v[2:3], off
	s_waitcnt vmcnt(0)
	v_and_b32_e32 v0, 1, v0
	v_cmp_eq_u32_e32 vcc, 1, v0
	s_xor_b64 s[2:3], vcc, -1
	s_orn2_b64 s[36:37], s[2:3], exec
	s_branch .LBB275_4
.LBB275_3:
	s_mov_b64 s[36:37], -1
.LBB275_4:
	v_lshlrev_b32_e32 v4, 8, v8
	v_mov_b32_e32 v2, s4
	v_mov_b32_e32 v3, s5
	v_ashrrev_i32_e32 v5, 31, v4
	v_and_b32_e32 v9, 31, v1
	v_lshl_add_u64 v[2:3], v[4:5], 1, v[2:3]
	v_mov_b32_e32 v1, 0
	v_lshlrev_b32_e32 v0, 4, v9
	v_lshl_add_u64 v[0:1], v[2:3], 0, v[0:1]
	global_load_dwordx4 v[4:7], v[0:1], off
	s_mov_b32 s12, 0x800000
	v_mov_b32_e32 v2, 0x4f800000
	s_mov_b32 s9, 0x3f317217
	s_mov_b32 s10, 0x7f800000
	v_mov_b32_e32 v3, 0x41b17218
	s_movk_i32 s8, 0x4d00
	s_mov_b32 s11, 0xf800000
	s_load_dwordx4 s[20:23], s[0:1], 0x40
	v_lshlrev_b32_e32 v12, 3, v9
	s_waitcnt lgkmcnt(0)
	s_cmp_lg_u64 s[22:23], 0
	s_cselect_b64 s[6:7], -1, 0
	s_and_b64 s[2:3], exec, s[6:7]
	s_waitcnt vmcnt(0)
	v_cvt_f32_f16_e32 v0, v4
	v_mul_f32_e32 v1, 0x3fb8aa3b, v0
	v_exp_f32_e32 v10, v1
	v_mov_b32_e32 v1, 0x260
	v_add_f32_e32 v10, 1.0, v10
	v_cmp_gt_f32_e32 vcc, s12, v10
	s_nop 1
	v_cndmask_b32_e32 v11, 1.0, v2, vcc
	v_mul_f32_e32 v10, v10, v11
	v_log_f32_e32 v11, v10
	v_cndmask_b32_e32 v13, 0, v3, vcc
	v_lshlrev_b32_e32 v10, 2, v12
	v_mul_f32_e32 v14, 0x3f317217, v11
	v_fma_f32 v14, v11, s9, -v14
	v_fmac_f32_e32 v14, 0x3377d1cf, v11
	v_fmac_f32_e32 v14, 0x3f317217, v11
	v_cmp_lt_f32_e64 vcc, |v11|, s10
	s_nop 1
	v_cndmask_b32_e32 v11, v11, v14, vcc
	v_sub_f32_e32 v11, v11, v13
	v_cmp_lt_f16_e32 vcc, s8, v4
	s_nop 1
	v_cndmask_b32_e32 v0, v11, v0, vcc
	v_mul_f32_e32 v11, 0x4f800000, v0
	v_cmp_gt_f32_e32 vcc, s11, v0
	s_nop 1
	v_cndmask_b32_e32 v0, v0, v11, vcc
	v_sqrt_f32_e32 v11, v0
	s_nop 0
	v_add_u32_e32 v13, -1, v11
	v_add_u32_e32 v14, 1, v11
	v_fma_f32 v15, -v13, v11, v0
	v_fma_f32 v16, -v14, v11, v0
	v_cmp_ge_f32_e64 s[4:5], 0, v15
	s_nop 1
	v_cndmask_b32_e64 v11, v11, v13, s[4:5]
	v_cmp_lt_f32_e64 s[4:5], 0, v16
	s_nop 1
	v_cndmask_b32_e64 v11, v11, v14, s[4:5]
	v_mul_f32_e32 v13, 0x37800000, v11
	v_cndmask_b32_e32 v11, v11, v13, vcc
	v_cmp_class_f32_e32 vcc, v0, v1
	s_nop 1
	v_cndmask_b32_e32 v0, v11, v0, vcc
	s_mov_b64 vcc, s[2:3]
	s_cbranch_vccz .LBB275_6
; %bb.5:
	global_load_dword v11, v10, s[22:23]
	s_waitcnt vmcnt(0)
	v_add_f32_e32 v0, v0, v11
.LBB275_6:
	v_cvt_f32_f16_sdwa v11, v4 dst_sel:DWORD dst_unused:UNUSED_PAD src0_sel:WORD_1
	v_mul_f32_e32 v13, 0x3fb8aa3b, v11
	v_exp_f32_e32 v13, v13
	s_nop 0
	v_add_f32_e32 v13, 1.0, v13
	v_cmp_gt_f32_e32 vcc, s12, v13
	s_nop 1
	v_cndmask_b32_e32 v2, 1.0, v2, vcc
	v_mul_f32_e32 v2, v13, v2
	v_log_f32_e32 v2, v2
	v_cndmask_b32_e32 v3, 0, v3, vcc
	v_mul_f32_e32 v13, 0x3f317217, v2
	v_fma_f32 v13, v2, s9, -v13
	v_fmac_f32_e32 v13, 0x3377d1cf, v2
	v_fmac_f32_e32 v13, 0x3f317217, v2
	v_cmp_lt_f32_e64 vcc, |v2|, s10
	s_nop 1
	v_cndmask_b32_e32 v2, v2, v13, vcc
	v_sub_f32_e32 v2, v2, v3
	v_cmp_gt_f16_sdwa vcc, v4, s8 src0_sel:WORD_1 src1_sel:DWORD
	v_cndmask_b32_e64 v4, 0, 1, s[6:7]
	v_cmp_ne_u32_e64 s[2:3], 1, v4
	v_cndmask_b32_e32 v2, v2, v11, vcc
	v_mul_f32_e32 v3, 0x4f800000, v2
	v_cmp_gt_f32_e64 s[4:5], s11, v2
	s_andn2_b64 vcc, exec, s[6:7]
	s_nop 0
	v_cndmask_b32_e64 v2, v2, v3, s[4:5]
	v_sqrt_f32_e32 v3, v2
	s_nop 0
	v_add_u32_e32 v4, -1, v3
	v_add_u32_e32 v11, 1, v3
	v_fma_f32 v13, -v4, v3, v2
	v_fma_f32 v14, -v11, v3, v2
	v_cmp_ge_f32_e64 s[6:7], 0, v13
	s_nop 1
	v_cndmask_b32_e64 v3, v3, v4, s[6:7]
	v_cmp_lt_f32_e64 s[6:7], 0, v14
	s_nop 1
	v_cndmask_b32_e64 v3, v3, v11, s[6:7]
	v_mul_f32_e32 v4, 0x37800000, v3
	v_cndmask_b32_e64 v3, v3, v4, s[4:5]
	v_cmp_class_f32_e64 s[4:5], v2, v1
	s_nop 1
	v_cndmask_b32_e64 v1, v3, v2, s[4:5]
	s_cbranch_vccnz .LBB275_8
; %bb.7:
	global_load_dword v2, v10, s[22:23] offset:4
	s_waitcnt vmcnt(0)
	v_add_f32_e32 v1, v1, v2
.LBB275_8:
	v_cvt_f32_f16_e32 v2, v5
	s_mov_b32 s8, 0x800000
	v_mov_b32_e32 v4, 0x4f800000
	s_mov_b32 s7, 0x3f317217
	v_mul_f32_e32 v3, 0x3fb8aa3b, v2
	v_exp_f32_e32 v3, v3
	s_mov_b32 s9, 0x7f800000
	s_movk_i32 s6, 0x4d00
	s_mov_b32 s10, 0xf800000
	v_add_f32_e32 v3, 1.0, v3
	v_cmp_gt_f32_e32 vcc, s8, v3
	s_nop 1
	v_cndmask_b32_e32 v11, 1.0, v4, vcc
	v_mul_f32_e32 v3, v3, v11
	v_log_f32_e32 v3, v3
	v_mov_b32_e32 v11, 0x41b17218
	v_cndmask_b32_e32 v13, 0, v11, vcc
	v_mul_f32_e32 v14, 0x3f317217, v3
	v_fma_f32 v14, v3, s7, -v14
	v_fmac_f32_e32 v14, 0x3377d1cf, v3
	v_fmac_f32_e32 v14, 0x3f317217, v3
	v_cmp_lt_f32_e64 vcc, |v3|, s9
	s_nop 1
	v_cndmask_b32_e32 v3, v3, v14, vcc
	v_sub_f32_e32 v3, v3, v13
	v_cmp_lt_f16_e32 vcc, s6, v5
	s_nop 1
	v_cndmask_b32_e32 v2, v3, v2, vcc
	v_mul_f32_e32 v3, 0x4f800000, v2
	v_cmp_gt_f32_e32 vcc, s10, v2
	s_nop 1
	v_cndmask_b32_e32 v2, v2, v3, vcc
	v_sqrt_f32_e32 v3, v2
	s_nop 0
	v_add_u32_e32 v13, -1, v3
	v_fma_f32 v14, -v13, v3, v2
	v_cmp_ge_f32_e64 s[4:5], 0, v14
	v_add_u32_e32 v14, 1, v3
	s_nop 0
	v_cndmask_b32_e64 v13, v3, v13, s[4:5]
	v_fma_f32 v3, -v14, v3, v2
	v_cmp_lt_f32_e64 s[4:5], 0, v3
	s_nop 1
	v_cndmask_b32_e64 v3, v13, v14, s[4:5]
	v_mul_f32_e32 v13, 0x37800000, v3
	v_cndmask_b32_e32 v13, v3, v13, vcc
	v_mov_b32_e32 v3, 0x260
	v_cmp_class_f32_e64 s[4:5], v2, v3
	s_and_b64 vcc, exec, s[2:3]
	s_nop 0
	v_cndmask_b32_e64 v2, v13, v2, s[4:5]
	s_cbranch_vccnz .LBB275_10
; %bb.9:
	global_load_dword v13, v10, s[22:23] offset:8
	s_waitcnt vmcnt(0)
	v_add_f32_e32 v2, v2, v13
.LBB275_10:
	v_cvt_f32_f16_sdwa v13, v5 dst_sel:DWORD dst_unused:UNUSED_PAD src0_sel:WORD_1
	v_mul_f32_e32 v14, 0x3fb8aa3b, v13
	v_exp_f32_e32 v14, v14
	s_nop 0
	v_add_f32_e32 v14, 1.0, v14
	v_cmp_gt_f32_e32 vcc, s8, v14
	s_nop 1
	v_cndmask_b32_e32 v4, 1.0, v4, vcc
	v_mul_f32_e32 v4, v14, v4
	v_log_f32_e32 v4, v4
	v_cndmask_b32_e32 v11, 0, v11, vcc
	v_mul_f32_e32 v14, 0x3f317217, v4
	v_fma_f32 v14, v4, s7, -v14
	v_fmac_f32_e32 v14, 0x3377d1cf, v4
	v_fmac_f32_e32 v14, 0x3f317217, v4
	v_cmp_lt_f32_e64 vcc, |v4|, s9
	s_nop 1
	v_cndmask_b32_e32 v4, v4, v14, vcc
	v_sub_f32_e32 v4, v4, v11
	v_cmp_gt_f16_sdwa vcc, v5, s6 src0_sel:WORD_1 src1_sel:DWORD
	s_nop 1
	v_cndmask_b32_e32 v4, v4, v13, vcc
	v_mul_f32_e32 v5, 0x4f800000, v4
	v_cmp_gt_f32_e64 s[4:5], s10, v4
	s_and_b64 vcc, exec, s[2:3]
	s_nop 0
	v_cndmask_b32_e64 v4, v4, v5, s[4:5]
	v_sqrt_f32_e32 v5, v4
	s_nop 0
	v_add_u32_e32 v11, -1, v5
	v_add_u32_e32 v13, 1, v5
	v_fma_f32 v14, -v11, v5, v4
	v_fma_f32 v15, -v13, v5, v4
	v_cmp_ge_f32_e64 s[6:7], 0, v14
	s_nop 1
	v_cndmask_b32_e64 v5, v5, v11, s[6:7]
	v_cmp_lt_f32_e64 s[6:7], 0, v15
	s_nop 1
	v_cndmask_b32_e64 v5, v5, v13, s[6:7]
	v_mul_f32_e32 v11, 0x37800000, v5
	v_cndmask_b32_e64 v5, v5, v11, s[4:5]
	v_cmp_class_f32_e64 s[4:5], v4, v3
	s_nop 1
	v_cndmask_b32_e64 v3, v5, v4, s[4:5]
	s_cbranch_vccnz .LBB275_12
; %bb.11:
	global_load_dword v4, v10, s[22:23] offset:12
	s_waitcnt vmcnt(0)
	v_add_f32_e32 v3, v3, v4
.LBB275_12:
	v_cvt_f32_f16_e32 v4, v6
	v_mov_b32_e32 v11, 0x4f800000
	s_mov_b32 s7, 0x3f317217
	s_movk_i32 s6, 0x4d00
	v_mul_f32_e32 v5, 0x3fb8aa3b, v4
	v_exp_f32_e32 v5, v5
	s_nop 0
	v_add_f32_e32 v5, 1.0, v5
	v_cmp_gt_f32_e32 vcc, s8, v5
	s_nop 1
	v_cndmask_b32_e32 v13, 1.0, v11, vcc
	v_mul_f32_e32 v5, v5, v13
	v_log_f32_e32 v5, v5
	v_mov_b32_e32 v13, 0x41b17218
	v_cndmask_b32_e32 v14, 0, v13, vcc
	v_mul_f32_e32 v15, 0x3f317217, v5
	v_fma_f32 v15, v5, s7, -v15
	v_fmac_f32_e32 v15, 0x3377d1cf, v5
	v_fmac_f32_e32 v15, 0x3f317217, v5
	v_cmp_lt_f32_e64 vcc, |v5|, s9
	s_nop 1
	v_cndmask_b32_e32 v5, v5, v15, vcc
	v_sub_f32_e32 v5, v5, v14
	v_cmp_lt_f16_e32 vcc, s6, v6
	s_nop 1
	v_cndmask_b32_e32 v4, v5, v4, vcc
	v_mul_f32_e32 v5, 0x4f800000, v4
	v_cmp_gt_f32_e32 vcc, s10, v4
	s_nop 1
	v_cndmask_b32_e32 v4, v4, v5, vcc
	v_sqrt_f32_e32 v5, v4
	s_nop 0
	v_add_u32_e32 v14, -1, v5
	v_fma_f32 v15, -v14, v5, v4
	v_cmp_ge_f32_e64 s[4:5], 0, v15
	v_add_u32_e32 v15, 1, v5
	s_nop 0
	v_cndmask_b32_e64 v14, v5, v14, s[4:5]
	v_fma_f32 v5, -v15, v5, v4
	v_cmp_lt_f32_e64 s[4:5], 0, v5
	s_nop 1
	v_cndmask_b32_e64 v5, v14, v15, s[4:5]
	v_mul_f32_e32 v14, 0x37800000, v5
	v_cndmask_b32_e32 v14, v5, v14, vcc
	v_mov_b32_e32 v5, 0x260
	v_cmp_class_f32_e64 s[4:5], v4, v5
	s_and_b64 vcc, exec, s[2:3]
	s_nop 0
	v_cndmask_b32_e64 v4, v14, v4, s[4:5]
	s_cbranch_vccnz .LBB275_14
; %bb.13:
	global_load_dword v14, v10, s[22:23] offset:16
	s_waitcnt vmcnt(0)
	v_add_f32_e32 v4, v4, v14
.LBB275_14:
	v_cvt_f32_f16_sdwa v14, v6 dst_sel:DWORD dst_unused:UNUSED_PAD src0_sel:WORD_1
	v_mul_f32_e32 v15, 0x3fb8aa3b, v14
	v_exp_f32_e32 v15, v15
	s_nop 0
	v_add_f32_e32 v15, 1.0, v15
	v_cmp_gt_f32_e32 vcc, s8, v15
	s_nop 1
	v_cndmask_b32_e32 v11, 1.0, v11, vcc
	v_mul_f32_e32 v11, v15, v11
	v_log_f32_e32 v11, v11
	v_cndmask_b32_e32 v13, 0, v13, vcc
	v_mul_f32_e32 v15, 0x3f317217, v11
	v_fma_f32 v15, v11, s7, -v15
	v_fmac_f32_e32 v15, 0x3377d1cf, v11
	v_fmac_f32_e32 v15, 0x3f317217, v11
	v_cmp_lt_f32_e64 vcc, |v11|, s9
	s_nop 1
	v_cndmask_b32_e32 v11, v11, v15, vcc
	v_sub_f32_e32 v11, v11, v13
	v_cmp_gt_f16_sdwa vcc, v6, s6 src0_sel:WORD_1 src1_sel:DWORD
	s_nop 1
	v_cndmask_b32_e32 v6, v11, v14, vcc
	v_mul_f32_e32 v11, 0x4f800000, v6
	v_cmp_gt_f32_e64 s[4:5], s10, v6
	s_and_b64 vcc, exec, s[2:3]
	s_nop 0
	v_cndmask_b32_e64 v6, v6, v11, s[4:5]
	v_sqrt_f32_e32 v11, v6
	s_nop 0
	v_add_u32_e32 v13, -1, v11
	v_add_u32_e32 v14, 1, v11
	v_fma_f32 v15, -v13, v11, v6
	v_fma_f32 v16, -v14, v11, v6
	v_cmp_ge_f32_e64 s[6:7], 0, v15
	s_nop 1
	v_cndmask_b32_e64 v11, v11, v13, s[6:7]
	v_cmp_lt_f32_e64 s[6:7], 0, v16
	s_nop 1
	v_cndmask_b32_e64 v11, v11, v14, s[6:7]
	v_mul_f32_e32 v13, 0x37800000, v11
	v_cndmask_b32_e64 v11, v11, v13, s[4:5]
	v_cmp_class_f32_e64 s[4:5], v6, v5
	s_nop 1
	v_cndmask_b32_e64 v5, v11, v6, s[4:5]
	s_cbranch_vccnz .LBB275_16
; %bb.15:
	global_load_dword v6, v10, s[22:23] offset:20
	s_waitcnt vmcnt(0)
	v_add_f32_e32 v5, v5, v6
.LBB275_16:
	v_cvt_f32_f16_e32 v6, v7
	v_mov_b32_e32 v13, 0x4f800000
	s_mov_b32 s7, 0x3f317217
	s_movk_i32 s6, 0x4d00
	v_mul_f32_e32 v11, 0x3fb8aa3b, v6
	v_exp_f32_e32 v11, v11
	s_nop 0
	v_add_f32_e32 v11, 1.0, v11
	v_cmp_gt_f32_e32 vcc, s8, v11
	s_nop 1
	v_cndmask_b32_e32 v14, 1.0, v13, vcc
	v_mul_f32_e32 v11, v11, v14
	v_log_f32_e32 v11, v11
	v_mov_b32_e32 v14, 0x41b17218
	v_cndmask_b32_e32 v15, 0, v14, vcc
	v_mul_f32_e32 v16, 0x3f317217, v11
	v_fma_f32 v16, v11, s7, -v16
	v_fmac_f32_e32 v16, 0x3377d1cf, v11
	v_fmac_f32_e32 v16, 0x3f317217, v11
	v_cmp_lt_f32_e64 vcc, |v11|, s9
	s_nop 1
	v_cndmask_b32_e32 v11, v11, v16, vcc
	v_sub_f32_e32 v11, v11, v15
	v_cmp_lt_f16_e32 vcc, s6, v7
	s_nop 1
	v_cndmask_b32_e32 v6, v11, v6, vcc
	v_mul_f32_e32 v11, 0x4f800000, v6
	v_cmp_gt_f32_e32 vcc, s10, v6
	s_nop 1
	v_cndmask_b32_e32 v6, v6, v11, vcc
	v_sqrt_f32_e32 v11, v6
	s_nop 0
	v_add_u32_e32 v15, -1, v11
	v_fma_f32 v16, -v15, v11, v6
	v_cmp_ge_f32_e64 s[4:5], 0, v16
	v_add_u32_e32 v16, 1, v11
	s_nop 0
	v_cndmask_b32_e64 v15, v11, v15, s[4:5]
	v_fma_f32 v11, -v16, v11, v6
	v_cmp_lt_f32_e64 s[4:5], 0, v11
	s_nop 1
	v_cndmask_b32_e64 v11, v15, v16, s[4:5]
	v_mul_f32_e32 v15, 0x37800000, v11
	v_cndmask_b32_e32 v15, v11, v15, vcc
	v_mov_b32_e32 v11, 0x260
	v_cmp_class_f32_e64 s[4:5], v6, v11
	s_and_b64 vcc, exec, s[2:3]
	s_nop 0
	v_cndmask_b32_e64 v6, v15, v6, s[4:5]
	s_cbranch_vccnz .LBB275_18
; %bb.17:
	global_load_dword v15, v10, s[22:23] offset:24
	s_waitcnt vmcnt(0)
	v_add_f32_e32 v6, v6, v15
.LBB275_18:
	v_cvt_f32_f16_sdwa v15, v7 dst_sel:DWORD dst_unused:UNUSED_PAD src0_sel:WORD_1
	v_mul_f32_e32 v16, 0x3fb8aa3b, v15
	v_exp_f32_e32 v16, v16
	s_nop 0
	v_add_f32_e32 v16, 1.0, v16
	v_cmp_gt_f32_e32 vcc, s8, v16
	s_nop 1
	v_cndmask_b32_e32 v13, 1.0, v13, vcc
	v_mul_f32_e32 v13, v16, v13
	v_log_f32_e32 v13, v13
	v_cndmask_b32_e32 v14, 0, v14, vcc
	v_mul_f32_e32 v16, 0x3f317217, v13
	v_fma_f32 v16, v13, s7, -v16
	v_fmac_f32_e32 v16, 0x3377d1cf, v13
	v_fmac_f32_e32 v16, 0x3f317217, v13
	v_cmp_lt_f32_e64 vcc, |v13|, s9
	s_nop 1
	v_cndmask_b32_e32 v13, v13, v16, vcc
	v_sub_f32_e32 v13, v13, v14
	v_cmp_gt_f16_sdwa vcc, v7, s6 src0_sel:WORD_1 src1_sel:DWORD
	s_nop 1
	v_cndmask_b32_e32 v7, v13, v15, vcc
	v_mul_f32_e32 v13, 0x4f800000, v7
	v_cmp_gt_f32_e64 s[4:5], s10, v7
	s_and_b64 vcc, exec, s[2:3]
	s_nop 0
	v_cndmask_b32_e64 v7, v7, v13, s[4:5]
	v_sqrt_f32_e32 v13, v7
	s_nop 0
	v_add_u32_e32 v14, -1, v13
	v_add_u32_e32 v15, 1, v13
	v_fma_f32 v16, -v14, v13, v7
	v_fma_f32 v17, -v15, v13, v7
	v_cmp_ge_f32_e64 s[6:7], 0, v16
	s_nop 1
	v_cndmask_b32_e64 v13, v13, v14, s[6:7]
	v_cmp_lt_f32_e64 s[6:7], 0, v17
	s_nop 1
	v_cndmask_b32_e64 v13, v13, v15, s[6:7]
	v_mul_f32_e32 v14, 0x37800000, v13
	v_cndmask_b32_e64 v13, v13, v14, s[4:5]
	v_cmp_class_f32_e64 s[4:5], v7, v11
	s_nop 1
	v_cndmask_b32_e64 v7, v13, v7, s[4:5]
	s_cbranch_vccnz .LBB275_20
; %bb.19:
	global_load_dword v10, v10, s[22:23] offset:28
	s_waitcnt vmcnt(0)
	v_add_f32_e32 v7, v7, v10
.LBB275_20:
	s_load_dwordx4 s[24:27], s[0:1], 0x30
	s_mov_b32 s42, 0
	v_cmp_eq_u32_e64 s[6:7], 0, v9
	s_waitcnt lgkmcnt(0)
	s_bitcmp1_b32 s27, 0
	s_cselect_b64 s[4:5], -1, 0
	s_cmp_gt_i32 s24, 0
	s_cselect_b64 s[38:39], -1, 0
	s_and_b64 vcc, exec, s[38:39]
	s_cbranch_vccz .LBB275_51
; %bb.21:
	v_mbcnt_lo_u32_b32 v10, -1, 0
	v_mbcnt_hi_u32_b32 v10, -1, v10
	v_and_b32_e32 v11, 0x60, v10
	v_add_u32_e32 v11, 32, v11
	v_xor_b32_e32 v13, 16, v10
	v_cmp_lt_i32_e32 vcc, v13, v11
	s_load_dwordx4 s[28:31], s[0:1], 0x20
	v_mul_lo_u32 v14, v8, s24
	v_cndmask_b32_e32 v13, v10, v13, vcc
	v_lshlrev_b32_e32 v15, 2, v13
	v_xor_b32_e32 v13, 8, v10
	v_cmp_lt_i32_e32 vcc, v13, v11
	v_mov_b32_e32 v20, 0x100
	v_mov_b32_e32 v21, 0xc61c4000
	v_cndmask_b32_e32 v13, v10, v13, vcc
	v_lshlrev_b32_e32 v16, 2, v13
	v_xor_b32_e32 v13, 4, v10
	v_cmp_lt_i32_e32 vcc, v13, v11
	v_mov_b32_e32 v22, v8
	s_nop 0
	v_cndmask_b32_e32 v13, v10, v13, vcc
	v_lshlrev_b32_e32 v17, 2, v13
	v_xor_b32_e32 v13, 2, v10
	v_cmp_lt_i32_e32 vcc, v13, v11
	s_nop 1
	v_cndmask_b32_e32 v13, v10, v13, vcc
	v_lshlrev_b32_e32 v18, 2, v13
	v_xor_b32_e32 v13, 1, v10
	v_cmp_lt_i32_e32 vcc, v13, v11
	s_nop 1
	v_cndmask_b32_e32 v10, v10, v13, vcc
	v_lshlrev_b32_e32 v19, 2, v10
	v_mov_b32_e32 v13, 0
	s_branch .LBB275_24
.LBB275_22:                             ;   in Loop: Header=BB275_24 Depth=1
	s_or_b64 exec, exec, s[40:41]
.LBB275_23:                             ;   in Loop: Header=BB275_24 Depth=1
	s_cmp_eq_u32 s24, s42
	v_add_u32_e32 v22, s33, v22
	s_cbranch_scc1 .LBB275_52
.LBB275_24:                             ; =>This Inner Loop Header: Depth=1
	v_cmp_gt_f32_e32 vcc, v1, v0
	s_nop 1
	v_cndmask_b32_e32 v11, v0, v1, vcc
	v_cndmask_b32_e64 v10, 0, 1, vcc
	v_cmp_gt_f32_e32 vcc, v2, v11
	s_nop 1
	v_cndmask_b32_e32 v11, v11, v2, vcc
	v_cndmask_b32_e64 v10, v10, 2, vcc
	;; [unrolled: 4-line block ×6, first 2 shown]
	v_cmp_gt_f32_e32 vcc, v7, v11
	s_nop 1
	v_cndmask_b32_e64 v10, v10, 7, vcc
	v_cndmask_b32_e32 v23, v11, v7, vcc
	ds_bpermute_b32 v11, v15, v23
	v_or_b32_e32 v10, v12, v10
	s_waitcnt lgkmcnt(0)
	ds_bpermute_b32 v24, v15, v10
	s_waitcnt lgkmcnt(0)
	v_cmp_lt_f32_e64 s[8:9], v23, v11
	v_cmp_nlt_f32_e32 vcc, v23, v11
	s_and_saveexec_b64 s[10:11], vcc
; %bb.25:                               ;   in Loop: Header=BB275_24 Depth=1
	v_cmp_eq_f32_e32 vcc, v23, v11
	v_cmp_lt_i32_e64 s[0:1], v24, v10
	s_and_b64 s[0:1], vcc, s[0:1]
	s_andn2_b64 s[8:9], s[8:9], exec
	s_and_b64 s[0:1], s[0:1], exec
	s_or_b64 s[8:9], s[8:9], s[0:1]
; %bb.26:                               ;   in Loop: Header=BB275_24 Depth=1
	s_or_b64 exec, exec, s[10:11]
	s_and_saveexec_b64 s[0:1], s[8:9]
; %bb.27:                               ;   in Loop: Header=BB275_24 Depth=1
	v_mov_b32_e32 v23, v11
	v_mov_b32_e32 v10, v24
; %bb.28:                               ;   in Loop: Header=BB275_24 Depth=1
	s_or_b64 exec, exec, s[0:1]
	ds_bpermute_b32 v11, v16, v23
	ds_bpermute_b32 v24, v16, v10
	s_waitcnt lgkmcnt(1)
	v_cmp_lt_f32_e64 s[8:9], v23, v11
	v_cmp_nlt_f32_e32 vcc, v23, v11
	s_and_saveexec_b64 s[10:11], vcc
	s_cbranch_execz .LBB275_30
; %bb.29:                               ;   in Loop: Header=BB275_24 Depth=1
	v_cmp_eq_f32_e32 vcc, v23, v11
	s_waitcnt lgkmcnt(0)
	v_cmp_lt_i32_e64 s[0:1], v24, v10
	s_and_b64 s[0:1], vcc, s[0:1]
	s_andn2_b64 s[8:9], s[8:9], exec
	s_and_b64 s[0:1], s[0:1], exec
	s_or_b64 s[8:9], s[8:9], s[0:1]
.LBB275_30:                             ;   in Loop: Header=BB275_24 Depth=1
	s_or_b64 exec, exec, s[10:11]
	s_and_saveexec_b64 s[0:1], s[8:9]
	s_cbranch_execz .LBB275_32
; %bb.31:                               ;   in Loop: Header=BB275_24 Depth=1
	v_mov_b32_e32 v23, v11
	s_waitcnt lgkmcnt(0)
	v_mov_b32_e32 v10, v24
.LBB275_32:                             ;   in Loop: Header=BB275_24 Depth=1
	s_or_b64 exec, exec, s[0:1]
	ds_bpermute_b32 v11, v17, v23
	s_waitcnt lgkmcnt(1)
	ds_bpermute_b32 v24, v17, v10
	s_waitcnt lgkmcnt(1)
	v_cmp_lt_f32_e64 s[8:9], v23, v11
	v_cmp_nlt_f32_e32 vcc, v23, v11
	s_and_saveexec_b64 s[10:11], vcc
	s_cbranch_execz .LBB275_34
; %bb.33:                               ;   in Loop: Header=BB275_24 Depth=1
	v_cmp_eq_f32_e32 vcc, v23, v11
	s_waitcnt lgkmcnt(0)
	v_cmp_lt_i32_e64 s[0:1], v24, v10
	s_and_b64 s[0:1], vcc, s[0:1]
	s_andn2_b64 s[8:9], s[8:9], exec
	s_and_b64 s[0:1], s[0:1], exec
	s_or_b64 s[8:9], s[8:9], s[0:1]
.LBB275_34:                             ;   in Loop: Header=BB275_24 Depth=1
	s_or_b64 exec, exec, s[10:11]
	s_and_saveexec_b64 s[0:1], s[8:9]
	s_cbranch_execz .LBB275_36
; %bb.35:                               ;   in Loop: Header=BB275_24 Depth=1
	v_mov_b32_e32 v23, v11
	s_waitcnt lgkmcnt(0)
	v_mov_b32_e32 v10, v24
.LBB275_36:                             ;   in Loop: Header=BB275_24 Depth=1
	s_or_b64 exec, exec, s[0:1]
	ds_bpermute_b32 v11, v18, v23
	s_waitcnt lgkmcnt(1)
	;; [unrolled: 26-line block ×3, first 2 shown]
	ds_bpermute_b32 v24, v19, v10
	s_waitcnt lgkmcnt(1)
	v_cmp_lt_f32_e64 s[8:9], v23, v11
	v_cmp_nlt_f32_e32 vcc, v23, v11
	s_and_saveexec_b64 s[10:11], vcc
	s_cbranch_execnz .LBB275_44
; %bb.41:                               ;   in Loop: Header=BB275_24 Depth=1
	s_or_b64 exec, exec, s[10:11]
	s_and_saveexec_b64 s[0:1], s[8:9]
	s_cbranch_execnz .LBB275_45
.LBB275_42:                             ;   in Loop: Header=BB275_24 Depth=1
	s_or_b64 exec, exec, s[0:1]
	s_and_saveexec_b64 s[8:9], s[6:7]
	s_cbranch_execnz .LBB275_46
.LBB275_43:                             ;   in Loop: Header=BB275_24 Depth=1
	s_or_b64 exec, exec, s[8:9]
	s_add_i32 s42, s42, 1
	s_cmp_ge_i32 s42, s24
	s_cbranch_scc1 .LBB275_23
	s_branch .LBB275_49
.LBB275_44:                             ;   in Loop: Header=BB275_24 Depth=1
	v_cmp_eq_f32_e32 vcc, v23, v11
	s_waitcnt lgkmcnt(0)
	v_cmp_lt_i32_e64 s[0:1], v24, v10
	s_and_b64 s[0:1], vcc, s[0:1]
	s_andn2_b64 s[8:9], s[8:9], exec
	s_and_b64 s[0:1], s[0:1], exec
	s_or_b64 s[8:9], s[8:9], s[0:1]
	s_or_b64 exec, exec, s[10:11]
	s_and_saveexec_b64 s[0:1], s[8:9]
	s_cbranch_execz .LBB275_42
.LBB275_45:                             ;   in Loop: Header=BB275_24 Depth=1
	s_waitcnt lgkmcnt(0)
	v_mov_b32_e32 v10, v24
	v_mov_b32_e32 v23, v11
	s_or_b64 exec, exec, s[0:1]
	s_and_saveexec_b64 s[8:9], s[6:7]
	s_cbranch_execz .LBB275_43
.LBB275_46:                             ;   in Loop: Header=BB275_24 Depth=1
	s_and_b64 vcc, exec, s[2:3]
	s_cbranch_vccnz .LBB275_48
; %bb.47:                               ;   in Loop: Header=BB275_24 Depth=1
	v_ashrrev_i32_e32 v11, 31, v10
	s_waitcnt lgkmcnt(0)
	v_lshl_add_u64 v[24:25], v[10:11], 2, s[22:23]
	global_load_dword v11, v[24:25], off
	s_waitcnt vmcnt(0)
	v_sub_f32_e32 v23, v23, v11
.LBB275_48:                             ;   in Loop: Header=BB275_24 Depth=1
	s_waitcnt lgkmcnt(0)
	v_add_u32_e32 v24, s42, v14
	v_cmp_le_i32_e32 vcc, s25, v10
	v_cmp_gt_i32_e64 s[0:1], s26, v10
	v_ashrrev_i32_e32 v25, 31, v24
	s_and_b64 s[0:1], vcc, s[0:1]
	v_lshlrev_b64 v[24:25], 2, v[24:25]
	v_lshl_add_u64 v[26:27], s[34:35], 0, v[24:25]
	v_subrev_u32_e32 v11, s25, v10
	s_and_b64 vcc, s[36:37], s[0:1]
	global_store_dword v[26:27], v23, off
	v_cndmask_b32_e32 v11, v20, v11, vcc
	v_lshl_add_u64 v[26:27], s[28:29], 0, v[24:25]
	global_store_dword v[26:27], v11, off
	v_add_f32_e32 v11, v13, v23
	v_lshl_add_u64 v[24:25], s[30:31], 0, v[24:25]
	v_cndmask_b32_e64 v13, v13, v11, s[4:5]
	global_store_dword v[24:25], v22, off
	s_or_b64 exec, exec, s[8:9]
	s_add_i32 s42, s42, 1
	s_cmp_ge_i32 s42, s24
	s_cbranch_scc1 .LBB275_23
.LBB275_49:                             ;   in Loop: Header=BB275_24 Depth=1
	v_ashrrev_i32_e32 v11, 31, v10
	v_lshrrev_b32_e32 v23, 29, v11
	s_waitcnt lgkmcnt(0)
	v_add_u32_e32 v24, v10, v23
	v_ashrrev_i32_e32 v23, 3, v24
	v_ashrrev_i32_e32 v24, 31, v24
	v_lshrrev_b32_e32 v24, 27, v24
	v_add_u32_e32 v24, v23, v24
	v_and_b32_e32 v24, 0xffffffe0, v24
	v_sub_u32_e32 v24, v23, v24
	v_cmp_eq_u32_e32 vcc, v9, v24
	s_and_saveexec_b64 s[40:41], vcc
	s_cbranch_execz .LBB275_22
; %bb.50:                               ;   in Loop: Header=BB275_24 Depth=1
	v_add_u32_sdwa v11, v10, v11 dst_sel:DWORD dst_unused:UNUSED_PAD src0_sel:DWORD src1_sel:BYTE_3
	v_lshlrev_b32_e32 v23, 3, v23
	v_sub_u32_e32 v10, v10, v23
	v_ashrrev_i32_e32 v11, 8, v11
	v_lshl_add_u32 v10, v11, 3, v10
	v_cmp_ne_u32_e32 vcc, 6, v10
	v_cmp_ne_u32_e64 s[0:1], 5, v10
	v_cmp_ne_u32_e64 s[8:9], 4, v10
	;; [unrolled: 1-line block ×7, first 2 shown]
	v_cndmask_b32_e32 v6, v21, v6, vcc
	v_cndmask_b32_e64 v5, v21, v5, s[0:1]
	v_cndmask_b32_e64 v7, v21, v7, s[18:19]
	;; [unrolled: 1-line block ×7, first 2 shown]
	s_branch .LBB275_22
.LBB275_51:
	v_mov_b32_e32 v13, 0
.LBB275_52:
	v_cmp_eq_u32_e32 vcc, 0, v9
	s_and_b64 exec, exec, vcc
	s_cbranch_execz .LBB275_65
; %bb.53:
	s_andn2_b64 vcc, exec, s[4:5]
	v_cvt_f32_f64_e32 v0, s[20:21]
	s_cbranch_vccnz .LBB275_55
; %bb.54:
	v_cmp_lt_f32_e32 vcc, 0, v13
	s_nop 1
	v_cndmask_b32_e32 v1, 1.0, v13, vcc
	v_div_scale_f32 v2, s[0:1], v1, v1, v0
	v_rcp_f32_e32 v3, v2
	s_nop 0
	v_fma_f32 v4, -v2, v3, 1.0
	v_fmac_f32_e32 v3, v4, v3
	v_div_scale_f32 v4, vcc, v0, v1, v0
	v_mul_f32_e32 v5, v4, v3
	v_fma_f32 v6, -v2, v5, v4
	v_fmac_f32_e32 v5, v6, v3
	v_fma_f32 v2, -v2, v5, v4
	v_div_fmas_f32 v2, v2, v3, v5
	v_div_fixup_f32 v0, v2, v1, v0
.LBB275_55:
	s_andn2_b64 vcc, exec, s[38:39]
	s_cbranch_vccnz .LBB275_65
; %bb.56:
	v_mul_lo_u32 v2, v8, s24
	s_cmp_gt_u32 s24, 3
	v_ashrrev_i32_e32 v3, 31, v2
	s_cbranch_scc0 .LBB275_60
; %bb.57:
	s_and_b32 s0, s24, 0x7ffffffc
	v_lshl_add_u64 v[4:5], v[2:3], 2, s[34:35]
	v_mov_b32_e32 v1, v0
	v_lshl_add_u64 v[4:5], v[4:5], 0, 8
	s_mov_b32 s1, s0
.LBB275_58:                             ; =>This Inner Loop Header: Depth=1
	global_load_dwordx4 v[6:9], v[4:5], off offset:-8
	s_add_i32 s1, s1, -4
	s_cmp_lg_u32 s1, 0
	s_waitcnt vmcnt(0)
	v_pk_mul_f32 v[6:7], v[0:1], v[6:7]
	v_pk_mul_f32 v[8:9], v[0:1], v[8:9]
	global_store_dwordx4 v[4:5], v[6:9], off offset:-8
	v_lshl_add_u64 v[4:5], v[4:5], 0, 16
	s_cbranch_scc1 .LBB275_58
; %bb.59:
	s_cmp_lg_u32 s0, s24
	s_cselect_b64 s[2:3], -1, 0
	s_branch .LBB275_62
.LBB275_60:
	s_mov_b64 s[2:3], 0
                                        ; implicit-def: $sgpr0
	s_cbranch_execz .LBB275_62
; %bb.61:
	s_mov_b64 s[2:3], -1
	s_mov_b32 s0, 0
.LBB275_62:
	s_andn2_b64 vcc, exec, s[2:3]
	s_cbranch_vccnz .LBB275_65
; %bb.63:
	s_mov_b32 s1, 0
	v_lshl_add_u64 v[2:3], v[2:3], 0, s[0:1]
	s_sub_i32 s2, s24, s0
	v_lshl_add_u64 v[2:3], v[2:3], 2, s[34:35]
.LBB275_64:                             ; =>This Inner Loop Header: Depth=1
	global_load_dword v1, v[2:3], off
	s_add_i32 s2, s2, -1
	s_cmp_lg_u32 s2, 0
	s_waitcnt vmcnt(0)
	v_mul_f32_e32 v1, v0, v1
	global_store_dword v[2:3], v1, off
	v_lshl_add_u64 v[2:3], v[2:3], 0, 4
	s_cbranch_scc1 .LBB275_64
.LBB275_65:
	s_endpgm
	.section	.rodata,"a",@progbits
	.p2align	6, 0x0
	.amdhsa_kernel _ZN4vllm3moe22topkGatingSoftplusSqrtILi8ELi256ELi4ELi16ELi32ELb0Ej6__halfEEvPKT6_PKbPfiPT5_PiiiibdPKfPKS9_SF_
		.amdhsa_group_segment_fixed_size 0
		.amdhsa_private_segment_fixed_size 0
		.amdhsa_kernarg_size 96
		.amdhsa_user_sgpr_count 2
		.amdhsa_user_sgpr_dispatch_ptr 0
		.amdhsa_user_sgpr_queue_ptr 0
		.amdhsa_user_sgpr_kernarg_segment_ptr 1
		.amdhsa_user_sgpr_dispatch_id 0
		.amdhsa_user_sgpr_kernarg_preload_length 0
		.amdhsa_user_sgpr_kernarg_preload_offset 0
		.amdhsa_user_sgpr_private_segment_size 0
		.amdhsa_uses_dynamic_stack 0
		.amdhsa_enable_private_segment 0
		.amdhsa_system_sgpr_workgroup_id_x 1
		.amdhsa_system_sgpr_workgroup_id_y 0
		.amdhsa_system_sgpr_workgroup_id_z 0
		.amdhsa_system_sgpr_workgroup_info 0
		.amdhsa_system_vgpr_workitem_id 1
		.amdhsa_next_free_vgpr 28
		.amdhsa_next_free_sgpr 43
		.amdhsa_accum_offset 28
		.amdhsa_reserve_vcc 1
		.amdhsa_float_round_mode_32 0
		.amdhsa_float_round_mode_16_64 0
		.amdhsa_float_denorm_mode_32 3
		.amdhsa_float_denorm_mode_16_64 3
		.amdhsa_dx10_clamp 1
		.amdhsa_ieee_mode 1
		.amdhsa_fp16_overflow 0
		.amdhsa_tg_split 0
		.amdhsa_exception_fp_ieee_invalid_op 0
		.amdhsa_exception_fp_denorm_src 0
		.amdhsa_exception_fp_ieee_div_zero 0
		.amdhsa_exception_fp_ieee_overflow 0
		.amdhsa_exception_fp_ieee_underflow 0
		.amdhsa_exception_fp_ieee_inexact 0
		.amdhsa_exception_int_div_zero 0
	.end_amdhsa_kernel
	.section	.text._ZN4vllm3moe22topkGatingSoftplusSqrtILi8ELi256ELi4ELi16ELi32ELb0Ej6__halfEEvPKT6_PKbPfiPT5_PiiiibdPKfPKS9_SF_,"axG",@progbits,_ZN4vllm3moe22topkGatingSoftplusSqrtILi8ELi256ELi4ELi16ELi32ELb0Ej6__halfEEvPKT6_PKbPfiPT5_PiiiibdPKfPKS9_SF_,comdat
.Lfunc_end275:
	.size	_ZN4vllm3moe22topkGatingSoftplusSqrtILi8ELi256ELi4ELi16ELi32ELb0Ej6__halfEEvPKT6_PKbPfiPT5_PiiiibdPKfPKS9_SF_, .Lfunc_end275-_ZN4vllm3moe22topkGatingSoftplusSqrtILi8ELi256ELi4ELi16ELi32ELb0Ej6__halfEEvPKT6_PKbPfiPT5_PiiiibdPKfPKS9_SF_
                                        ; -- End function
	.section	.AMDGPU.csdata,"",@progbits
; Kernel info:
; codeLenInByte = 4204
; NumSgprs: 49
; NumVgprs: 28
; NumAgprs: 0
; TotalNumVgprs: 28
; ScratchSize: 0
; MemoryBound: 0
; FloatMode: 240
; IeeeMode: 1
; LDSByteSize: 0 bytes/workgroup (compile time only)
; SGPRBlocks: 6
; VGPRBlocks: 3
; NumSGPRsForWavesPerEU: 49
; NumVGPRsForWavesPerEU: 28
; AccumOffset: 28
; Occupancy: 8
; WaveLimiterHint : 0
; COMPUTE_PGM_RSRC2:SCRATCH_EN: 0
; COMPUTE_PGM_RSRC2:USER_SGPR: 2
; COMPUTE_PGM_RSRC2:TRAP_HANDLER: 0
; COMPUTE_PGM_RSRC2:TGID_X_EN: 1
; COMPUTE_PGM_RSRC2:TGID_Y_EN: 0
; COMPUTE_PGM_RSRC2:TGID_Z_EN: 0
; COMPUTE_PGM_RSRC2:TIDIG_COMP_CNT: 1
; COMPUTE_PGM_RSRC3_GFX90A:ACCUM_OFFSET: 6
; COMPUTE_PGM_RSRC3_GFX90A:TG_SPLIT: 0
	.section	.text._ZN4vllm3moe22topkGatingSoftplusSqrtILi8ELi512ELi4ELi16ELi64ELb1Ej6__halfEEvPKT6_PKbPfiPT5_PiiiibdPKfPKS9_SF_,"axG",@progbits,_ZN4vllm3moe22topkGatingSoftplusSqrtILi8ELi512ELi4ELi16ELi64ELb1Ej6__halfEEvPKT6_PKbPfiPT5_PiiiibdPKfPKS9_SF_,comdat
	.protected	_ZN4vllm3moe22topkGatingSoftplusSqrtILi8ELi512ELi4ELi16ELi64ELb1Ej6__halfEEvPKT6_PKbPfiPT5_PiiiibdPKfPKS9_SF_ ; -- Begin function _ZN4vllm3moe22topkGatingSoftplusSqrtILi8ELi512ELi4ELi16ELi64ELb1Ej6__halfEEvPKT6_PKbPfiPT5_PiiiibdPKfPKS9_SF_
	.globl	_ZN4vllm3moe22topkGatingSoftplusSqrtILi8ELi512ELi4ELi16ELi64ELb1Ej6__halfEEvPKT6_PKbPfiPT5_PiiiibdPKfPKS9_SF_
	.p2align	8
	.type	_ZN4vllm3moe22topkGatingSoftplusSqrtILi8ELi512ELi4ELi16ELi64ELb1Ej6__halfEEvPKT6_PKbPfiPT5_PiiiibdPKfPKS9_SF_,@function
_ZN4vllm3moe22topkGatingSoftplusSqrtILi8ELi512ELi4ELi16ELi64ELb1Ej6__halfEEvPKT6_PKbPfiPT5_PiiiibdPKfPKS9_SF_: ; @_ZN4vllm3moe22topkGatingSoftplusSqrtILi8ELi512ELi4ELi16ELi64ELb1Ej6__halfEEvPKT6_PKbPfiPT5_PiiiibdPKfPKS9_SF_
; %bb.0:
	s_load_dword s3, s[0:1], 0x18
	v_and_b32_e32 v8, 0x3ff, v0
	s_lshl_b32 s2, s2, 2
	v_lshrrev_b32_e32 v1, 6, v8
	v_bfe_u32 v0, v0, 10, 10
	v_add3_u32 v6, s2, v0, v1
	s_waitcnt lgkmcnt(0)
	v_cmp_gt_i32_e32 vcc, s3, v6
	s_and_saveexec_b64 s[2:3], vcc
	s_cbranch_execz .LBB276_32
; %bb.1:
	s_load_dwordx2 s[2:3], s[0:1], 0x0
	s_load_dword s33, s[0:1], 0x30
	v_lshlrev_b32_e32 v0, 9, v6
	v_lshlrev_b32_e32 v2, 3, v8
	v_ashrrev_i32_e32 v1, 31, v0
	v_and_b32_e32 v10, 0x1f8, v2
	s_waitcnt lgkmcnt(0)
	v_lshl_add_u64 v[0:1], v[0:1], 1, s[2:3]
	v_lshlrev_b32_e32 v4, 1, v10
	v_mov_b32_e32 v5, 0
	v_lshl_add_u64 v[0:1], v[0:1], 0, v[4:5]
	global_load_dwordx4 v[0:3], v[0:1], off
	s_load_dwordx4 s[8:11], s[0:1], 0x50
	v_ashrrev_i32_e32 v7, 31, v6
	s_mov_b32 s15, 0x800000
	s_mov_b32 s13, 0x3f317217
	;; [unrolled: 1-line block ×3, first 2 shown]
	s_waitcnt lgkmcnt(0)
	v_mov_b32_e32 v12, s8
	v_mov_b32_e32 v13, s9
	v_lshl_add_u64 v[12:13], v[6:7], 2, v[12:13]
	global_load_dword v4, v[12:13], off
	v_mov_b32_e32 v7, 0x4f800000
	v_mov_b32_e32 v9, 0x41b17218
	s_movk_i32 s9, 0x4d00
	s_mov_b32 s12, 0xf800000
	v_mov_b32_e32 v19, 0x260
	s_cmp_gt_i32 s33, 0
	s_mov_b32 s8, 0
	s_waitcnt vmcnt(1)
	v_cvt_f32_f16_e32 v11, v0
	v_cvt_f32_f16_sdwa v16, v0 dst_sel:DWORD dst_unused:UNUSED_PAD src0_sel:WORD_1
	v_cvt_f32_f16_e32 v17, v1
	v_cvt_f32_f16_sdwa v18, v1 dst_sel:DWORD dst_unused:UNUSED_PAD src0_sel:WORD_1
	v_mul_f32_e32 v12, 0x3fb8aa3b, v11
	v_mul_f32_e32 v13, 0x3fb8aa3b, v16
	v_exp_f32_e32 v12, v12
	v_exp_f32_e32 v13, v13
	v_mul_f32_e32 v14, 0x3fb8aa3b, v17
	v_mul_f32_e32 v15, 0x3fb8aa3b, v18
	v_exp_f32_e32 v14, v14
	v_exp_f32_e32 v15, v15
	v_pk_add_f32 v[12:13], v[12:13], 1.0 op_sel_hi:[1,0]
	s_waitcnt vmcnt(0)
	v_mul_lo_u32 v4, v4, s33
	v_cmp_gt_f32_e32 vcc, s15, v13
	v_pk_add_f32 v[14:15], v[14:15], 1.0 op_sel_hi:[1,0]
	v_cmp_gt_f32_e64 s[2:3], s15, v12
	v_cndmask_b32_e32 v20, 1.0, v7, vcc
	v_cmp_gt_f32_e64 s[4:5], s15, v15
	v_cndmask_b32_e64 v21, 1.0, v7, s[2:3]
	v_mul_f32_e32 v13, v13, v20
	v_cndmask_b32_e64 v22, 1.0, v7, s[4:5]
	v_cmp_gt_f32_e64 s[6:7], s15, v14
	v_mul_f32_e32 v12, v12, v21
	v_log_f32_e32 v13, v13
	v_cndmask_b32_e64 v23, 1.0, v7, s[6:7]
	v_mul_f32_e32 v15, v15, v22
	v_log_f32_e32 v12, v12
	v_mul_f32_e32 v14, v14, v23
	v_log_f32_e32 v15, v15
	v_log_f32_e32 v14, v14
	v_mul_f32_e32 v23, 0x3f317217, v13
	v_mul_f32_e32 v24, 0x3f317217, v12
	v_fma_f32 v23, v13, s13, -v23
	v_mul_f32_e32 v25, 0x3f317217, v15
	v_fma_f32 v24, v12, s13, -v24
	v_fmac_f32_e32 v23, 0x3377d1cf, v13
	v_cndmask_b32_e32 v20, 0, v9, vcc
	v_mul_f32_e32 v26, 0x3f317217, v14
	v_fma_f32 v25, v15, s13, -v25
	v_fmac_f32_e32 v24, 0x3377d1cf, v12
	v_fmac_f32_e32 v23, 0x3f317217, v13
	v_cmp_lt_f32_e64 vcc, |v13|, s14
	v_fma_f32 v26, v14, s13, -v26
	v_fmac_f32_e32 v25, 0x3377d1cf, v15
	v_fmac_f32_e32 v24, 0x3f317217, v12
	v_cndmask_b32_e32 v13, v13, v23, vcc
	v_cmp_lt_f32_e64 vcc, |v12|, s14
	v_fmac_f32_e32 v26, 0x3377d1cf, v14
	v_fmac_f32_e32 v25, 0x3f317217, v15
	v_cndmask_b32_e32 v12, v12, v24, vcc
	v_cmp_lt_f32_e64 vcc, |v15|, s14
	v_cndmask_b32_e64 v21, 0, v9, s[2:3]
	v_fmac_f32_e32 v26, 0x3f317217, v14
	v_cndmask_b32_e32 v15, v15, v25, vcc
	v_cmp_lt_f32_e64 vcc, |v14|, s14
	v_sub_f32_e32 v12, v12, v21
	v_sub_f32_e32 v13, v13, v20
	v_cndmask_b32_e32 v14, v14, v26, vcc
	v_cmp_lt_f16_e32 vcc, s9, v0
	v_cndmask_b32_e64 v22, 0, v9, s[4:5]
	v_sub_f32_e32 v15, v15, v22
	v_cndmask_b32_e32 v11, v12, v11, vcc
	v_cmp_gt_f16_sdwa vcc, v0, s9 src0_sel:WORD_1 src1_sel:DWORD
	v_cmp_gt_f32_e64 s[2:3], s12, v11
	s_nop 0
	v_cndmask_b32_e32 v0, v13, v16, vcc
	v_mul_f32_e32 v12, 0x4f800000, v0
	v_cmp_gt_f32_e32 vcc, s12, v0
	v_mul_f32_e32 v13, 0x4f800000, v11
	v_cndmask_b32_e64 v11, v11, v13, s[2:3]
	v_cndmask_b32_e32 v0, v0, v12, vcc
	v_sqrt_f32_e32 v12, v0
	v_sqrt_f32_e32 v13, v11
	v_add_u32_e32 v16, -1, v12
	v_add_u32_e32 v21, -1, v13
	v_fma_f32 v23, -v16, v12, v0
	v_add_u32_e32 v20, 1, v12
	v_fma_f32 v25, -v21, v13, v11
	v_cmp_ge_f32_e64 s[4:5], 0, v23
	v_add_u32_e32 v22, 1, v13
	v_fma_f32 v24, -v20, v12, v0
	v_cndmask_b32_e64 v12, v12, v16, s[4:5]
	v_cmp_ge_f32_e64 s[4:5], 0, v25
	v_fma_f32 v26, -v22, v13, v11
	s_nop 0
	v_cndmask_b32_e64 v13, v13, v21, s[4:5]
	v_cmp_lt_f32_e64 s[4:5], 0, v24
	s_nop 1
	v_cndmask_b32_e64 v12, v12, v20, s[4:5]
	v_cmp_lt_f32_e64 s[4:5], 0, v26
	v_mul_f32_e32 v16, 0x37800000, v12
	v_cndmask_b32_e32 v12, v12, v16, vcc
	v_cndmask_b32_e64 v13, v13, v22, s[4:5]
	v_mul_f32_e32 v20, 0x37800000, v13
	v_cmp_class_f32_e32 vcc, v0, v19
	v_cndmask_b32_e64 v16, v13, v20, s[2:3]
	v_cmp_lt_f16_e64 s[2:3], s9, v1
	v_cndmask_b32_e32 v13, v12, v0, vcc
	v_cmp_class_f32_e32 vcc, v11, v19
	v_cndmask_b32_e64 v0, 0, v9, s[6:7]
	v_sub_f32_e32 v0, v14, v0
	v_cndmask_b32_e32 v12, v16, v11, vcc
	v_cmp_gt_f16_sdwa vcc, v1, s9 src0_sel:WORD_1 src1_sel:DWORD
	v_cndmask_b32_e64 v0, v0, v17, s[2:3]
	v_cvt_f32_f16_e32 v17, v2
	v_cndmask_b32_e32 v11, v15, v18, vcc
	v_mul_f32_e32 v15, 0x4f800000, v11
	v_cmp_gt_f32_e32 vcc, s12, v11
	v_cvt_f32_f16_sdwa v18, v2 dst_sel:DWORD dst_unused:UNUSED_PAD src0_sel:WORD_1
	s_nop 0
	v_cndmask_b32_e32 v11, v11, v15, vcc
	v_sqrt_f32_e32 v15, v11
	s_nop 0
	v_add_u32_e32 v1, -1, v15
	v_fma_f32 v14, -v1, v15, v11
	v_cmp_ge_f32_e64 s[2:3], 0, v14
	v_add_u32_e32 v14, 1, v15
	s_nop 0
	v_cndmask_b32_e64 v1, v15, v1, s[2:3]
	v_fma_f32 v15, -v14, v15, v11
	v_cmp_lt_f32_e64 s[2:3], 0, v15
	v_mul_f32_e32 v15, 0x4f800000, v0
	s_nop 0
	v_cndmask_b32_e64 v1, v1, v14, s[2:3]
	v_cmp_gt_f32_e64 s[2:3], s12, v0
	v_mul_f32_e32 v14, 0x37800000, v1
	v_cndmask_b32_e32 v1, v1, v14, vcc
	v_cndmask_b32_e64 v16, v0, v15, s[2:3]
	v_sqrt_f32_e32 v0, v16
	v_cmp_class_f32_e32 vcc, v11, v19
	v_add_u32_e32 v14, 1, v0
	s_nop 0
	v_cndmask_b32_e32 v15, v1, v11, vcc
	v_add_u32_e32 v1, -1, v0
	v_fma_f32 v11, -v1, v0, v16
	v_cmp_ge_f32_e32 vcc, 0, v11
	v_fma_f32 v20, -v14, v0, v16
	s_nop 0
	v_cndmask_b32_e32 v11, v0, v1, vcc
	v_mul_f32_e32 v0, 0x3fb8aa3b, v17
	v_mul_f32_e32 v1, 0x3fb8aa3b, v18
	v_exp_f32_e32 v0, v0
	v_exp_f32_e32 v1, v1
	v_cmp_lt_f32_e32 vcc, 0, v20
	v_pk_add_f32 v[0:1], v[0:1], 1.0 op_sel_hi:[1,0]
	s_nop 0
	v_cndmask_b32_e32 v11, v11, v14, vcc
	v_mul_f32_e32 v14, 0x37800000, v11
	v_cmp_gt_f32_e32 vcc, s15, v1
	v_cndmask_b32_e64 v11, v11, v14, s[2:3]
	v_cmp_class_f32_e64 s[2:3], v16, v19
	v_cndmask_b32_e32 v14, 1.0, v7, vcc
	v_mul_f32_e32 v1, v1, v14
	v_log_f32_e32 v1, v1
	v_cndmask_b32_e64 v14, v11, v16, s[2:3]
	v_cmp_gt_f32_e64 s[2:3], s15, v0
	scratch_store_dwordx4 off, v[12:15], off
	v_mul_f32_e32 v11, 0x3f317217, v1
	v_fma_f32 v11, v1, s13, -v11
	v_cndmask_b32_e64 v12, 1.0, v7, s[2:3]
	v_mul_f32_e32 v0, v0, v12
	v_log_f32_e32 v0, v0
	v_fmac_f32_e32 v11, 0x3377d1cf, v1
	v_fmac_f32_e32 v11, 0x3f317217, v1
	v_cmp_lt_f32_e64 s[4:5], |v1|, s14
	v_cvt_f32_f16_sdwa v15, v3 dst_sel:DWORD dst_unused:UNUSED_PAD src0_sel:WORD_1
	v_mul_f32_e32 v13, 0x3fb8aa3b, v15
	v_cndmask_b32_e64 v1, v1, v11, s[4:5]
	v_cndmask_b32_e32 v11, 0, v9, vcc
	v_sub_f32_e32 v1, v1, v11
	v_mul_f32_e32 v11, 0x3f317217, v0
	v_fma_f32 v11, v0, s13, -v11
	v_fmac_f32_e32 v11, 0x3377d1cf, v0
	v_fmac_f32_e32 v11, 0x3f317217, v0
	v_cmp_lt_f32_e64 vcc, |v0|, s14
	v_exp_f32_e32 v13, v13
	s_nop 0
	v_cndmask_b32_e32 v0, v0, v11, vcc
	v_cmp_gt_f16_sdwa vcc, v2, s9 src0_sel:WORD_1 src1_sel:DWORD
	v_cndmask_b32_e64 v11, 0, v9, s[2:3]
	v_cmp_lt_f16_e64 s[2:3], s9, v2
	v_cndmask_b32_e32 v1, v1, v18, vcc
	v_mul_f32_e32 v12, 0x4f800000, v1
	v_cmp_gt_f32_e32 vcc, s12, v1
	v_sub_f32_e32 v0, v0, v11
	v_cndmask_b32_e64 v0, v0, v17, s[2:3]
	v_cndmask_b32_e32 v1, v1, v12, vcc
	v_sqrt_f32_e32 v12, v1
	s_nop 0
	v_add_u32_e32 v2, -1, v12
	v_fma_f32 v11, -v2, v12, v1
	v_cmp_ge_f32_e64 s[2:3], 0, v11
	v_add_u32_e32 v11, 1, v12
	s_nop 0
	v_cndmask_b32_e64 v2, v12, v2, s[2:3]
	v_fma_f32 v12, -v11, v12, v1
	v_cmp_lt_f32_e64 s[2:3], 0, v12
	v_mul_f32_e32 v12, 0x4f800000, v0
	s_nop 0
	v_cndmask_b32_e64 v2, v2, v11, s[2:3]
	v_cmp_gt_f32_e64 s[2:3], s12, v0
	v_mul_f32_e32 v11, 0x37800000, v2
	v_cndmask_b32_e32 v2, v2, v11, vcc
	v_cndmask_b32_e64 v0, v0, v12, s[2:3]
	v_sqrt_f32_e32 v12, v0
	v_cmp_class_f32_e32 vcc, v1, v19
	v_add_u32_e32 v14, 1, v12
	s_nop 0
	v_cndmask_b32_e32 v1, v2, v1, vcc
	v_add_u32_e32 v2, -1, v12
	v_fma_f32 v11, -v2, v12, v0
	v_cmp_ge_f32_e32 vcc, 0, v11
	v_cvt_f32_f16_e32 v11, v3
	v_fma_f32 v16, -v14, v12, v0
	v_cndmask_b32_e32 v2, v12, v2, vcc
	v_cmp_lt_f32_e32 vcc, 0, v16
	v_mul_f32_e32 v12, 0x3fb8aa3b, v11
	v_exp_f32_e32 v12, v12
	v_cndmask_b32_e32 v2, v2, v14, vcc
	v_mul_f32_e32 v14, 0x37800000, v2
	v_cndmask_b32_e64 v2, v2, v14, s[2:3]
	v_pk_add_f32 v[12:13], v[12:13], 1.0 op_sel_hi:[1,0]
	v_cmp_class_f32_e64 s[2:3], v0, v19
	v_cmp_gt_f32_e32 vcc, s15, v13
	s_nop 0
	v_cndmask_b32_e64 v0, v2, v0, s[2:3]
	v_cndmask_b32_e32 v16, 1.0, v7, vcc
	v_mul_f32_e32 v13, v13, v16
	v_log_f32_e32 v13, v13
	v_cmp_gt_f32_e64 s[2:3], s15, v12
	v_mul_f32_e32 v2, 0x3f317217, v13
	s_nop 0
	v_cndmask_b32_e64 v7, 1.0, v7, s[2:3]
	v_mul_f32_e32 v7, v12, v7
	v_fma_f32 v2, v13, s13, -v2
	v_log_f32_e32 v7, v7
	v_fmac_f32_e32 v2, 0x3377d1cf, v13
	v_fmac_f32_e32 v2, 0x3f317217, v13
	v_cmp_lt_f32_e64 s[4:5], |v13|, s14
	v_cndmask_b32_e32 v12, 0, v9, vcc
	v_cmp_lt_f32_e64 vcc, |v7|, s14
	v_cndmask_b32_e64 v2, v13, v2, s[4:5]
	v_sub_f32_e32 v2, v2, v12
	v_mul_f32_e32 v12, 0x3f317217, v7
	v_fma_f32 v12, v7, s13, -v12
	v_fmac_f32_e32 v12, 0x3377d1cf, v7
	v_fmac_f32_e32 v12, 0x3f317217, v7
	v_cndmask_b32_e32 v7, v7, v12, vcc
	v_cmp_gt_f16_sdwa vcc, v3, s9 src0_sel:WORD_1 src1_sel:DWORD
	v_cndmask_b32_e64 v9, 0, v9, s[2:3]
	v_sub_f32_e32 v7, v7, v9
	v_cndmask_b32_e32 v2, v2, v15, vcc
	v_mul_f32_e32 v12, 0x4f800000, v2
	v_cmp_gt_f32_e32 vcc, s12, v2
	v_cmp_lt_f16_e64 s[2:3], s9, v3
	s_cselect_b64 s[4:5], -1, 0
	v_cndmask_b32_e32 v2, v2, v12, vcc
	v_sqrt_f32_e32 v12, v2
	v_cndmask_b32_e64 v3, v7, v11, s[2:3]
	s_cmp_lt_i32 s33, 1
	v_add_u32_e32 v7, -1, v12
	v_fma_f32 v9, -v7, v12, v2
	v_cmp_ge_f32_e64 s[2:3], 0, v9
	v_add_u32_e32 v9, 1, v12
	v_fma_f32 v11, -v9, v12, v2
	v_cndmask_b32_e64 v7, v12, v7, s[2:3]
	v_cmp_lt_f32_e64 s[2:3], 0, v11
	v_mul_f32_e32 v11, 0x4f800000, v3
	s_nop 0
	v_cndmask_b32_e64 v7, v7, v9, s[2:3]
	v_cmp_gt_f32_e64 s[2:3], s12, v3
	v_mul_f32_e32 v9, 0x37800000, v7
	s_nop 0
	v_cndmask_b32_e64 v11, v3, v11, s[2:3]
	v_sqrt_f32_e32 v12, v11
	v_cndmask_b32_e32 v3, v7, v9, vcc
	v_cmp_class_f32_e32 vcc, v2, v19
	s_nop 1
	v_cndmask_b32_e32 v3, v3, v2, vcc
	v_add_u32_e32 v2, -1, v12
	v_fma_f32 v7, -v2, v12, v11
	v_cmp_ge_f32_e32 vcc, 0, v7
	v_add_u32_e32 v7, 1, v12
	v_fma_f32 v9, -v7, v12, v11
	v_cndmask_b32_e32 v2, v12, v2, vcc
	v_cmp_lt_f32_e32 vcc, 0, v9
	s_nop 1
	v_cndmask_b32_e32 v2, v2, v7, vcc
	v_mul_f32_e32 v7, 0x37800000, v2
	v_cndmask_b32_e64 v2, v2, v7, s[2:3]
	v_cmp_class_f32_e32 vcc, v11, v19
	s_nop 1
	v_cndmask_b32_e32 v2, v2, v11, vcc
	scratch_store_dwordx4 off, v[0:3], off offset:16
	s_nop 1
	v_lshl_add_u64 v[2:3], v[4:5], 2, s[10:11]
	v_mul_lo_u32 v0, v6, s33
	s_cbranch_scc1 .LBB276_29
; %bb.2:
	s_load_dwordx2 s[6:7], s[0:1], 0x20
	s_cmp_lt_u32 s33, 4
	v_and_b32_e32 v4, 63, v8
	s_cbranch_scc1 .LBB276_21
; %bb.3:
	v_lshlrev_b32_e32 v5, 3, v4
	s_mov_b32 s11, 0
	s_and_b32 s8, s33, 0x7ffffffc
	v_ashrrev_i32_e32 v1, 31, v0
	v_sub_u32_e32 v11, 0, v5
	v_mov_b32_e32 v5, 0
	s_mov_b32 s10, s11
	s_branch .LBB276_5
.LBB276_4:                              ;   in Loop: Header=BB276_5 Depth=1
	s_or_b64 exec, exec, s[12:13]
	s_add_i32 s10, s10, 4
	s_cmp_eq_u32 s10, s8
	s_cbranch_scc1 .LBB276_22
.LBB276_5:                              ; =>This Loop Header: Depth=1
                                        ;     Child Loop BB276_7 Depth 2
                                        ;     Child Loop BB276_11 Depth 2
	;; [unrolled: 1-line block ×4, first 2 shown]
	v_lshl_add_u64 v[6:7], s[10:11], 2, v[2:3]
	global_load_dword v12, v[6:7], off
	v_add_u32_e32 v8, s10, v0
	v_ashrrev_i32_e32 v9, 31, v8
	v_mov_b32_e32 v13, 0
	s_mov_b64 s[12:13], 0
	s_waitcnt lgkmcnt(0)
	v_lshl_add_u64 v[8:9], v[8:9], 2, s[6:7]
	s_mov_b32 s9, 0
	s_waitcnt vmcnt(0)
	v_add_u32_e32 v14, v11, v12
	s_branch .LBB276_7
.LBB276_6:                              ;   in Loop: Header=BB276_7 Depth=2
	s_or_b64 exec, exec, s[14:15]
	s_add_i32 s16, s9, 1
	s_cmp_gt_u32 s9, 6
	s_cselect_b64 s[2:3], -1, 0
	s_xor_b64 s[14:15], vcc, -1
	s_or_b64 s[2:3], s[14:15], s[2:3]
	s_and_b64 s[2:3], exec, s[2:3]
	v_add_u32_e32 v13, 4, v13
	s_or_b64 s[12:13], s[2:3], s[12:13]
	s_mov_b32 s9, s16
	s_andn2_b64 exec, exec, s[12:13]
	s_cbranch_execz .LBB276_9
.LBB276_7:                              ;   Parent Loop BB276_5 Depth=1
                                        ; =>  This Inner Loop Header: Depth=2
	v_cmp_ne_u32_e32 vcc, s9, v14
	v_cmp_eq_u32_e64 s[2:3], s9, v14
	s_and_saveexec_b64 s[14:15], s[2:3]
	s_cbranch_execz .LBB276_6
; %bb.8:                                ;   in Loop: Header=BB276_7 Depth=2
	scratch_load_dword v15, v13, off
	s_waitcnt vmcnt(0)
	v_add_f32_e32 v5, v5, v15
	global_store_dword v[8:9], v12, off
	s_branch .LBB276_6
.LBB276_9:                              ;   in Loop: Header=BB276_5 Depth=1
	s_or_b64 exec, exec, s[12:13]
	global_load_dword v12, v[6:7], off offset:4
	s_ashr_i32 s3, s10, 31
	s_mov_b32 s2, s10
	v_lshl_add_u64 v[8:9], s[2:3], 0, v[0:1]
	v_mov_b32_e32 v13, 0
	s_mov_b32 s9, 0
	v_lshl_add_u64 v[8:9], v[8:9], 2, s[6:7]
	s_mov_b64 s[12:13], 0
	s_waitcnt vmcnt(0)
	v_add_u32_e32 v14, v11, v12
	s_branch .LBB276_11
.LBB276_10:                             ;   in Loop: Header=BB276_11 Depth=2
	s_or_b64 exec, exec, s[14:15]
	s_add_i32 s16, s9, 1
	s_cmp_gt_u32 s9, 6
	s_cselect_b64 s[2:3], -1, 0
	s_xor_b64 s[14:15], vcc, -1
	s_or_b64 s[2:3], s[14:15], s[2:3]
	s_and_b64 s[2:3], exec, s[2:3]
	v_add_u32_e32 v13, 4, v13
	s_or_b64 s[12:13], s[2:3], s[12:13]
	s_mov_b32 s9, s16
	s_andn2_b64 exec, exec, s[12:13]
	s_cbranch_execz .LBB276_13
.LBB276_11:                             ;   Parent Loop BB276_5 Depth=1
                                        ; =>  This Inner Loop Header: Depth=2
	v_cmp_ne_u32_e32 vcc, s9, v14
	v_cmp_eq_u32_e64 s[2:3], s9, v14
	s_and_saveexec_b64 s[14:15], s[2:3]
	s_cbranch_execz .LBB276_10
; %bb.12:                               ;   in Loop: Header=BB276_11 Depth=2
	scratch_load_dword v15, v13, off
	s_waitcnt vmcnt(0)
	v_add_f32_e32 v5, v5, v15
	global_store_dword v[8:9], v12, off offset:4
	s_branch .LBB276_10
.LBB276_13:                             ;   in Loop: Header=BB276_5 Depth=1
	s_or_b64 exec, exec, s[12:13]
	global_load_dword v12, v[6:7], off offset:8
	v_mov_b32_e32 v13, 0
	s_mov_b32 s9, 0
	s_mov_b64 s[12:13], 0
	s_waitcnt vmcnt(0)
	v_add_u32_e32 v14, v11, v12
	s_branch .LBB276_15
.LBB276_14:                             ;   in Loop: Header=BB276_15 Depth=2
	s_or_b64 exec, exec, s[14:15]
	s_add_i32 s16, s9, 1
	s_cmp_gt_u32 s9, 6
	s_cselect_b64 s[2:3], -1, 0
	s_xor_b64 s[14:15], vcc, -1
	s_or_b64 s[2:3], s[14:15], s[2:3]
	s_and_b64 s[2:3], exec, s[2:3]
	v_add_u32_e32 v13, 4, v13
	s_or_b64 s[12:13], s[2:3], s[12:13]
	s_mov_b32 s9, s16
	s_andn2_b64 exec, exec, s[12:13]
	s_cbranch_execz .LBB276_17
.LBB276_15:                             ;   Parent Loop BB276_5 Depth=1
                                        ; =>  This Inner Loop Header: Depth=2
	v_cmp_ne_u32_e32 vcc, s9, v14
	v_cmp_eq_u32_e64 s[2:3], s9, v14
	s_and_saveexec_b64 s[14:15], s[2:3]
	s_cbranch_execz .LBB276_14
; %bb.16:                               ;   in Loop: Header=BB276_15 Depth=2
	scratch_load_dword v15, v13, off
	s_waitcnt vmcnt(0)
	v_add_f32_e32 v5, v5, v15
	global_store_dword v[8:9], v12, off offset:8
	s_branch .LBB276_14
.LBB276_17:                             ;   in Loop: Header=BB276_5 Depth=1
	s_or_b64 exec, exec, s[12:13]
	global_load_dword v6, v[6:7], off offset:12
	v_mov_b32_e32 v7, 0
	s_mov_b32 s9, 0
	s_mov_b64 s[12:13], 0
	s_waitcnt vmcnt(0)
	v_add_u32_e32 v12, v11, v6
	s_branch .LBB276_19
.LBB276_18:                             ;   in Loop: Header=BB276_19 Depth=2
	s_or_b64 exec, exec, s[14:15]
	s_add_i32 s16, s9, 1
	s_cmp_gt_u32 s9, 6
	s_cselect_b64 s[2:3], -1, 0
	s_xor_b64 s[14:15], vcc, -1
	s_or_b64 s[2:3], s[14:15], s[2:3]
	s_and_b64 s[2:3], exec, s[2:3]
	v_add_u32_e32 v7, 4, v7
	s_or_b64 s[12:13], s[2:3], s[12:13]
	s_mov_b32 s9, s16
	s_andn2_b64 exec, exec, s[12:13]
	s_cbranch_execz .LBB276_4
.LBB276_19:                             ;   Parent Loop BB276_5 Depth=1
                                        ; =>  This Inner Loop Header: Depth=2
	v_cmp_ne_u32_e32 vcc, s9, v12
	v_cmp_eq_u32_e64 s[2:3], s9, v12
	s_and_saveexec_b64 s[14:15], s[2:3]
	s_cbranch_execz .LBB276_18
; %bb.20:                               ;   in Loop: Header=BB276_19 Depth=2
	scratch_load_dword v13, v7, off
	s_waitcnt vmcnt(0)
	v_add_f32_e32 v5, v5, v13
	global_store_dword v[8:9], v6, off offset:12
	s_branch .LBB276_18
.LBB276_21:
	v_mov_b32_e32 v5, 0
.LBB276_22:
	s_and_b32 s14, s33, 3
	s_cmp_eq_u32 s14, 0
	s_mov_b32 s9, 0
	s_cbranch_scc1 .LBB276_29
; %bb.23:
	v_lshlrev_b32_e32 v1, 3, v4
	v_sub_u32_e32 v1, 0, v1
	s_mov_b32 s15, s9
	s_branch .LBB276_25
.LBB276_24:                             ;   in Loop: Header=BB276_25 Depth=1
	s_or_b64 exec, exec, s[10:11]
	s_add_i32 s8, s8, 1
	s_add_i32 s15, s15, 1
	s_cmp_lg_u32 s15, s14
	s_cbranch_scc0 .LBB276_29
.LBB276_25:                             ; =>This Loop Header: Depth=1
                                        ;     Child Loop BB276_27 Depth 2
	v_lshl_add_u64 v[6:7], s[8:9], 2, v[2:3]
	global_load_dword v4, v[6:7], off
	v_add_u32_e32 v6, s8, v0
	v_ashrrev_i32_e32 v7, 31, v6
	v_mov_b32_e32 v8, 0
	s_mov_b32 s16, 0
	s_waitcnt lgkmcnt(0)
	v_lshl_add_u64 v[6:7], v[6:7], 2, s[6:7]
	s_mov_b64 s[10:11], 0
	s_waitcnt vmcnt(0)
	v_add_u32_e32 v9, v1, v4
	s_branch .LBB276_27
.LBB276_26:                             ;   in Loop: Header=BB276_27 Depth=2
	s_or_b64 exec, exec, s[12:13]
	s_add_i32 s17, s16, 1
	s_cmp_gt_u32 s16, 6
	s_cselect_b64 s[2:3], -1, 0
	s_xor_b64 s[12:13], vcc, -1
	s_or_b64 s[2:3], s[12:13], s[2:3]
	s_and_b64 s[2:3], exec, s[2:3]
	v_add_u32_e32 v8, 4, v8
	s_or_b64 s[10:11], s[2:3], s[10:11]
	s_mov_b32 s16, s17
	s_andn2_b64 exec, exec, s[10:11]
	s_cbranch_execz .LBB276_24
.LBB276_27:                             ;   Parent Loop BB276_25 Depth=1
                                        ; =>  This Inner Loop Header: Depth=2
	v_cmp_ne_u32_e32 vcc, s16, v9
	v_cmp_eq_u32_e64 s[2:3], s16, v9
	s_and_saveexec_b64 s[12:13], s[2:3]
	s_cbranch_execz .LBB276_26
; %bb.28:                               ;   in Loop: Header=BB276_27 Depth=2
	scratch_load_dword v11, v8, off
	s_waitcnt vmcnt(0)
	v_add_f32_e32 v5, v5, v11
	global_store_dword v[6:7], v4, off
	s_branch .LBB276_26
.LBB276_29:
	s_waitcnt lgkmcnt(0)
	s_load_dword s6, s[0:1], 0x3c
	s_waitcnt lgkmcnt(0)
	s_bitcmp1_b32 s6, 0
	s_cselect_b64 s[2:3], -1, 0
	s_bitcmp0_b32 s6, 0
	s_cbranch_scc0 .LBB276_33
; %bb.30:
	s_load_dwordx2 s[6:7], s[0:1], 0x40
	s_andn2_b64 vcc, exec, s[2:3]
	s_waitcnt lgkmcnt(0)
	v_cvt_f32_f64_e32 v8, s[6:7]
	s_cbranch_vccz .LBB276_34
.LBB276_31:
	s_andn2_b64 vcc, exec, s[4:5]
	s_cbranch_vccz .LBB276_35
.LBB276_32:
	s_endpgm
.LBB276_33:
	v_mbcnt_lo_u32_b32 v1, -1, 0
	v_mbcnt_hi_u32_b32 v1, -1, v1
	v_and_b32_e32 v4, 64, v1
	v_add_u32_e32 v4, 64, v4
	v_xor_b32_e32 v6, 32, v1
	v_cmp_lt_i32_e32 vcc, v6, v4
	v_xor_b32_e32 v7, 16, v1
	s_nop 0
	v_cndmask_b32_e32 v6, v1, v6, vcc
	v_lshlrev_b32_e32 v6, 2, v6
	ds_bpermute_b32 v6, v6, v5
	v_cmp_lt_i32_e32 vcc, v7, v4
	s_waitcnt lgkmcnt(0)
	v_add_f32_e32 v5, v5, v6
	v_cndmask_b32_e32 v6, v1, v7, vcc
	v_lshlrev_b32_e32 v6, 2, v6
	ds_bpermute_b32 v6, v6, v5
	v_xor_b32_e32 v7, 8, v1
	v_cmp_lt_i32_e32 vcc, v7, v4
	s_waitcnt lgkmcnt(0)
	v_add_f32_e32 v5, v5, v6
	v_cndmask_b32_e32 v6, v1, v7, vcc
	v_lshlrev_b32_e32 v6, 2, v6
	ds_bpermute_b32 v6, v6, v5
	v_xor_b32_e32 v7, 4, v1
	;; [unrolled: 7-line block ×4, first 2 shown]
	v_cmp_lt_i32_e32 vcc, v7, v4
	s_waitcnt lgkmcnt(0)
	v_add_f32_e32 v5, v5, v6
	v_cndmask_b32_e32 v1, v1, v7, vcc
	v_lshlrev_b32_e32 v1, 2, v1
	ds_bpermute_b32 v1, v1, v5
	s_waitcnt lgkmcnt(0)
	v_add_f32_e32 v5, v5, v1
	s_load_dwordx2 s[6:7], s[0:1], 0x40
	s_andn2_b64 vcc, exec, s[2:3]
	s_waitcnt lgkmcnt(0)
	v_cvt_f32_f64_e32 v8, s[6:7]
	s_cbranch_vccnz .LBB276_31
.LBB276_34:
	v_cmp_lt_f32_e32 vcc, 0, v5
	s_nop 1
	v_cndmask_b32_e32 v1, 1.0, v5, vcc
	v_div_scale_f32 v4, s[2:3], v1, v1, v8
	v_rcp_f32_e32 v5, v4
	s_nop 0
	v_fma_f32 v6, -v4, v5, 1.0
	v_fmac_f32_e32 v5, v6, v5
	v_div_scale_f32 v6, vcc, v8, v1, v8
	v_mul_f32_e32 v7, v6, v5
	v_fma_f32 v9, -v4, v7, v6
	v_fmac_f32_e32 v7, v9, v5
	v_fma_f32 v4, -v4, v7, v6
	v_div_fmas_f32 v4, v4, v5, v7
	v_div_fixup_f32 v8, v4, v1, v8
	s_andn2_b64 vcc, exec, s[4:5]
	s_cbranch_vccnz .LBB276_32
.LBB276_35:
	s_load_dwordx2 s[12:13], s[0:1], 0x10
	v_mov_b32_e32 v1, 0
	v_or_b32_e32 v20, 4, v1
	v_or_b32_e32 v18, 8, v1
	v_or_b32_e32 v16, 12, v1
	v_add_u32_e32 v14, 16, v1
	v_add_u32_e32 v12, 20, v1
	;; [unrolled: 1-line block ×4, first 2 shown]
	v_or_b32_e32 v23, 1, v10
	v_or_b32_e32 v22, 2, v10
	;; [unrolled: 1-line block ×7, first 2 shown]
	s_cmp_eq_u32 s33, 1
	s_mov_b32 s14, 0
	s_cbranch_scc1 .LBB276_70
; %bb.36:
	v_ashrrev_i32_e32 v1, 31, v0
	s_waitcnt lgkmcnt(0)
	v_lshl_add_u64 v[4:5], v[0:1], 2, s[12:13]
	s_and_b32 s14, s33, 0x7ffffffe
	v_lshl_add_u64 v[4:5], v[4:5], 0, 4
	v_lshl_add_u64 v[6:7], v[2:3], 0, 4
	s_mov_b32 s15, 0
	s_branch .LBB276_38
.LBB276_37:                             ;   in Loop: Header=BB276_38 Depth=1
	s_or_b64 exec, exec, s[0:1]
	s_add_i32 s15, s15, 2
	v_lshl_add_u64 v[4:5], v[4:5], 0, 8
	s_cmp_eq_u32 s14, s15
	v_lshl_add_u64 v[6:7], v[6:7], 0, 8
	s_cbranch_scc1 .LBB276_70
.LBB276_38:                             ; =>This Inner Loop Header: Depth=1
	global_load_dword v24, v[6:7], off offset:-4
	v_mov_b32_e32 v1, 0
	s_waitcnt vmcnt(0)
	v_cmp_eq_u32_e32 vcc, v24, v10
	v_cmp_ne_u32_e64 s[0:1], v24, v10
	s_and_saveexec_b64 s[16:17], s[0:1]
	s_cbranch_execz .LBB276_52
; %bb.39:                               ;   in Loop: Header=BB276_38 Depth=1
	v_cmp_eq_u32_e64 s[0:1], v24, v23
	v_cmp_ne_u32_e64 s[2:3], v24, v23
	v_mov_b32_e32 v1, v20
	s_and_saveexec_b64 s[18:19], s[2:3]
	s_cbranch_execz .LBB276_51
; %bb.40:                               ;   in Loop: Header=BB276_38 Depth=1
	v_cmp_eq_u32_e64 s[2:3], v24, v22
	v_cmp_ne_u32_e64 s[4:5], v24, v22
	v_mov_b32_e32 v1, v18
	;; [unrolled: 6-line block ×6, first 2 shown]
	s_and_saveexec_b64 s[30:31], s[10:11]
	s_xor_b64 s[30:31], exec, s[30:31]
; %bb.45:                               ;   in Loop: Header=BB276_38 Depth=1
	v_cmp_eq_u32_e64 s[10:11], v24, v13
	s_andn2_b64 s[28:29], s[28:29], exec
	s_and_b64 s[10:11], s[10:11], exec
	s_or_b64 s[28:29], s[28:29], s[10:11]
	v_mov_b32_e32 v1, v11
; %bb.46:                               ;   in Loop: Header=BB276_38 Depth=1
	s_or_b64 exec, exec, s[30:31]
	s_andn2_b64 s[8:9], s[8:9], exec
	s_and_b64 s[10:11], s[28:29], exec
	s_or_b64 s[8:9], s[8:9], s[10:11]
.LBB276_47:                             ;   in Loop: Header=BB276_38 Depth=1
	s_or_b64 exec, exec, s[26:27]
	s_andn2_b64 s[6:7], s[6:7], exec
	s_and_b64 s[8:9], s[8:9], exec
	s_or_b64 s[6:7], s[6:7], s[8:9]
.LBB276_48:                             ;   in Loop: Header=BB276_38 Depth=1
	s_or_b64 exec, exec, s[24:25]
	s_andn2_b64 s[4:5], s[4:5], exec
	s_and_b64 s[6:7], s[6:7], exec
	s_or_b64 s[4:5], s[4:5], s[6:7]
.LBB276_49:                             ;   in Loop: Header=BB276_38 Depth=1
	s_or_b64 exec, exec, s[22:23]
	s_andn2_b64 s[2:3], s[2:3], exec
	s_and_b64 s[4:5], s[4:5], exec
	s_or_b64 s[2:3], s[2:3], s[4:5]
.LBB276_50:                             ;   in Loop: Header=BB276_38 Depth=1
	s_or_b64 exec, exec, s[20:21]
	s_andn2_b64 s[0:1], s[0:1], exec
	s_and_b64 s[2:3], s[2:3], exec
	s_or_b64 s[0:1], s[0:1], s[2:3]
.LBB276_51:                             ;   in Loop: Header=BB276_38 Depth=1
	s_or_b64 exec, exec, s[18:19]
	s_andn2_b64 s[2:3], vcc, exec
	s_and_b64 s[0:1], s[0:1], exec
	s_or_b64 vcc, s[2:3], s[0:1]
.LBB276_52:                             ;   in Loop: Header=BB276_38 Depth=1
	s_or_b64 exec, exec, s[16:17]
	s_and_saveexec_b64 s[0:1], vcc
	s_cbranch_execz .LBB276_54
; %bb.53:                               ;   in Loop: Header=BB276_38 Depth=1
	scratch_load_dword v1, v1, off
	v_add_u32_e32 v24, s15, v0
	v_ashrrev_i32_e32 v25, 31, v24
	v_lshl_add_u64 v[24:25], v[24:25], 2, s[12:13]
	s_waitcnt vmcnt(0)
	v_mul_f32_e32 v1, v8, v1
	global_store_dword v[24:25], v1, off
.LBB276_54:                             ;   in Loop: Header=BB276_38 Depth=1
	s_or_b64 exec, exec, s[0:1]
	global_load_dword v24, v[6:7], off
	v_mov_b32_e32 v1, 0
	s_waitcnt vmcnt(0)
	v_cmp_eq_u32_e64 s[8:9], v24, v10
	v_cmp_ne_u32_e32 vcc, v24, v10
	s_and_saveexec_b64 s[10:11], vcc
	s_cbranch_execz .LBB276_68
; %bb.55:                               ;   in Loop: Header=BB276_38 Depth=1
	v_cmp_eq_u32_e32 vcc, v24, v23
	v_cmp_ne_u32_e64 s[0:1], v24, v23
	v_mov_b32_e32 v1, v20
	s_and_saveexec_b64 s[16:17], s[0:1]
	s_cbranch_execz .LBB276_67
; %bb.56:                               ;   in Loop: Header=BB276_38 Depth=1
	v_cmp_eq_u32_e64 s[0:1], v24, v22
	v_cmp_ne_u32_e64 s[2:3], v24, v22
	v_mov_b32_e32 v1, v18
	s_and_saveexec_b64 s[18:19], s[2:3]
	s_cbranch_execz .LBB276_66
; %bb.57:                               ;   in Loop: Header=BB276_38 Depth=1
	v_cmp_eq_u32_e64 s[2:3], v24, v21
	;; [unrolled: 6-line block ×5, first 2 shown]
	v_cmp_ne_u32_e64 s[6:7], v24, v15
	v_mov_b32_e32 v1, v9
	s_and_saveexec_b64 s[30:31], s[6:7]
; %bb.61:                               ;   in Loop: Header=BB276_38 Depth=1
	v_cmp_eq_u32_e64 s[6:7], v24, v13
	s_andn2_b64 s[28:29], s[28:29], exec
	s_and_b64 s[6:7], s[6:7], exec
	s_or_b64 s[28:29], s[28:29], s[6:7]
	v_mov_b32_e32 v1, v11
; %bb.62:                               ;   in Loop: Header=BB276_38 Depth=1
	s_or_b64 exec, exec, s[30:31]
	s_andn2_b64 s[6:7], s[24:25], exec
	s_and_b64 s[24:25], s[28:29], exec
	s_or_b64 s[24:25], s[6:7], s[24:25]
.LBB276_63:                             ;   in Loop: Header=BB276_38 Depth=1
	s_or_b64 exec, exec, s[26:27]
	s_andn2_b64 s[4:5], s[4:5], exec
	s_and_b64 s[6:7], s[24:25], exec
	s_or_b64 s[4:5], s[4:5], s[6:7]
.LBB276_64:                             ;   in Loop: Header=BB276_38 Depth=1
	s_or_b64 exec, exec, s[22:23]
	s_andn2_b64 s[2:3], s[2:3], exec
	s_and_b64 s[4:5], s[4:5], exec
	s_or_b64 s[2:3], s[2:3], s[4:5]
.LBB276_65:                             ;   in Loop: Header=BB276_38 Depth=1
	s_or_b64 exec, exec, s[20:21]
	s_andn2_b64 s[0:1], s[0:1], exec
	s_and_b64 s[2:3], s[2:3], exec
	s_or_b64 s[0:1], s[0:1], s[2:3]
.LBB276_66:                             ;   in Loop: Header=BB276_38 Depth=1
	s_or_b64 exec, exec, s[18:19]
	s_andn2_b64 s[2:3], vcc, exec
	s_and_b64 s[0:1], s[0:1], exec
	s_or_b64 vcc, s[2:3], s[0:1]
.LBB276_67:                             ;   in Loop: Header=BB276_38 Depth=1
	s_or_b64 exec, exec, s[16:17]
	s_andn2_b64 s[0:1], s[8:9], exec
	s_and_b64 s[2:3], vcc, exec
	s_or_b64 s[8:9], s[0:1], s[2:3]
.LBB276_68:                             ;   in Loop: Header=BB276_38 Depth=1
	s_or_b64 exec, exec, s[10:11]
	s_and_saveexec_b64 s[0:1], s[8:9]
	s_cbranch_execz .LBB276_37
; %bb.69:                               ;   in Loop: Header=BB276_38 Depth=1
	scratch_load_dword v1, v1, off
	s_waitcnt vmcnt(0)
	v_mul_f32_e32 v1, v8, v1
	global_store_dword v[4:5], v1, off
	s_branch .LBB276_37
.LBB276_70:
	s_bitcmp0_b32 s33, 0
	s_mov_b32 s15, 0
	s_cbranch_scc1 .LBB276_32
; %bb.71:
	v_lshl_add_u64 v[2:3], s[14:15], 2, v[2:3]
	global_load_dword v1, v[2:3], off
	v_mov_b32_e32 v2, 0
	s_waitcnt vmcnt(0)
	v_cmp_eq_u32_e64 s[8:9], v1, v10
	v_cmp_ne_u32_e32 vcc, v1, v10
	s_and_saveexec_b64 s[10:11], vcc
	s_cbranch_execz .LBB276_85
; %bb.72:
	v_cmp_eq_u32_e32 vcc, v1, v23
	v_cmp_ne_u32_e64 s[0:1], v1, v23
	s_and_saveexec_b64 s[16:17], s[0:1]
	s_cbranch_execz .LBB276_84
; %bb.73:
	v_cmp_eq_u32_e64 s[0:1], v1, v22
	v_cmp_ne_u32_e64 s[2:3], v1, v22
	s_and_saveexec_b64 s[18:19], s[2:3]
	s_cbranch_execz .LBB276_83
; %bb.74:
	v_cmp_eq_u32_e64 s[2:3], v1, v21
	;; [unrolled: 5-line block ×5, first 2 shown]
	v_cmp_ne_u32_e64 s[6:7], v1, v15
	s_and_saveexec_b64 s[30:31], s[6:7]
; %bb.78:
	v_cmp_eq_u32_e64 s[6:7], v1, v13
	s_andn2_b64 s[28:29], s[28:29], exec
	s_and_b64 s[6:7], s[6:7], exec
	s_or_b64 s[28:29], s[28:29], s[6:7]
	v_mov_b32_e32 v9, v11
; %bb.79:
	s_or_b64 exec, exec, s[30:31]
	s_andn2_b64 s[6:7], s[24:25], exec
	s_and_b64 s[24:25], s[28:29], exec
	s_or_b64 s[24:25], s[6:7], s[24:25]
	v_mov_b32_e32 v12, v9
.LBB276_80:
	s_or_b64 exec, exec, s[26:27]
	s_andn2_b64 s[4:5], s[4:5], exec
	s_and_b64 s[6:7], s[24:25], exec
	s_or_b64 s[4:5], s[4:5], s[6:7]
	v_mov_b32_e32 v14, v12
.LBB276_81:
	s_or_b64 exec, exec, s[22:23]
	s_andn2_b64 s[2:3], s[2:3], exec
	s_and_b64 s[4:5], s[4:5], exec
	s_or_b64 s[2:3], s[2:3], s[4:5]
	v_mov_b32_e32 v16, v14
.LBB276_82:
	s_or_b64 exec, exec, s[20:21]
	s_andn2_b64 s[0:1], s[0:1], exec
	s_and_b64 s[2:3], s[2:3], exec
	s_or_b64 s[0:1], s[0:1], s[2:3]
	v_mov_b32_e32 v18, v16
.LBB276_83:
	s_or_b64 exec, exec, s[18:19]
	s_andn2_b64 s[2:3], vcc, exec
	s_and_b64 s[0:1], s[0:1], exec
	s_or_b64 vcc, s[2:3], s[0:1]
	v_mov_b32_e32 v20, v18
.LBB276_84:
	s_or_b64 exec, exec, s[16:17]
	s_andn2_b64 s[0:1], s[8:9], exec
	s_and_b64 s[2:3], vcc, exec
	s_or_b64 s[8:9], s[0:1], s[2:3]
	v_mov_b32_e32 v2, v20
.LBB276_85:
	s_or_b64 exec, exec, s[10:11]
	s_and_b64 exec, exec, s[8:9]
	s_cbranch_execz .LBB276_32
; %bb.86:
	scratch_load_dword v2, v2, off
	v_add_u32_e32 v0, s14, v0
	v_ashrrev_i32_e32 v1, 31, v0
	s_waitcnt lgkmcnt(0)
	v_lshl_add_u64 v[0:1], v[0:1], 2, s[12:13]
	s_waitcnt vmcnt(0)
	v_mul_f32_e32 v2, v8, v2
	global_store_dword v[0:1], v2, off
	s_endpgm
	.section	.rodata,"a",@progbits
	.p2align	6, 0x0
	.amdhsa_kernel _ZN4vllm3moe22topkGatingSoftplusSqrtILi8ELi512ELi4ELi16ELi64ELb1Ej6__halfEEvPKT6_PKbPfiPT5_PiiiibdPKfPKS9_SF_
		.amdhsa_group_segment_fixed_size 0
		.amdhsa_private_segment_fixed_size 48
		.amdhsa_kernarg_size 96
		.amdhsa_user_sgpr_count 2
		.amdhsa_user_sgpr_dispatch_ptr 0
		.amdhsa_user_sgpr_queue_ptr 0
		.amdhsa_user_sgpr_kernarg_segment_ptr 1
		.amdhsa_user_sgpr_dispatch_id 0
		.amdhsa_user_sgpr_kernarg_preload_length 0
		.amdhsa_user_sgpr_kernarg_preload_offset 0
		.amdhsa_user_sgpr_private_segment_size 0
		.amdhsa_uses_dynamic_stack 0
		.amdhsa_enable_private_segment 1
		.amdhsa_system_sgpr_workgroup_id_x 1
		.amdhsa_system_sgpr_workgroup_id_y 0
		.amdhsa_system_sgpr_workgroup_id_z 0
		.amdhsa_system_sgpr_workgroup_info 0
		.amdhsa_system_vgpr_workitem_id 1
		.amdhsa_next_free_vgpr 27
		.amdhsa_next_free_sgpr 34
		.amdhsa_accum_offset 28
		.amdhsa_reserve_vcc 1
		.amdhsa_float_round_mode_32 0
		.amdhsa_float_round_mode_16_64 0
		.amdhsa_float_denorm_mode_32 3
		.amdhsa_float_denorm_mode_16_64 3
		.amdhsa_dx10_clamp 1
		.amdhsa_ieee_mode 1
		.amdhsa_fp16_overflow 0
		.amdhsa_tg_split 0
		.amdhsa_exception_fp_ieee_invalid_op 0
		.amdhsa_exception_fp_denorm_src 0
		.amdhsa_exception_fp_ieee_div_zero 0
		.amdhsa_exception_fp_ieee_overflow 0
		.amdhsa_exception_fp_ieee_underflow 0
		.amdhsa_exception_fp_ieee_inexact 0
		.amdhsa_exception_int_div_zero 0
	.end_amdhsa_kernel
	.section	.text._ZN4vllm3moe22topkGatingSoftplusSqrtILi8ELi512ELi4ELi16ELi64ELb1Ej6__halfEEvPKT6_PKbPfiPT5_PiiiibdPKfPKS9_SF_,"axG",@progbits,_ZN4vllm3moe22topkGatingSoftplusSqrtILi8ELi512ELi4ELi16ELi64ELb1Ej6__halfEEvPKT6_PKbPfiPT5_PiiiibdPKfPKS9_SF_,comdat
.Lfunc_end276:
	.size	_ZN4vllm3moe22topkGatingSoftplusSqrtILi8ELi512ELi4ELi16ELi64ELb1Ej6__halfEEvPKT6_PKbPfiPT5_PiiiibdPKfPKS9_SF_, .Lfunc_end276-_ZN4vllm3moe22topkGatingSoftplusSqrtILi8ELi512ELi4ELi16ELi64ELb1Ej6__halfEEvPKT6_PKbPfiPT5_PiiiibdPKfPKS9_SF_
                                        ; -- End function
	.section	.AMDGPU.csdata,"",@progbits
; Kernel info:
; codeLenInByte = 4624
; NumSgprs: 40
; NumVgprs: 27
; NumAgprs: 0
; TotalNumVgprs: 27
; ScratchSize: 48
; MemoryBound: 0
; FloatMode: 240
; IeeeMode: 1
; LDSByteSize: 0 bytes/workgroup (compile time only)
; SGPRBlocks: 4
; VGPRBlocks: 3
; NumSGPRsForWavesPerEU: 40
; NumVGPRsForWavesPerEU: 27
; AccumOffset: 28
; Occupancy: 8
; WaveLimiterHint : 1
; COMPUTE_PGM_RSRC2:SCRATCH_EN: 1
; COMPUTE_PGM_RSRC2:USER_SGPR: 2
; COMPUTE_PGM_RSRC2:TRAP_HANDLER: 0
; COMPUTE_PGM_RSRC2:TGID_X_EN: 1
; COMPUTE_PGM_RSRC2:TGID_Y_EN: 0
; COMPUTE_PGM_RSRC2:TGID_Z_EN: 0
; COMPUTE_PGM_RSRC2:TIDIG_COMP_CNT: 1
; COMPUTE_PGM_RSRC3_GFX90A:ACCUM_OFFSET: 6
; COMPUTE_PGM_RSRC3_GFX90A:TG_SPLIT: 0
	.section	.text._ZN4vllm3moe22topkGatingSoftplusSqrtILi8ELi512ELi4ELi16ELi64ELb0Ej6__halfEEvPKT6_PKbPfiPT5_PiiiibdPKfPKS9_SF_,"axG",@progbits,_ZN4vllm3moe22topkGatingSoftplusSqrtILi8ELi512ELi4ELi16ELi64ELb0Ej6__halfEEvPKT6_PKbPfiPT5_PiiiibdPKfPKS9_SF_,comdat
	.protected	_ZN4vllm3moe22topkGatingSoftplusSqrtILi8ELi512ELi4ELi16ELi64ELb0Ej6__halfEEvPKT6_PKbPfiPT5_PiiiibdPKfPKS9_SF_ ; -- Begin function _ZN4vllm3moe22topkGatingSoftplusSqrtILi8ELi512ELi4ELi16ELi64ELb0Ej6__halfEEvPKT6_PKbPfiPT5_PiiiibdPKfPKS9_SF_
	.globl	_ZN4vllm3moe22topkGatingSoftplusSqrtILi8ELi512ELi4ELi16ELi64ELb0Ej6__halfEEvPKT6_PKbPfiPT5_PiiiibdPKfPKS9_SF_
	.p2align	8
	.type	_ZN4vllm3moe22topkGatingSoftplusSqrtILi8ELi512ELi4ELi16ELi64ELb0Ej6__halfEEvPKT6_PKbPfiPT5_PiiiibdPKfPKS9_SF_,@function
_ZN4vllm3moe22topkGatingSoftplusSqrtILi8ELi512ELi4ELi16ELi64ELb0Ej6__halfEEvPKT6_PKbPfiPT5_PiiiibdPKfPKS9_SF_: ; @_ZN4vllm3moe22topkGatingSoftplusSqrtILi8ELi512ELi4ELi16ELi64ELb0Ej6__halfEEvPKT6_PKbPfiPT5_PiiiibdPKfPKS9_SF_
; %bb.0:
	s_load_dword s33, s[0:1], 0x18
	v_and_b32_e32 v1, 0x3ff, v0
	s_lshl_b32 s2, s2, 2
	v_lshrrev_b32_e32 v2, 6, v1
	v_bfe_u32 v0, v0, 10, 10
	v_add3_u32 v8, s2, v0, v2
	s_waitcnt lgkmcnt(0)
	v_cmp_gt_i32_e32 vcc, s33, v8
	s_and_saveexec_b64 s[2:3], vcc
	s_cbranch_execz .LBB277_69
; %bb.1:
	s_load_dwordx4 s[4:7], s[0:1], 0x0
	s_load_dwordx2 s[34:35], s[0:1], 0x10
	s_waitcnt lgkmcnt(0)
	s_cmp_eq_u64 s[6:7], 0
	s_cbranch_scc1 .LBB277_3
; %bb.2:
	v_ashrrev_i32_e32 v9, 31, v8
	v_lshl_add_u64 v[2:3], s[6:7], 0, v[8:9]
	global_load_ubyte v0, v[2:3], off
	s_waitcnt vmcnt(0)
	v_and_b32_e32 v0, 1, v0
	v_cmp_eq_u32_e32 vcc, 1, v0
	s_xor_b64 s[2:3], vcc, -1
	s_orn2_b64 s[36:37], s[2:3], exec
	s_branch .LBB277_4
.LBB277_3:
	s_mov_b64 s[36:37], -1
.LBB277_4:
	v_lshlrev_b32_e32 v4, 9, v8
	v_mov_b32_e32 v2, s4
	v_mov_b32_e32 v3, s5
	v_ashrrev_i32_e32 v5, 31, v4
	v_and_b32_e32 v9, 63, v1
	v_lshl_add_u64 v[2:3], v[4:5], 1, v[2:3]
	v_mov_b32_e32 v1, 0
	v_lshlrev_b32_e32 v0, 4, v9
	v_lshl_add_u64 v[0:1], v[2:3], 0, v[0:1]
	global_load_dwordx4 v[4:7], v[0:1], off
	s_mov_b32 s12, 0x800000
	v_mov_b32_e32 v2, 0x4f800000
	s_mov_b32 s9, 0x3f317217
	s_mov_b32 s10, 0x7f800000
	v_mov_b32_e32 v3, 0x41b17218
	s_movk_i32 s8, 0x4d00
	s_mov_b32 s11, 0xf800000
	s_load_dwordx4 s[20:23], s[0:1], 0x40
	v_lshlrev_b32_e32 v12, 3, v9
	s_waitcnt lgkmcnt(0)
	s_cmp_lg_u64 s[22:23], 0
	s_cselect_b64 s[6:7], -1, 0
	s_and_b64 s[2:3], exec, s[6:7]
	s_waitcnt vmcnt(0)
	v_cvt_f32_f16_e32 v0, v4
	v_mul_f32_e32 v1, 0x3fb8aa3b, v0
	v_exp_f32_e32 v10, v1
	v_mov_b32_e32 v1, 0x260
	v_add_f32_e32 v10, 1.0, v10
	v_cmp_gt_f32_e32 vcc, s12, v10
	s_nop 1
	v_cndmask_b32_e32 v11, 1.0, v2, vcc
	v_mul_f32_e32 v10, v10, v11
	v_log_f32_e32 v11, v10
	v_cndmask_b32_e32 v13, 0, v3, vcc
	v_lshlrev_b32_e32 v10, 2, v12
	v_mul_f32_e32 v14, 0x3f317217, v11
	v_fma_f32 v14, v11, s9, -v14
	v_fmac_f32_e32 v14, 0x3377d1cf, v11
	v_fmac_f32_e32 v14, 0x3f317217, v11
	v_cmp_lt_f32_e64 vcc, |v11|, s10
	s_nop 1
	v_cndmask_b32_e32 v11, v11, v14, vcc
	v_sub_f32_e32 v11, v11, v13
	v_cmp_lt_f16_e32 vcc, s8, v4
	s_nop 1
	v_cndmask_b32_e32 v0, v11, v0, vcc
	v_mul_f32_e32 v11, 0x4f800000, v0
	v_cmp_gt_f32_e32 vcc, s11, v0
	s_nop 1
	v_cndmask_b32_e32 v0, v0, v11, vcc
	v_sqrt_f32_e32 v11, v0
	s_nop 0
	v_add_u32_e32 v13, -1, v11
	v_add_u32_e32 v14, 1, v11
	v_fma_f32 v15, -v13, v11, v0
	v_fma_f32 v16, -v14, v11, v0
	v_cmp_ge_f32_e64 s[4:5], 0, v15
	s_nop 1
	v_cndmask_b32_e64 v11, v11, v13, s[4:5]
	v_cmp_lt_f32_e64 s[4:5], 0, v16
	s_nop 1
	v_cndmask_b32_e64 v11, v11, v14, s[4:5]
	v_mul_f32_e32 v13, 0x37800000, v11
	v_cndmask_b32_e32 v11, v11, v13, vcc
	v_cmp_class_f32_e32 vcc, v0, v1
	s_nop 1
	v_cndmask_b32_e32 v0, v11, v0, vcc
	s_mov_b64 vcc, s[2:3]
	s_cbranch_vccz .LBB277_6
; %bb.5:
	global_load_dword v11, v10, s[22:23]
	s_waitcnt vmcnt(0)
	v_add_f32_e32 v0, v0, v11
.LBB277_6:
	v_cvt_f32_f16_sdwa v11, v4 dst_sel:DWORD dst_unused:UNUSED_PAD src0_sel:WORD_1
	v_mul_f32_e32 v13, 0x3fb8aa3b, v11
	v_exp_f32_e32 v13, v13
	s_nop 0
	v_add_f32_e32 v13, 1.0, v13
	v_cmp_gt_f32_e32 vcc, s12, v13
	s_nop 1
	v_cndmask_b32_e32 v2, 1.0, v2, vcc
	v_mul_f32_e32 v2, v13, v2
	v_log_f32_e32 v2, v2
	v_cndmask_b32_e32 v3, 0, v3, vcc
	v_mul_f32_e32 v13, 0x3f317217, v2
	v_fma_f32 v13, v2, s9, -v13
	v_fmac_f32_e32 v13, 0x3377d1cf, v2
	v_fmac_f32_e32 v13, 0x3f317217, v2
	v_cmp_lt_f32_e64 vcc, |v2|, s10
	s_nop 1
	v_cndmask_b32_e32 v2, v2, v13, vcc
	v_sub_f32_e32 v2, v2, v3
	v_cmp_gt_f16_sdwa vcc, v4, s8 src0_sel:WORD_1 src1_sel:DWORD
	v_cndmask_b32_e64 v4, 0, 1, s[6:7]
	v_cmp_ne_u32_e64 s[2:3], 1, v4
	v_cndmask_b32_e32 v2, v2, v11, vcc
	v_mul_f32_e32 v3, 0x4f800000, v2
	v_cmp_gt_f32_e64 s[4:5], s11, v2
	s_andn2_b64 vcc, exec, s[6:7]
	s_nop 0
	v_cndmask_b32_e64 v2, v2, v3, s[4:5]
	v_sqrt_f32_e32 v3, v2
	s_nop 0
	v_add_u32_e32 v4, -1, v3
	v_add_u32_e32 v11, 1, v3
	v_fma_f32 v13, -v4, v3, v2
	v_fma_f32 v14, -v11, v3, v2
	v_cmp_ge_f32_e64 s[6:7], 0, v13
	s_nop 1
	v_cndmask_b32_e64 v3, v3, v4, s[6:7]
	v_cmp_lt_f32_e64 s[6:7], 0, v14
	s_nop 1
	v_cndmask_b32_e64 v3, v3, v11, s[6:7]
	v_mul_f32_e32 v4, 0x37800000, v3
	v_cndmask_b32_e64 v3, v3, v4, s[4:5]
	v_cmp_class_f32_e64 s[4:5], v2, v1
	s_nop 1
	v_cndmask_b32_e64 v1, v3, v2, s[4:5]
	s_cbranch_vccnz .LBB277_8
; %bb.7:
	global_load_dword v2, v10, s[22:23] offset:4
	s_waitcnt vmcnt(0)
	v_add_f32_e32 v1, v1, v2
.LBB277_8:
	v_cvt_f32_f16_e32 v2, v5
	s_mov_b32 s8, 0x800000
	v_mov_b32_e32 v4, 0x4f800000
	s_mov_b32 s7, 0x3f317217
	v_mul_f32_e32 v3, 0x3fb8aa3b, v2
	v_exp_f32_e32 v3, v3
	s_mov_b32 s9, 0x7f800000
	s_movk_i32 s6, 0x4d00
	s_mov_b32 s10, 0xf800000
	v_add_f32_e32 v3, 1.0, v3
	v_cmp_gt_f32_e32 vcc, s8, v3
	s_nop 1
	v_cndmask_b32_e32 v11, 1.0, v4, vcc
	v_mul_f32_e32 v3, v3, v11
	v_log_f32_e32 v3, v3
	v_mov_b32_e32 v11, 0x41b17218
	v_cndmask_b32_e32 v13, 0, v11, vcc
	v_mul_f32_e32 v14, 0x3f317217, v3
	v_fma_f32 v14, v3, s7, -v14
	v_fmac_f32_e32 v14, 0x3377d1cf, v3
	v_fmac_f32_e32 v14, 0x3f317217, v3
	v_cmp_lt_f32_e64 vcc, |v3|, s9
	s_nop 1
	v_cndmask_b32_e32 v3, v3, v14, vcc
	v_sub_f32_e32 v3, v3, v13
	v_cmp_lt_f16_e32 vcc, s6, v5
	s_nop 1
	v_cndmask_b32_e32 v2, v3, v2, vcc
	v_mul_f32_e32 v3, 0x4f800000, v2
	v_cmp_gt_f32_e32 vcc, s10, v2
	s_nop 1
	v_cndmask_b32_e32 v2, v2, v3, vcc
	v_sqrt_f32_e32 v3, v2
	s_nop 0
	v_add_u32_e32 v13, -1, v3
	v_fma_f32 v14, -v13, v3, v2
	v_cmp_ge_f32_e64 s[4:5], 0, v14
	v_add_u32_e32 v14, 1, v3
	s_nop 0
	v_cndmask_b32_e64 v13, v3, v13, s[4:5]
	v_fma_f32 v3, -v14, v3, v2
	v_cmp_lt_f32_e64 s[4:5], 0, v3
	s_nop 1
	v_cndmask_b32_e64 v3, v13, v14, s[4:5]
	v_mul_f32_e32 v13, 0x37800000, v3
	v_cndmask_b32_e32 v13, v3, v13, vcc
	v_mov_b32_e32 v3, 0x260
	v_cmp_class_f32_e64 s[4:5], v2, v3
	s_and_b64 vcc, exec, s[2:3]
	s_nop 0
	v_cndmask_b32_e64 v2, v13, v2, s[4:5]
	s_cbranch_vccnz .LBB277_10
; %bb.9:
	global_load_dword v13, v10, s[22:23] offset:8
	s_waitcnt vmcnt(0)
	v_add_f32_e32 v2, v2, v13
.LBB277_10:
	v_cvt_f32_f16_sdwa v13, v5 dst_sel:DWORD dst_unused:UNUSED_PAD src0_sel:WORD_1
	v_mul_f32_e32 v14, 0x3fb8aa3b, v13
	v_exp_f32_e32 v14, v14
	s_nop 0
	v_add_f32_e32 v14, 1.0, v14
	v_cmp_gt_f32_e32 vcc, s8, v14
	s_nop 1
	v_cndmask_b32_e32 v4, 1.0, v4, vcc
	v_mul_f32_e32 v4, v14, v4
	v_log_f32_e32 v4, v4
	v_cndmask_b32_e32 v11, 0, v11, vcc
	v_mul_f32_e32 v14, 0x3f317217, v4
	v_fma_f32 v14, v4, s7, -v14
	v_fmac_f32_e32 v14, 0x3377d1cf, v4
	v_fmac_f32_e32 v14, 0x3f317217, v4
	v_cmp_lt_f32_e64 vcc, |v4|, s9
	s_nop 1
	v_cndmask_b32_e32 v4, v4, v14, vcc
	v_sub_f32_e32 v4, v4, v11
	v_cmp_gt_f16_sdwa vcc, v5, s6 src0_sel:WORD_1 src1_sel:DWORD
	s_nop 1
	v_cndmask_b32_e32 v4, v4, v13, vcc
	v_mul_f32_e32 v5, 0x4f800000, v4
	v_cmp_gt_f32_e64 s[4:5], s10, v4
	s_and_b64 vcc, exec, s[2:3]
	s_nop 0
	v_cndmask_b32_e64 v4, v4, v5, s[4:5]
	v_sqrt_f32_e32 v5, v4
	s_nop 0
	v_add_u32_e32 v11, -1, v5
	v_add_u32_e32 v13, 1, v5
	v_fma_f32 v14, -v11, v5, v4
	v_fma_f32 v15, -v13, v5, v4
	v_cmp_ge_f32_e64 s[6:7], 0, v14
	s_nop 1
	v_cndmask_b32_e64 v5, v5, v11, s[6:7]
	v_cmp_lt_f32_e64 s[6:7], 0, v15
	s_nop 1
	v_cndmask_b32_e64 v5, v5, v13, s[6:7]
	v_mul_f32_e32 v11, 0x37800000, v5
	v_cndmask_b32_e64 v5, v5, v11, s[4:5]
	v_cmp_class_f32_e64 s[4:5], v4, v3
	s_nop 1
	v_cndmask_b32_e64 v3, v5, v4, s[4:5]
	s_cbranch_vccnz .LBB277_12
; %bb.11:
	global_load_dword v4, v10, s[22:23] offset:12
	s_waitcnt vmcnt(0)
	v_add_f32_e32 v3, v3, v4
.LBB277_12:
	v_cvt_f32_f16_e32 v4, v6
	v_mov_b32_e32 v11, 0x4f800000
	s_mov_b32 s7, 0x3f317217
	s_movk_i32 s6, 0x4d00
	v_mul_f32_e32 v5, 0x3fb8aa3b, v4
	v_exp_f32_e32 v5, v5
	s_nop 0
	v_add_f32_e32 v5, 1.0, v5
	v_cmp_gt_f32_e32 vcc, s8, v5
	s_nop 1
	v_cndmask_b32_e32 v13, 1.0, v11, vcc
	v_mul_f32_e32 v5, v5, v13
	v_log_f32_e32 v5, v5
	v_mov_b32_e32 v13, 0x41b17218
	v_cndmask_b32_e32 v14, 0, v13, vcc
	v_mul_f32_e32 v15, 0x3f317217, v5
	v_fma_f32 v15, v5, s7, -v15
	v_fmac_f32_e32 v15, 0x3377d1cf, v5
	v_fmac_f32_e32 v15, 0x3f317217, v5
	v_cmp_lt_f32_e64 vcc, |v5|, s9
	s_nop 1
	v_cndmask_b32_e32 v5, v5, v15, vcc
	v_sub_f32_e32 v5, v5, v14
	v_cmp_lt_f16_e32 vcc, s6, v6
	s_nop 1
	v_cndmask_b32_e32 v4, v5, v4, vcc
	v_mul_f32_e32 v5, 0x4f800000, v4
	v_cmp_gt_f32_e32 vcc, s10, v4
	s_nop 1
	v_cndmask_b32_e32 v4, v4, v5, vcc
	v_sqrt_f32_e32 v5, v4
	s_nop 0
	v_add_u32_e32 v14, -1, v5
	v_fma_f32 v15, -v14, v5, v4
	v_cmp_ge_f32_e64 s[4:5], 0, v15
	v_add_u32_e32 v15, 1, v5
	s_nop 0
	v_cndmask_b32_e64 v14, v5, v14, s[4:5]
	v_fma_f32 v5, -v15, v5, v4
	v_cmp_lt_f32_e64 s[4:5], 0, v5
	s_nop 1
	v_cndmask_b32_e64 v5, v14, v15, s[4:5]
	v_mul_f32_e32 v14, 0x37800000, v5
	v_cndmask_b32_e32 v14, v5, v14, vcc
	v_mov_b32_e32 v5, 0x260
	v_cmp_class_f32_e64 s[4:5], v4, v5
	s_and_b64 vcc, exec, s[2:3]
	s_nop 0
	v_cndmask_b32_e64 v4, v14, v4, s[4:5]
	s_cbranch_vccnz .LBB277_14
; %bb.13:
	global_load_dword v14, v10, s[22:23] offset:16
	s_waitcnt vmcnt(0)
	v_add_f32_e32 v4, v4, v14
.LBB277_14:
	v_cvt_f32_f16_sdwa v14, v6 dst_sel:DWORD dst_unused:UNUSED_PAD src0_sel:WORD_1
	v_mul_f32_e32 v15, 0x3fb8aa3b, v14
	v_exp_f32_e32 v15, v15
	s_nop 0
	v_add_f32_e32 v15, 1.0, v15
	v_cmp_gt_f32_e32 vcc, s8, v15
	s_nop 1
	v_cndmask_b32_e32 v11, 1.0, v11, vcc
	v_mul_f32_e32 v11, v15, v11
	v_log_f32_e32 v11, v11
	v_cndmask_b32_e32 v13, 0, v13, vcc
	v_mul_f32_e32 v15, 0x3f317217, v11
	v_fma_f32 v15, v11, s7, -v15
	v_fmac_f32_e32 v15, 0x3377d1cf, v11
	v_fmac_f32_e32 v15, 0x3f317217, v11
	v_cmp_lt_f32_e64 vcc, |v11|, s9
	s_nop 1
	v_cndmask_b32_e32 v11, v11, v15, vcc
	v_sub_f32_e32 v11, v11, v13
	v_cmp_gt_f16_sdwa vcc, v6, s6 src0_sel:WORD_1 src1_sel:DWORD
	s_nop 1
	v_cndmask_b32_e32 v6, v11, v14, vcc
	v_mul_f32_e32 v11, 0x4f800000, v6
	v_cmp_gt_f32_e64 s[4:5], s10, v6
	s_and_b64 vcc, exec, s[2:3]
	s_nop 0
	v_cndmask_b32_e64 v6, v6, v11, s[4:5]
	v_sqrt_f32_e32 v11, v6
	s_nop 0
	v_add_u32_e32 v13, -1, v11
	v_add_u32_e32 v14, 1, v11
	v_fma_f32 v15, -v13, v11, v6
	v_fma_f32 v16, -v14, v11, v6
	v_cmp_ge_f32_e64 s[6:7], 0, v15
	s_nop 1
	v_cndmask_b32_e64 v11, v11, v13, s[6:7]
	v_cmp_lt_f32_e64 s[6:7], 0, v16
	s_nop 1
	v_cndmask_b32_e64 v11, v11, v14, s[6:7]
	v_mul_f32_e32 v13, 0x37800000, v11
	v_cndmask_b32_e64 v11, v11, v13, s[4:5]
	v_cmp_class_f32_e64 s[4:5], v6, v5
	s_nop 1
	v_cndmask_b32_e64 v5, v11, v6, s[4:5]
	s_cbranch_vccnz .LBB277_16
; %bb.15:
	global_load_dword v6, v10, s[22:23] offset:20
	s_waitcnt vmcnt(0)
	v_add_f32_e32 v5, v5, v6
.LBB277_16:
	v_cvt_f32_f16_e32 v6, v7
	v_mov_b32_e32 v13, 0x4f800000
	s_mov_b32 s7, 0x3f317217
	s_movk_i32 s6, 0x4d00
	v_mul_f32_e32 v11, 0x3fb8aa3b, v6
	v_exp_f32_e32 v11, v11
	s_nop 0
	v_add_f32_e32 v11, 1.0, v11
	v_cmp_gt_f32_e32 vcc, s8, v11
	s_nop 1
	v_cndmask_b32_e32 v14, 1.0, v13, vcc
	v_mul_f32_e32 v11, v11, v14
	v_log_f32_e32 v11, v11
	v_mov_b32_e32 v14, 0x41b17218
	v_cndmask_b32_e32 v15, 0, v14, vcc
	v_mul_f32_e32 v16, 0x3f317217, v11
	v_fma_f32 v16, v11, s7, -v16
	v_fmac_f32_e32 v16, 0x3377d1cf, v11
	v_fmac_f32_e32 v16, 0x3f317217, v11
	v_cmp_lt_f32_e64 vcc, |v11|, s9
	s_nop 1
	v_cndmask_b32_e32 v11, v11, v16, vcc
	v_sub_f32_e32 v11, v11, v15
	v_cmp_lt_f16_e32 vcc, s6, v7
	s_nop 1
	v_cndmask_b32_e32 v6, v11, v6, vcc
	v_mul_f32_e32 v11, 0x4f800000, v6
	v_cmp_gt_f32_e32 vcc, s10, v6
	s_nop 1
	v_cndmask_b32_e32 v6, v6, v11, vcc
	v_sqrt_f32_e32 v11, v6
	s_nop 0
	v_add_u32_e32 v15, -1, v11
	v_fma_f32 v16, -v15, v11, v6
	v_cmp_ge_f32_e64 s[4:5], 0, v16
	v_add_u32_e32 v16, 1, v11
	s_nop 0
	v_cndmask_b32_e64 v15, v11, v15, s[4:5]
	v_fma_f32 v11, -v16, v11, v6
	v_cmp_lt_f32_e64 s[4:5], 0, v11
	s_nop 1
	v_cndmask_b32_e64 v11, v15, v16, s[4:5]
	v_mul_f32_e32 v15, 0x37800000, v11
	v_cndmask_b32_e32 v15, v11, v15, vcc
	v_mov_b32_e32 v11, 0x260
	v_cmp_class_f32_e64 s[4:5], v6, v11
	s_and_b64 vcc, exec, s[2:3]
	s_nop 0
	v_cndmask_b32_e64 v6, v15, v6, s[4:5]
	s_cbranch_vccnz .LBB277_18
; %bb.17:
	global_load_dword v15, v10, s[22:23] offset:24
	s_waitcnt vmcnt(0)
	v_add_f32_e32 v6, v6, v15
.LBB277_18:
	v_cvt_f32_f16_sdwa v15, v7 dst_sel:DWORD dst_unused:UNUSED_PAD src0_sel:WORD_1
	v_mul_f32_e32 v16, 0x3fb8aa3b, v15
	v_exp_f32_e32 v16, v16
	s_nop 0
	v_add_f32_e32 v16, 1.0, v16
	v_cmp_gt_f32_e32 vcc, s8, v16
	s_nop 1
	v_cndmask_b32_e32 v13, 1.0, v13, vcc
	v_mul_f32_e32 v13, v16, v13
	v_log_f32_e32 v13, v13
	v_cndmask_b32_e32 v14, 0, v14, vcc
	v_mul_f32_e32 v16, 0x3f317217, v13
	v_fma_f32 v16, v13, s7, -v16
	v_fmac_f32_e32 v16, 0x3377d1cf, v13
	v_fmac_f32_e32 v16, 0x3f317217, v13
	v_cmp_lt_f32_e64 vcc, |v13|, s9
	s_nop 1
	v_cndmask_b32_e32 v13, v13, v16, vcc
	v_sub_f32_e32 v13, v13, v14
	v_cmp_gt_f16_sdwa vcc, v7, s6 src0_sel:WORD_1 src1_sel:DWORD
	s_nop 1
	v_cndmask_b32_e32 v7, v13, v15, vcc
	v_mul_f32_e32 v13, 0x4f800000, v7
	v_cmp_gt_f32_e64 s[4:5], s10, v7
	s_and_b64 vcc, exec, s[2:3]
	s_nop 0
	v_cndmask_b32_e64 v7, v7, v13, s[4:5]
	v_sqrt_f32_e32 v13, v7
	s_nop 0
	v_add_u32_e32 v14, -1, v13
	v_add_u32_e32 v15, 1, v13
	v_fma_f32 v16, -v14, v13, v7
	v_fma_f32 v17, -v15, v13, v7
	v_cmp_ge_f32_e64 s[6:7], 0, v16
	s_nop 1
	v_cndmask_b32_e64 v13, v13, v14, s[6:7]
	v_cmp_lt_f32_e64 s[6:7], 0, v17
	s_nop 1
	v_cndmask_b32_e64 v13, v13, v15, s[6:7]
	v_mul_f32_e32 v14, 0x37800000, v13
	v_cndmask_b32_e64 v13, v13, v14, s[4:5]
	v_cmp_class_f32_e64 s[4:5], v7, v11
	s_nop 1
	v_cndmask_b32_e64 v7, v13, v7, s[4:5]
	s_cbranch_vccnz .LBB277_20
; %bb.19:
	global_load_dword v10, v10, s[22:23] offset:28
	s_waitcnt vmcnt(0)
	v_add_f32_e32 v7, v7, v10
.LBB277_20:
	s_load_dwordx4 s[24:27], s[0:1], 0x30
	s_mov_b32 s42, 0
	v_cmp_eq_u32_e64 s[6:7], 0, v9
	s_waitcnt lgkmcnt(0)
	s_bitcmp1_b32 s27, 0
	s_cselect_b64 s[4:5], -1, 0
	s_cmp_gt_i32 s24, 0
	s_cselect_b64 s[38:39], -1, 0
	s_and_b64 vcc, exec, s[38:39]
	s_cbranch_vccz .LBB277_55
; %bb.21:
	v_mbcnt_lo_u32_b32 v10, -1, 0
	v_mbcnt_hi_u32_b32 v10, -1, v10
	v_and_b32_e32 v11, 64, v10
	v_add_u32_e32 v11, 64, v11
	v_xor_b32_e32 v13, 32, v10
	v_cmp_lt_i32_e32 vcc, v13, v11
	s_load_dwordx4 s[28:31], s[0:1], 0x20
	v_mul_lo_u32 v14, v8, s24
	v_cndmask_b32_e32 v13, v10, v13, vcc
	v_lshlrev_b32_e32 v15, 2, v13
	v_xor_b32_e32 v13, 16, v10
	v_cmp_lt_i32_e32 vcc, v13, v11
	v_mov_b32_e32 v21, 0x200
	v_mov_b32_e32 v22, 0xc61c4000
	v_cndmask_b32_e32 v13, v10, v13, vcc
	v_lshlrev_b32_e32 v16, 2, v13
	v_xor_b32_e32 v13, 8, v10
	v_cmp_lt_i32_e32 vcc, v13, v11
	v_mov_b32_e32 v23, v8
	s_nop 0
	v_cndmask_b32_e32 v13, v10, v13, vcc
	v_lshlrev_b32_e32 v17, 2, v13
	v_xor_b32_e32 v13, 4, v10
	v_cmp_lt_i32_e32 vcc, v13, v11
	s_nop 1
	v_cndmask_b32_e32 v13, v10, v13, vcc
	v_lshlrev_b32_e32 v18, 2, v13
	v_xor_b32_e32 v13, 2, v10
	v_cmp_lt_i32_e32 vcc, v13, v11
	;; [unrolled: 5-line block ×3, first 2 shown]
	s_nop 1
	v_cndmask_b32_e32 v10, v10, v13, vcc
	v_lshlrev_b32_e32 v20, 2, v10
	v_mov_b32_e32 v13, 0
	s_branch .LBB277_24
.LBB277_22:                             ;   in Loop: Header=BB277_24 Depth=1
	s_or_b64 exec, exec, s[40:41]
.LBB277_23:                             ;   in Loop: Header=BB277_24 Depth=1
	s_cmp_eq_u32 s24, s42
	v_add_u32_e32 v23, s33, v23
	s_cbranch_scc1 .LBB277_56
.LBB277_24:                             ; =>This Inner Loop Header: Depth=1
	v_cmp_gt_f32_e32 vcc, v1, v0
	s_nop 1
	v_cndmask_b32_e32 v11, v0, v1, vcc
	v_cndmask_b32_e64 v10, 0, 1, vcc
	v_cmp_gt_f32_e32 vcc, v2, v11
	s_nop 1
	v_cndmask_b32_e32 v11, v11, v2, vcc
	v_cndmask_b32_e64 v10, v10, 2, vcc
	;; [unrolled: 4-line block ×6, first 2 shown]
	v_cmp_gt_f32_e32 vcc, v7, v11
	s_nop 1
	v_cndmask_b32_e64 v10, v10, 7, vcc
	v_cndmask_b32_e32 v24, v11, v7, vcc
	ds_bpermute_b32 v11, v15, v24
	v_or_b32_e32 v10, v12, v10
	s_waitcnt lgkmcnt(0)
	ds_bpermute_b32 v25, v15, v10
	s_waitcnt lgkmcnt(0)
	v_cmp_lt_f32_e64 s[8:9], v24, v11
	v_cmp_nlt_f32_e32 vcc, v24, v11
	s_and_saveexec_b64 s[10:11], vcc
; %bb.25:                               ;   in Loop: Header=BB277_24 Depth=1
	v_cmp_eq_f32_e32 vcc, v24, v11
	v_cmp_lt_i32_e64 s[0:1], v25, v10
	s_and_b64 s[0:1], vcc, s[0:1]
	s_andn2_b64 s[8:9], s[8:9], exec
	s_and_b64 s[0:1], s[0:1], exec
	s_or_b64 s[8:9], s[8:9], s[0:1]
; %bb.26:                               ;   in Loop: Header=BB277_24 Depth=1
	s_or_b64 exec, exec, s[10:11]
	s_and_saveexec_b64 s[0:1], s[8:9]
; %bb.27:                               ;   in Loop: Header=BB277_24 Depth=1
	v_mov_b32_e32 v24, v11
	v_mov_b32_e32 v10, v25
; %bb.28:                               ;   in Loop: Header=BB277_24 Depth=1
	s_or_b64 exec, exec, s[0:1]
	ds_bpermute_b32 v11, v16, v24
	ds_bpermute_b32 v25, v16, v10
	s_waitcnt lgkmcnt(1)
	v_cmp_lt_f32_e64 s[8:9], v24, v11
	v_cmp_nlt_f32_e32 vcc, v24, v11
	s_and_saveexec_b64 s[10:11], vcc
	s_cbranch_execz .LBB277_30
; %bb.29:                               ;   in Loop: Header=BB277_24 Depth=1
	v_cmp_eq_f32_e32 vcc, v24, v11
	s_waitcnt lgkmcnt(0)
	v_cmp_lt_i32_e64 s[0:1], v25, v10
	s_and_b64 s[0:1], vcc, s[0:1]
	s_andn2_b64 s[8:9], s[8:9], exec
	s_and_b64 s[0:1], s[0:1], exec
	s_or_b64 s[8:9], s[8:9], s[0:1]
.LBB277_30:                             ;   in Loop: Header=BB277_24 Depth=1
	s_or_b64 exec, exec, s[10:11]
	s_and_saveexec_b64 s[0:1], s[8:9]
	s_cbranch_execz .LBB277_32
; %bb.31:                               ;   in Loop: Header=BB277_24 Depth=1
	v_mov_b32_e32 v24, v11
	s_waitcnt lgkmcnt(0)
	v_mov_b32_e32 v10, v25
.LBB277_32:                             ;   in Loop: Header=BB277_24 Depth=1
	s_or_b64 exec, exec, s[0:1]
	ds_bpermute_b32 v11, v17, v24
	s_waitcnt lgkmcnt(1)
	ds_bpermute_b32 v25, v17, v10
	s_waitcnt lgkmcnt(1)
	v_cmp_lt_f32_e64 s[8:9], v24, v11
	v_cmp_nlt_f32_e32 vcc, v24, v11
	s_and_saveexec_b64 s[10:11], vcc
	s_cbranch_execz .LBB277_34
; %bb.33:                               ;   in Loop: Header=BB277_24 Depth=1
	v_cmp_eq_f32_e32 vcc, v24, v11
	s_waitcnt lgkmcnt(0)
	v_cmp_lt_i32_e64 s[0:1], v25, v10
	s_and_b64 s[0:1], vcc, s[0:1]
	s_andn2_b64 s[8:9], s[8:9], exec
	s_and_b64 s[0:1], s[0:1], exec
	s_or_b64 s[8:9], s[8:9], s[0:1]
.LBB277_34:                             ;   in Loop: Header=BB277_24 Depth=1
	s_or_b64 exec, exec, s[10:11]
	s_and_saveexec_b64 s[0:1], s[8:9]
	s_cbranch_execz .LBB277_36
; %bb.35:                               ;   in Loop: Header=BB277_24 Depth=1
	v_mov_b32_e32 v24, v11
	s_waitcnt lgkmcnt(0)
	v_mov_b32_e32 v10, v25
.LBB277_36:                             ;   in Loop: Header=BB277_24 Depth=1
	s_or_b64 exec, exec, s[0:1]
	ds_bpermute_b32 v11, v18, v24
	s_waitcnt lgkmcnt(1)
	;; [unrolled: 26-line block ×4, first 2 shown]
	ds_bpermute_b32 v25, v20, v10
	s_waitcnt lgkmcnt(1)
	v_cmp_lt_f32_e64 s[8:9], v24, v11
	v_cmp_nlt_f32_e32 vcc, v24, v11
	s_and_saveexec_b64 s[10:11], vcc
	s_cbranch_execnz .LBB277_48
; %bb.45:                               ;   in Loop: Header=BB277_24 Depth=1
	s_or_b64 exec, exec, s[10:11]
	s_and_saveexec_b64 s[0:1], s[8:9]
	s_cbranch_execnz .LBB277_49
.LBB277_46:                             ;   in Loop: Header=BB277_24 Depth=1
	s_or_b64 exec, exec, s[0:1]
	s_and_saveexec_b64 s[8:9], s[6:7]
	s_cbranch_execnz .LBB277_50
.LBB277_47:                             ;   in Loop: Header=BB277_24 Depth=1
	s_or_b64 exec, exec, s[8:9]
	s_add_i32 s42, s42, 1
	s_cmp_ge_i32 s42, s24
	s_cbranch_scc1 .LBB277_23
	s_branch .LBB277_53
.LBB277_48:                             ;   in Loop: Header=BB277_24 Depth=1
	v_cmp_eq_f32_e32 vcc, v24, v11
	s_waitcnt lgkmcnt(0)
	v_cmp_lt_i32_e64 s[0:1], v25, v10
	s_and_b64 s[0:1], vcc, s[0:1]
	s_andn2_b64 s[8:9], s[8:9], exec
	s_and_b64 s[0:1], s[0:1], exec
	s_or_b64 s[8:9], s[8:9], s[0:1]
	s_or_b64 exec, exec, s[10:11]
	s_and_saveexec_b64 s[0:1], s[8:9]
	s_cbranch_execz .LBB277_46
.LBB277_49:                             ;   in Loop: Header=BB277_24 Depth=1
	s_waitcnt lgkmcnt(0)
	v_mov_b32_e32 v10, v25
	v_mov_b32_e32 v24, v11
	s_or_b64 exec, exec, s[0:1]
	s_and_saveexec_b64 s[8:9], s[6:7]
	s_cbranch_execz .LBB277_47
.LBB277_50:                             ;   in Loop: Header=BB277_24 Depth=1
	s_and_b64 vcc, exec, s[2:3]
	s_cbranch_vccnz .LBB277_52
; %bb.51:                               ;   in Loop: Header=BB277_24 Depth=1
	v_ashrrev_i32_e32 v11, 31, v10
	v_lshl_add_u64 v[26:27], v[10:11], 2, s[22:23]
	global_load_dword v11, v[26:27], off
	s_waitcnt vmcnt(0)
	v_sub_f32_e32 v24, v24, v11
.LBB277_52:                             ;   in Loop: Header=BB277_24 Depth=1
	v_add_u32_e32 v26, s42, v14
	v_cmp_le_i32_e32 vcc, s25, v10
	v_cmp_gt_i32_e64 s[0:1], s26, v10
	v_ashrrev_i32_e32 v27, 31, v26
	s_and_b64 s[0:1], vcc, s[0:1]
	v_lshlrev_b64 v[26:27], 2, v[26:27]
	v_lshl_add_u64 v[28:29], s[34:35], 0, v[26:27]
	v_subrev_u32_e32 v11, s25, v10
	s_and_b64 vcc, s[36:37], s[0:1]
	global_store_dword v[28:29], v24, off
	v_cndmask_b32_e32 v11, v21, v11, vcc
	v_lshl_add_u64 v[28:29], s[28:29], 0, v[26:27]
	global_store_dword v[28:29], v11, off
	v_add_f32_e32 v11, v13, v24
	v_lshl_add_u64 v[26:27], s[30:31], 0, v[26:27]
	v_cndmask_b32_e64 v13, v13, v11, s[4:5]
	global_store_dword v[26:27], v23, off
	s_or_b64 exec, exec, s[8:9]
	s_add_i32 s42, s42, 1
	s_cmp_ge_i32 s42, s24
	s_cbranch_scc1 .LBB277_23
.LBB277_53:                             ;   in Loop: Header=BB277_24 Depth=1
	v_ashrrev_i32_e32 v24, 31, v10
	v_lshrrev_b32_e32 v11, 29, v24
	s_waitcnt lgkmcnt(0)
	v_add_u32_e32 v25, v10, v11
	v_ashrrev_i32_e32 v11, 3, v25
	v_ashrrev_i32_e32 v25, 31, v25
	v_lshrrev_b32_e32 v25, 26, v25
	v_add_u32_e32 v25, v11, v25
	v_and_b32_e32 v25, 0xffffffc0, v25
	v_sub_u32_e32 v25, v11, v25
	v_cmp_eq_u32_e32 vcc, v9, v25
	s_and_saveexec_b64 s[40:41], vcc
	s_cbranch_execz .LBB277_22
; %bb.54:                               ;   in Loop: Header=BB277_24 Depth=1
	v_lshrrev_b32_e32 v24, 23, v24
	v_add_u32_e32 v24, v10, v24
	v_lshlrev_b32_e32 v11, 3, v11
	v_sub_u32_e32 v10, v10, v11
	v_ashrrev_i32_e32 v11, 9, v24
	v_lshl_add_u32 v10, v11, 3, v10
	v_cmp_ne_u32_e32 vcc, 6, v10
	v_cmp_ne_u32_e64 s[0:1], 5, v10
	v_cmp_ne_u32_e64 s[8:9], 4, v10
	v_cmp_ne_u32_e64 s[10:11], 3, v10
	v_cmp_ne_u32_e64 s[12:13], 2, v10
	v_cmp_ne_u32_e64 s[14:15], 1, v10
	v_cmp_ne_u32_e64 s[16:17], 0, v10
	v_cmp_ne_u32_e64 s[18:19], 7, v10
	v_cndmask_b32_e32 v6, v22, v6, vcc
	v_cndmask_b32_e64 v5, v22, v5, s[0:1]
	v_cndmask_b32_e64 v7, v22, v7, s[18:19]
	;; [unrolled: 1-line block ×7, first 2 shown]
	s_branch .LBB277_22
.LBB277_55:
	v_mov_b32_e32 v13, 0
.LBB277_56:
	v_cmp_eq_u32_e32 vcc, 0, v9
	s_and_b64 exec, exec, vcc
	s_cbranch_execz .LBB277_69
; %bb.57:
	s_andn2_b64 vcc, exec, s[4:5]
	v_cvt_f32_f64_e32 v0, s[20:21]
	s_cbranch_vccnz .LBB277_59
; %bb.58:
	v_cmp_lt_f32_e32 vcc, 0, v13
	s_nop 1
	v_cndmask_b32_e32 v1, 1.0, v13, vcc
	v_div_scale_f32 v2, s[0:1], v1, v1, v0
	v_rcp_f32_e32 v3, v2
	s_nop 0
	v_fma_f32 v4, -v2, v3, 1.0
	v_fmac_f32_e32 v3, v4, v3
	v_div_scale_f32 v4, vcc, v0, v1, v0
	v_mul_f32_e32 v5, v4, v3
	v_fma_f32 v6, -v2, v5, v4
	v_fmac_f32_e32 v5, v6, v3
	v_fma_f32 v2, -v2, v5, v4
	v_div_fmas_f32 v2, v2, v3, v5
	v_div_fixup_f32 v0, v2, v1, v0
.LBB277_59:
	s_andn2_b64 vcc, exec, s[38:39]
	s_cbranch_vccnz .LBB277_69
; %bb.60:
	v_mul_lo_u32 v2, v8, s24
	s_cmp_gt_u32 s24, 3
	v_ashrrev_i32_e32 v3, 31, v2
	s_cbranch_scc0 .LBB277_64
; %bb.61:
	s_and_b32 s0, s24, 0x7ffffffc
	v_lshl_add_u64 v[4:5], v[2:3], 2, s[34:35]
	v_mov_b32_e32 v1, v0
	v_lshl_add_u64 v[4:5], v[4:5], 0, 8
	s_mov_b32 s1, s0
.LBB277_62:                             ; =>This Inner Loop Header: Depth=1
	global_load_dwordx4 v[6:9], v[4:5], off offset:-8
	s_add_i32 s1, s1, -4
	s_cmp_lg_u32 s1, 0
	s_waitcnt vmcnt(0)
	v_pk_mul_f32 v[6:7], v[0:1], v[6:7]
	v_pk_mul_f32 v[8:9], v[0:1], v[8:9]
	global_store_dwordx4 v[4:5], v[6:9], off offset:-8
	v_lshl_add_u64 v[4:5], v[4:5], 0, 16
	s_cbranch_scc1 .LBB277_62
; %bb.63:
	s_cmp_lg_u32 s0, s24
	s_cselect_b64 s[2:3], -1, 0
	s_branch .LBB277_66
.LBB277_64:
	s_mov_b64 s[2:3], 0
                                        ; implicit-def: $sgpr0
	s_cbranch_execz .LBB277_66
; %bb.65:
	s_mov_b64 s[2:3], -1
	s_mov_b32 s0, 0
.LBB277_66:
	s_andn2_b64 vcc, exec, s[2:3]
	s_cbranch_vccnz .LBB277_69
; %bb.67:
	s_mov_b32 s1, 0
	v_lshl_add_u64 v[2:3], v[2:3], 0, s[0:1]
	s_sub_i32 s2, s24, s0
	v_lshl_add_u64 v[2:3], v[2:3], 2, s[34:35]
.LBB277_68:                             ; =>This Inner Loop Header: Depth=1
	global_load_dword v1, v[2:3], off
	s_add_i32 s2, s2, -1
	s_cmp_lg_u32 s2, 0
	s_waitcnt vmcnt(0)
	v_mul_f32_e32 v1, v0, v1
	global_store_dword v[2:3], v1, off
	v_lshl_add_u64 v[2:3], v[2:3], 0, 4
	s_cbranch_scc1 .LBB277_68
.LBB277_69:
	s_endpgm
	.section	.rodata,"a",@progbits
	.p2align	6, 0x0
	.amdhsa_kernel _ZN4vllm3moe22topkGatingSoftplusSqrtILi8ELi512ELi4ELi16ELi64ELb0Ej6__halfEEvPKT6_PKbPfiPT5_PiiiibdPKfPKS9_SF_
		.amdhsa_group_segment_fixed_size 0
		.amdhsa_private_segment_fixed_size 0
		.amdhsa_kernarg_size 96
		.amdhsa_user_sgpr_count 2
		.amdhsa_user_sgpr_dispatch_ptr 0
		.amdhsa_user_sgpr_queue_ptr 0
		.amdhsa_user_sgpr_kernarg_segment_ptr 1
		.amdhsa_user_sgpr_dispatch_id 0
		.amdhsa_user_sgpr_kernarg_preload_length 0
		.amdhsa_user_sgpr_kernarg_preload_offset 0
		.amdhsa_user_sgpr_private_segment_size 0
		.amdhsa_uses_dynamic_stack 0
		.amdhsa_enable_private_segment 0
		.amdhsa_system_sgpr_workgroup_id_x 1
		.amdhsa_system_sgpr_workgroup_id_y 0
		.amdhsa_system_sgpr_workgroup_id_z 0
		.amdhsa_system_sgpr_workgroup_info 0
		.amdhsa_system_vgpr_workitem_id 1
		.amdhsa_next_free_vgpr 30
		.amdhsa_next_free_sgpr 43
		.amdhsa_accum_offset 32
		.amdhsa_reserve_vcc 1
		.amdhsa_float_round_mode_32 0
		.amdhsa_float_round_mode_16_64 0
		.amdhsa_float_denorm_mode_32 3
		.amdhsa_float_denorm_mode_16_64 3
		.amdhsa_dx10_clamp 1
		.amdhsa_ieee_mode 1
		.amdhsa_fp16_overflow 0
		.amdhsa_tg_split 0
		.amdhsa_exception_fp_ieee_invalid_op 0
		.amdhsa_exception_fp_denorm_src 0
		.amdhsa_exception_fp_ieee_div_zero 0
		.amdhsa_exception_fp_ieee_overflow 0
		.amdhsa_exception_fp_ieee_underflow 0
		.amdhsa_exception_fp_ieee_inexact 0
		.amdhsa_exception_int_div_zero 0
	.end_amdhsa_kernel
	.section	.text._ZN4vllm3moe22topkGatingSoftplusSqrtILi8ELi512ELi4ELi16ELi64ELb0Ej6__halfEEvPKT6_PKbPfiPT5_PiiiibdPKfPKS9_SF_,"axG",@progbits,_ZN4vllm3moe22topkGatingSoftplusSqrtILi8ELi512ELi4ELi16ELi64ELb0Ej6__halfEEvPKT6_PKbPfiPT5_PiiiibdPKfPKS9_SF_,comdat
.Lfunc_end277:
	.size	_ZN4vllm3moe22topkGatingSoftplusSqrtILi8ELi512ELi4ELi16ELi64ELb0Ej6__halfEEvPKT6_PKbPfiPT5_PiiiibdPKfPKS9_SF_, .Lfunc_end277-_ZN4vllm3moe22topkGatingSoftplusSqrtILi8ELi512ELi4ELi16ELi64ELb0Ej6__halfEEvPKT6_PKbPfiPT5_PiiiibdPKfPKS9_SF_
                                        ; -- End function
	.section	.AMDGPU.csdata,"",@progbits
; Kernel info:
; codeLenInByte = 4316
; NumSgprs: 49
; NumVgprs: 30
; NumAgprs: 0
; TotalNumVgprs: 30
; ScratchSize: 0
; MemoryBound: 0
; FloatMode: 240
; IeeeMode: 1
; LDSByteSize: 0 bytes/workgroup (compile time only)
; SGPRBlocks: 6
; VGPRBlocks: 3
; NumSGPRsForWavesPerEU: 49
; NumVGPRsForWavesPerEU: 30
; AccumOffset: 32
; Occupancy: 8
; WaveLimiterHint : 0
; COMPUTE_PGM_RSRC2:SCRATCH_EN: 0
; COMPUTE_PGM_RSRC2:USER_SGPR: 2
; COMPUTE_PGM_RSRC2:TRAP_HANDLER: 0
; COMPUTE_PGM_RSRC2:TGID_X_EN: 1
; COMPUTE_PGM_RSRC2:TGID_Y_EN: 0
; COMPUTE_PGM_RSRC2:TGID_Z_EN: 0
; COMPUTE_PGM_RSRC2:TIDIG_COMP_CNT: 1
; COMPUTE_PGM_RSRC3_GFX90A:ACCUM_OFFSET: 7
; COMPUTE_PGM_RSRC3_GFX90A:TG_SPLIT: 0
	.section	.text._ZN4vllm3moe22topkGatingSoftplusSqrtILi16ELi512ELi4ELi16ELi32ELb1Ej6__halfEEvPKT6_PKbPfiPT5_PiiiibdPKfPKS9_SF_,"axG",@progbits,_ZN4vllm3moe22topkGatingSoftplusSqrtILi16ELi512ELi4ELi16ELi32ELb1Ej6__halfEEvPKT6_PKbPfiPT5_PiiiibdPKfPKS9_SF_,comdat
	.protected	_ZN4vllm3moe22topkGatingSoftplusSqrtILi16ELi512ELi4ELi16ELi32ELb1Ej6__halfEEvPKT6_PKbPfiPT5_PiiiibdPKfPKS9_SF_ ; -- Begin function _ZN4vllm3moe22topkGatingSoftplusSqrtILi16ELi512ELi4ELi16ELi32ELb1Ej6__halfEEvPKT6_PKbPfiPT5_PiiiibdPKfPKS9_SF_
	.globl	_ZN4vllm3moe22topkGatingSoftplusSqrtILi16ELi512ELi4ELi16ELi32ELb1Ej6__halfEEvPKT6_PKbPfiPT5_PiiiibdPKfPKS9_SF_
	.p2align	8
	.type	_ZN4vllm3moe22topkGatingSoftplusSqrtILi16ELi512ELi4ELi16ELi32ELb1Ej6__halfEEvPKT6_PKbPfiPT5_PiiiibdPKfPKS9_SF_,@function
_ZN4vllm3moe22topkGatingSoftplusSqrtILi16ELi512ELi4ELi16ELi32ELb1Ej6__halfEEvPKT6_PKbPfiPT5_PiiiibdPKfPKS9_SF_: ; @_ZN4vllm3moe22topkGatingSoftplusSqrtILi16ELi512ELi4ELi16ELi32ELb1Ej6__halfEEvPKT6_PKbPfiPT5_PiiiibdPKfPKS9_SF_
; %bb.0:
	s_load_dword s3, s[0:1], 0x18
	v_and_b32_e32 v1, 0x3ff, v0
	s_lshl_b32 s2, s2, 2
	v_lshrrev_b32_e32 v2, 5, v1
	v_bfe_u32 v0, v0, 10, 10
	v_add3_u32 v2, s2, v0, v2
	s_waitcnt lgkmcnt(0)
	v_cmp_gt_i32_e32 vcc, s3, v2
	s_and_saveexec_b64 s[2:3], vcc
	s_cbranch_execz .LBB278_68
; %bb.1:
	s_load_dwordx2 s[2:3], s[0:1], 0x0
	s_load_dword s33, s[0:1], 0x30
	v_lshlrev_b32_e32 v0, 9, v2
	v_lshlrev_b32_e32 v3, 3, v1
	v_ashrrev_i32_e32 v1, 31, v0
	v_and_b32_e32 v10, 0xf8, v3
	s_waitcnt lgkmcnt(0)
	v_lshl_add_u64 v[4:5], v[0:1], 1, s[2:3]
	v_lshlrev_b32_e32 v0, 1, v10
	v_mov_b32_e32 v1, 0
	v_lshl_add_u64 v[4:5], v[4:5], 0, v[0:1]
	global_load_dwordx4 v[14:17], v[4:5], off
	global_load_dwordx4 v[18:21], v[4:5], off offset:512
	s_load_dwordx4 s[4:7], s[0:1], 0x50
	s_mov_b32 s11, 0x800000
	v_mov_b32_e32 v6, 0x4f800000
	s_mov_b32 s9, 0x3f317217
	v_ashrrev_i32_e32 v3, 31, v2
	s_waitcnt lgkmcnt(0)
	v_mov_b32_e32 v4, s4
	v_mov_b32_e32 v5, s5
	v_lshl_add_u64 v[4:5], v[2:3], 2, v[4:5]
	s_mov_b32 s10, 0x7f800000
	v_mov_b32_e32 v3, 0x41b17218
	s_movk_i32 s13, 0x4d00
	s_mov_b32 s12, 0xf800000
	v_mov_b32_e32 v7, 0x260
	global_load_dword v0, v[4:5], off
	v_mov_b32_e32 v4, s6
	s_mov_b32 s6, 0x41a00000
	v_mov_b32_e32 v5, s7
	s_cmp_gt_i32 s33, 0
	s_mov_b32 s8, 0
	s_waitcnt vmcnt(2)
	v_cvt_f32_f16_e32 v22, v15
	s_waitcnt vmcnt(1)
	v_cvt_f32_f16_e32 v27, v18
	v_cvt_f32_f16_e32 v29, v19
	v_cvt_f32_f16_sdwa v30, v18 dst_sel:DWORD dst_unused:UNUSED_PAD src0_sel:WORD_1
	v_cvt_f32_f16_sdwa v12, v19 dst_sel:DWORD dst_unused:UNUSED_PAD src0_sel:WORD_1
	v_cvt_f32_f16_e32 v18, v14
	v_cvt_f32_f16_sdwa v19, v14 dst_sel:DWORD dst_unused:UNUSED_PAD src0_sel:WORD_1
	v_cvt_f32_f16_e32 v25, v17
	v_cvt_f32_f16_sdwa v28, v17 dst_sel:DWORD dst_unused:UNUSED_PAD src0_sel:WORD_1
	v_mul_f32_e32 v11, 0x3fb8aa3b, v18
	v_mul_f32_e32 v17, 0x3fb8aa3b, v19
	v_cvt_f32_f16_e32 v23, v16
	v_cvt_f32_f16_sdwa v26, v16 dst_sel:DWORD dst_unused:UNUSED_PAD src0_sel:WORD_1
	v_exp_f32_e32 v16, v11
	v_exp_f32_e32 v17, v17
	v_cvt_f32_f16_sdwa v8, v21 dst_sel:DWORD dst_unused:UNUSED_PAD src0_sel:WORD_1
	v_cvt_f32_f16_e32 v9, v21
	v_mul_f32_e32 v21, 0x3fb8aa3b, v22
	v_exp_f32_e32 v21, v21
	v_pk_add_f32 v[16:17], v[16:17], 1.0 op_sel_hi:[1,0]
	v_cvt_f32_f16_e32 v13, v20
	v_cmp_gt_f32_e32 vcc, s11, v17
	v_cvt_f32_f16_sdwa v11, v20 dst_sel:DWORD dst_unused:UNUSED_PAD src0_sel:WORD_1
	v_add_f32_e32 v20, 1.0, v21
	v_cndmask_b32_e32 v21, 1.0, v6, vcc
	v_cmp_gt_f32_e64 s[2:3], s11, v16
	v_cmp_gt_f32_e64 s[4:5], s11, v20
	v_mul_f32_e32 v17, v17, v21
	v_cndmask_b32_e64 v31, 1.0, v6, s[2:3]
	v_cndmask_b32_e64 v32, 1.0, v6, s[4:5]
	v_mul_f32_e32 v16, v16, v31
	v_log_f32_e32 v17, v17
	v_mul_f32_e32 v20, v20, v32
	v_log_f32_e32 v16, v16
	v_log_f32_e32 v20, v20
	v_mul_f32_e32 v33, 0x3f317217, v17
	v_fma_f32 v33, v17, s9, -v33
	v_mul_f32_e32 v34, 0x3f317217, v16
	v_mul_f32_e32 v35, 0x3f317217, v20
	v_fma_f32 v34, v16, s9, -v34
	v_fmac_f32_e32 v33, 0x3377d1cf, v17
	v_cndmask_b32_e32 v21, 0, v3, vcc
	v_fma_f32 v35, v20, s9, -v35
	v_fmac_f32_e32 v34, 0x3377d1cf, v16
	v_fmac_f32_e32 v33, 0x3f317217, v17
	v_cmp_lt_f32_e64 vcc, |v17|, s10
	v_fmac_f32_e32 v35, 0x3377d1cf, v20
	v_fmac_f32_e32 v34, 0x3f317217, v16
	v_cndmask_b32_e32 v17, v17, v33, vcc
	v_cmp_lt_f32_e64 vcc, |v16|, s10
	v_cndmask_b32_e64 v31, 0, v3, s[2:3]
	v_fmac_f32_e32 v35, 0x3f317217, v20
	v_cndmask_b32_e32 v16, v16, v34, vcc
	v_cmp_lt_f32_e64 vcc, |v20|, s10
	v_sub_f32_e32 v16, v16, v31
	v_sub_f32_e32 v17, v17, v21
	v_cndmask_b32_e32 v20, v20, v35, vcc
	v_cmp_lt_f16_e32 vcc, s13, v14
	v_cndmask_b32_e64 v32, 0, v3, s[4:5]
	v_cvt_f32_f16_sdwa v24, v15 dst_sel:DWORD dst_unused:UNUSED_PAD src0_sel:WORD_1
	v_cndmask_b32_e32 v16, v16, v18, vcc
	v_cmp_gt_f16_sdwa vcc, v14, s13 src0_sel:WORD_1 src1_sel:DWORD
	v_mul_f32_e32 v18, 0x4f800000, v16
	v_cmp_gt_f32_e64 s[2:3], s12, v16
	v_cndmask_b32_e32 v14, v17, v19, vcc
	v_mul_f32_e32 v17, 0x4f800000, v14
	v_cmp_gt_f32_e32 vcc, s12, v14
	v_cndmask_b32_e64 v16, v16, v18, s[2:3]
	v_sqrt_f32_e32 v18, v16
	v_cndmask_b32_e32 v14, v14, v17, vcc
	v_sqrt_f32_e32 v17, v14
	v_sub_f32_e32 v19, v20, v32
	v_add_u32_e32 v31, -1, v18
	v_fma_f32 v35, -v31, v18, v16
	v_add_u32_e32 v20, -1, v17
	v_fma_f32 v33, -v20, v17, v14
	v_add_u32_e32 v21, 1, v17
	v_cmp_ge_f32_e64 s[4:5], 0, v33
	v_add_u32_e32 v32, 1, v18
	v_fma_f32 v34, -v21, v17, v14
	v_cndmask_b32_e64 v17, v17, v20, s[4:5]
	v_cmp_ge_f32_e64 s[4:5], 0, v35
	v_fma_f32 v36, -v32, v18, v16
	s_waitcnt vmcnt(0)
	v_mul_lo_u32 v0, v0, s33
	v_cndmask_b32_e64 v18, v18, v31, s[4:5]
	v_cmp_lt_f32_e64 s[4:5], 0, v34
	v_lshl_add_u64 v[4:5], v[0:1], 2, v[4:5]
	v_mul_lo_u32 v0, v2, s33
	v_cndmask_b32_e64 v17, v17, v21, s[4:5]
	v_mul_f32_e32 v20, 0x37800000, v17
	v_cndmask_b32_e32 v17, v17, v20, vcc
	v_cmp_class_f32_e32 vcc, v14, v7
	v_cmp_lt_f32_e64 s[4:5], 0, v36
	s_nop 0
	v_cndmask_b32_e32 v17, v17, v14, vcc
	v_cmp_lt_f16_e32 vcc, s13, v15
	v_cndmask_b32_e64 v18, v18, v32, s[4:5]
	v_mul_f32_e32 v21, 0x37800000, v18
	v_cndmask_b32_e32 v14, v19, v22, vcc
	v_mul_f32_e32 v15, 0x4f800000, v14
	v_cmp_gt_f32_e32 vcc, s12, v14
	s_nop 1
	v_cndmask_b32_e32 v19, v14, v15, vcc
	v_sqrt_f32_e32 v14, v19
	v_cndmask_b32_e64 v15, v18, v21, s[2:3]
	v_cmp_class_f32_e64 s[2:3], v16, v7
	v_add_u32_e32 v20, 1, v14
	s_nop 0
	v_cndmask_b32_e64 v16, v15, v16, s[2:3]
	v_add_u32_e32 v15, -1, v14
	v_fma_f32 v18, -v15, v14, v19
	v_cmp_ge_f32_e64 s[2:3], 0, v18
	v_fma_f32 v21, -v20, v14, v19
	s_nop 0
	v_cndmask_b32_e64 v18, v14, v15, s[2:3]
	v_mul_f32_e32 v14, 0x3fb8aa3b, v24
	v_mul_f32_e32 v15, 0x3fb8aa3b, v23
	v_exp_f32_e32 v14, v14
	v_exp_f32_e32 v15, v15
	v_cmp_lt_f32_e64 s[2:3], 0, v21
	v_pk_add_f32 v[14:15], v[14:15], 1.0 op_sel_hi:[1,0]
	s_nop 0
	v_cndmask_b32_e64 v18, v18, v20, s[2:3]
	v_mul_f32_e32 v20, 0x37800000, v18
	v_cndmask_b32_e32 v18, v18, v20, vcc
	v_cmp_gt_f32_e32 vcc, s11, v15
	v_cmp_class_f32_e64 s[2:3], v19, v7
	s_nop 0
	v_cndmask_b32_e32 v20, 1.0, v6, vcc
	v_mul_f32_e32 v15, v15, v20
	v_log_f32_e32 v15, v15
	v_cndmask_b32_e64 v18, v18, v19, s[2:3]
	v_cmp_gt_f32_e64 s[2:3], s11, v14
	scratch_store_dwordx3 off, v[16:18], off
	v_cmp_lt_f32_e64 s[4:5], |v15|, s10
	s_nop 0
	v_cndmask_b32_e64 v17, 1.0, v6, s[2:3]
	v_mul_f32_e32 v16, 0x3f317217, v15
	v_mul_f32_e32 v14, v14, v17
	v_fma_f32 v16, v15, s9, -v16
	v_log_f32_e32 v14, v14
	v_fmac_f32_e32 v16, 0x3377d1cf, v15
	v_fmac_f32_e32 v16, 0x3f317217, v15
	v_cndmask_b32_e64 v15, v15, v16, s[4:5]
	v_cndmask_b32_e32 v16, 0, v3, vcc
	v_sub_f32_e32 v15, v15, v16
	v_mul_f32_e32 v16, 0x3f317217, v14
	v_fma_f32 v16, v14, s9, -v16
	v_fmac_f32_e32 v16, 0x3377d1cf, v14
	v_fmac_f32_e32 v16, 0x3f317217, v14
	v_cmp_lt_f32_e64 vcc, |v14|, s10
	s_nop 1
	v_cndmask_b32_e32 v14, v14, v16, vcc
	v_cmp_lt_f32_e32 vcc, s6, v23
	v_cndmask_b32_e64 v16, 0, v3, s[2:3]
	v_sub_f32_e32 v14, v14, v16
	v_cndmask_b32_e32 v15, v15, v23, vcc
	v_mul_f32_e32 v17, 0x4f800000, v15
	v_cmp_gt_f32_e32 vcc, s12, v15
	v_cmp_lt_f32_e64 s[2:3], s6, v24
	s_nop 0
	v_cndmask_b32_e32 v15, v15, v17, vcc
	v_sqrt_f32_e32 v17, v15
	v_cndmask_b32_e64 v14, v14, v24, s[2:3]
	v_add_u32_e32 v16, -1, v17
	v_fma_f32 v18, -v16, v17, v15
	v_cmp_ge_f32_e64 s[2:3], 0, v18
	v_add_u32_e32 v18, 1, v17
	s_nop 0
	v_cndmask_b32_e64 v16, v17, v16, s[2:3]
	v_fma_f32 v17, -v18, v17, v15
	v_cmp_lt_f32_e64 s[2:3], 0, v17
	s_nop 1
	v_cndmask_b32_e64 v16, v16, v18, s[2:3]
	v_mul_f32_e32 v18, 0x4f800000, v14
	v_cmp_gt_f32_e64 s[2:3], s12, v14
	v_mul_f32_e32 v17, 0x37800000, v16
	v_cndmask_b32_e32 v16, v16, v17, vcc
	v_cndmask_b32_e64 v14, v14, v18, s[2:3]
	v_sqrt_f32_e32 v18, v14
	v_cmp_class_f32_e32 vcc, v15, v7
	v_add_u32_e32 v20, 1, v18
	s_nop 0
	v_cndmask_b32_e32 v15, v16, v15, vcc
	v_add_u32_e32 v16, -1, v18
	v_fma_f32 v17, -v16, v18, v14
	v_cmp_ge_f32_e32 vcc, 0, v17
	v_mul_f32_e32 v17, 0x3fb8aa3b, v25
	v_exp_f32_e32 v17, v17
	v_cndmask_b32_e32 v19, v18, v16, vcc
	v_mul_f32_e32 v16, 0x3fb8aa3b, v26
	v_exp_f32_e32 v16, v16
	v_fma_f32 v18, -v20, v18, v14
	v_cmp_lt_f32_e32 vcc, 0, v18
	v_pk_add_f32 v[16:17], v[16:17], 1.0 op_sel_hi:[1,0]
	s_nop 0
	v_cndmask_b32_e32 v18, v19, v20, vcc
	v_cmp_gt_f32_e32 vcc, s11, v17
	v_mul_f32_e32 v19, 0x37800000, v18
	v_cndmask_b32_e64 v18, v18, v19, s[2:3]
	v_cndmask_b32_e32 v20, 1.0, v6, vcc
	v_mul_f32_e32 v17, v17, v20
	v_log_f32_e32 v17, v17
	v_cmp_class_f32_e64 s[2:3], v14, v7
	v_cmp_lt_f32_e64 s[4:5], |v17|, s10
	s_nop 0
	v_cndmask_b32_e64 v14, v18, v14, s[2:3]
	v_cmp_gt_f32_e64 s[2:3], s11, v16
	v_mul_f32_e32 v18, 0x3f317217, v17
	v_fma_f32 v18, v17, s9, -v18
	v_cndmask_b32_e64 v19, 1.0, v6, s[2:3]
	v_mul_f32_e32 v16, v16, v19
	v_log_f32_e32 v16, v16
	v_fmac_f32_e32 v18, 0x3377d1cf, v17
	v_fmac_f32_e32 v18, 0x3f317217, v17
	v_cndmask_b32_e64 v17, v17, v18, s[4:5]
	v_cndmask_b32_e32 v18, 0, v3, vcc
	v_sub_f32_e32 v17, v17, v18
	v_mul_f32_e32 v18, 0x3f317217, v16
	v_fma_f32 v18, v16, s9, -v18
	v_fmac_f32_e32 v18, 0x3377d1cf, v16
	v_fmac_f32_e32 v18, 0x3f317217, v16
	v_cmp_lt_f32_e64 vcc, |v16|, s10
	s_nop 1
	v_cndmask_b32_e32 v16, v16, v18, vcc
	v_cmp_lt_f32_e32 vcc, s6, v25
	v_cndmask_b32_e64 v18, 0, v3, s[2:3]
	v_sub_f32_e32 v16, v16, v18
	v_cndmask_b32_e32 v17, v17, v25, vcc
	v_mul_f32_e32 v19, 0x4f800000, v17
	v_cmp_gt_f32_e32 vcc, s12, v17
	v_cmp_lt_f32_e64 s[2:3], s6, v26
	s_nop 0
	v_cndmask_b32_e32 v17, v17, v19, vcc
	v_sqrt_f32_e32 v19, v17
	v_cndmask_b32_e64 v16, v16, v26, s[2:3]
	v_add_u32_e32 v18, -1, v19
	v_fma_f32 v20, -v18, v19, v17
	v_cmp_ge_f32_e64 s[2:3], 0, v20
	v_add_u32_e32 v20, 1, v19
	s_nop 0
	v_cndmask_b32_e64 v18, v19, v18, s[2:3]
	v_fma_f32 v19, -v20, v19, v17
	v_cmp_lt_f32_e64 s[2:3], 0, v19
	s_nop 1
	v_cndmask_b32_e64 v18, v18, v20, s[2:3]
	v_mul_f32_e32 v20, 0x4f800000, v16
	v_cmp_gt_f32_e64 s[2:3], s12, v16
	v_mul_f32_e32 v19, 0x37800000, v18
	v_cndmask_b32_e32 v18, v18, v19, vcc
	v_cndmask_b32_e64 v16, v16, v20, s[2:3]
	v_sqrt_f32_e32 v20, v16
	v_cmp_class_f32_e32 vcc, v17, v7
	v_add_u32_e32 v22, 1, v20
	s_nop 0
	v_cndmask_b32_e32 v17, v18, v17, vcc
	v_add_u32_e32 v18, -1, v20
	v_fma_f32 v19, -v18, v20, v16
	v_cmp_ge_f32_e32 vcc, 0, v19
	v_mul_f32_e32 v19, 0x3fb8aa3b, v27
	v_exp_f32_e32 v19, v19
	v_cndmask_b32_e32 v21, v20, v18, vcc
	v_mul_f32_e32 v18, 0x3fb8aa3b, v28
	v_exp_f32_e32 v18, v18
	v_fma_f32 v20, -v22, v20, v16
	v_cmp_lt_f32_e32 vcc, 0, v20
	v_pk_add_f32 v[18:19], v[18:19], 1.0 op_sel_hi:[1,0]
	s_nop 0
	v_cndmask_b32_e32 v20, v21, v22, vcc
	v_mul_f32_e32 v21, 0x37800000, v20
	v_cmp_gt_f32_e32 vcc, s11, v19
	v_cndmask_b32_e64 v20, v20, v21, s[2:3]
	v_cmp_class_f32_e64 s[2:3], v16, v7
	v_cndmask_b32_e32 v21, 1.0, v6, vcc
	v_mul_f32_e32 v19, v19, v21
	v_log_f32_e32 v19, v19
	v_cndmask_b32_e64 v16, v20, v16, s[2:3]
	v_cmp_gt_f32_e64 s[2:3], s11, v18
	scratch_store_dwordx4 off, v[14:17], off offset:12
	v_cmp_lt_f32_e64 s[4:5], |v19|, s10
	s_nop 0
	v_cndmask_b32_e64 v15, 1.0, v6, s[2:3]
	v_mul_f32_e32 v14, 0x3f317217, v19
	v_mul_f32_e32 v15, v18, v15
	v_fma_f32 v14, v19, s9, -v14
	v_log_f32_e32 v15, v15
	v_fmac_f32_e32 v14, 0x3377d1cf, v19
	v_fmac_f32_e32 v14, 0x3f317217, v19
	v_cndmask_b32_e64 v14, v19, v14, s[4:5]
	v_cndmask_b32_e32 v16, 0, v3, vcc
	v_sub_f32_e32 v14, v14, v16
	v_mul_f32_e32 v16, 0x3f317217, v15
	v_fma_f32 v16, v15, s9, -v16
	v_fmac_f32_e32 v16, 0x3377d1cf, v15
	v_fmac_f32_e32 v16, 0x3f317217, v15
	v_cmp_lt_f32_e64 vcc, |v15|, s10
	s_nop 1
	v_cndmask_b32_e32 v15, v15, v16, vcc
	v_cmp_lt_f32_e32 vcc, s6, v27
	v_cndmask_b32_e64 v16, 0, v3, s[2:3]
	v_sub_f32_e32 v15, v15, v16
	v_cndmask_b32_e32 v14, v14, v27, vcc
	v_mul_f32_e32 v17, 0x4f800000, v14
	v_cmp_gt_f32_e32 vcc, s12, v14
	v_cmp_lt_f32_e64 s[2:3], s6, v28
	s_nop 0
	v_cndmask_b32_e32 v14, v14, v17, vcc
	v_sqrt_f32_e32 v17, v14
	v_cndmask_b32_e64 v15, v15, v28, s[2:3]
	v_add_u32_e32 v16, -1, v17
	v_fma_f32 v18, -v16, v17, v14
	v_cmp_ge_f32_e64 s[2:3], 0, v18
	v_add_u32_e32 v18, 1, v17
	s_nop 0
	v_cndmask_b32_e64 v16, v17, v16, s[2:3]
	v_fma_f32 v17, -v18, v17, v14
	v_cmp_lt_f32_e64 s[2:3], 0, v17
	s_nop 1
	v_cndmask_b32_e64 v16, v16, v18, s[2:3]
	v_mul_f32_e32 v18, 0x4f800000, v15
	v_cmp_gt_f32_e64 s[2:3], s12, v15
	v_mul_f32_e32 v17, 0x37800000, v16
	s_nop 0
	v_cndmask_b32_e64 v18, v15, v18, s[2:3]
	v_sqrt_f32_e32 v19, v18
	v_cndmask_b32_e32 v15, v16, v17, vcc
	v_cmp_class_f32_e32 vcc, v14, v7
	v_mul_f32_e32 v17, 0x3fb8aa3b, v29
	v_exp_f32_e32 v17, v17
	v_cndmask_b32_e32 v15, v15, v14, vcc
	v_add_u32_e32 v14, -1, v19
	v_fma_f32 v16, -v14, v19, v18
	v_cmp_ge_f32_e32 vcc, 0, v16
	v_mul_f32_e32 v16, 0x3fb8aa3b, v30
	v_exp_f32_e32 v16, v16
	v_add_u32_e32 v20, 1, v19
	v_cndmask_b32_e32 v14, v19, v14, vcc
	v_fma_f32 v19, -v20, v19, v18
	v_cmp_lt_f32_e32 vcc, 0, v19
	v_pk_add_f32 v[16:17], v[16:17], 1.0 op_sel_hi:[1,0]
	s_nop 0
	v_cndmask_b32_e32 v14, v14, v20, vcc
	v_cmp_gt_f32_e32 vcc, s11, v17
	v_mul_f32_e32 v19, 0x37800000, v14
	v_cndmask_b32_e64 v14, v14, v19, s[2:3]
	v_cndmask_b32_e32 v20, 1.0, v6, vcc
	v_mul_f32_e32 v17, v17, v20
	v_log_f32_e32 v17, v17
	v_cmp_class_f32_e64 s[2:3], v18, v7
	v_cmp_lt_f32_e64 s[4:5], |v17|, s10
	s_nop 0
	v_cndmask_b32_e64 v14, v14, v18, s[2:3]
	v_cmp_gt_f32_e64 s[2:3], s11, v16
	v_mul_f32_e32 v18, 0x3f317217, v17
	v_fma_f32 v18, v17, s9, -v18
	v_cndmask_b32_e64 v19, 1.0, v6, s[2:3]
	v_mul_f32_e32 v16, v16, v19
	v_log_f32_e32 v16, v16
	v_fmac_f32_e32 v18, 0x3377d1cf, v17
	v_fmac_f32_e32 v18, 0x3f317217, v17
	v_cndmask_b32_e64 v17, v17, v18, s[4:5]
	v_cndmask_b32_e32 v18, 0, v3, vcc
	v_sub_f32_e32 v17, v17, v18
	v_mul_f32_e32 v18, 0x3f317217, v16
	v_fma_f32 v18, v16, s9, -v18
	v_fmac_f32_e32 v18, 0x3377d1cf, v16
	v_fmac_f32_e32 v18, 0x3f317217, v16
	v_cmp_lt_f32_e64 vcc, |v16|, s10
	s_nop 1
	v_cndmask_b32_e32 v16, v16, v18, vcc
	v_cmp_lt_f32_e32 vcc, s6, v29
	v_cndmask_b32_e64 v18, 0, v3, s[2:3]
	v_sub_f32_e32 v16, v16, v18
	v_cndmask_b32_e32 v17, v17, v29, vcc
	v_mul_f32_e32 v19, 0x4f800000, v17
	v_cmp_gt_f32_e32 vcc, s12, v17
	v_cmp_lt_f32_e64 s[2:3], s6, v30
	s_nop 0
	v_cndmask_b32_e32 v17, v17, v19, vcc
	v_sqrt_f32_e32 v19, v17
	v_cndmask_b32_e64 v16, v16, v30, s[2:3]
	v_add_u32_e32 v18, -1, v19
	v_fma_f32 v20, -v18, v19, v17
	v_cmp_ge_f32_e64 s[2:3], 0, v20
	v_add_u32_e32 v20, 1, v19
	s_nop 0
	v_cndmask_b32_e64 v18, v19, v18, s[2:3]
	v_fma_f32 v19, -v20, v19, v17
	v_cmp_lt_f32_e64 s[2:3], 0, v19
	s_nop 1
	v_cndmask_b32_e64 v18, v18, v20, s[2:3]
	v_mul_f32_e32 v20, 0x4f800000, v16
	v_cmp_gt_f32_e64 s[2:3], s12, v16
	v_mul_f32_e32 v19, 0x37800000, v18
	v_cndmask_b32_e32 v18, v18, v19, vcc
	v_cndmask_b32_e64 v16, v16, v20, s[2:3]
	v_sqrt_f32_e32 v20, v16
	v_cmp_class_f32_e32 vcc, v17, v7
	v_add_u32_e32 v22, 1, v20
	s_nop 0
	v_cndmask_b32_e32 v17, v18, v17, vcc
	v_add_u32_e32 v18, -1, v20
	v_fma_f32 v19, -v18, v20, v16
	v_cmp_ge_f32_e32 vcc, 0, v19
	v_mul_f32_e32 v19, 0x3fb8aa3b, v13
	v_exp_f32_e32 v19, v19
	v_cndmask_b32_e32 v21, v20, v18, vcc
	v_mul_f32_e32 v18, 0x3fb8aa3b, v12
	v_exp_f32_e32 v18, v18
	v_fma_f32 v20, -v22, v20, v16
	v_cmp_lt_f32_e32 vcc, 0, v20
	v_pk_add_f32 v[18:19], v[18:19], 1.0 op_sel_hi:[1,0]
	s_nop 0
	v_cndmask_b32_e32 v20, v21, v22, vcc
	v_mul_f32_e32 v21, 0x37800000, v20
	v_cmp_gt_f32_e32 vcc, s11, v19
	v_cndmask_b32_e64 v20, v20, v21, s[2:3]
	v_cmp_class_f32_e64 s[2:3], v16, v7
	v_cndmask_b32_e32 v21, 1.0, v6, vcc
	v_mul_f32_e32 v19, v19, v21
	v_log_f32_e32 v19, v19
	v_cndmask_b32_e64 v16, v20, v16, s[2:3]
	v_cmp_gt_f32_e64 s[2:3], s11, v18
	scratch_store_dwordx4 off, v[14:17], off offset:28
	v_cmp_lt_f32_e64 s[4:5], |v19|, s10
	s_nop 0
	v_cndmask_b32_e64 v15, 1.0, v6, s[2:3]
	v_mul_f32_e32 v14, 0x3f317217, v19
	v_mul_f32_e32 v15, v18, v15
	v_fma_f32 v14, v19, s9, -v14
	v_log_f32_e32 v15, v15
	v_fmac_f32_e32 v14, 0x3377d1cf, v19
	v_fmac_f32_e32 v14, 0x3f317217, v19
	v_cndmask_b32_e64 v14, v19, v14, s[4:5]
	v_cndmask_b32_e32 v16, 0, v3, vcc
	v_sub_f32_e32 v14, v14, v16
	v_mul_f32_e32 v16, 0x3f317217, v15
	v_fma_f32 v16, v15, s9, -v16
	v_fmac_f32_e32 v16, 0x3377d1cf, v15
	v_fmac_f32_e32 v16, 0x3f317217, v15
	v_cmp_lt_f32_e64 vcc, |v15|, s10
	s_nop 1
	v_cndmask_b32_e32 v15, v15, v16, vcc
	v_cmp_lt_f32_e32 vcc, s6, v13
	v_cndmask_b32_e64 v16, 0, v3, s[2:3]
	v_sub_f32_e32 v15, v15, v16
	v_cndmask_b32_e32 v13, v14, v13, vcc
	v_mul_f32_e32 v14, 0x4f800000, v13
	v_cmp_gt_f32_e32 vcc, s12, v13
	v_cmp_lt_f32_e64 s[2:3], s6, v12
	s_nop 0
	v_cndmask_b32_e32 v13, v13, v14, vcc
	v_sqrt_f32_e32 v14, v13
	v_cndmask_b32_e64 v12, v15, v12, s[2:3]
	v_add_u32_e32 v15, -1, v14
	v_fma_f32 v16, -v15, v14, v13
	v_cmp_ge_f32_e64 s[2:3], 0, v16
	v_add_u32_e32 v16, 1, v14
	s_nop 0
	v_cndmask_b32_e64 v15, v14, v15, s[2:3]
	v_fma_f32 v14, -v16, v14, v13
	v_cmp_lt_f32_e64 s[2:3], 0, v14
	s_nop 1
	v_cndmask_b32_e64 v14, v15, v16, s[2:3]
	v_mul_f32_e32 v16, 0x4f800000, v12
	v_cmp_gt_f32_e64 s[2:3], s12, v12
	v_mul_f32_e32 v15, 0x37800000, v14
	v_cndmask_b32_e32 v14, v14, v15, vcc
	v_cndmask_b32_e64 v12, v12, v16, s[2:3]
	v_sqrt_f32_e32 v16, v12
	v_cmp_class_f32_e32 vcc, v13, v7
	v_add_u32_e32 v18, 1, v16
	s_nop 0
	v_cndmask_b32_e32 v13, v14, v13, vcc
	v_add_u32_e32 v14, -1, v16
	v_fma_f32 v15, -v14, v16, v12
	v_cmp_ge_f32_e32 vcc, 0, v15
	v_mul_f32_e32 v15, 0x3fb8aa3b, v9
	v_exp_f32_e32 v15, v15
	v_cndmask_b32_e32 v17, v16, v14, vcc
	v_mul_f32_e32 v14, 0x3fb8aa3b, v11
	v_exp_f32_e32 v14, v14
	v_fma_f32 v16, -v18, v16, v12
	v_cmp_lt_f32_e32 vcc, 0, v16
	v_pk_add_f32 v[14:15], v[14:15], 1.0 op_sel_hi:[1,0]
	s_nop 0
	v_cndmask_b32_e32 v16, v17, v18, vcc
	v_cmp_gt_f32_e32 vcc, s11, v15
	v_mul_f32_e32 v17, 0x37800000, v16
	v_cndmask_b32_e64 v16, v16, v17, s[2:3]
	v_cndmask_b32_e32 v18, 1.0, v6, vcc
	v_mul_f32_e32 v15, v15, v18
	v_log_f32_e32 v15, v15
	v_cmp_class_f32_e64 s[2:3], v12, v7
	v_cmp_lt_f32_e64 s[4:5], |v15|, s10
	s_nop 0
	v_cndmask_b32_e64 v12, v16, v12, s[2:3]
	v_cmp_gt_f32_e64 s[2:3], s11, v14
	v_mul_f32_e32 v16, 0x3f317217, v15
	v_fma_f32 v16, v15, s9, -v16
	v_cndmask_b32_e64 v17, 1.0, v6, s[2:3]
	v_mul_f32_e32 v14, v14, v17
	v_log_f32_e32 v14, v14
	v_fmac_f32_e32 v16, 0x3377d1cf, v15
	v_fmac_f32_e32 v16, 0x3f317217, v15
	v_cndmask_b32_e64 v15, v15, v16, s[4:5]
	v_cndmask_b32_e32 v16, 0, v3, vcc
	v_sub_f32_e32 v15, v15, v16
	v_mul_f32_e32 v16, 0x3f317217, v14
	v_fma_f32 v16, v14, s9, -v16
	v_fmac_f32_e32 v16, 0x3377d1cf, v14
	v_fmac_f32_e32 v16, 0x3f317217, v14
	v_cmp_lt_f32_e64 vcc, |v14|, s10
	v_mul_f32_e32 v17, 0x3fb8aa3b, v8
	v_exp_f32_e32 v17, v17
	v_cndmask_b32_e32 v14, v14, v16, vcc
	v_cmp_lt_f32_e32 vcc, s6, v9
	v_cndmask_b32_e64 v16, 0, v3, s[2:3]
	v_sub_f32_e32 v14, v14, v16
	v_cndmask_b32_e32 v9, v15, v9, vcc
	v_mul_f32_e32 v15, 0x4f800000, v9
	v_cmp_gt_f32_e32 vcc, s12, v9
	v_cmp_lt_f32_e64 s[2:3], s6, v11
	v_add_f32_e32 v17, 1.0, v17
	v_cndmask_b32_e32 v9, v9, v15, vcc
	v_sqrt_f32_e32 v15, v9
	v_cndmask_b32_e64 v11, v14, v11, s[2:3]
	v_add_u32_e32 v14, -1, v15
	v_fma_f32 v16, -v14, v15, v9
	v_cmp_ge_f32_e64 s[2:3], 0, v16
	v_add_u32_e32 v16, 1, v15
	s_nop 0
	v_cndmask_b32_e64 v14, v15, v14, s[2:3]
	v_fma_f32 v15, -v16, v15, v9
	v_cmp_lt_f32_e64 s[2:3], 0, v15
	s_nop 1
	v_cndmask_b32_e64 v14, v14, v16, s[2:3]
	v_mul_f32_e32 v16, 0x4f800000, v11
	v_cmp_gt_f32_e64 s[2:3], s12, v11
	v_mul_f32_e32 v15, 0x37800000, v14
	v_cndmask_b32_e32 v14, v14, v15, vcc
	v_cndmask_b32_e64 v11, v11, v16, s[2:3]
	v_sqrt_f32_e32 v16, v11
	v_cmp_class_f32_e32 vcc, v9, v7
	s_nop 1
	v_cndmask_b32_e32 v15, v14, v9, vcc
	v_add_u32_e32 v9, -1, v16
	v_fma_f32 v14, -v9, v16, v11
	v_cmp_ge_f32_e32 vcc, 0, v14
	v_add_u32_e32 v14, 1, v16
	s_nop 0
	v_cndmask_b32_e32 v9, v16, v9, vcc
	v_cmp_gt_f32_e32 vcc, s11, v17
	v_fma_f32 v16, -v14, v16, v11
	v_cmp_lt_f32_e64 s[4:5], 0, v16
	v_cndmask_b32_e32 v6, 1.0, v6, vcc
	v_mul_f32_e32 v6, v17, v6
	v_log_f32_e32 v6, v6
	v_cndmask_b32_e64 v9, v9, v14, s[4:5]
	v_mul_f32_e32 v14, 0x37800000, v9
	v_cndmask_b32_e64 v9, v9, v14, s[2:3]
	v_mul_f32_e32 v14, 0x3f317217, v6
	v_fma_f32 v14, v6, s9, -v14
	v_fmac_f32_e32 v14, 0x3377d1cf, v6
	v_fmac_f32_e32 v14, 0x3f317217, v6
	v_cmp_lt_f32_e64 s[2:3], |v6|, s10
	v_cndmask_b32_e32 v3, 0, v3, vcc
	v_cmp_lt_f32_e32 vcc, s6, v8
	v_cndmask_b32_e64 v6, v6, v14, s[2:3]
	v_sub_f32_e32 v3, v6, v3
	v_cndmask_b32_e32 v3, v3, v8, vcc
	v_mul_f32_e32 v6, 0x4f800000, v3
	v_cmp_gt_f32_e32 vcc, s12, v3
	v_cmp_class_f32_e64 s[2:3], v11, v7
	s_cselect_b64 s[4:5], -1, 0
	v_cndmask_b32_e32 v3, v3, v6, vcc
	v_sqrt_f32_e32 v6, v3
	v_cndmask_b32_e64 v14, v9, v11, s[2:3]
	s_cmp_lt_i32 s33, 1
	scratch_store_dwordx4 off, v[12:15], off offset:44
	v_add_u32_e32 v8, -1, v6
	v_fma_f32 v9, -v8, v6, v3
	v_cmp_ge_f32_e64 s[2:3], 0, v9
	v_add_u32_e32 v9, 1, v6
	s_nop 0
	v_cndmask_b32_e64 v8, v6, v8, s[2:3]
	v_fma_f32 v6, -v9, v6, v3
	v_cmp_lt_f32_e64 s[2:3], 0, v6
	s_nop 1
	v_cndmask_b32_e64 v6, v8, v9, s[2:3]
	v_mul_f32_e32 v8, 0x37800000, v6
	v_cndmask_b32_e32 v6, v6, v8, vcc
	v_cmp_class_f32_e32 vcc, v3, v7
	s_nop 1
	v_cndmask_b32_e32 v3, v6, v3, vcc
	scratch_store_dword off, v3, off offset:60
	s_cbranch_scc1 .LBB278_29
; %bb.2:
	s_load_dwordx2 s[6:7], s[0:1], 0x20
	s_cmp_lt_u32 s33, 4
	v_mul_lo_u32 v2, v2, s33
	s_cbranch_scc1 .LBB278_21
; %bb.3:
	s_mov_b32 s11, 0
	s_and_b32 s8, s33, 0x7ffffffc
	v_ashrrev_i32_e32 v3, 31, v2
	v_mov_b32_e32 v1, 0
	s_mov_b32 s10, s11
	s_branch .LBB278_5
.LBB278_4:                              ;   in Loop: Header=BB278_5 Depth=1
	s_or_b64 exec, exec, s[12:13]
	s_add_i32 s10, s10, 4
	s_cmp_eq_u32 s10, s8
	s_cbranch_scc1 .LBB278_22
.LBB278_5:                              ; =>This Loop Header: Depth=1
                                        ;     Child Loop BB278_7 Depth 2
                                        ;     Child Loop BB278_11 Depth 2
	;; [unrolled: 1-line block ×4, first 2 shown]
	v_lshl_add_u64 v[6:7], s[10:11], 2, v[4:5]
	global_load_dword v11, v[6:7], off
	v_add_u32_e32 v8, s10, v2
	v_ashrrev_i32_e32 v9, 31, v8
	s_waitcnt lgkmcnt(0)
	v_lshl_add_u64 v[8:9], v[8:9], 2, s[6:7]
	v_mov_b32_e32 v12, 0
	s_mov_b64 s[12:13], 0
	s_mov_b32 s9, 0
	s_mov_b32 s16, 0
	s_branch .LBB278_7
.LBB278_6:                              ;   in Loop: Header=BB278_7 Depth=2
	s_or_b64 exec, exec, s[14:15]
	s_add_i32 s17, s16, 1
	s_cmp_gt_u32 s16, 14
	s_cselect_b64 s[2:3], -1, 0
	s_xor_b64 s[14:15], vcc, -1
	s_or_b64 s[2:3], s[14:15], s[2:3]
	s_add_i32 s9, s9, 32
	s_and_b64 s[2:3], exec, s[2:3]
	v_add_u32_e32 v12, 4, v12
	s_or_b64 s[12:13], s[2:3], s[12:13]
	s_mov_b32 s16, s17
	s_andn2_b64 exec, exec, s[12:13]
	s_cbranch_execz .LBB278_9
.LBB278_7:                              ;   Parent Loop BB278_5 Depth=1
                                        ; =>  This Inner Loop Header: Depth=2
	s_and_b32 s2, s16, 7
	s_and_b32 s3, s9, 0x100
	s_or_b32 s2, s2, s3
	v_or_b32_e32 v13, s2, v10
	s_waitcnt vmcnt(0)
	v_cmp_ne_u32_e32 vcc, v11, v13
	v_cmp_eq_u32_e64 s[2:3], v11, v13
	s_and_saveexec_b64 s[14:15], s[2:3]
	s_cbranch_execz .LBB278_6
; %bb.8:                                ;   in Loop: Header=BB278_7 Depth=2
	scratch_load_dword v13, v12, off
	s_waitcnt vmcnt(0)
	v_add_f32_e32 v1, v1, v13
	global_store_dword v[8:9], v11, off
	s_branch .LBB278_6
.LBB278_9:                              ;   in Loop: Header=BB278_5 Depth=1
	s_or_b64 exec, exec, s[12:13]
	global_load_dword v11, v[6:7], off offset:4
	s_ashr_i32 s3, s10, 31
	s_mov_b32 s2, s10
	v_lshl_add_u64 v[8:9], s[2:3], 0, v[2:3]
	v_lshl_add_u64 v[8:9], v[8:9], 2, s[6:7]
	v_mov_b32_e32 v12, 0
	s_mov_b32 s9, 0
	s_mov_b64 s[12:13], 0
	s_mov_b32 s16, 0
	s_branch .LBB278_11
.LBB278_10:                             ;   in Loop: Header=BB278_11 Depth=2
	s_or_b64 exec, exec, s[14:15]
	s_add_i32 s17, s16, 1
	s_cmp_gt_u32 s16, 14
	s_cselect_b64 s[2:3], -1, 0
	s_xor_b64 s[14:15], vcc, -1
	s_or_b64 s[2:3], s[14:15], s[2:3]
	s_add_i32 s9, s9, 32
	s_and_b64 s[2:3], exec, s[2:3]
	v_add_u32_e32 v12, 4, v12
	s_or_b64 s[12:13], s[2:3], s[12:13]
	s_mov_b32 s16, s17
	s_andn2_b64 exec, exec, s[12:13]
	s_cbranch_execz .LBB278_13
.LBB278_11:                             ;   Parent Loop BB278_5 Depth=1
                                        ; =>  This Inner Loop Header: Depth=2
	s_and_b32 s2, s16, 7
	s_and_b32 s3, s9, 0x100
	s_or_b32 s2, s2, s3
	v_or_b32_e32 v13, s2, v10
	s_waitcnt vmcnt(0)
	v_cmp_ne_u32_e32 vcc, v11, v13
	v_cmp_eq_u32_e64 s[2:3], v11, v13
	s_and_saveexec_b64 s[14:15], s[2:3]
	s_cbranch_execz .LBB278_10
; %bb.12:                               ;   in Loop: Header=BB278_11 Depth=2
	scratch_load_dword v13, v12, off
	s_waitcnt vmcnt(0)
	v_add_f32_e32 v1, v1, v13
	global_store_dword v[8:9], v11, off offset:4
	s_branch .LBB278_10
.LBB278_13:                             ;   in Loop: Header=BB278_5 Depth=1
	s_or_b64 exec, exec, s[12:13]
	global_load_dword v11, v[6:7], off offset:8
	v_mov_b32_e32 v12, 0
	s_mov_b32 s9, 0
	s_mov_b64 s[12:13], 0
	s_mov_b32 s16, 0
	s_branch .LBB278_15
.LBB278_14:                             ;   in Loop: Header=BB278_15 Depth=2
	s_or_b64 exec, exec, s[14:15]
	s_add_i32 s17, s16, 1
	s_cmp_gt_u32 s16, 14
	s_cselect_b64 s[2:3], -1, 0
	s_xor_b64 s[14:15], vcc, -1
	s_or_b64 s[2:3], s[14:15], s[2:3]
	s_add_i32 s9, s9, 32
	s_and_b64 s[2:3], exec, s[2:3]
	v_add_u32_e32 v12, 4, v12
	s_or_b64 s[12:13], s[2:3], s[12:13]
	s_mov_b32 s16, s17
	s_andn2_b64 exec, exec, s[12:13]
	s_cbranch_execz .LBB278_17
.LBB278_15:                             ;   Parent Loop BB278_5 Depth=1
                                        ; =>  This Inner Loop Header: Depth=2
	s_and_b32 s2, s16, 7
	s_and_b32 s3, s9, 0x100
	s_or_b32 s2, s2, s3
	v_or_b32_e32 v13, s2, v10
	s_waitcnt vmcnt(0)
	v_cmp_ne_u32_e32 vcc, v11, v13
	v_cmp_eq_u32_e64 s[2:3], v11, v13
	s_and_saveexec_b64 s[14:15], s[2:3]
	s_cbranch_execz .LBB278_14
; %bb.16:                               ;   in Loop: Header=BB278_15 Depth=2
	scratch_load_dword v13, v12, off
	s_waitcnt vmcnt(0)
	v_add_f32_e32 v1, v1, v13
	global_store_dword v[8:9], v11, off offset:8
	s_branch .LBB278_14
.LBB278_17:                             ;   in Loop: Header=BB278_5 Depth=1
	s_or_b64 exec, exec, s[12:13]
	global_load_dword v6, v[6:7], off offset:12
	v_mov_b32_e32 v7, 0
	s_mov_b32 s9, 0
	s_mov_b64 s[12:13], 0
	s_mov_b32 s16, 0
	s_branch .LBB278_19
.LBB278_18:                             ;   in Loop: Header=BB278_19 Depth=2
	s_or_b64 exec, exec, s[14:15]
	s_add_i32 s17, s16, 1
	s_cmp_gt_u32 s16, 14
	s_cselect_b64 s[2:3], -1, 0
	s_xor_b64 s[14:15], vcc, -1
	s_or_b64 s[2:3], s[14:15], s[2:3]
	s_add_i32 s9, s9, 32
	s_and_b64 s[2:3], exec, s[2:3]
	v_add_u32_e32 v7, 4, v7
	s_or_b64 s[12:13], s[2:3], s[12:13]
	s_mov_b32 s16, s17
	s_andn2_b64 exec, exec, s[12:13]
	s_cbranch_execz .LBB278_4
.LBB278_19:                             ;   Parent Loop BB278_5 Depth=1
                                        ; =>  This Inner Loop Header: Depth=2
	s_and_b32 s2, s16, 7
	s_and_b32 s3, s9, 0x100
	s_or_b32 s2, s2, s3
	v_or_b32_e32 v11, s2, v10
	s_waitcnt vmcnt(0)
	v_cmp_ne_u32_e32 vcc, v6, v11
	v_cmp_eq_u32_e64 s[2:3], v6, v11
	s_and_saveexec_b64 s[14:15], s[2:3]
	s_cbranch_execz .LBB278_18
; %bb.20:                               ;   in Loop: Header=BB278_19 Depth=2
	scratch_load_dword v11, v7, off
	s_waitcnt vmcnt(0)
	v_add_f32_e32 v1, v1, v11
	global_store_dword v[8:9], v6, off offset:12
	s_branch .LBB278_18
.LBB278_21:
	v_mov_b32_e32 v1, 0
.LBB278_22:
	s_and_b32 s14, s33, 3
	s_cmp_eq_u32 s14, 0
	s_mov_b32 s9, 0
	s_cbranch_scc1 .LBB278_29
; %bb.23:
	s_mov_b32 s15, s9
	s_branch .LBB278_25
.LBB278_24:                             ;   in Loop: Header=BB278_25 Depth=1
	s_or_b64 exec, exec, s[10:11]
	s_add_i32 s8, s8, 1
	s_add_i32 s15, s15, 1
	s_cmp_lg_u32 s15, s14
	s_cbranch_scc0 .LBB278_29
.LBB278_25:                             ; =>This Loop Header: Depth=1
                                        ;     Child Loop BB278_27 Depth 2
	v_lshl_add_u64 v[6:7], s[8:9], 2, v[4:5]
	global_load_dword v3, v[6:7], off
	v_add_u32_e32 v6, s8, v2
	v_ashrrev_i32_e32 v7, 31, v6
	s_waitcnt lgkmcnt(0)
	v_lshl_add_u64 v[6:7], v[6:7], 2, s[6:7]
	v_mov_b32_e32 v8, 0
	s_mov_b32 s16, 0
	s_mov_b64 s[10:11], 0
	s_mov_b32 s17, 0
	s_branch .LBB278_27
.LBB278_26:                             ;   in Loop: Header=BB278_27 Depth=2
	s_or_b64 exec, exec, s[12:13]
	s_add_i32 s18, s17, 1
	s_cmp_gt_u32 s17, 14
	s_cselect_b64 s[2:3], -1, 0
	s_xor_b64 s[12:13], vcc, -1
	s_or_b64 s[2:3], s[12:13], s[2:3]
	s_add_i32 s16, s16, 32
	s_and_b64 s[2:3], exec, s[2:3]
	v_add_u32_e32 v8, 4, v8
	s_or_b64 s[10:11], s[2:3], s[10:11]
	s_mov_b32 s17, s18
	s_andn2_b64 exec, exec, s[10:11]
	s_cbranch_execz .LBB278_24
.LBB278_27:                             ;   Parent Loop BB278_25 Depth=1
                                        ; =>  This Inner Loop Header: Depth=2
	s_and_b32 s2, s17, 7
	s_and_b32 s3, s16, 0x100
	s_or_b32 s2, s2, s3
	v_or_b32_e32 v9, s2, v10
	s_waitcnt vmcnt(0)
	v_cmp_ne_u32_e32 vcc, v3, v9
	v_cmp_eq_u32_e64 s[2:3], v3, v9
	s_and_saveexec_b64 s[12:13], s[2:3]
	s_cbranch_execz .LBB278_26
; %bb.28:                               ;   in Loop: Header=BB278_27 Depth=2
	scratch_load_dword v9, v8, off
	s_waitcnt vmcnt(0)
	v_add_f32_e32 v1, v1, v9
	global_store_dword v[6:7], v3, off
	s_branch .LBB278_26
.LBB278_29:
	s_waitcnt lgkmcnt(0)
	s_load_dword s6, s[0:1], 0x3c
	s_waitcnt lgkmcnt(0)
	s_bitcmp1_b32 s6, 0
	s_cselect_b64 s[2:3], -1, 0
	s_bitcmp0_b32 s6, 0
	s_cbranch_scc0 .LBB278_32
; %bb.30:
	s_load_dwordx2 s[6:7], s[0:1], 0x40
	s_andn2_b64 vcc, exec, s[2:3]
	s_waitcnt lgkmcnt(0)
	v_cvt_f32_f64_e32 v2, s[6:7]
	s_cbranch_vccz .LBB278_33
.LBB278_31:
	s_andn2_b64 vcc, exec, s[4:5]
	s_cbranch_vccz .LBB278_34
	s_branch .LBB278_68
.LBB278_32:
	v_mbcnt_lo_u32_b32 v2, -1, 0
	v_mbcnt_hi_u32_b32 v2, -1, v2
	v_and_b32_e32 v3, 0x60, v2
	v_add_u32_e32 v3, 32, v3
	v_xor_b32_e32 v6, 16, v2
	v_cmp_lt_i32_e32 vcc, v6, v3
	v_xor_b32_e32 v7, 8, v2
	s_nop 0
	v_cndmask_b32_e32 v6, v2, v6, vcc
	v_lshlrev_b32_e32 v6, 2, v6
	ds_bpermute_b32 v6, v6, v1
	v_cmp_lt_i32_e32 vcc, v7, v3
	s_waitcnt lgkmcnt(0)
	v_add_f32_e32 v1, v1, v6
	v_cndmask_b32_e32 v6, v2, v7, vcc
	v_lshlrev_b32_e32 v6, 2, v6
	ds_bpermute_b32 v6, v6, v1
	v_xor_b32_e32 v7, 4, v2
	v_cmp_lt_i32_e32 vcc, v7, v3
	s_waitcnt lgkmcnt(0)
	v_add_f32_e32 v1, v1, v6
	v_cndmask_b32_e32 v6, v2, v7, vcc
	v_lshlrev_b32_e32 v6, 2, v6
	ds_bpermute_b32 v6, v6, v1
	v_xor_b32_e32 v7, 2, v2
	;; [unrolled: 7-line block ×3, first 2 shown]
	v_cmp_lt_i32_e32 vcc, v7, v3
	s_waitcnt lgkmcnt(0)
	v_add_f32_e32 v1, v1, v6
	v_cndmask_b32_e32 v2, v2, v7, vcc
	v_lshlrev_b32_e32 v2, 2, v2
	ds_bpermute_b32 v2, v2, v1
	s_waitcnt lgkmcnt(0)
	v_add_f32_e32 v1, v1, v2
	s_load_dwordx2 s[6:7], s[0:1], 0x40
	s_andn2_b64 vcc, exec, s[2:3]
	s_waitcnt lgkmcnt(0)
	v_cvt_f32_f64_e32 v2, s[6:7]
	s_cbranch_vccnz .LBB278_31
.LBB278_33:
	v_cmp_lt_f32_e32 vcc, 0, v1
	s_nop 1
	v_cndmask_b32_e32 v1, 1.0, v1, vcc
	v_div_scale_f32 v3, s[2:3], v1, v1, v2
	v_rcp_f32_e32 v6, v3
	s_nop 0
	v_fma_f32 v7, -v3, v6, 1.0
	v_fmac_f32_e32 v6, v7, v6
	v_div_scale_f32 v7, vcc, v2, v1, v2
	v_mul_f32_e32 v8, v7, v6
	v_fma_f32 v9, -v3, v8, v7
	v_fmac_f32_e32 v8, v9, v6
	v_fma_f32 v3, -v3, v8, v7
	v_div_fmas_f32 v3, v3, v6, v8
	v_div_fixup_f32 v2, v3, v1, v2
	s_andn2_b64 vcc, exec, s[4:5]
	s_cbranch_vccnz .LBB278_68
.LBB278_34:
	s_load_dwordx2 s[28:29], s[0:1], 0x10
	v_mov_b32_e32 v1, 0
	v_or_b32_e32 v3, 4, v1
	v_or_b32_e32 v6, 8, v1
	;; [unrolled: 1-line block ×3, first 2 shown]
	v_add_u32_e32 v8, 16, v1
	v_add_u32_e32 v9, 20, v1
	;; [unrolled: 1-line block ×12, first 2 shown]
	v_or_b32_e32 v21, 1, v10
	v_or_b32_e32 v22, 2, v10
	;; [unrolled: 1-line block ×15, first 2 shown]
	s_branch .LBB278_36
.LBB278_35:                             ;   in Loop: Header=BB278_36 Depth=1
	s_or_b64 exec, exec, s[0:1]
	s_add_i32 s33, s33, -1
	v_add_u32_e32 v0, 1, v0
	s_cmp_eq_u32 s33, 0
	v_lshl_add_u64 v[4:5], v[4:5], 0, 4
	s_cbranch_scc1 .LBB278_68
.LBB278_36:                             ; =>This Inner Loop Header: Depth=1
	global_load_dword v36, v[4:5], off
	v_mov_b32_e32 v1, 0
	s_waitcnt vmcnt(0)
	v_cmp_eq_u32_e32 vcc, v36, v10
	v_cmp_ne_u32_e64 s[0:1], v36, v10
	s_and_saveexec_b64 s[30:31], s[0:1]
	s_cbranch_execz .LBB278_66
; %bb.37:                               ;   in Loop: Header=BB278_36 Depth=1
	v_cmp_eq_u32_e64 s[0:1], v36, v21
	v_cmp_ne_u32_e64 s[2:3], v36, v21
	v_mov_b32_e32 v1, v3
	s_and_saveexec_b64 s[34:35], s[2:3]
	s_cbranch_execz .LBB278_65
; %bb.38:                               ;   in Loop: Header=BB278_36 Depth=1
	v_cmp_eq_u32_e64 s[2:3], v36, v22
	v_cmp_ne_u32_e64 s[4:5], v36, v22
	v_mov_b32_e32 v1, v6
	;; [unrolled: 6-line block ×14, first 2 shown]
	s_and_saveexec_b64 s[62:63], s[26:27]
	s_xor_b64 s[62:63], exec, s[62:63]
; %bb.51:                               ;   in Loop: Header=BB278_36 Depth=1
	v_cmp_eq_u32_e64 s[26:27], v36, v35
	s_andn2_b64 s[60:61], s[60:61], exec
	s_and_b64 s[26:27], s[26:27], exec
	s_or_b64 s[60:61], s[60:61], s[26:27]
	v_mov_b32_e32 v1, v20
; %bb.52:                               ;   in Loop: Header=BB278_36 Depth=1
	s_or_b64 exec, exec, s[62:63]
	s_andn2_b64 s[24:25], s[24:25], exec
	s_and_b64 s[26:27], s[60:61], exec
	s_or_b64 s[24:25], s[24:25], s[26:27]
.LBB278_53:                             ;   in Loop: Header=BB278_36 Depth=1
	s_or_b64 exec, exec, s[58:59]
	s_andn2_b64 s[22:23], s[22:23], exec
	s_and_b64 s[24:25], s[24:25], exec
	s_or_b64 s[22:23], s[22:23], s[24:25]
.LBB278_54:                             ;   in Loop: Header=BB278_36 Depth=1
	s_or_b64 exec, exec, s[56:57]
	s_andn2_b64 s[20:21], s[20:21], exec
	s_and_b64 s[22:23], s[22:23], exec
	s_or_b64 s[20:21], s[20:21], s[22:23]
.LBB278_55:                             ;   in Loop: Header=BB278_36 Depth=1
	s_or_b64 exec, exec, s[54:55]
	s_andn2_b64 s[18:19], s[18:19], exec
	s_and_b64 s[20:21], s[20:21], exec
	s_or_b64 s[18:19], s[18:19], s[20:21]
.LBB278_56:                             ;   in Loop: Header=BB278_36 Depth=1
	s_or_b64 exec, exec, s[52:53]
	s_andn2_b64 s[16:17], s[16:17], exec
	s_and_b64 s[18:19], s[18:19], exec
	s_or_b64 s[16:17], s[16:17], s[18:19]
.LBB278_57:                             ;   in Loop: Header=BB278_36 Depth=1
	s_or_b64 exec, exec, s[50:51]
	s_andn2_b64 s[14:15], s[14:15], exec
	s_and_b64 s[16:17], s[16:17], exec
	s_or_b64 s[14:15], s[14:15], s[16:17]
.LBB278_58:                             ;   in Loop: Header=BB278_36 Depth=1
	s_or_b64 exec, exec, s[48:49]
	s_andn2_b64 s[12:13], s[12:13], exec
	s_and_b64 s[14:15], s[14:15], exec
	s_or_b64 s[12:13], s[12:13], s[14:15]
.LBB278_59:                             ;   in Loop: Header=BB278_36 Depth=1
	s_or_b64 exec, exec, s[46:47]
	s_andn2_b64 s[10:11], s[10:11], exec
	s_and_b64 s[12:13], s[12:13], exec
	s_or_b64 s[10:11], s[10:11], s[12:13]
.LBB278_60:                             ;   in Loop: Header=BB278_36 Depth=1
	s_or_b64 exec, exec, s[44:45]
	s_andn2_b64 s[8:9], s[8:9], exec
	s_and_b64 s[10:11], s[10:11], exec
	s_or_b64 s[8:9], s[8:9], s[10:11]
.LBB278_61:                             ;   in Loop: Header=BB278_36 Depth=1
	s_or_b64 exec, exec, s[42:43]
	s_andn2_b64 s[6:7], s[6:7], exec
	s_and_b64 s[8:9], s[8:9], exec
	s_or_b64 s[6:7], s[6:7], s[8:9]
.LBB278_62:                             ;   in Loop: Header=BB278_36 Depth=1
	s_or_b64 exec, exec, s[40:41]
	s_andn2_b64 s[4:5], s[4:5], exec
	s_and_b64 s[6:7], s[6:7], exec
	s_or_b64 s[4:5], s[4:5], s[6:7]
.LBB278_63:                             ;   in Loop: Header=BB278_36 Depth=1
	s_or_b64 exec, exec, s[38:39]
	s_andn2_b64 s[2:3], s[2:3], exec
	s_and_b64 s[4:5], s[4:5], exec
	s_or_b64 s[2:3], s[2:3], s[4:5]
.LBB278_64:                             ;   in Loop: Header=BB278_36 Depth=1
	s_or_b64 exec, exec, s[36:37]
	s_andn2_b64 s[0:1], s[0:1], exec
	s_and_b64 s[2:3], s[2:3], exec
	s_or_b64 s[0:1], s[0:1], s[2:3]
.LBB278_65:                             ;   in Loop: Header=BB278_36 Depth=1
	s_or_b64 exec, exec, s[34:35]
	s_andn2_b64 s[2:3], vcc, exec
	s_and_b64 s[0:1], s[0:1], exec
	s_or_b64 vcc, s[2:3], s[0:1]
.LBB278_66:                             ;   in Loop: Header=BB278_36 Depth=1
	s_or_b64 exec, exec, s[30:31]
	s_and_saveexec_b64 s[0:1], vcc
	s_cbranch_execz .LBB278_35
; %bb.67:                               ;   in Loop: Header=BB278_36 Depth=1
	scratch_load_dword v36, v1, off
	v_ashrrev_i32_e32 v1, 31, v0
	s_waitcnt vmcnt(0)
	v_mul_f32_e32 v38, v2, v36
	s_waitcnt lgkmcnt(0)
	v_lshl_add_u64 v[36:37], v[0:1], 2, s[28:29]
	global_store_dword v[36:37], v38, off
	s_branch .LBB278_35
.LBB278_68:
	s_endpgm
	.section	.rodata,"a",@progbits
	.p2align	6, 0x0
	.amdhsa_kernel _ZN4vllm3moe22topkGatingSoftplusSqrtILi16ELi512ELi4ELi16ELi32ELb1Ej6__halfEEvPKT6_PKbPfiPT5_PiiiibdPKfPKS9_SF_
		.amdhsa_group_segment_fixed_size 0
		.amdhsa_private_segment_fixed_size 80
		.amdhsa_kernarg_size 96
		.amdhsa_user_sgpr_count 2
		.amdhsa_user_sgpr_dispatch_ptr 0
		.amdhsa_user_sgpr_queue_ptr 0
		.amdhsa_user_sgpr_kernarg_segment_ptr 1
		.amdhsa_user_sgpr_dispatch_id 0
		.amdhsa_user_sgpr_kernarg_preload_length 0
		.amdhsa_user_sgpr_kernarg_preload_offset 0
		.amdhsa_user_sgpr_private_segment_size 0
		.amdhsa_uses_dynamic_stack 0
		.amdhsa_enable_private_segment 1
		.amdhsa_system_sgpr_workgroup_id_x 1
		.amdhsa_system_sgpr_workgroup_id_y 0
		.amdhsa_system_sgpr_workgroup_id_z 0
		.amdhsa_system_sgpr_workgroup_info 0
		.amdhsa_system_vgpr_workitem_id 1
		.amdhsa_next_free_vgpr 39
		.amdhsa_next_free_sgpr 64
		.amdhsa_accum_offset 40
		.amdhsa_reserve_vcc 1
		.amdhsa_float_round_mode_32 0
		.amdhsa_float_round_mode_16_64 0
		.amdhsa_float_denorm_mode_32 3
		.amdhsa_float_denorm_mode_16_64 3
		.amdhsa_dx10_clamp 1
		.amdhsa_ieee_mode 1
		.amdhsa_fp16_overflow 0
		.amdhsa_tg_split 0
		.amdhsa_exception_fp_ieee_invalid_op 0
		.amdhsa_exception_fp_denorm_src 0
		.amdhsa_exception_fp_ieee_div_zero 0
		.amdhsa_exception_fp_ieee_overflow 0
		.amdhsa_exception_fp_ieee_underflow 0
		.amdhsa_exception_fp_ieee_inexact 0
		.amdhsa_exception_int_div_zero 0
	.end_amdhsa_kernel
	.section	.text._ZN4vllm3moe22topkGatingSoftplusSqrtILi16ELi512ELi4ELi16ELi32ELb1Ej6__halfEEvPKT6_PKbPfiPT5_PiiiibdPKfPKS9_SF_,"axG",@progbits,_ZN4vllm3moe22topkGatingSoftplusSqrtILi16ELi512ELi4ELi16ELi32ELb1Ej6__halfEEvPKT6_PKbPfiPT5_PiiiibdPKfPKS9_SF_,comdat
.Lfunc_end278:
	.size	_ZN4vllm3moe22topkGatingSoftplusSqrtILi16ELi512ELi4ELi16ELi32ELb1Ej6__halfEEvPKT6_PKbPfiPT5_PiiiibdPKfPKS9_SF_, .Lfunc_end278-_ZN4vllm3moe22topkGatingSoftplusSqrtILi16ELi512ELi4ELi16ELi32ELb1Ej6__halfEEvPKT6_PKbPfiPT5_PiiiibdPKfPKS9_SF_
                                        ; -- End function
	.section	.AMDGPU.csdata,"",@progbits
; Kernel info:
; codeLenInByte = 6164
; NumSgprs: 70
; NumVgprs: 39
; NumAgprs: 0
; TotalNumVgprs: 39
; ScratchSize: 80
; MemoryBound: 0
; FloatMode: 240
; IeeeMode: 1
; LDSByteSize: 0 bytes/workgroup (compile time only)
; SGPRBlocks: 8
; VGPRBlocks: 4
; NumSGPRsForWavesPerEU: 70
; NumVGPRsForWavesPerEU: 39
; AccumOffset: 40
; Occupancy: 8
; WaveLimiterHint : 1
; COMPUTE_PGM_RSRC2:SCRATCH_EN: 1
; COMPUTE_PGM_RSRC2:USER_SGPR: 2
; COMPUTE_PGM_RSRC2:TRAP_HANDLER: 0
; COMPUTE_PGM_RSRC2:TGID_X_EN: 1
; COMPUTE_PGM_RSRC2:TGID_Y_EN: 0
; COMPUTE_PGM_RSRC2:TGID_Z_EN: 0
; COMPUTE_PGM_RSRC2:TIDIG_COMP_CNT: 1
; COMPUTE_PGM_RSRC3_GFX90A:ACCUM_OFFSET: 9
; COMPUTE_PGM_RSRC3_GFX90A:TG_SPLIT: 0
	.section	.text._ZN4vllm3moe22topkGatingSoftplusSqrtILi16ELi512ELi4ELi16ELi32ELb0Ej6__halfEEvPKT6_PKbPfiPT5_PiiiibdPKfPKS9_SF_,"axG",@progbits,_ZN4vllm3moe22topkGatingSoftplusSqrtILi16ELi512ELi4ELi16ELi32ELb0Ej6__halfEEvPKT6_PKbPfiPT5_PiiiibdPKfPKS9_SF_,comdat
	.protected	_ZN4vllm3moe22topkGatingSoftplusSqrtILi16ELi512ELi4ELi16ELi32ELb0Ej6__halfEEvPKT6_PKbPfiPT5_PiiiibdPKfPKS9_SF_ ; -- Begin function _ZN4vllm3moe22topkGatingSoftplusSqrtILi16ELi512ELi4ELi16ELi32ELb0Ej6__halfEEvPKT6_PKbPfiPT5_PiiiibdPKfPKS9_SF_
	.globl	_ZN4vllm3moe22topkGatingSoftplusSqrtILi16ELi512ELi4ELi16ELi32ELb0Ej6__halfEEvPKT6_PKbPfiPT5_PiiiibdPKfPKS9_SF_
	.p2align	8
	.type	_ZN4vllm3moe22topkGatingSoftplusSqrtILi16ELi512ELi4ELi16ELi32ELb0Ej6__halfEEvPKT6_PKbPfiPT5_PiiiibdPKfPKS9_SF_,@function
_ZN4vllm3moe22topkGatingSoftplusSqrtILi16ELi512ELi4ELi16ELi32ELb0Ej6__halfEEvPKT6_PKbPfiPT5_PiiiibdPKfPKS9_SF_: ; @_ZN4vllm3moe22topkGatingSoftplusSqrtILi16ELi512ELi4ELi16ELi32ELb0Ej6__halfEEvPKT6_PKbPfiPT5_PiiiibdPKfPKS9_SF_
; %bb.0:
	s_load_dword s33, s[0:1], 0x18
	v_and_b32_e32 v1, 0x3ff, v0
	s_lshl_b32 s2, s2, 2
	v_lshrrev_b32_e32 v2, 5, v1
	v_bfe_u32 v0, v0, 10, 10
	v_add3_u32 v16, s2, v0, v2
	s_waitcnt lgkmcnt(0)
	v_cmp_gt_i32_e32 vcc, s33, v16
	s_and_saveexec_b64 s[2:3], vcc
	s_cbranch_execz .LBB279_81
; %bb.1:
	s_load_dwordx4 s[4:7], s[0:1], 0x0
	s_load_dwordx2 s[38:39], s[0:1], 0x10
	s_waitcnt lgkmcnt(0)
	s_cmp_eq_u64 s[6:7], 0
	s_cbranch_scc1 .LBB279_3
; %bb.2:
	v_ashrrev_i32_e32 v17, 31, v16
	v_lshl_add_u64 v[2:3], s[6:7], 0, v[16:17]
	global_load_ubyte v0, v[2:3], off
	s_waitcnt vmcnt(0)
	v_and_b32_e32 v0, 1, v0
	v_cmp_eq_u32_e32 vcc, 1, v0
	s_xor_b64 s[2:3], vcc, -1
	s_orn2_b64 s[52:53], s[2:3], exec
	s_branch .LBB279_4
.LBB279_3:
	s_mov_b64 s[52:53], -1
.LBB279_4:
	v_lshlrev_b32_e32 v4, 9, v16
	v_mov_b32_e32 v2, s4
	v_mov_b32_e32 v3, s5
	v_ashrrev_i32_e32 v5, 31, v4
	v_and_b32_e32 v17, 31, v1
	v_lshl_add_u64 v[2:3], v[4:5], 1, v[2:3]
	v_mov_b32_e32 v1, 0
	v_lshlrev_b32_e32 v0, 4, v17
	v_lshl_add_u64 v[0:1], v[2:3], 0, v[0:1]
	global_load_dwordx4 v[4:7], v[0:1], off
	global_load_dwordx4 v[12:15], v[0:1], off offset:512
	s_mov_b32 s12, 0x800000
	v_mov_b32_e32 v2, 0x4f800000
	s_mov_b32 s9, 0x3f317217
	s_mov_b32 s10, 0x7f800000
	v_mov_b32_e32 v3, 0x41b17218
	s_movk_i32 s8, 0x4d00
	s_mov_b32 s11, 0xf800000
	s_load_dwordx4 s[40:43], s[0:1], 0x40
	v_lshlrev_b32_e32 v20, 3, v17
	v_lshlrev_b32_e32 v18, 2, v20
	s_waitcnt lgkmcnt(0)
	s_cmp_lg_u64 s[42:43], 0
	s_cselect_b64 s[6:7], -1, 0
	s_and_b64 s[2:3], exec, s[6:7]
	s_waitcnt vmcnt(1)
	v_cvt_f32_f16_e32 v0, v4
	v_mul_f32_e32 v1, 0x3fb8aa3b, v0
	v_exp_f32_e32 v8, v1
	v_mov_b32_e32 v1, 0x260
	v_add_f32_e32 v8, 1.0, v8
	v_cmp_gt_f32_e32 vcc, s12, v8
	s_nop 1
	v_cndmask_b32_e32 v9, 1.0, v2, vcc
	v_mul_f32_e32 v8, v8, v9
	v_log_f32_e32 v8, v8
	v_cndmask_b32_e32 v9, 0, v3, vcc
	v_mul_f32_e32 v10, 0x3f317217, v8
	v_fma_f32 v10, v8, s9, -v10
	v_fmac_f32_e32 v10, 0x3377d1cf, v8
	v_fmac_f32_e32 v10, 0x3f317217, v8
	v_cmp_lt_f32_e64 vcc, |v8|, s10
	s_nop 1
	v_cndmask_b32_e32 v8, v8, v10, vcc
	v_sub_f32_e32 v8, v8, v9
	v_cmp_lt_f16_e32 vcc, s8, v4
	s_nop 1
	v_cndmask_b32_e32 v0, v8, v0, vcc
	v_mul_f32_e32 v8, 0x4f800000, v0
	v_cmp_gt_f32_e32 vcc, s11, v0
	s_nop 1
	v_cndmask_b32_e32 v0, v0, v8, vcc
	v_sqrt_f32_e32 v8, v0
	s_nop 0
	v_add_u32_e32 v9, -1, v8
	v_add_u32_e32 v10, 1, v8
	v_fma_f32 v11, -v9, v8, v0
	v_fma_f32 v19, -v10, v8, v0
	v_cmp_ge_f32_e64 s[4:5], 0, v11
	s_nop 1
	v_cndmask_b32_e64 v8, v8, v9, s[4:5]
	v_cmp_lt_f32_e64 s[4:5], 0, v19
	s_nop 1
	v_cndmask_b32_e64 v8, v8, v10, s[4:5]
	v_mul_f32_e32 v9, 0x37800000, v8
	v_cndmask_b32_e32 v8, v8, v9, vcc
	v_cmp_class_f32_e32 vcc, v0, v1
	s_nop 1
	v_cndmask_b32_e32 v0, v8, v0, vcc
	s_mov_b64 vcc, s[2:3]
	s_cbranch_vccz .LBB279_6
; %bb.5:
	global_load_dword v8, v18, s[42:43]
	s_waitcnt vmcnt(0)
	v_add_f32_e32 v0, v0, v8
.LBB279_6:
	v_cvt_f32_f16_sdwa v8, v4 dst_sel:DWORD dst_unused:UNUSED_PAD src0_sel:WORD_1
	v_mul_f32_e32 v9, 0x3fb8aa3b, v8
	v_exp_f32_e32 v9, v9
	s_nop 0
	v_add_f32_e32 v9, 1.0, v9
	v_cmp_gt_f32_e32 vcc, s12, v9
	s_nop 1
	v_cndmask_b32_e32 v2, 1.0, v2, vcc
	v_mul_f32_e32 v2, v9, v2
	v_log_f32_e32 v2, v2
	v_cndmask_b32_e32 v3, 0, v3, vcc
	v_mul_f32_e32 v9, 0x3f317217, v2
	v_fma_f32 v9, v2, s9, -v9
	v_fmac_f32_e32 v9, 0x3377d1cf, v2
	v_fmac_f32_e32 v9, 0x3f317217, v2
	v_cmp_lt_f32_e64 vcc, |v2|, s10
	s_nop 1
	v_cndmask_b32_e32 v2, v2, v9, vcc
	v_sub_f32_e32 v2, v2, v3
	v_cmp_gt_f16_sdwa vcc, v4, s8 src0_sel:WORD_1 src1_sel:DWORD
	v_cndmask_b32_e64 v4, 0, 1, s[6:7]
	v_cmp_ne_u32_e64 s[2:3], 1, v4
	v_cndmask_b32_e32 v2, v2, v8, vcc
	v_mul_f32_e32 v3, 0x4f800000, v2
	v_cmp_gt_f32_e64 s[4:5], s11, v2
	s_andn2_b64 vcc, exec, s[6:7]
	s_nop 0
	v_cndmask_b32_e64 v2, v2, v3, s[4:5]
	v_sqrt_f32_e32 v3, v2
	s_nop 0
	v_add_u32_e32 v4, -1, v3
	v_add_u32_e32 v8, 1, v3
	v_fma_f32 v9, -v4, v3, v2
	v_fma_f32 v10, -v8, v3, v2
	v_cmp_ge_f32_e64 s[6:7], 0, v9
	s_nop 1
	v_cndmask_b32_e64 v3, v3, v4, s[6:7]
	v_cmp_lt_f32_e64 s[6:7], 0, v10
	s_nop 1
	v_cndmask_b32_e64 v3, v3, v8, s[6:7]
	v_mul_f32_e32 v4, 0x37800000, v3
	v_cndmask_b32_e64 v3, v3, v4, s[4:5]
	v_cmp_class_f32_e64 s[4:5], v2, v1
	s_nop 1
	v_cndmask_b32_e64 v1, v3, v2, s[4:5]
	s_cbranch_vccnz .LBB279_8
; %bb.7:
	global_load_dword v2, v18, s[42:43] offset:4
	s_waitcnt vmcnt(0)
	v_add_f32_e32 v1, v1, v2
.LBB279_8:
	v_cvt_f32_f16_e32 v2, v5
	s_mov_b32 s8, 0x800000
	v_mov_b32_e32 v4, 0x4f800000
	s_mov_b32 s7, 0x3f317217
	v_mul_f32_e32 v3, 0x3fb8aa3b, v2
	v_exp_f32_e32 v3, v3
	s_mov_b32 s9, 0x7f800000
	s_movk_i32 s6, 0x4d00
	s_mov_b32 s10, 0xf800000
	v_add_f32_e32 v3, 1.0, v3
	v_cmp_gt_f32_e32 vcc, s8, v3
	s_nop 1
	v_cndmask_b32_e32 v8, 1.0, v4, vcc
	v_mul_f32_e32 v3, v3, v8
	v_log_f32_e32 v3, v3
	v_mov_b32_e32 v8, 0x41b17218
	v_cndmask_b32_e32 v9, 0, v8, vcc
	v_mul_f32_e32 v10, 0x3f317217, v3
	v_fma_f32 v10, v3, s7, -v10
	v_fmac_f32_e32 v10, 0x3377d1cf, v3
	v_fmac_f32_e32 v10, 0x3f317217, v3
	v_cmp_lt_f32_e64 vcc, |v3|, s9
	s_nop 1
	v_cndmask_b32_e32 v3, v3, v10, vcc
	v_sub_f32_e32 v3, v3, v9
	v_cmp_lt_f16_e32 vcc, s6, v5
	s_nop 1
	v_cndmask_b32_e32 v2, v3, v2, vcc
	v_mul_f32_e32 v3, 0x4f800000, v2
	v_cmp_gt_f32_e32 vcc, s10, v2
	s_nop 1
	v_cndmask_b32_e32 v2, v2, v3, vcc
	v_sqrt_f32_e32 v3, v2
	s_nop 0
	v_add_u32_e32 v9, -1, v3
	v_fma_f32 v10, -v9, v3, v2
	v_cmp_ge_f32_e64 s[4:5], 0, v10
	v_add_u32_e32 v10, 1, v3
	s_nop 0
	v_cndmask_b32_e64 v9, v3, v9, s[4:5]
	v_fma_f32 v3, -v10, v3, v2
	v_cmp_lt_f32_e64 s[4:5], 0, v3
	s_nop 1
	v_cndmask_b32_e64 v3, v9, v10, s[4:5]
	v_mul_f32_e32 v9, 0x37800000, v3
	v_cndmask_b32_e32 v9, v3, v9, vcc
	v_mov_b32_e32 v3, 0x260
	v_cmp_class_f32_e64 s[4:5], v2, v3
	s_and_b64 vcc, exec, s[2:3]
	s_nop 0
	v_cndmask_b32_e64 v2, v9, v2, s[4:5]
	s_cbranch_vccnz .LBB279_10
; %bb.9:
	global_load_dword v9, v18, s[42:43] offset:8
	s_waitcnt vmcnt(0)
	v_add_f32_e32 v2, v2, v9
.LBB279_10:
	v_cvt_f32_f16_sdwa v9, v5 dst_sel:DWORD dst_unused:UNUSED_PAD src0_sel:WORD_1
	v_mul_f32_e32 v10, 0x3fb8aa3b, v9
	v_exp_f32_e32 v10, v10
	s_nop 0
	v_add_f32_e32 v10, 1.0, v10
	v_cmp_gt_f32_e32 vcc, s8, v10
	s_nop 1
	v_cndmask_b32_e32 v4, 1.0, v4, vcc
	v_mul_f32_e32 v4, v10, v4
	v_log_f32_e32 v4, v4
	v_cndmask_b32_e32 v8, 0, v8, vcc
	v_mul_f32_e32 v10, 0x3f317217, v4
	v_fma_f32 v10, v4, s7, -v10
	v_fmac_f32_e32 v10, 0x3377d1cf, v4
	v_fmac_f32_e32 v10, 0x3f317217, v4
	v_cmp_lt_f32_e64 vcc, |v4|, s9
	s_nop 1
	v_cndmask_b32_e32 v4, v4, v10, vcc
	v_sub_f32_e32 v4, v4, v8
	v_cmp_gt_f16_sdwa vcc, v5, s6 src0_sel:WORD_1 src1_sel:DWORD
	s_nop 1
	v_cndmask_b32_e32 v4, v4, v9, vcc
	v_mul_f32_e32 v5, 0x4f800000, v4
	v_cmp_gt_f32_e64 s[4:5], s10, v4
	s_and_b64 vcc, exec, s[2:3]
	s_nop 0
	v_cndmask_b32_e64 v4, v4, v5, s[4:5]
	v_sqrt_f32_e32 v5, v4
	s_nop 0
	v_add_u32_e32 v8, -1, v5
	v_add_u32_e32 v9, 1, v5
	v_fma_f32 v10, -v8, v5, v4
	v_fma_f32 v11, -v9, v5, v4
	v_cmp_ge_f32_e64 s[6:7], 0, v10
	s_nop 1
	v_cndmask_b32_e64 v5, v5, v8, s[6:7]
	v_cmp_lt_f32_e64 s[6:7], 0, v11
	s_nop 1
	v_cndmask_b32_e64 v5, v5, v9, s[6:7]
	v_mul_f32_e32 v8, 0x37800000, v5
	v_cndmask_b32_e64 v5, v5, v8, s[4:5]
	v_cmp_class_f32_e64 s[4:5], v4, v3
	s_nop 1
	v_cndmask_b32_e64 v3, v5, v4, s[4:5]
	s_cbranch_vccnz .LBB279_12
; %bb.11:
	global_load_dword v4, v18, s[42:43] offset:12
	s_waitcnt vmcnt(0)
	v_add_f32_e32 v3, v3, v4
.LBB279_12:
	v_cvt_f32_f16_e32 v4, v6
	v_mov_b32_e32 v8, 0x4f800000
	s_mov_b32 s7, 0x3f317217
	s_movk_i32 s6, 0x4d00
	v_mul_f32_e32 v5, 0x3fb8aa3b, v4
	v_exp_f32_e32 v5, v5
	s_nop 0
	v_add_f32_e32 v5, 1.0, v5
	v_cmp_gt_f32_e32 vcc, s8, v5
	s_nop 1
	v_cndmask_b32_e32 v9, 1.0, v8, vcc
	v_mul_f32_e32 v5, v5, v9
	v_log_f32_e32 v5, v5
	v_mov_b32_e32 v9, 0x41b17218
	v_cndmask_b32_e32 v10, 0, v9, vcc
	v_mul_f32_e32 v11, 0x3f317217, v5
	v_fma_f32 v11, v5, s7, -v11
	v_fmac_f32_e32 v11, 0x3377d1cf, v5
	v_fmac_f32_e32 v11, 0x3f317217, v5
	v_cmp_lt_f32_e64 vcc, |v5|, s9
	s_nop 1
	v_cndmask_b32_e32 v5, v5, v11, vcc
	v_sub_f32_e32 v5, v5, v10
	v_cmp_lt_f16_e32 vcc, s6, v6
	s_nop 1
	v_cndmask_b32_e32 v4, v5, v4, vcc
	v_mul_f32_e32 v5, 0x4f800000, v4
	v_cmp_gt_f32_e32 vcc, s10, v4
	s_nop 1
	v_cndmask_b32_e32 v4, v4, v5, vcc
	v_sqrt_f32_e32 v5, v4
	s_nop 0
	v_add_u32_e32 v10, -1, v5
	v_fma_f32 v11, -v10, v5, v4
	v_cmp_ge_f32_e64 s[4:5], 0, v11
	v_add_u32_e32 v11, 1, v5
	s_nop 0
	v_cndmask_b32_e64 v10, v5, v10, s[4:5]
	v_fma_f32 v5, -v11, v5, v4
	v_cmp_lt_f32_e64 s[4:5], 0, v5
	s_nop 1
	v_cndmask_b32_e64 v5, v10, v11, s[4:5]
	v_mul_f32_e32 v10, 0x37800000, v5
	v_cndmask_b32_e32 v10, v5, v10, vcc
	v_mov_b32_e32 v5, 0x260
	v_cmp_class_f32_e64 s[4:5], v4, v5
	s_and_b64 vcc, exec, s[2:3]
	s_nop 0
	v_cndmask_b32_e64 v4, v10, v4, s[4:5]
	s_cbranch_vccnz .LBB279_14
; %bb.13:
	global_load_dword v10, v18, s[42:43] offset:16
	s_waitcnt vmcnt(0)
	v_add_f32_e32 v4, v4, v10
.LBB279_14:
	v_cvt_f32_f16_sdwa v10, v6 dst_sel:DWORD dst_unused:UNUSED_PAD src0_sel:WORD_1
	v_mul_f32_e32 v11, 0x3fb8aa3b, v10
	v_exp_f32_e32 v11, v11
	s_nop 0
	v_add_f32_e32 v11, 1.0, v11
	v_cmp_gt_f32_e32 vcc, s8, v11
	s_nop 1
	v_cndmask_b32_e32 v8, 1.0, v8, vcc
	v_mul_f32_e32 v8, v11, v8
	v_log_f32_e32 v8, v8
	v_cndmask_b32_e32 v9, 0, v9, vcc
	v_mul_f32_e32 v11, 0x3f317217, v8
	v_fma_f32 v11, v8, s7, -v11
	v_fmac_f32_e32 v11, 0x3377d1cf, v8
	v_fmac_f32_e32 v11, 0x3f317217, v8
	v_cmp_lt_f32_e64 vcc, |v8|, s9
	s_nop 1
	v_cndmask_b32_e32 v8, v8, v11, vcc
	v_sub_f32_e32 v8, v8, v9
	v_cmp_gt_f16_sdwa vcc, v6, s6 src0_sel:WORD_1 src1_sel:DWORD
	s_nop 1
	v_cndmask_b32_e32 v6, v8, v10, vcc
	v_mul_f32_e32 v8, 0x4f800000, v6
	v_cmp_gt_f32_e64 s[4:5], s10, v6
	s_and_b64 vcc, exec, s[2:3]
	s_nop 0
	v_cndmask_b32_e64 v6, v6, v8, s[4:5]
	v_sqrt_f32_e32 v8, v6
	s_nop 0
	v_add_u32_e32 v9, -1, v8
	v_add_u32_e32 v10, 1, v8
	v_fma_f32 v11, -v9, v8, v6
	v_fma_f32 v19, -v10, v8, v6
	v_cmp_ge_f32_e64 s[6:7], 0, v11
	s_nop 1
	v_cndmask_b32_e64 v8, v8, v9, s[6:7]
	v_cmp_lt_f32_e64 s[6:7], 0, v19
	s_nop 1
	v_cndmask_b32_e64 v8, v8, v10, s[6:7]
	v_mul_f32_e32 v9, 0x37800000, v8
	v_cndmask_b32_e64 v8, v8, v9, s[4:5]
	v_cmp_class_f32_e64 s[4:5], v6, v5
	s_nop 1
	v_cndmask_b32_e64 v5, v8, v6, s[4:5]
	s_cbranch_vccnz .LBB279_16
; %bb.15:
	global_load_dword v6, v18, s[42:43] offset:20
	s_waitcnt vmcnt(0)
	v_add_f32_e32 v5, v5, v6
.LBB279_16:
	v_cvt_f32_f16_e32 v6, v7
	v_mov_b32_e32 v9, 0x4f800000
	s_mov_b32 s7, 0x3f317217
	s_movk_i32 s6, 0x4d00
	v_mul_f32_e32 v8, 0x3fb8aa3b, v6
	v_exp_f32_e32 v8, v8
	s_nop 0
	v_add_f32_e32 v8, 1.0, v8
	v_cmp_gt_f32_e32 vcc, s8, v8
	s_nop 1
	v_cndmask_b32_e32 v10, 1.0, v9, vcc
	v_mul_f32_e32 v8, v8, v10
	v_log_f32_e32 v8, v8
	v_mov_b32_e32 v10, 0x41b17218
	v_cndmask_b32_e32 v11, 0, v10, vcc
	v_mul_f32_e32 v19, 0x3f317217, v8
	v_fma_f32 v19, v8, s7, -v19
	v_fmac_f32_e32 v19, 0x3377d1cf, v8
	v_fmac_f32_e32 v19, 0x3f317217, v8
	v_cmp_lt_f32_e64 vcc, |v8|, s9
	s_nop 1
	v_cndmask_b32_e32 v8, v8, v19, vcc
	v_sub_f32_e32 v8, v8, v11
	v_cmp_lt_f16_e32 vcc, s6, v7
	s_nop 1
	v_cndmask_b32_e32 v6, v8, v6, vcc
	v_mul_f32_e32 v8, 0x4f800000, v6
	v_cmp_gt_f32_e32 vcc, s10, v6
	s_nop 1
	v_cndmask_b32_e32 v6, v6, v8, vcc
	v_sqrt_f32_e32 v8, v6
	s_nop 0
	v_add_u32_e32 v11, -1, v8
	v_fma_f32 v19, -v11, v8, v6
	v_cmp_ge_f32_e64 s[4:5], 0, v19
	v_add_u32_e32 v19, 1, v8
	s_nop 0
	v_cndmask_b32_e64 v11, v8, v11, s[4:5]
	v_fma_f32 v8, -v19, v8, v6
	v_cmp_lt_f32_e64 s[4:5], 0, v8
	s_nop 1
	v_cndmask_b32_e64 v8, v11, v19, s[4:5]
	v_mul_f32_e32 v11, 0x37800000, v8
	v_cndmask_b32_e32 v11, v8, v11, vcc
	v_mov_b32_e32 v8, 0x260
	v_cmp_class_f32_e64 s[4:5], v6, v8
	s_and_b64 vcc, exec, s[2:3]
	s_nop 0
	v_cndmask_b32_e64 v6, v11, v6, s[4:5]
	s_cbranch_vccnz .LBB279_18
; %bb.17:
	global_load_dword v11, v18, s[42:43] offset:24
	s_waitcnt vmcnt(0)
	v_add_f32_e32 v6, v6, v11
.LBB279_18:
	v_cvt_f32_f16_sdwa v11, v7 dst_sel:DWORD dst_unused:UNUSED_PAD src0_sel:WORD_1
	v_mul_f32_e32 v19, 0x3fb8aa3b, v11
	v_exp_f32_e32 v19, v19
	s_nop 0
	v_add_f32_e32 v19, 1.0, v19
	v_cmp_gt_f32_e32 vcc, s8, v19
	s_nop 1
	v_cndmask_b32_e32 v9, 1.0, v9, vcc
	v_mul_f32_e32 v9, v19, v9
	v_log_f32_e32 v9, v9
	v_cndmask_b32_e32 v10, 0, v10, vcc
	v_mul_f32_e32 v19, 0x3f317217, v9
	v_fma_f32 v19, v9, s7, -v19
	v_fmac_f32_e32 v19, 0x3377d1cf, v9
	v_fmac_f32_e32 v19, 0x3f317217, v9
	v_cmp_lt_f32_e64 vcc, |v9|, s9
	s_nop 1
	v_cndmask_b32_e32 v9, v9, v19, vcc
	v_sub_f32_e32 v9, v9, v10
	v_cmp_gt_f16_sdwa vcc, v7, s6 src0_sel:WORD_1 src1_sel:DWORD
	s_nop 1
	v_cndmask_b32_e32 v7, v9, v11, vcc
	v_mul_f32_e32 v9, 0x4f800000, v7
	v_cmp_gt_f32_e64 s[4:5], s10, v7
	s_and_b64 vcc, exec, s[2:3]
	s_nop 0
	v_cndmask_b32_e64 v7, v7, v9, s[4:5]
	v_sqrt_f32_e32 v9, v7
	s_nop 0
	v_add_u32_e32 v10, -1, v9
	v_add_u32_e32 v11, 1, v9
	v_fma_f32 v19, -v10, v9, v7
	v_fma_f32 v21, -v11, v9, v7
	v_cmp_ge_f32_e64 s[6:7], 0, v19
	s_nop 1
	v_cndmask_b32_e64 v9, v9, v10, s[6:7]
	v_cmp_lt_f32_e64 s[6:7], 0, v21
	s_nop 1
	v_cndmask_b32_e64 v9, v9, v11, s[6:7]
	v_mul_f32_e32 v10, 0x37800000, v9
	v_cndmask_b32_e64 v9, v9, v10, s[4:5]
	v_cmp_class_f32_e64 s[4:5], v7, v8
	s_nop 1
	v_cndmask_b32_e64 v7, v9, v7, s[4:5]
	s_cbranch_vccnz .LBB279_20
; %bb.19:
	global_load_dword v8, v18, s[42:43] offset:28
	s_waitcnt vmcnt(0)
	v_add_f32_e32 v7, v7, v8
.LBB279_20:
	s_waitcnt vmcnt(0)
	v_cvt_f32_f16_e32 v8, v12
	v_mov_b32_e32 v10, 0x4f800000
	s_mov_b32 s7, 0x3f317217
	s_movk_i32 s6, 0x4d00
	v_mul_f32_e32 v9, 0x3fb8aa3b, v8
	v_exp_f32_e32 v9, v9
	s_nop 0
	v_add_f32_e32 v9, 1.0, v9
	v_cmp_gt_f32_e32 vcc, s8, v9
	s_nop 1
	v_cndmask_b32_e32 v11, 1.0, v10, vcc
	v_mul_f32_e32 v9, v9, v11
	v_log_f32_e32 v9, v9
	v_mov_b32_e32 v11, 0x41b17218
	v_cndmask_b32_e32 v19, 0, v11, vcc
	v_mul_f32_e32 v21, 0x3f317217, v9
	v_fma_f32 v21, v9, s7, -v21
	v_fmac_f32_e32 v21, 0x3377d1cf, v9
	v_fmac_f32_e32 v21, 0x3f317217, v9
	v_cmp_lt_f32_e64 vcc, |v9|, s9
	s_nop 1
	v_cndmask_b32_e32 v9, v9, v21, vcc
	v_sub_f32_e32 v9, v9, v19
	v_cmp_lt_f16_e32 vcc, s6, v12
	s_nop 1
	v_cndmask_b32_e32 v8, v9, v8, vcc
	v_mul_f32_e32 v9, 0x4f800000, v8
	v_cmp_gt_f32_e32 vcc, s10, v8
	s_nop 1
	v_cndmask_b32_e32 v8, v8, v9, vcc
	v_sqrt_f32_e32 v9, v8
	s_nop 0
	v_add_u32_e32 v19, -1, v9
	v_fma_f32 v21, -v19, v9, v8
	v_cmp_ge_f32_e64 s[4:5], 0, v21
	v_add_u32_e32 v21, 1, v9
	s_nop 0
	v_cndmask_b32_e64 v19, v9, v19, s[4:5]
	v_fma_f32 v9, -v21, v9, v8
	v_cmp_lt_f32_e64 s[4:5], 0, v9
	s_nop 1
	v_cndmask_b32_e64 v9, v19, v21, s[4:5]
	v_mul_f32_e32 v19, 0x37800000, v9
	v_cndmask_b32_e32 v19, v9, v19, vcc
	v_mov_b32_e32 v9, 0x260
	v_cmp_class_f32_e64 s[4:5], v8, v9
	s_and_b64 vcc, exec, s[2:3]
	s_nop 0
	v_cndmask_b32_e64 v8, v19, v8, s[4:5]
	s_cbranch_vccnz .LBB279_22
; %bb.21:
	global_load_dword v19, v18, s[42:43] offset:1024
	s_waitcnt vmcnt(0)
	v_add_f32_e32 v8, v8, v19
.LBB279_22:
	v_cvt_f32_f16_sdwa v19, v12 dst_sel:DWORD dst_unused:UNUSED_PAD src0_sel:WORD_1
	v_mul_f32_e32 v21, 0x3fb8aa3b, v19
	v_exp_f32_e32 v21, v21
	s_nop 0
	v_add_f32_e32 v21, 1.0, v21
	v_cmp_gt_f32_e32 vcc, s8, v21
	s_nop 1
	v_cndmask_b32_e32 v10, 1.0, v10, vcc
	v_mul_f32_e32 v10, v21, v10
	v_log_f32_e32 v10, v10
	v_cndmask_b32_e32 v11, 0, v11, vcc
	v_mul_f32_e32 v21, 0x3f317217, v10
	v_fma_f32 v21, v10, s7, -v21
	v_fmac_f32_e32 v21, 0x3377d1cf, v10
	v_fmac_f32_e32 v21, 0x3f317217, v10
	v_cmp_lt_f32_e64 vcc, |v10|, s9
	s_nop 1
	v_cndmask_b32_e32 v10, v10, v21, vcc
	v_sub_f32_e32 v10, v10, v11
	v_cmp_gt_f16_sdwa vcc, v12, s6 src0_sel:WORD_1 src1_sel:DWORD
	s_nop 1
	v_cndmask_b32_e32 v10, v10, v19, vcc
	v_mul_f32_e32 v11, 0x4f800000, v10
	v_cmp_gt_f32_e64 s[4:5], s10, v10
	s_and_b64 vcc, exec, s[2:3]
	s_nop 0
	v_cndmask_b32_e64 v10, v10, v11, s[4:5]
	v_sqrt_f32_e32 v11, v10
	s_nop 0
	v_add_u32_e32 v12, -1, v11
	v_add_u32_e32 v19, 1, v11
	v_fma_f32 v21, -v12, v11, v10
	v_fma_f32 v22, -v19, v11, v10
	v_cmp_ge_f32_e64 s[6:7], 0, v21
	s_nop 1
	v_cndmask_b32_e64 v11, v11, v12, s[6:7]
	v_cmp_lt_f32_e64 s[6:7], 0, v22
	s_nop 1
	v_cndmask_b32_e64 v11, v11, v19, s[6:7]
	v_mul_f32_e32 v12, 0x37800000, v11
	v_cndmask_b32_e64 v11, v11, v12, s[4:5]
	v_cmp_class_f32_e64 s[4:5], v10, v9
	s_nop 1
	v_cndmask_b32_e64 v9, v11, v10, s[4:5]
	s_cbranch_vccnz .LBB279_24
; %bb.23:
	global_load_dword v10, v18, s[42:43] offset:1028
	s_waitcnt vmcnt(0)
	v_add_f32_e32 v9, v9, v10
.LBB279_24:
	v_cvt_f32_f16_e32 v10, v13
	v_mov_b32_e32 v12, 0x4f800000
	s_mov_b32 s7, 0x3f317217
	s_movk_i32 s6, 0x4d00
	v_mul_f32_e32 v11, 0x3fb8aa3b, v10
	v_exp_f32_e32 v11, v11
	s_nop 0
	v_add_f32_e32 v11, 1.0, v11
	v_cmp_gt_f32_e32 vcc, s8, v11
	s_nop 1
	v_cndmask_b32_e32 v19, 1.0, v12, vcc
	v_mul_f32_e32 v11, v11, v19
	v_log_f32_e32 v11, v11
	v_mov_b32_e32 v19, 0x41b17218
	v_cndmask_b32_e32 v21, 0, v19, vcc
	v_mul_f32_e32 v22, 0x3f317217, v11
	v_fma_f32 v22, v11, s7, -v22
	v_fmac_f32_e32 v22, 0x3377d1cf, v11
	v_fmac_f32_e32 v22, 0x3f317217, v11
	v_cmp_lt_f32_e64 vcc, |v11|, s9
	s_nop 1
	v_cndmask_b32_e32 v11, v11, v22, vcc
	v_sub_f32_e32 v11, v11, v21
	v_cmp_lt_f16_e32 vcc, s6, v13
	s_nop 1
	v_cndmask_b32_e32 v10, v11, v10, vcc
	v_mul_f32_e32 v11, 0x4f800000, v10
	v_cmp_gt_f32_e32 vcc, s10, v10
	s_nop 1
	v_cndmask_b32_e32 v10, v10, v11, vcc
	v_sqrt_f32_e32 v11, v10
	s_nop 0
	v_add_u32_e32 v21, -1, v11
	v_fma_f32 v22, -v21, v11, v10
	v_cmp_ge_f32_e64 s[4:5], 0, v22
	v_add_u32_e32 v22, 1, v11
	s_nop 0
	v_cndmask_b32_e64 v21, v11, v21, s[4:5]
	v_fma_f32 v11, -v22, v11, v10
	v_cmp_lt_f32_e64 s[4:5], 0, v11
	s_nop 1
	v_cndmask_b32_e64 v11, v21, v22, s[4:5]
	v_mul_f32_e32 v21, 0x37800000, v11
	v_cndmask_b32_e32 v21, v11, v21, vcc
	v_mov_b32_e32 v11, 0x260
	v_cmp_class_f32_e64 s[4:5], v10, v11
	s_and_b64 vcc, exec, s[2:3]
	s_nop 0
	v_cndmask_b32_e64 v10, v21, v10, s[4:5]
	s_cbranch_vccnz .LBB279_26
; %bb.25:
	global_load_dword v21, v18, s[42:43] offset:1032
	s_waitcnt vmcnt(0)
	v_add_f32_e32 v10, v10, v21
.LBB279_26:
	v_cvt_f32_f16_sdwa v21, v13 dst_sel:DWORD dst_unused:UNUSED_PAD src0_sel:WORD_1
	v_mul_f32_e32 v22, 0x3fb8aa3b, v21
	v_exp_f32_e32 v22, v22
	s_nop 0
	v_add_f32_e32 v22, 1.0, v22
	v_cmp_gt_f32_e32 vcc, s8, v22
	s_nop 1
	v_cndmask_b32_e32 v12, 1.0, v12, vcc
	v_mul_f32_e32 v12, v22, v12
	v_log_f32_e32 v12, v12
	v_cndmask_b32_e32 v19, 0, v19, vcc
	v_mul_f32_e32 v22, 0x3f317217, v12
	v_fma_f32 v22, v12, s7, -v22
	v_fmac_f32_e32 v22, 0x3377d1cf, v12
	v_fmac_f32_e32 v22, 0x3f317217, v12
	v_cmp_lt_f32_e64 vcc, |v12|, s9
	s_nop 1
	v_cndmask_b32_e32 v12, v12, v22, vcc
	v_sub_f32_e32 v12, v12, v19
	v_cmp_gt_f16_sdwa vcc, v13, s6 src0_sel:WORD_1 src1_sel:DWORD
	s_nop 1
	v_cndmask_b32_e32 v12, v12, v21, vcc
	v_mul_f32_e32 v13, 0x4f800000, v12
	v_cmp_gt_f32_e64 s[4:5], s10, v12
	s_and_b64 vcc, exec, s[2:3]
	s_nop 0
	v_cndmask_b32_e64 v12, v12, v13, s[4:5]
	v_sqrt_f32_e32 v13, v12
	s_nop 0
	v_add_u32_e32 v19, -1, v13
	v_add_u32_e32 v21, 1, v13
	v_fma_f32 v22, -v19, v13, v12
	v_fma_f32 v23, -v21, v13, v12
	v_cmp_ge_f32_e64 s[6:7], 0, v22
	s_nop 1
	v_cndmask_b32_e64 v13, v13, v19, s[6:7]
	v_cmp_lt_f32_e64 s[6:7], 0, v23
	s_nop 1
	v_cndmask_b32_e64 v13, v13, v21, s[6:7]
	v_mul_f32_e32 v19, 0x37800000, v13
	v_cndmask_b32_e64 v13, v13, v19, s[4:5]
	v_cmp_class_f32_e64 s[4:5], v12, v11
	s_nop 1
	v_cndmask_b32_e64 v11, v13, v12, s[4:5]
	s_cbranch_vccnz .LBB279_28
; %bb.27:
	global_load_dword v12, v18, s[42:43] offset:1036
	s_waitcnt vmcnt(0)
	v_add_f32_e32 v11, v11, v12
.LBB279_28:
	v_cvt_f32_f16_e32 v12, v14
	v_mov_b32_e32 v19, 0x4f800000
	s_mov_b32 s7, 0x3f317217
	s_movk_i32 s6, 0x4d00
	v_mul_f32_e32 v13, 0x3fb8aa3b, v12
	v_exp_f32_e32 v13, v13
	s_nop 0
	v_add_f32_e32 v13, 1.0, v13
	v_cmp_gt_f32_e32 vcc, s8, v13
	s_nop 1
	v_cndmask_b32_e32 v21, 1.0, v19, vcc
	v_mul_f32_e32 v13, v13, v21
	v_log_f32_e32 v13, v13
	v_mov_b32_e32 v21, 0x41b17218
	v_cndmask_b32_e32 v22, 0, v21, vcc
	v_mul_f32_e32 v23, 0x3f317217, v13
	v_fma_f32 v23, v13, s7, -v23
	v_fmac_f32_e32 v23, 0x3377d1cf, v13
	v_fmac_f32_e32 v23, 0x3f317217, v13
	v_cmp_lt_f32_e64 vcc, |v13|, s9
	s_nop 1
	v_cndmask_b32_e32 v13, v13, v23, vcc
	v_sub_f32_e32 v13, v13, v22
	v_cmp_lt_f16_e32 vcc, s6, v14
	s_nop 1
	v_cndmask_b32_e32 v12, v13, v12, vcc
	v_mul_f32_e32 v13, 0x4f800000, v12
	v_cmp_gt_f32_e32 vcc, s10, v12
	s_nop 1
	v_cndmask_b32_e32 v12, v12, v13, vcc
	v_sqrt_f32_e32 v13, v12
	s_nop 0
	v_add_u32_e32 v22, -1, v13
	v_fma_f32 v23, -v22, v13, v12
	v_cmp_ge_f32_e64 s[4:5], 0, v23
	v_add_u32_e32 v23, 1, v13
	s_nop 0
	v_cndmask_b32_e64 v22, v13, v22, s[4:5]
	v_fma_f32 v13, -v23, v13, v12
	v_cmp_lt_f32_e64 s[4:5], 0, v13
	s_nop 1
	v_cndmask_b32_e64 v13, v22, v23, s[4:5]
	v_mul_f32_e32 v22, 0x37800000, v13
	v_cndmask_b32_e32 v22, v13, v22, vcc
	v_mov_b32_e32 v13, 0x260
	v_cmp_class_f32_e64 s[4:5], v12, v13
	s_and_b64 vcc, exec, s[2:3]
	s_nop 0
	v_cndmask_b32_e64 v12, v22, v12, s[4:5]
	s_cbranch_vccnz .LBB279_30
; %bb.29:
	global_load_dword v22, v18, s[42:43] offset:1040
	s_waitcnt vmcnt(0)
	v_add_f32_e32 v12, v12, v22
.LBB279_30:
	v_cvt_f32_f16_sdwa v22, v14 dst_sel:DWORD dst_unused:UNUSED_PAD src0_sel:WORD_1
	v_mul_f32_e32 v23, 0x3fb8aa3b, v22
	v_exp_f32_e32 v23, v23
	s_nop 0
	v_add_f32_e32 v23, 1.0, v23
	v_cmp_gt_f32_e32 vcc, s8, v23
	s_nop 1
	v_cndmask_b32_e32 v19, 1.0, v19, vcc
	v_mul_f32_e32 v19, v23, v19
	v_log_f32_e32 v19, v19
	v_cndmask_b32_e32 v21, 0, v21, vcc
	v_mul_f32_e32 v23, 0x3f317217, v19
	v_fma_f32 v23, v19, s7, -v23
	v_fmac_f32_e32 v23, 0x3377d1cf, v19
	v_fmac_f32_e32 v23, 0x3f317217, v19
	v_cmp_lt_f32_e64 vcc, |v19|, s9
	s_nop 1
	v_cndmask_b32_e32 v19, v19, v23, vcc
	v_sub_f32_e32 v19, v19, v21
	v_cmp_gt_f16_sdwa vcc, v14, s6 src0_sel:WORD_1 src1_sel:DWORD
	s_nop 1
	v_cndmask_b32_e32 v14, v19, v22, vcc
	v_mul_f32_e32 v19, 0x4f800000, v14
	v_cmp_gt_f32_e64 s[4:5], s10, v14
	s_and_b64 vcc, exec, s[2:3]
	s_nop 0
	v_cndmask_b32_e64 v14, v14, v19, s[4:5]
	v_sqrt_f32_e32 v19, v14
	s_nop 0
	v_add_u32_e32 v21, -1, v19
	v_add_u32_e32 v22, 1, v19
	v_fma_f32 v23, -v21, v19, v14
	v_fma_f32 v24, -v22, v19, v14
	v_cmp_ge_f32_e64 s[6:7], 0, v23
	s_nop 1
	v_cndmask_b32_e64 v19, v19, v21, s[6:7]
	v_cmp_lt_f32_e64 s[6:7], 0, v24
	s_nop 1
	v_cndmask_b32_e64 v19, v19, v22, s[6:7]
	v_mul_f32_e32 v21, 0x37800000, v19
	v_cndmask_b32_e64 v19, v19, v21, s[4:5]
	v_cmp_class_f32_e64 s[4:5], v14, v13
	s_nop 1
	v_cndmask_b32_e64 v13, v19, v14, s[4:5]
	s_cbranch_vccnz .LBB279_32
; %bb.31:
	global_load_dword v14, v18, s[42:43] offset:1044
	s_waitcnt vmcnt(0)
	v_add_f32_e32 v13, v13, v14
.LBB279_32:
	v_cvt_f32_f16_e32 v14, v15
	v_mov_b32_e32 v21, 0x4f800000
	s_mov_b32 s7, 0x3f317217
	s_movk_i32 s6, 0x4d00
	v_mul_f32_e32 v19, 0x3fb8aa3b, v14
	v_exp_f32_e32 v19, v19
	s_nop 0
	v_add_f32_e32 v19, 1.0, v19
	v_cmp_gt_f32_e32 vcc, s8, v19
	s_nop 1
	v_cndmask_b32_e32 v22, 1.0, v21, vcc
	v_mul_f32_e32 v19, v19, v22
	v_log_f32_e32 v19, v19
	v_mov_b32_e32 v22, 0x41b17218
	v_cndmask_b32_e32 v23, 0, v22, vcc
	v_mul_f32_e32 v24, 0x3f317217, v19
	v_fma_f32 v24, v19, s7, -v24
	v_fmac_f32_e32 v24, 0x3377d1cf, v19
	v_fmac_f32_e32 v24, 0x3f317217, v19
	v_cmp_lt_f32_e64 vcc, |v19|, s9
	s_nop 1
	v_cndmask_b32_e32 v19, v19, v24, vcc
	v_sub_f32_e32 v19, v19, v23
	v_cmp_lt_f16_e32 vcc, s6, v15
	s_nop 1
	v_cndmask_b32_e32 v14, v19, v14, vcc
	v_mul_f32_e32 v19, 0x4f800000, v14
	v_cmp_gt_f32_e32 vcc, s10, v14
	s_nop 1
	v_cndmask_b32_e32 v14, v14, v19, vcc
	v_sqrt_f32_e32 v19, v14
	s_nop 0
	v_add_u32_e32 v23, -1, v19
	v_fma_f32 v24, -v23, v19, v14
	v_cmp_ge_f32_e64 s[4:5], 0, v24
	v_add_u32_e32 v24, 1, v19
	s_nop 0
	v_cndmask_b32_e64 v23, v19, v23, s[4:5]
	v_fma_f32 v19, -v24, v19, v14
	v_cmp_lt_f32_e64 s[4:5], 0, v19
	s_nop 1
	v_cndmask_b32_e64 v19, v23, v24, s[4:5]
	v_mul_f32_e32 v23, 0x37800000, v19
	v_cndmask_b32_e32 v23, v19, v23, vcc
	v_mov_b32_e32 v19, 0x260
	v_cmp_class_f32_e64 s[4:5], v14, v19
	s_and_b64 vcc, exec, s[2:3]
	s_nop 0
	v_cndmask_b32_e64 v14, v23, v14, s[4:5]
	s_cbranch_vccnz .LBB279_34
; %bb.33:
	global_load_dword v23, v18, s[42:43] offset:1048
	s_waitcnt vmcnt(0)
	v_add_f32_e32 v14, v14, v23
.LBB279_34:
	v_cvt_f32_f16_sdwa v23, v15 dst_sel:DWORD dst_unused:UNUSED_PAD src0_sel:WORD_1
	v_mul_f32_e32 v24, 0x3fb8aa3b, v23
	v_exp_f32_e32 v24, v24
	s_nop 0
	v_add_f32_e32 v24, 1.0, v24
	v_cmp_gt_f32_e32 vcc, s8, v24
	s_nop 1
	v_cndmask_b32_e32 v21, 1.0, v21, vcc
	v_mul_f32_e32 v21, v24, v21
	v_log_f32_e32 v21, v21
	v_cndmask_b32_e32 v22, 0, v22, vcc
	v_mul_f32_e32 v24, 0x3f317217, v21
	v_fma_f32 v24, v21, s7, -v24
	v_fmac_f32_e32 v24, 0x3377d1cf, v21
	v_fmac_f32_e32 v24, 0x3f317217, v21
	v_cmp_lt_f32_e64 vcc, |v21|, s9
	s_nop 1
	v_cndmask_b32_e32 v21, v21, v24, vcc
	v_sub_f32_e32 v21, v21, v22
	v_cmp_gt_f16_sdwa vcc, v15, s6 src0_sel:WORD_1 src1_sel:DWORD
	s_nop 1
	v_cndmask_b32_e32 v15, v21, v23, vcc
	v_mul_f32_e32 v21, 0x4f800000, v15
	v_cmp_gt_f32_e64 s[4:5], s10, v15
	s_and_b64 vcc, exec, s[2:3]
	s_nop 0
	v_cndmask_b32_e64 v15, v15, v21, s[4:5]
	v_sqrt_f32_e32 v21, v15
	s_nop 0
	v_add_u32_e32 v22, -1, v21
	v_add_u32_e32 v23, 1, v21
	v_fma_f32 v24, -v22, v21, v15
	v_fma_f32 v25, -v23, v21, v15
	v_cmp_ge_f32_e64 s[6:7], 0, v24
	s_nop 1
	v_cndmask_b32_e64 v21, v21, v22, s[6:7]
	v_cmp_lt_f32_e64 s[6:7], 0, v25
	s_nop 1
	v_cndmask_b32_e64 v21, v21, v23, s[6:7]
	v_mul_f32_e32 v22, 0x37800000, v21
	v_cndmask_b32_e64 v21, v21, v22, s[4:5]
	v_cmp_class_f32_e64 s[4:5], v15, v19
	s_nop 1
	v_cndmask_b32_e64 v15, v21, v15, s[4:5]
	s_cbranch_vccnz .LBB279_36
; %bb.35:
	global_load_dword v18, v18, s[42:43] offset:1052
	s_waitcnt vmcnt(0)
	v_add_f32_e32 v15, v15, v18
.LBB279_36:
	s_load_dwordx4 s[44:47], s[0:1], 0x30
	s_mov_b32 s58, 0
	v_cmp_eq_u32_e64 s[6:7], 0, v17
	s_waitcnt lgkmcnt(0)
	s_bitcmp1_b32 s47, 0
	s_cselect_b64 s[4:5], -1, 0
	s_cmp_gt_i32 s44, 0
	s_cselect_b64 s[54:55], -1, 0
	s_and_b64 vcc, exec, s[54:55]
	s_cbranch_vccz .LBB279_67
; %bb.37:
	v_mbcnt_lo_u32_b32 v18, -1, 0
	v_mbcnt_hi_u32_b32 v18, -1, v18
	v_and_b32_e32 v19, 0x60, v18
	v_add_u32_e32 v19, 32, v19
	v_xor_b32_e32 v21, 16, v18
	v_cmp_lt_i32_e32 vcc, v21, v19
	s_load_dwordx4 s[48:51], s[0:1], 0x20
	v_mul_lo_u32 v22, v16, s44
	v_cndmask_b32_e32 v21, v18, v21, vcc
	v_lshlrev_b32_e32 v23, 2, v21
	v_xor_b32_e32 v21, 8, v18
	v_cmp_lt_i32_e32 vcc, v21, v19
	v_mov_b32_e32 v28, 0x100
	v_mov_b32_e32 v29, 0x101
	v_cndmask_b32_e32 v21, v18, v21, vcc
	v_lshlrev_b32_e32 v24, 2, v21
	v_xor_b32_e32 v21, 4, v18
	v_cmp_lt_i32_e32 vcc, v21, v19
	v_bfrev_b32_e32 v30, 4.0
	v_bfrev_b32_e32 v31, -4.0
	v_cndmask_b32_e32 v21, v18, v21, vcc
	v_lshlrev_b32_e32 v25, 2, v21
	v_xor_b32_e32 v21, 2, v18
	v_cmp_lt_i32_e32 vcc, v21, v19
	v_mov_b32_e32 v32, 0x104
	v_mov_b32_e32 v33, 0x105
	v_cndmask_b32_e32 v21, v18, v21, vcc
	v_lshlrev_b32_e32 v26, 2, v21
	v_xor_b32_e32 v21, 1, v18
	v_cmp_lt_i32_e32 vcc, v21, v19
	v_mov_b32_e32 v34, 0x106
	v_mov_b32_e32 v35, 0x107
	v_cndmask_b32_e32 v18, v18, v21, vcc
	v_lshlrev_b32_e32 v27, 2, v18
	v_mov_b32_e32 v21, 0
	v_mov_b32_e32 v36, 0x200
	;; [unrolled: 1-line block ×4, first 2 shown]
	s_branch .LBB279_40
.LBB279_38:                             ;   in Loop: Header=BB279_40 Depth=1
	s_or_b64 exec, exec, s[56:57]
.LBB279_39:                             ;   in Loop: Header=BB279_40 Depth=1
	s_cmp_eq_u32 s44, s58
	v_add_u32_e32 v38, s33, v38
	s_cbranch_scc1 .LBB279_68
.LBB279_40:                             ; =>This Inner Loop Header: Depth=1
	v_cmp_gt_f32_e32 vcc, v1, v0
	s_nop 1
	v_cndmask_b32_e32 v19, v0, v1, vcc
	v_cndmask_b32_e64 v18, 0, 1, vcc
	v_cmp_gt_f32_e32 vcc, v2, v19
	s_nop 1
	v_cndmask_b32_e32 v19, v19, v2, vcc
	v_cndmask_b32_e64 v18, v18, 2, vcc
	;; [unrolled: 4-line block ×7, first 2 shown]
	v_cmp_gt_f32_e32 vcc, v8, v19
	s_nop 1
	v_cndmask_b32_e32 v19, v19, v8, vcc
	v_cndmask_b32_e32 v18, v18, v28, vcc
	v_cmp_gt_f32_e32 vcc, v9, v19
	s_nop 1
	v_cndmask_b32_e32 v19, v19, v9, vcc
	v_cndmask_b32_e32 v18, v18, v29, vcc
	v_cmp_gt_f32_e32 vcc, v10, v19
	s_nop 1
	v_cndmask_b32_e32 v19, v19, v10, vcc
	v_cndmask_b32_e32 v18, v18, v30, vcc
	v_cmp_gt_f32_e32 vcc, v11, v19
	s_nop 1
	v_cndmask_b32_e32 v19, v19, v11, vcc
	v_cndmask_b32_e32 v18, v18, v31, vcc
	v_cmp_gt_f32_e32 vcc, v12, v19
	s_nop 1
	v_cndmask_b32_e32 v19, v19, v12, vcc
	v_cndmask_b32_e32 v18, v18, v32, vcc
	v_cmp_gt_f32_e32 vcc, v13, v19
	s_nop 1
	v_cndmask_b32_e32 v19, v19, v13, vcc
	v_cndmask_b32_e32 v18, v18, v33, vcc
	v_cmp_gt_f32_e32 vcc, v14, v19
	s_nop 1
	v_cndmask_b32_e32 v19, v19, v14, vcc
	v_cndmask_b32_e32 v18, v18, v34, vcc
	v_cmp_gt_f32_e32 vcc, v15, v19
	s_nop 1
	v_cndmask_b32_e32 v18, v18, v35, vcc
	v_cndmask_b32_e32 v39, v19, v15, vcc
	ds_bpermute_b32 v19, v23, v39
	v_or_b32_e32 v18, v20, v18
	s_waitcnt lgkmcnt(0)
	ds_bpermute_b32 v40, v23, v18
	s_waitcnt lgkmcnt(0)
	v_cmp_lt_f32_e64 s[8:9], v39, v19
	v_cmp_nlt_f32_e32 vcc, v39, v19
	s_and_saveexec_b64 s[10:11], vcc
; %bb.41:                               ;   in Loop: Header=BB279_40 Depth=1
	v_cmp_eq_f32_e32 vcc, v39, v19
	v_cmp_lt_i32_e64 s[0:1], v40, v18
	s_and_b64 s[0:1], vcc, s[0:1]
	s_andn2_b64 s[8:9], s[8:9], exec
	s_and_b64 s[0:1], s[0:1], exec
	s_or_b64 s[8:9], s[8:9], s[0:1]
; %bb.42:                               ;   in Loop: Header=BB279_40 Depth=1
	s_or_b64 exec, exec, s[10:11]
	s_and_saveexec_b64 s[0:1], s[8:9]
; %bb.43:                               ;   in Loop: Header=BB279_40 Depth=1
	v_mov_b32_e32 v39, v19
	v_mov_b32_e32 v18, v40
; %bb.44:                               ;   in Loop: Header=BB279_40 Depth=1
	s_or_b64 exec, exec, s[0:1]
	ds_bpermute_b32 v19, v24, v39
	ds_bpermute_b32 v40, v24, v18
	s_waitcnt lgkmcnt(1)
	v_cmp_lt_f32_e64 s[8:9], v39, v19
	v_cmp_nlt_f32_e32 vcc, v39, v19
	s_and_saveexec_b64 s[10:11], vcc
	s_cbranch_execz .LBB279_46
; %bb.45:                               ;   in Loop: Header=BB279_40 Depth=1
	v_cmp_eq_f32_e32 vcc, v39, v19
	s_waitcnt lgkmcnt(0)
	v_cmp_lt_i32_e64 s[0:1], v40, v18
	s_and_b64 s[0:1], vcc, s[0:1]
	s_andn2_b64 s[8:9], s[8:9], exec
	s_and_b64 s[0:1], s[0:1], exec
	s_or_b64 s[8:9], s[8:9], s[0:1]
.LBB279_46:                             ;   in Loop: Header=BB279_40 Depth=1
	s_or_b64 exec, exec, s[10:11]
	s_and_saveexec_b64 s[0:1], s[8:9]
	s_cbranch_execz .LBB279_48
; %bb.47:                               ;   in Loop: Header=BB279_40 Depth=1
	v_mov_b32_e32 v39, v19
	s_waitcnt lgkmcnt(0)
	v_mov_b32_e32 v18, v40
.LBB279_48:                             ;   in Loop: Header=BB279_40 Depth=1
	s_or_b64 exec, exec, s[0:1]
	ds_bpermute_b32 v19, v25, v39
	s_waitcnt lgkmcnt(1)
	ds_bpermute_b32 v40, v25, v18
	s_waitcnt lgkmcnt(1)
	v_cmp_lt_f32_e64 s[8:9], v39, v19
	v_cmp_nlt_f32_e32 vcc, v39, v19
	s_and_saveexec_b64 s[10:11], vcc
	s_cbranch_execz .LBB279_50
; %bb.49:                               ;   in Loop: Header=BB279_40 Depth=1
	v_cmp_eq_f32_e32 vcc, v39, v19
	s_waitcnt lgkmcnt(0)
	v_cmp_lt_i32_e64 s[0:1], v40, v18
	s_and_b64 s[0:1], vcc, s[0:1]
	s_andn2_b64 s[8:9], s[8:9], exec
	s_and_b64 s[0:1], s[0:1], exec
	s_or_b64 s[8:9], s[8:9], s[0:1]
.LBB279_50:                             ;   in Loop: Header=BB279_40 Depth=1
	s_or_b64 exec, exec, s[10:11]
	s_and_saveexec_b64 s[0:1], s[8:9]
	s_cbranch_execz .LBB279_52
; %bb.51:                               ;   in Loop: Header=BB279_40 Depth=1
	v_mov_b32_e32 v39, v19
	s_waitcnt lgkmcnt(0)
	v_mov_b32_e32 v18, v40
.LBB279_52:                             ;   in Loop: Header=BB279_40 Depth=1
	s_or_b64 exec, exec, s[0:1]
	ds_bpermute_b32 v19, v26, v39
	s_waitcnt lgkmcnt(1)
	;; [unrolled: 26-line block ×3, first 2 shown]
	ds_bpermute_b32 v40, v27, v18
	s_waitcnt lgkmcnt(1)
	v_cmp_lt_f32_e64 s[8:9], v39, v19
	v_cmp_nlt_f32_e32 vcc, v39, v19
	s_and_saveexec_b64 s[10:11], vcc
	s_cbranch_execnz .LBB279_60
; %bb.57:                               ;   in Loop: Header=BB279_40 Depth=1
	s_or_b64 exec, exec, s[10:11]
	s_and_saveexec_b64 s[0:1], s[8:9]
	s_cbranch_execnz .LBB279_61
.LBB279_58:                             ;   in Loop: Header=BB279_40 Depth=1
	s_or_b64 exec, exec, s[0:1]
	s_and_saveexec_b64 s[8:9], s[6:7]
	s_cbranch_execnz .LBB279_62
.LBB279_59:                             ;   in Loop: Header=BB279_40 Depth=1
	s_or_b64 exec, exec, s[8:9]
	s_add_i32 s58, s58, 1
	s_cmp_ge_i32 s58, s44
	s_cbranch_scc1 .LBB279_39
	s_branch .LBB279_65
.LBB279_60:                             ;   in Loop: Header=BB279_40 Depth=1
	v_cmp_eq_f32_e32 vcc, v39, v19
	s_waitcnt lgkmcnt(0)
	v_cmp_lt_i32_e64 s[0:1], v40, v18
	s_and_b64 s[0:1], vcc, s[0:1]
	s_andn2_b64 s[8:9], s[8:9], exec
	s_and_b64 s[0:1], s[0:1], exec
	s_or_b64 s[8:9], s[8:9], s[0:1]
	s_or_b64 exec, exec, s[10:11]
	s_and_saveexec_b64 s[0:1], s[8:9]
	s_cbranch_execz .LBB279_58
.LBB279_61:                             ;   in Loop: Header=BB279_40 Depth=1
	s_waitcnt lgkmcnt(0)
	v_mov_b32_e32 v18, v40
	v_mov_b32_e32 v39, v19
	s_or_b64 exec, exec, s[0:1]
	s_and_saveexec_b64 s[8:9], s[6:7]
	s_cbranch_execz .LBB279_59
.LBB279_62:                             ;   in Loop: Header=BB279_40 Depth=1
	s_and_b64 vcc, exec, s[2:3]
	s_cbranch_vccnz .LBB279_64
; %bb.63:                               ;   in Loop: Header=BB279_40 Depth=1
	v_ashrrev_i32_e32 v19, 31, v18
	s_waitcnt lgkmcnt(0)
	v_lshl_add_u64 v[40:41], v[18:19], 2, s[42:43]
	global_load_dword v19, v[40:41], off
	s_waitcnt vmcnt(0)
	v_sub_f32_e32 v39, v39, v19
.LBB279_64:                             ;   in Loop: Header=BB279_40 Depth=1
	s_waitcnt lgkmcnt(0)
	v_add_u32_e32 v40, s58, v22
	v_cmp_le_i32_e32 vcc, s45, v18
	v_cmp_gt_i32_e64 s[0:1], s46, v18
	v_ashrrev_i32_e32 v41, 31, v40
	s_and_b64 s[0:1], vcc, s[0:1]
	v_lshlrev_b64 v[40:41], 2, v[40:41]
	v_lshl_add_u64 v[42:43], s[38:39], 0, v[40:41]
	v_subrev_u32_e32 v19, s45, v18
	s_and_b64 vcc, s[52:53], s[0:1]
	global_store_dword v[42:43], v39, off
	v_cndmask_b32_e32 v19, v36, v19, vcc
	v_lshl_add_u64 v[42:43], s[48:49], 0, v[40:41]
	global_store_dword v[42:43], v19, off
	v_add_f32_e32 v19, v21, v39
	v_lshl_add_u64 v[40:41], s[50:51], 0, v[40:41]
	v_cndmask_b32_e64 v21, v21, v19, s[4:5]
	global_store_dword v[40:41], v38, off
	s_or_b64 exec, exec, s[8:9]
	s_add_i32 s58, s58, 1
	s_cmp_ge_i32 s58, s44
	s_cbranch_scc1 .LBB279_39
.LBB279_65:                             ;   in Loop: Header=BB279_40 Depth=1
	v_ashrrev_i32_e32 v19, 31, v18
	v_lshrrev_b32_e32 v39, 29, v19
	s_waitcnt lgkmcnt(0)
	v_add_u32_e32 v40, v18, v39
	v_ashrrev_i32_e32 v39, 3, v40
	v_ashrrev_i32_e32 v40, 31, v40
	v_lshrrev_b32_e32 v40, 27, v40
	v_add_u32_e32 v40, v39, v40
	v_and_b32_e32 v40, 0xffffffe0, v40
	v_sub_u32_e32 v40, v39, v40
	v_cmp_eq_u32_e32 vcc, v17, v40
	s_and_saveexec_b64 s[56:57], vcc
	s_cbranch_execz .LBB279_38
; %bb.66:                               ;   in Loop: Header=BB279_40 Depth=1
	v_add_u32_sdwa v19, v18, v19 dst_sel:DWORD dst_unused:UNUSED_PAD src0_sel:DWORD src1_sel:BYTE_3
	v_lshlrev_b32_e32 v39, 3, v39
	v_sub_u32_e32 v18, v18, v39
	v_ashrrev_i32_e32 v19, 8, v19
	v_lshl_add_u32 v18, v19, 3, v18
	v_cmp_ne_u32_e32 vcc, 14, v18
	v_cmp_ne_u32_e64 s[0:1], 13, v18
	v_cmp_ne_u32_e64 s[8:9], 12, v18
	;; [unrolled: 1-line block ×15, first 2 shown]
	v_cndmask_b32_e32 v14, v37, v14, vcc
	v_cndmask_b32_e64 v13, v37, v13, s[0:1]
	v_cndmask_b32_e64 v15, v37, v15, s[36:37]
	;; [unrolled: 1-line block ×15, first 2 shown]
	s_branch .LBB279_38
.LBB279_67:
	v_mov_b32_e32 v21, 0
.LBB279_68:
	v_cmp_eq_u32_e32 vcc, 0, v17
	s_and_b64 exec, exec, vcc
	s_cbranch_execz .LBB279_81
; %bb.69:
	s_andn2_b64 vcc, exec, s[4:5]
	v_cvt_f32_f64_e32 v0, s[40:41]
	s_cbranch_vccnz .LBB279_71
; %bb.70:
	v_cmp_lt_f32_e32 vcc, 0, v21
	s_nop 1
	v_cndmask_b32_e32 v1, 1.0, v21, vcc
	v_div_scale_f32 v2, s[0:1], v1, v1, v0
	v_rcp_f32_e32 v3, v2
	s_nop 0
	v_fma_f32 v4, -v2, v3, 1.0
	v_fmac_f32_e32 v3, v4, v3
	v_div_scale_f32 v4, vcc, v0, v1, v0
	v_mul_f32_e32 v5, v4, v3
	v_fma_f32 v6, -v2, v5, v4
	v_fmac_f32_e32 v5, v6, v3
	v_fma_f32 v2, -v2, v5, v4
	v_div_fmas_f32 v2, v2, v3, v5
	v_div_fixup_f32 v0, v2, v1, v0
.LBB279_71:
	s_andn2_b64 vcc, exec, s[54:55]
	s_cbranch_vccnz .LBB279_81
; %bb.72:
	v_mul_lo_u32 v2, v16, s44
	s_cmp_gt_u32 s44, 3
	v_ashrrev_i32_e32 v3, 31, v2
	s_cbranch_scc0 .LBB279_76
; %bb.73:
	s_and_b32 s0, s44, 0x7ffffffc
	v_lshl_add_u64 v[4:5], v[2:3], 2, s[38:39]
	v_mov_b32_e32 v1, v0
	v_lshl_add_u64 v[4:5], v[4:5], 0, 8
	s_mov_b32 s1, s0
.LBB279_74:                             ; =>This Inner Loop Header: Depth=1
	global_load_dwordx4 v[6:9], v[4:5], off offset:-8
	s_add_i32 s1, s1, -4
	s_cmp_lg_u32 s1, 0
	s_waitcnt vmcnt(0)
	v_pk_mul_f32 v[6:7], v[0:1], v[6:7]
	v_pk_mul_f32 v[8:9], v[0:1], v[8:9]
	global_store_dwordx4 v[4:5], v[6:9], off offset:-8
	v_lshl_add_u64 v[4:5], v[4:5], 0, 16
	s_cbranch_scc1 .LBB279_74
; %bb.75:
	s_cmp_lg_u32 s0, s44
	s_cselect_b64 s[2:3], -1, 0
	s_branch .LBB279_78
.LBB279_76:
	s_mov_b64 s[2:3], 0
                                        ; implicit-def: $sgpr0
	s_cbranch_execz .LBB279_78
; %bb.77:
	s_mov_b64 s[2:3], -1
	s_mov_b32 s0, 0
.LBB279_78:
	s_andn2_b64 vcc, exec, s[2:3]
	s_cbranch_vccnz .LBB279_81
; %bb.79:
	s_mov_b32 s1, 0
	v_lshl_add_u64 v[2:3], v[2:3], 0, s[0:1]
	s_sub_i32 s2, s44, s0
	v_lshl_add_u64 v[2:3], v[2:3], 2, s[38:39]
.LBB279_80:                             ; =>This Inner Loop Header: Depth=1
	global_load_dword v1, v[2:3], off
	s_add_i32 s2, s2, -1
	s_cmp_lg_u32 s2, 0
	s_waitcnt vmcnt(0)
	v_mul_f32_e32 v1, v0, v1
	global_store_dword v[2:3], v1, off
	v_lshl_add_u64 v[2:3], v[2:3], 0, 4
	s_cbranch_scc1 .LBB279_80
.LBB279_81:
	s_endpgm
	.section	.rodata,"a",@progbits
	.p2align	6, 0x0
	.amdhsa_kernel _ZN4vllm3moe22topkGatingSoftplusSqrtILi16ELi512ELi4ELi16ELi32ELb0Ej6__halfEEvPKT6_PKbPfiPT5_PiiiibdPKfPKS9_SF_
		.amdhsa_group_segment_fixed_size 0
		.amdhsa_private_segment_fixed_size 0
		.amdhsa_kernarg_size 96
		.amdhsa_user_sgpr_count 2
		.amdhsa_user_sgpr_dispatch_ptr 0
		.amdhsa_user_sgpr_queue_ptr 0
		.amdhsa_user_sgpr_kernarg_segment_ptr 1
		.amdhsa_user_sgpr_dispatch_id 0
		.amdhsa_user_sgpr_kernarg_preload_length 0
		.amdhsa_user_sgpr_kernarg_preload_offset 0
		.amdhsa_user_sgpr_private_segment_size 0
		.amdhsa_uses_dynamic_stack 0
		.amdhsa_enable_private_segment 0
		.amdhsa_system_sgpr_workgroup_id_x 1
		.amdhsa_system_sgpr_workgroup_id_y 0
		.amdhsa_system_sgpr_workgroup_id_z 0
		.amdhsa_system_sgpr_workgroup_info 0
		.amdhsa_system_vgpr_workitem_id 1
		.amdhsa_next_free_vgpr 44
		.amdhsa_next_free_sgpr 59
		.amdhsa_accum_offset 44
		.amdhsa_reserve_vcc 1
		.amdhsa_float_round_mode_32 0
		.amdhsa_float_round_mode_16_64 0
		.amdhsa_float_denorm_mode_32 3
		.amdhsa_float_denorm_mode_16_64 3
		.amdhsa_dx10_clamp 1
		.amdhsa_ieee_mode 1
		.amdhsa_fp16_overflow 0
		.amdhsa_tg_split 0
		.amdhsa_exception_fp_ieee_invalid_op 0
		.amdhsa_exception_fp_denorm_src 0
		.amdhsa_exception_fp_ieee_div_zero 0
		.amdhsa_exception_fp_ieee_overflow 0
		.amdhsa_exception_fp_ieee_underflow 0
		.amdhsa_exception_fp_ieee_inexact 0
		.amdhsa_exception_int_div_zero 0
	.end_amdhsa_kernel
	.section	.text._ZN4vllm3moe22topkGatingSoftplusSqrtILi16ELi512ELi4ELi16ELi32ELb0Ej6__halfEEvPKT6_PKbPfiPT5_PiiiibdPKfPKS9_SF_,"axG",@progbits,_ZN4vllm3moe22topkGatingSoftplusSqrtILi16ELi512ELi4ELi16ELi32ELb0Ej6__halfEEvPKT6_PKbPfiPT5_PiiiibdPKfPKS9_SF_,comdat
.Lfunc_end279:
	.size	_ZN4vllm3moe22topkGatingSoftplusSqrtILi16ELi512ELi4ELi16ELi32ELb0Ej6__halfEEvPKT6_PKbPfiPT5_PiiiibdPKfPKS9_SF_, .Lfunc_end279-_ZN4vllm3moe22topkGatingSoftplusSqrtILi16ELi512ELi4ELi16ELi32ELb0Ej6__halfEEvPKT6_PKbPfiPT5_PiiiibdPKfPKS9_SF_
                                        ; -- End function
	.section	.AMDGPU.csdata,"",@progbits
; Kernel info:
; codeLenInByte = 6820
; NumSgprs: 65
; NumVgprs: 44
; NumAgprs: 0
; TotalNumVgprs: 44
; ScratchSize: 0
; MemoryBound: 0
; FloatMode: 240
; IeeeMode: 1
; LDSByteSize: 0 bytes/workgroup (compile time only)
; SGPRBlocks: 8
; VGPRBlocks: 5
; NumSGPRsForWavesPerEU: 65
; NumVGPRsForWavesPerEU: 44
; AccumOffset: 44
; Occupancy: 8
; WaveLimiterHint : 1
; COMPUTE_PGM_RSRC2:SCRATCH_EN: 0
; COMPUTE_PGM_RSRC2:USER_SGPR: 2
; COMPUTE_PGM_RSRC2:TRAP_HANDLER: 0
; COMPUTE_PGM_RSRC2:TGID_X_EN: 1
; COMPUTE_PGM_RSRC2:TGID_Y_EN: 0
; COMPUTE_PGM_RSRC2:TGID_Z_EN: 0
; COMPUTE_PGM_RSRC2:TIDIG_COMP_CNT: 1
; COMPUTE_PGM_RSRC3_GFX90A:ACCUM_OFFSET: 10
; COMPUTE_PGM_RSRC3_GFX90A:TG_SPLIT: 0
	.section	.text._ZN4vllm3moe22topkGatingSoftplusSqrtILi3ELi192ELi4ELi2ELi64ELb1Ej6__halfEEvPKT6_PKbPfiPT5_PiiiibdPKfPKS9_SF_,"axG",@progbits,_ZN4vllm3moe22topkGatingSoftplusSqrtILi3ELi192ELi4ELi2ELi64ELb1Ej6__halfEEvPKT6_PKbPfiPT5_PiiiibdPKfPKS9_SF_,comdat
	.protected	_ZN4vllm3moe22topkGatingSoftplusSqrtILi3ELi192ELi4ELi2ELi64ELb1Ej6__halfEEvPKT6_PKbPfiPT5_PiiiibdPKfPKS9_SF_ ; -- Begin function _ZN4vllm3moe22topkGatingSoftplusSqrtILi3ELi192ELi4ELi2ELi64ELb1Ej6__halfEEvPKT6_PKbPfiPT5_PiiiibdPKfPKS9_SF_
	.globl	_ZN4vllm3moe22topkGatingSoftplusSqrtILi3ELi192ELi4ELi2ELi64ELb1Ej6__halfEEvPKT6_PKbPfiPT5_PiiiibdPKfPKS9_SF_
	.p2align	8
	.type	_ZN4vllm3moe22topkGatingSoftplusSqrtILi3ELi192ELi4ELi2ELi64ELb1Ej6__halfEEvPKT6_PKbPfiPT5_PiiiibdPKfPKS9_SF_,@function
_ZN4vllm3moe22topkGatingSoftplusSqrtILi3ELi192ELi4ELi2ELi64ELb1Ej6__halfEEvPKT6_PKbPfiPT5_PiiiibdPKfPKS9_SF_: ; @_ZN4vllm3moe22topkGatingSoftplusSqrtILi3ELi192ELi4ELi2ELi64ELb1Ej6__halfEEvPKT6_PKbPfiPT5_PiiiibdPKfPKS9_SF_
; %bb.0:
	s_load_dword s3, s[0:1], 0x18
	v_and_b32_e32 v1, 0x3ff, v0
	s_lshl_b32 s2, s2, 2
	v_lshrrev_b32_e32 v2, 6, v1
	v_bfe_u32 v0, v0, 10, 10
	v_add3_u32 v2, s2, v0, v2
	s_waitcnt lgkmcnt(0)
	v_cmp_gt_i32_e32 vcc, s3, v2
	s_and_saveexec_b64 s[2:3], vcc
	s_cbranch_execz .LBB280_70
; %bb.1:
	s_load_dwordx2 s[2:3], s[0:1], 0x0
	s_load_dword s20, s[0:1], 0x30
	s_load_dwordx4 s[8:11], s[0:1], 0x50
	s_movk_i32 s4, 0xc0
	v_mul_lo_u32 v4, v2, s4
	v_ashrrev_i32_e32 v5, 31, v4
	v_and_b32_e32 v12, 63, v1
	s_waitcnt lgkmcnt(0)
	v_lshl_add_u64 v[4:5], v[4:5], 1, s[2:3]
	v_lshlrev_b32_e32 v0, 1, v12
	v_mov_b32_e32 v1, 0
	v_lshl_add_u64 v[4:5], v[4:5], 0, v[0:1]
	global_load_ushort v6, v[4:5], off
	global_load_ushort v7, v[4:5], off offset:128
	global_load_ushort v8, v[4:5], off offset:256
	v_mov_b32_e32 v4, s8
	v_mov_b32_e32 v5, s9
	v_ashrrev_i32_e32 v3, 31, v2
	v_lshl_add_u64 v[4:5], v[2:3], 2, v[4:5]
	global_load_dword v0, v[4:5], off
	s_mov_b32 s4, 0x800000
	v_mov_b32_e32 v3, 0x4f800000
	s_mov_b32 s7, 0x3f317217
	s_mov_b32 s9, 0x7f800000
	v_mov_b32_e32 v4, 0x41b17218
	s_movk_i32 s6, 0x4d00
	s_mov_b32 s12, 0xf800000
	v_mov_b32_e32 v11, 0x260
	s_cmp_gt_i32 s20, 0
	s_mov_b32 s8, 0
	v_mul_lo_u32 v2, v2, s20
	s_waitcnt vmcnt(3)
	v_cvt_f32_f16_e32 v5, v6
	s_waitcnt vmcnt(2)
	v_cvt_f32_f16_e32 v9, v7
	;; [unrolled: 2-line block ×3, first 2 shown]
	v_mul_f32_e32 v13, 0x3fb8aa3b, v5
	v_mul_f32_e32 v14, 0x3fb8aa3b, v9
	v_exp_f32_e32 v13, v13
	v_mul_f32_e32 v15, 0x3fb8aa3b, v10
	v_exp_f32_e32 v14, v14
	v_exp_f32_e32 v15, v15
	v_add_f32_e32 v13, 1.0, v13
	v_cmp_gt_f32_e32 vcc, s4, v13
	v_add_f32_e32 v14, 1.0, v14
	v_add_f32_e32 v15, 1.0, v15
	v_cndmask_b32_e32 v16, 1.0, v3, vcc
	v_cmp_gt_f32_e64 s[2:3], s4, v14
	v_cmp_gt_f32_e64 s[4:5], s4, v15
	v_mul_f32_e32 v13, v13, v16
	v_cndmask_b32_e64 v17, 1.0, v3, s[2:3]
	v_cndmask_b32_e64 v3, 1.0, v3, s[4:5]
	v_mul_f32_e32 v14, v14, v17
	v_log_f32_e32 v13, v13
	v_mul_f32_e32 v3, v15, v3
	v_log_f32_e32 v14, v14
	v_log_f32_e32 v3, v3
	v_mul_f32_e32 v15, 0x3f317217, v13
	v_fma_f32 v15, v13, s7, -v15
	v_mul_f32_e32 v18, 0x3f317217, v14
	v_mul_f32_e32 v19, 0x3f317217, v3
	v_fma_f32 v18, v14, s7, -v18
	v_fmac_f32_e32 v15, 0x3377d1cf, v13
	v_cndmask_b32_e32 v16, 0, v4, vcc
	v_fma_f32 v19, v3, s7, -v19
	v_fmac_f32_e32 v18, 0x3377d1cf, v14
	v_fmac_f32_e32 v15, 0x3f317217, v13
	v_cmp_lt_f32_e64 vcc, |v13|, s9
	v_fmac_f32_e32 v19, 0x3377d1cf, v3
	v_fmac_f32_e32 v18, 0x3f317217, v14
	v_cndmask_b32_e32 v13, v13, v15, vcc
	v_cmp_lt_f32_e64 vcc, |v14|, s9
	v_fmac_f32_e32 v19, 0x3f317217, v3
	v_cndmask_b32_e64 v17, 0, v4, s[2:3]
	v_cndmask_b32_e32 v14, v14, v18, vcc
	v_cmp_lt_f32_e64 vcc, |v3|, s9
	v_cndmask_b32_e64 v4, 0, v4, s[4:5]
	v_sub_f32_e32 v13, v13, v16
	v_cndmask_b32_e32 v3, v3, v19, vcc
	v_cmp_lt_f16_e32 vcc, s6, v6
	v_sub_f32_e32 v14, v14, v17
	v_sub_f32_e32 v3, v3, v4
	v_cndmask_b32_e32 v4, v13, v5, vcc
	v_cmp_lt_f16_e32 vcc, s6, v7
	v_mul_f32_e32 v6, 0x4f800000, v4
	s_waitcnt vmcnt(0)
	v_mul_lo_u32 v0, v0, s20
	v_cndmask_b32_e32 v5, v14, v9, vcc
	v_cmp_lt_f16_e32 vcc, s6, v8
	v_mul_f32_e32 v7, 0x4f800000, v5
	v_cmp_gt_f32_e64 s[2:3], s12, v5
	v_cndmask_b32_e32 v3, v3, v10, vcc
	v_cmp_gt_f32_e32 vcc, s12, v4
	v_mul_f32_e32 v8, 0x4f800000, v3
	v_cndmask_b32_e64 v5, v5, v7, s[2:3]
	v_cndmask_b32_e32 v4, v4, v6, vcc
	v_sqrt_f32_e32 v6, v4
	v_cmp_gt_f32_e64 s[4:5], s12, v3
	v_sqrt_f32_e32 v7, v5
	v_add_u32_e32 v9, -1, v6
	v_cndmask_b32_e64 v3, v3, v8, s[4:5]
	v_sqrt_f32_e32 v8, v3
	v_add_u32_e32 v13, -1, v7
	v_fma_f32 v16, -v9, v6, v4
	v_add_u32_e32 v10, 1, v6
	v_add_u32_e32 v15, -1, v8
	v_fma_f32 v18, -v13, v7, v5
	v_cmp_ge_f32_e64 s[6:7], 0, v16
	v_add_u32_e32 v14, 1, v7
	v_fma_f32 v17, -v10, v6, v4
	v_fma_f32 v20, -v15, v8, v3
	v_cndmask_b32_e64 v6, v6, v9, s[6:7]
	v_cmp_ge_f32_e64 s[6:7], 0, v18
	v_fma_f32 v19, -v14, v7, v5
	s_nop 0
	v_cndmask_b32_e64 v7, v7, v13, s[6:7]
	v_cmp_ge_f32_e64 s[6:7], 0, v20
	s_nop 1
	v_cndmask_b32_e64 v9, v8, v15, s[6:7]
	v_cmp_lt_f32_e64 s[6:7], 0, v17
	s_nop 1
	v_cndmask_b32_e64 v6, v6, v10, s[6:7]
	v_cmp_lt_f32_e64 s[6:7], 0, v19
	v_mul_f32_e32 v10, 0x37800000, v6
	v_cndmask_b32_e32 v6, v6, v10, vcc
	v_cndmask_b32_e64 v7, v7, v14, s[6:7]
	v_mul_f32_e32 v13, 0x37800000, v7
	v_cmp_class_f32_e32 vcc, v4, v11
	v_cndmask_b32_e64 v7, v7, v13, s[2:3]
	v_mov_b32_e32 v10, v1
	v_cndmask_b32_e32 v13, v6, v4, vcc
	v_cmp_class_f32_e32 vcc, v5, v11
	v_add_u32_e32 v4, 1, v8
	s_nop 0
	v_cndmask_b32_e32 v14, v7, v5, vcc
	v_fma_f32 v5, -v4, v8, v3
	v_cmp_lt_f32_e32 vcc, 0, v5
	s_nop 1
	v_cndmask_b32_e32 v4, v9, v4, vcc
	v_mul_f32_e32 v5, 0x37800000, v4
	v_cndmask_b32_e64 v4, v4, v5, s[4:5]
	v_cmp_class_f32_e32 vcc, v3, v11
	s_cselect_b64 s[4:5], -1, 0
	s_cmp_lt_i32 s20, 1
	v_cndmask_b32_e32 v15, v4, v3, vcc
	v_lshl_add_u64 v[4:5], v[0:1], 2, s[10:11]
	s_cbranch_scc1 .LBB280_29
; %bb.2:
	s_load_dwordx2 s[6:7], s[0:1], 0x20
	s_cmp_lt_u32 s20, 4
	s_cbranch_scc1 .LBB280_21
; %bb.3:
	s_mov_b32 s13, 0
	s_and_b32 s8, s20, 0x7ffffffc
	v_ashrrev_i32_e32 v3, 31, v2
	v_mov_b32_e32 v10, 0
	s_mov_b32 s12, s13
	s_branch .LBB280_5
.LBB280_4:                              ;   in Loop: Header=BB280_5 Depth=1
	s_or_b64 exec, exec, s[14:15]
	s_add_i32 s12, s12, 4
	s_cmp_eq_u32 s12, s8
	s_cbranch_scc1 .LBB280_22
.LBB280_5:                              ; =>This Loop Header: Depth=1
                                        ;     Child Loop BB280_7 Depth 2
                                        ;     Child Loop BB280_11 Depth 2
	;; [unrolled: 1-line block ×4, first 2 shown]
	v_lshl_add_u64 v[6:7], s[12:13], 2, v[4:5]
	global_load_dword v11, v[6:7], off
	v_add_u32_e32 v8, s12, v2
	v_ashrrev_i32_e32 v9, 31, v8
	s_waitcnt lgkmcnt(0)
	v_lshl_add_u64 v[8:9], v[8:9], 2, s[6:7]
	s_mov_b64 s[14:15], 0
	v_mov_b32_e32 v16, v12
	s_mov_b64 s[16:17], 0
	s_waitcnt vmcnt(0)
	s_branch .LBB280_7
.LBB280_6:                              ;   in Loop: Header=BB280_7 Depth=2
	s_or_b64 exec, exec, s[18:19]
	s_cmp_gt_u32 s16, 1
	s_cselect_b64 s[2:3], -1, 0
	s_xor_b64 s[18:19], vcc, -1
	s_or_b64 s[2:3], s[18:19], s[2:3]
	s_add_u32 s16, s16, 1
	s_addc_u32 s17, s17, 0
	s_and_b64 s[2:3], exec, s[2:3]
	s_or_b64 s[14:15], s[2:3], s[14:15]
	v_add_u32_e32 v16, 64, v16
	s_andn2_b64 exec, exec, s[14:15]
	s_cbranch_execz .LBB280_9
.LBB280_7:                              ;   Parent Loop BB280_5 Depth=1
                                        ; =>  This Inner Loop Header: Depth=2
	v_cmp_ne_u32_e32 vcc, v11, v16
	v_cmp_eq_u32_e64 s[2:3], v11, v16
	s_and_saveexec_b64 s[18:19], s[2:3]
	s_cbranch_execz .LBB280_6
; %bb.8:                                ;   in Loop: Header=BB280_7 Depth=2
	s_cmp_eq_u32 s16, 1
	s_cselect_b64 s[2:3], -1, 0
	s_cmp_eq_u32 s16, 2
	v_cndmask_b32_e64 v17, v13, v14, s[2:3]
	s_cselect_b64 s[2:3], -1, 0
	v_cndmask_b32_e64 v17, v17, v15, s[2:3]
	v_add_f32_e32 v10, v10, v17
	global_store_dword v[8:9], v11, off
	s_branch .LBB280_6
.LBB280_9:                              ;   in Loop: Header=BB280_5 Depth=1
	s_or_b64 exec, exec, s[14:15]
	global_load_dword v11, v[6:7], off offset:4
	s_ashr_i32 s3, s12, 31
	s_mov_b32 s2, s12
	v_lshl_add_u64 v[8:9], s[2:3], 0, v[2:3]
	v_lshl_add_u64 v[8:9], v[8:9], 2, s[6:7]
	s_mov_b64 s[14:15], 0
	v_mov_b32_e32 v16, v12
	s_mov_b64 s[16:17], 0
	s_waitcnt vmcnt(0)
	s_branch .LBB280_11
.LBB280_10:                             ;   in Loop: Header=BB280_11 Depth=2
	s_or_b64 exec, exec, s[18:19]
	s_cmp_gt_u32 s16, 1
	s_cselect_b64 s[2:3], -1, 0
	s_xor_b64 s[18:19], vcc, -1
	s_or_b64 s[2:3], s[18:19], s[2:3]
	s_add_u32 s16, s16, 1
	s_addc_u32 s17, s17, 0
	s_and_b64 s[2:3], exec, s[2:3]
	s_or_b64 s[14:15], s[2:3], s[14:15]
	v_add_u32_e32 v16, 64, v16
	s_andn2_b64 exec, exec, s[14:15]
	s_cbranch_execz .LBB280_13
.LBB280_11:                             ;   Parent Loop BB280_5 Depth=1
                                        ; =>  This Inner Loop Header: Depth=2
	v_cmp_ne_u32_e32 vcc, v11, v16
	v_cmp_eq_u32_e64 s[2:3], v11, v16
	s_and_saveexec_b64 s[18:19], s[2:3]
	s_cbranch_execz .LBB280_10
; %bb.12:                               ;   in Loop: Header=BB280_11 Depth=2
	s_cmp_eq_u32 s16, 1
	s_cselect_b64 s[2:3], -1, 0
	s_cmp_eq_u32 s16, 2
	v_cndmask_b32_e64 v17, v13, v14, s[2:3]
	s_cselect_b64 s[2:3], -1, 0
	v_cndmask_b32_e64 v17, v17, v15, s[2:3]
	v_add_f32_e32 v10, v10, v17
	global_store_dword v[8:9], v11, off offset:4
	s_branch .LBB280_10
.LBB280_13:                             ;   in Loop: Header=BB280_5 Depth=1
	s_or_b64 exec, exec, s[14:15]
	global_load_dword v11, v[6:7], off offset:8
	s_mov_b64 s[14:15], 0
	v_mov_b32_e32 v16, v12
	s_mov_b64 s[16:17], 0
	s_waitcnt vmcnt(0)
	s_branch .LBB280_15
.LBB280_14:                             ;   in Loop: Header=BB280_15 Depth=2
	s_or_b64 exec, exec, s[18:19]
	s_cmp_gt_u32 s16, 1
	s_cselect_b64 s[2:3], -1, 0
	s_xor_b64 s[18:19], vcc, -1
	s_or_b64 s[2:3], s[18:19], s[2:3]
	s_add_u32 s16, s16, 1
	s_addc_u32 s17, s17, 0
	s_and_b64 s[2:3], exec, s[2:3]
	s_or_b64 s[14:15], s[2:3], s[14:15]
	v_add_u32_e32 v16, 64, v16
	s_andn2_b64 exec, exec, s[14:15]
	s_cbranch_execz .LBB280_17
.LBB280_15:                             ;   Parent Loop BB280_5 Depth=1
                                        ; =>  This Inner Loop Header: Depth=2
	v_cmp_ne_u32_e32 vcc, v11, v16
	v_cmp_eq_u32_e64 s[2:3], v11, v16
	s_and_saveexec_b64 s[18:19], s[2:3]
	s_cbranch_execz .LBB280_14
; %bb.16:                               ;   in Loop: Header=BB280_15 Depth=2
	s_cmp_eq_u32 s16, 1
	s_cselect_b64 s[2:3], -1, 0
	s_cmp_eq_u32 s16, 2
	v_cndmask_b32_e64 v17, v13, v14, s[2:3]
	s_cselect_b64 s[2:3], -1, 0
	v_cndmask_b32_e64 v17, v17, v15, s[2:3]
	v_add_f32_e32 v10, v10, v17
	global_store_dword v[8:9], v11, off offset:8
	s_branch .LBB280_14
.LBB280_17:                             ;   in Loop: Header=BB280_5 Depth=1
	s_or_b64 exec, exec, s[14:15]
	global_load_dword v6, v[6:7], off offset:12
	s_mov_b64 s[14:15], 0
	v_mov_b32_e32 v7, v12
	s_mov_b64 s[16:17], 0
	s_waitcnt vmcnt(0)
	s_branch .LBB280_19
.LBB280_18:                             ;   in Loop: Header=BB280_19 Depth=2
	s_or_b64 exec, exec, s[18:19]
	s_cmp_gt_u32 s16, 1
	s_cselect_b64 s[2:3], -1, 0
	s_xor_b64 s[18:19], vcc, -1
	s_or_b64 s[2:3], s[18:19], s[2:3]
	s_add_u32 s16, s16, 1
	s_addc_u32 s17, s17, 0
	s_and_b64 s[2:3], exec, s[2:3]
	s_or_b64 s[14:15], s[2:3], s[14:15]
	v_add_u32_e32 v7, 64, v7
	s_andn2_b64 exec, exec, s[14:15]
	s_cbranch_execz .LBB280_4
.LBB280_19:                             ;   Parent Loop BB280_5 Depth=1
                                        ; =>  This Inner Loop Header: Depth=2
	v_cmp_ne_u32_e32 vcc, v6, v7
	v_cmp_eq_u32_e64 s[2:3], v6, v7
	s_and_saveexec_b64 s[18:19], s[2:3]
	s_cbranch_execz .LBB280_18
; %bb.20:                               ;   in Loop: Header=BB280_19 Depth=2
	s_cmp_eq_u32 s16, 1
	s_cselect_b64 s[2:3], -1, 0
	s_cmp_eq_u32 s16, 2
	v_cndmask_b32_e64 v11, v13, v14, s[2:3]
	s_cselect_b64 s[2:3], -1, 0
	v_cndmask_b32_e64 v11, v11, v15, s[2:3]
	v_add_f32_e32 v10, v10, v11
	global_store_dword v[8:9], v6, off offset:12
	s_branch .LBB280_18
.LBB280_21:
	v_mov_b32_e32 v10, 0
.LBB280_22:
	s_and_b32 s18, s20, 3
	s_cmp_eq_u32 s18, 0
	s_mov_b32 s9, 0
	s_cbranch_scc1 .LBB280_29
; %bb.23:
	s_mov_b32 s19, s9
	s_branch .LBB280_25
.LBB280_24:                             ;   in Loop: Header=BB280_25 Depth=1
	s_or_b64 exec, exec, s[12:13]
	s_add_i32 s8, s8, 1
	s_add_i32 s19, s19, 1
	s_cmp_lg_u32 s19, s18
	s_cbranch_scc0 .LBB280_29
.LBB280_25:                             ; =>This Loop Header: Depth=1
                                        ;     Child Loop BB280_27 Depth 2
	v_lshl_add_u64 v[6:7], s[8:9], 2, v[4:5]
	global_load_dword v3, v[6:7], off
	v_add_u32_e32 v6, s8, v2
	v_ashrrev_i32_e32 v7, 31, v6
	s_waitcnt lgkmcnt(0)
	v_lshl_add_u64 v[6:7], v[6:7], 2, s[6:7]
	s_mov_b64 s[12:13], 0
	v_mov_b32_e32 v8, v12
	s_mov_b64 s[14:15], 0
	s_waitcnt vmcnt(0)
	s_branch .LBB280_27
.LBB280_26:                             ;   in Loop: Header=BB280_27 Depth=2
	s_or_b64 exec, exec, s[16:17]
	s_cmp_gt_u32 s14, 1
	s_cselect_b64 s[2:3], -1, 0
	s_xor_b64 s[16:17], vcc, -1
	s_or_b64 s[2:3], s[16:17], s[2:3]
	s_add_u32 s14, s14, 1
	s_addc_u32 s15, s15, 0
	s_and_b64 s[2:3], exec, s[2:3]
	s_or_b64 s[12:13], s[2:3], s[12:13]
	v_add_u32_e32 v8, 64, v8
	s_andn2_b64 exec, exec, s[12:13]
	s_cbranch_execz .LBB280_24
.LBB280_27:                             ;   Parent Loop BB280_25 Depth=1
                                        ; =>  This Inner Loop Header: Depth=2
	v_cmp_ne_u32_e32 vcc, v3, v8
	v_cmp_eq_u32_e64 s[2:3], v3, v8
	s_and_saveexec_b64 s[16:17], s[2:3]
	s_cbranch_execz .LBB280_26
; %bb.28:                               ;   in Loop: Header=BB280_27 Depth=2
	s_cmp_eq_u32 s14, 1
	s_cselect_b64 s[2:3], -1, 0
	s_cmp_eq_u32 s14, 2
	v_cndmask_b32_e64 v9, v13, v14, s[2:3]
	s_cselect_b64 s[2:3], -1, 0
	v_cndmask_b32_e64 v9, v9, v15, s[2:3]
	v_add_f32_e32 v10, v10, v9
	global_store_dword v[6:7], v3, off
	s_branch .LBB280_26
.LBB280_29:
	s_waitcnt lgkmcnt(0)
	s_load_dword s6, s[0:1], 0x3c
	s_waitcnt lgkmcnt(0)
	s_bitcmp1_b32 s6, 0
	s_cselect_b64 s[2:3], -1, 0
	s_bitcmp0_b32 s6, 0
	s_cbranch_scc0 .LBB280_32
; %bb.30:
	s_load_dwordx2 s[6:7], s[0:1], 0x40
	s_andn2_b64 vcc, exec, s[2:3]
	s_waitcnt lgkmcnt(0)
	v_cvt_f32_f64_e32 v16, s[6:7]
	s_cbranch_vccz .LBB280_33
.LBB280_31:
	s_andn2_b64 vcc, exec, s[4:5]
	s_cbranch_vccz .LBB280_34
	s_branch .LBB280_70
.LBB280_32:
	v_mbcnt_lo_u32_b32 v3, -1, 0
	v_mbcnt_hi_u32_b32 v3, -1, v3
	v_and_b32_e32 v6, 64, v3
	v_add_u32_e32 v6, 64, v6
	v_xor_b32_e32 v7, 32, v3
	v_cmp_lt_i32_e32 vcc, v7, v6
	v_xor_b32_e32 v8, 16, v3
	v_xor_b32_e32 v9, 8, v3
	v_cndmask_b32_e32 v7, v3, v7, vcc
	v_lshlrev_b32_e32 v7, 2, v7
	ds_bpermute_b32 v7, v7, v10
	v_cmp_lt_i32_e32 vcc, v8, v6
	s_waitcnt lgkmcnt(0)
	v_add_f32_e32 v7, v10, v7
	v_cndmask_b32_e32 v8, v3, v8, vcc
	v_lshlrev_b32_e32 v8, 2, v8
	ds_bpermute_b32 v8, v8, v7
	v_cmp_lt_i32_e32 vcc, v9, v6
	s_waitcnt lgkmcnt(0)
	v_add_f32_e32 v7, v7, v8
	v_cndmask_b32_e32 v8, v3, v9, vcc
	v_lshlrev_b32_e32 v8, 2, v8
	ds_bpermute_b32 v8, v8, v7
	v_xor_b32_e32 v9, 4, v3
	v_cmp_lt_i32_e32 vcc, v9, v6
	s_waitcnt lgkmcnt(0)
	v_add_f32_e32 v7, v7, v8
	v_cndmask_b32_e32 v8, v3, v9, vcc
	v_lshlrev_b32_e32 v8, 2, v8
	ds_bpermute_b32 v8, v8, v7
	v_xor_b32_e32 v9, 2, v3
	;; [unrolled: 7-line block ×3, first 2 shown]
	v_cmp_lt_i32_e32 vcc, v9, v6
	s_waitcnt lgkmcnt(0)
	v_add_f32_e32 v7, v7, v8
	v_cndmask_b32_e32 v3, v3, v9, vcc
	v_lshlrev_b32_e32 v3, 2, v3
	ds_bpermute_b32 v3, v3, v7
	s_waitcnt lgkmcnt(0)
	v_add_f32_e32 v10, v7, v3
	s_load_dwordx2 s[6:7], s[0:1], 0x40
	s_andn2_b64 vcc, exec, s[2:3]
	s_waitcnt lgkmcnt(0)
	v_cvt_f32_f64_e32 v16, s[6:7]
	s_cbranch_vccnz .LBB280_31
.LBB280_33:
	v_cmp_lt_f32_e32 vcc, 0, v10
	s_nop 1
	v_cndmask_b32_e32 v3, 1.0, v10, vcc
	v_div_scale_f32 v6, s[2:3], v3, v3, v16
	v_rcp_f32_e32 v7, v6
	s_nop 0
	v_fma_f32 v8, -v6, v7, 1.0
	v_fmac_f32_e32 v7, v8, v7
	v_div_scale_f32 v8, vcc, v16, v3, v16
	v_mul_f32_e32 v9, v8, v7
	v_fma_f32 v10, -v6, v9, v8
	v_fmac_f32_e32 v9, v10, v7
	v_fma_f32 v6, -v6, v9, v8
	v_div_fmas_f32 v6, v6, v7, v9
	v_div_fixup_f32 v16, v6, v3, v16
	s_andn2_b64 vcc, exec, s[4:5]
	s_cbranch_vccnz .LBB280_70
.LBB280_34:
	s_load_dwordx2 s[0:1], s[0:1], 0x10
	v_or_b32_e32 v17, 64, v12
	v_or_b32_e32 v18, 0x80, v12
	s_cmp_lt_u32 s20, 4
	s_mov_b32 s2, 0
	s_cbranch_scc1 .LBB280_61
; %bb.35:
	v_ashrrev_i32_e32 v3, 31, v2
	s_and_b32 s2, s20, 0x7ffffffc
	s_waitcnt lgkmcnt(0)
	v_lshl_add_u64 v[6:7], v[2:3], 2, s[0:1]
	s_mov_b32 s3, 0
	s_mov_b64 s[4:5], 0
	s_branch .LBB280_37
.LBB280_36:                             ;   in Loop: Header=BB280_37 Depth=1
	s_or_b64 exec, exec, s[8:9]
	s_add_i32 s3, s3, 4
	s_add_u32 s4, s4, 16
	s_addc_u32 s5, s5, 0
	s_cmp_lg_u32 s2, s3
	s_cbranch_scc0 .LBB280_61
.LBB280_37:                             ; =>This Inner Loop Header: Depth=1
	v_lshl_add_u64 v[8:9], v[4:5], 0, s[4:5]
	global_load_dword v3, v[8:9], off
	v_mov_b64_e32 v[10:11], 0
	s_waitcnt vmcnt(0)
	v_cmp_eq_u32_e64 s[6:7], v3, v12
	v_cmp_ne_u32_e32 vcc, v3, v12
	s_and_saveexec_b64 s[8:9], vcc
	s_cbranch_execz .LBB280_41
; %bb.38:                               ;   in Loop: Header=BB280_37 Depth=1
	v_cmp_eq_u32_e64 s[12:13], v3, v17
	v_cmp_ne_u32_e32 vcc, v3, v17
	v_mov_b64_e32 v[10:11], 1
	s_and_saveexec_b64 s[14:15], vcc
	s_xor_b64 s[14:15], exec, s[14:15]
; %bb.39:                               ;   in Loop: Header=BB280_37 Depth=1
	v_cmp_eq_u32_e32 vcc, v3, v18
	s_andn2_b64 s[12:13], s[12:13], exec
	s_and_b64 s[16:17], vcc, exec
	v_mov_b64_e32 v[10:11], 2
	s_or_b64 s[12:13], s[12:13], s[16:17]
; %bb.40:                               ;   in Loop: Header=BB280_37 Depth=1
	s_or_b64 exec, exec, s[14:15]
	s_andn2_b64 s[6:7], s[6:7], exec
	s_and_b64 s[12:13], s[12:13], exec
	s_or_b64 s[6:7], s[6:7], s[12:13]
.LBB280_41:                             ;   in Loop: Header=BB280_37 Depth=1
	s_or_b64 exec, exec, s[8:9]
	s_and_saveexec_b64 s[8:9], s[6:7]
	s_cbranch_execz .LBB280_43
; %bb.42:                               ;   in Loop: Header=BB280_37 Depth=1
	v_cmp_eq_u32_e32 vcc, 1, v10
	v_add_u32_e32 v20, s3, v2
	v_ashrrev_i32_e32 v21, 31, v20
	v_cndmask_b32_e32 v3, v13, v14, vcc
	v_cmp_eq_u32_e32 vcc, 2, v10
	v_lshl_add_u64 v[10:11], v[20:21], 2, s[0:1]
	s_nop 0
	v_cndmask_b32_e32 v3, v3, v15, vcc
	v_mul_f32_e32 v3, v16, v3
	global_store_dword v[10:11], v3, off
.LBB280_43:                             ;   in Loop: Header=BB280_37 Depth=1
	s_or_b64 exec, exec, s[8:9]
	global_load_dword v3, v[8:9], off offset:4
	v_mov_b64_e32 v[10:11], 0
	s_waitcnt vmcnt(0)
	v_cmp_eq_u32_e64 s[6:7], v3, v12
	v_cmp_ne_u32_e32 vcc, v3, v12
	s_and_saveexec_b64 s[8:9], vcc
	s_cbranch_execz .LBB280_47
; %bb.44:                               ;   in Loop: Header=BB280_37 Depth=1
	v_cmp_eq_u32_e64 s[12:13], v3, v17
	v_cmp_ne_u32_e32 vcc, v3, v17
	v_mov_b64_e32 v[10:11], 1
	s_and_saveexec_b64 s[14:15], vcc
; %bb.45:                               ;   in Loop: Header=BB280_37 Depth=1
	v_cmp_eq_u32_e32 vcc, v3, v18
	s_andn2_b64 s[12:13], s[12:13], exec
	s_and_b64 s[16:17], vcc, exec
	v_mov_b64_e32 v[10:11], 2
	s_or_b64 s[12:13], s[12:13], s[16:17]
; %bb.46:                               ;   in Loop: Header=BB280_37 Depth=1
	s_or_b64 exec, exec, s[14:15]
	s_andn2_b64 s[6:7], s[6:7], exec
	s_and_b64 s[12:13], s[12:13], exec
	s_or_b64 s[6:7], s[6:7], s[12:13]
.LBB280_47:                             ;   in Loop: Header=BB280_37 Depth=1
	s_or_b64 exec, exec, s[8:9]
	s_and_saveexec_b64 s[8:9], s[6:7]
	s_cbranch_execz .LBB280_49
; %bb.48:                               ;   in Loop: Header=BB280_37 Depth=1
	v_cmp_eq_u32_e32 vcc, 1, v10
	s_nop 1
	v_cndmask_b32_e32 v3, v13, v14, vcc
	v_cmp_eq_u32_e32 vcc, 2, v10
	v_lshl_add_u64 v[10:11], v[6:7], 0, s[4:5]
	s_nop 0
	v_cndmask_b32_e32 v3, v3, v15, vcc
	v_mul_f32_e32 v3, v16, v3
	global_store_dword v[10:11], v3, off offset:4
.LBB280_49:                             ;   in Loop: Header=BB280_37 Depth=1
	s_or_b64 exec, exec, s[8:9]
	global_load_dword v3, v[8:9], off offset:8
	v_mov_b64_e32 v[10:11], 0
	s_waitcnt vmcnt(0)
	v_cmp_eq_u32_e64 s[6:7], v3, v12
	v_cmp_ne_u32_e32 vcc, v3, v12
	s_and_saveexec_b64 s[8:9], vcc
	s_cbranch_execz .LBB280_53
; %bb.50:                               ;   in Loop: Header=BB280_37 Depth=1
	v_cmp_eq_u32_e64 s[12:13], v3, v17
	v_cmp_ne_u32_e32 vcc, v3, v17
	v_mov_b64_e32 v[10:11], 1
	s_and_saveexec_b64 s[14:15], vcc
; %bb.51:                               ;   in Loop: Header=BB280_37 Depth=1
	v_cmp_eq_u32_e32 vcc, v3, v18
	s_andn2_b64 s[12:13], s[12:13], exec
	s_and_b64 s[16:17], vcc, exec
	v_mov_b64_e32 v[10:11], 2
	s_or_b64 s[12:13], s[12:13], s[16:17]
; %bb.52:                               ;   in Loop: Header=BB280_37 Depth=1
	s_or_b64 exec, exec, s[14:15]
	s_andn2_b64 s[6:7], s[6:7], exec
	s_and_b64 s[12:13], s[12:13], exec
	s_or_b64 s[6:7], s[6:7], s[12:13]
.LBB280_53:                             ;   in Loop: Header=BB280_37 Depth=1
	s_or_b64 exec, exec, s[8:9]
	s_and_saveexec_b64 s[8:9], s[6:7]
	s_cbranch_execz .LBB280_55
; %bb.54:                               ;   in Loop: Header=BB280_37 Depth=1
	v_cmp_eq_u32_e32 vcc, 1, v10
	s_nop 1
	v_cndmask_b32_e32 v3, v13, v14, vcc
	v_cmp_eq_u32_e32 vcc, 2, v10
	v_lshl_add_u64 v[10:11], v[6:7], 0, s[4:5]
	s_nop 0
	v_cndmask_b32_e32 v3, v3, v15, vcc
	v_mul_f32_e32 v3, v16, v3
	global_store_dword v[10:11], v3, off offset:8
.LBB280_55:                             ;   in Loop: Header=BB280_37 Depth=1
	s_or_b64 exec, exec, s[8:9]
	global_load_dword v3, v[8:9], off offset:12
	v_mov_b64_e32 v[8:9], 0
	s_waitcnt vmcnt(0)
	v_cmp_eq_u32_e64 s[6:7], v3, v12
	v_cmp_ne_u32_e32 vcc, v3, v12
	s_and_saveexec_b64 s[8:9], vcc
	s_cbranch_execz .LBB280_59
; %bb.56:                               ;   in Loop: Header=BB280_37 Depth=1
	v_cmp_eq_u32_e64 s[12:13], v3, v17
	v_cmp_ne_u32_e32 vcc, v3, v17
	v_mov_b64_e32 v[8:9], 1
	s_and_saveexec_b64 s[14:15], vcc
; %bb.57:                               ;   in Loop: Header=BB280_37 Depth=1
	v_cmp_eq_u32_e32 vcc, v3, v18
	s_andn2_b64 s[12:13], s[12:13], exec
	s_and_b64 s[16:17], vcc, exec
	v_mov_b64_e32 v[8:9], 2
	s_or_b64 s[12:13], s[12:13], s[16:17]
; %bb.58:                               ;   in Loop: Header=BB280_37 Depth=1
	s_or_b64 exec, exec, s[14:15]
	s_andn2_b64 s[6:7], s[6:7], exec
	s_and_b64 s[12:13], s[12:13], exec
	s_or_b64 s[6:7], s[6:7], s[12:13]
.LBB280_59:                             ;   in Loop: Header=BB280_37 Depth=1
	s_or_b64 exec, exec, s[8:9]
	s_and_saveexec_b64 s[8:9], s[6:7]
	s_cbranch_execz .LBB280_36
; %bb.60:                               ;   in Loop: Header=BB280_37 Depth=1
	v_cmp_eq_u32_e32 vcc, 1, v8
	s_nop 1
	v_cndmask_b32_e32 v3, v13, v14, vcc
	v_cmp_eq_u32_e32 vcc, 2, v8
	v_lshl_add_u64 v[8:9], v[6:7], 0, s[4:5]
	s_nop 0
	v_cndmask_b32_e32 v3, v3, v15, vcc
	v_mul_f32_e32 v3, v16, v3
	global_store_dword v[8:9], v3, off offset:12
	s_branch .LBB280_36
.LBB280_61:
	s_and_b32 s12, s20, 3
	s_cmp_eq_u32 s12, 0
	s_mov_b32 s3, 0
	s_cbranch_scc1 .LBB280_70
; %bb.62:
	v_add_u32_e32 v2, s2, v2
	s_lshl_b64 s[2:3], s[2:3], 2
	s_add_u32 s2, s10, s2
	s_addc_u32 s3, s11, s3
	v_lshl_add_u64 v[0:1], v[0:1], 2, s[2:3]
	s_branch .LBB280_64
.LBB280_63:                             ;   in Loop: Header=BB280_64 Depth=1
	s_or_b64 exec, exec, s[4:5]
	s_add_i32 s12, s12, -1
	v_add_u32_e32 v2, 1, v2
	s_cmp_lg_u32 s12, 0
	v_lshl_add_u64 v[0:1], v[0:1], 0, 4
	s_cbranch_scc0 .LBB280_70
.LBB280_64:                             ; =>This Inner Loop Header: Depth=1
	global_load_dword v3, v[0:1], off
	v_mov_b64_e32 v[4:5], 0
	s_waitcnt vmcnt(0)
	v_cmp_eq_u32_e64 s[2:3], v3, v12
	v_cmp_ne_u32_e32 vcc, v3, v12
	s_and_saveexec_b64 s[4:5], vcc
	s_cbranch_execz .LBB280_68
; %bb.65:                               ;   in Loop: Header=BB280_64 Depth=1
	v_cmp_eq_u32_e64 s[6:7], v3, v17
	v_cmp_ne_u32_e32 vcc, v3, v17
	v_mov_b64_e32 v[4:5], 1
	s_and_saveexec_b64 s[8:9], vcc
; %bb.66:                               ;   in Loop: Header=BB280_64 Depth=1
	v_cmp_eq_u32_e32 vcc, v3, v18
	s_andn2_b64 s[6:7], s[6:7], exec
	s_and_b64 s[10:11], vcc, exec
	v_mov_b64_e32 v[4:5], 2
	s_or_b64 s[6:7], s[6:7], s[10:11]
; %bb.67:                               ;   in Loop: Header=BB280_64 Depth=1
	s_or_b64 exec, exec, s[8:9]
	s_andn2_b64 s[2:3], s[2:3], exec
	s_and_b64 s[6:7], s[6:7], exec
	s_or_b64 s[2:3], s[2:3], s[6:7]
.LBB280_68:                             ;   in Loop: Header=BB280_64 Depth=1
	s_or_b64 exec, exec, s[4:5]
	s_and_saveexec_b64 s[4:5], s[2:3]
	s_cbranch_execz .LBB280_63
; %bb.69:                               ;   in Loop: Header=BB280_64 Depth=1
	v_cmp_eq_u32_e32 vcc, 1, v4
	s_nop 1
	v_cndmask_b32_e32 v3, v13, v14, vcc
	v_cmp_eq_u32_e32 vcc, 2, v4
	s_nop 1
	v_cndmask_b32_e32 v3, v3, v15, vcc
	v_mul_f32_e32 v6, v16, v3
	v_ashrrev_i32_e32 v3, 31, v2
	s_waitcnt lgkmcnt(0)
	v_lshl_add_u64 v[4:5], v[2:3], 2, s[0:1]
	global_store_dword v[4:5], v6, off
	s_branch .LBB280_63
.LBB280_70:
	s_endpgm
	.section	.rodata,"a",@progbits
	.p2align	6, 0x0
	.amdhsa_kernel _ZN4vllm3moe22topkGatingSoftplusSqrtILi3ELi192ELi4ELi2ELi64ELb1Ej6__halfEEvPKT6_PKbPfiPT5_PiiiibdPKfPKS9_SF_
		.amdhsa_group_segment_fixed_size 0
		.amdhsa_private_segment_fixed_size 0
		.amdhsa_kernarg_size 96
		.amdhsa_user_sgpr_count 2
		.amdhsa_user_sgpr_dispatch_ptr 0
		.amdhsa_user_sgpr_queue_ptr 0
		.amdhsa_user_sgpr_kernarg_segment_ptr 1
		.amdhsa_user_sgpr_dispatch_id 0
		.amdhsa_user_sgpr_kernarg_preload_length 0
		.amdhsa_user_sgpr_kernarg_preload_offset 0
		.amdhsa_user_sgpr_private_segment_size 0
		.amdhsa_uses_dynamic_stack 0
		.amdhsa_enable_private_segment 0
		.amdhsa_system_sgpr_workgroup_id_x 1
		.amdhsa_system_sgpr_workgroup_id_y 0
		.amdhsa_system_sgpr_workgroup_id_z 0
		.amdhsa_system_sgpr_workgroup_info 0
		.amdhsa_system_vgpr_workitem_id 1
		.amdhsa_next_free_vgpr 22
		.amdhsa_next_free_sgpr 21
		.amdhsa_accum_offset 24
		.amdhsa_reserve_vcc 1
		.amdhsa_float_round_mode_32 0
		.amdhsa_float_round_mode_16_64 0
		.amdhsa_float_denorm_mode_32 3
		.amdhsa_float_denorm_mode_16_64 3
		.amdhsa_dx10_clamp 1
		.amdhsa_ieee_mode 1
		.amdhsa_fp16_overflow 0
		.amdhsa_tg_split 0
		.amdhsa_exception_fp_ieee_invalid_op 0
		.amdhsa_exception_fp_denorm_src 0
		.amdhsa_exception_fp_ieee_div_zero 0
		.amdhsa_exception_fp_ieee_overflow 0
		.amdhsa_exception_fp_ieee_underflow 0
		.amdhsa_exception_fp_ieee_inexact 0
		.amdhsa_exception_int_div_zero 0
	.end_amdhsa_kernel
	.section	.text._ZN4vllm3moe22topkGatingSoftplusSqrtILi3ELi192ELi4ELi2ELi64ELb1Ej6__halfEEvPKT6_PKbPfiPT5_PiiiibdPKfPKS9_SF_,"axG",@progbits,_ZN4vllm3moe22topkGatingSoftplusSqrtILi3ELi192ELi4ELi2ELi64ELb1Ej6__halfEEvPKT6_PKbPfiPT5_PiiiibdPKfPKS9_SF_,comdat
.Lfunc_end280:
	.size	_ZN4vllm3moe22topkGatingSoftplusSqrtILi3ELi192ELi4ELi2ELi64ELb1Ej6__halfEEvPKT6_PKbPfiPT5_PiiiibdPKfPKS9_SF_, .Lfunc_end280-_ZN4vllm3moe22topkGatingSoftplusSqrtILi3ELi192ELi4ELi2ELi64ELb1Ej6__halfEEvPKT6_PKbPfiPT5_PiiiibdPKfPKS9_SF_
                                        ; -- End function
	.section	.AMDGPU.csdata,"",@progbits
; Kernel info:
; codeLenInByte = 3216
; NumSgprs: 27
; NumVgprs: 22
; NumAgprs: 0
; TotalNumVgprs: 22
; ScratchSize: 0
; MemoryBound: 0
; FloatMode: 240
; IeeeMode: 1
; LDSByteSize: 0 bytes/workgroup (compile time only)
; SGPRBlocks: 3
; VGPRBlocks: 2
; NumSGPRsForWavesPerEU: 27
; NumVGPRsForWavesPerEU: 22
; AccumOffset: 24
; Occupancy: 8
; WaveLimiterHint : 1
; COMPUTE_PGM_RSRC2:SCRATCH_EN: 0
; COMPUTE_PGM_RSRC2:USER_SGPR: 2
; COMPUTE_PGM_RSRC2:TRAP_HANDLER: 0
; COMPUTE_PGM_RSRC2:TGID_X_EN: 1
; COMPUTE_PGM_RSRC2:TGID_Y_EN: 0
; COMPUTE_PGM_RSRC2:TGID_Z_EN: 0
; COMPUTE_PGM_RSRC2:TIDIG_COMP_CNT: 1
; COMPUTE_PGM_RSRC3_GFX90A:ACCUM_OFFSET: 5
; COMPUTE_PGM_RSRC3_GFX90A:TG_SPLIT: 0
	.section	.text._ZN4vllm3moe22topkGatingSoftplusSqrtILi3ELi192ELi4ELi2ELi64ELb0Ej6__halfEEvPKT6_PKbPfiPT5_PiiiibdPKfPKS9_SF_,"axG",@progbits,_ZN4vllm3moe22topkGatingSoftplusSqrtILi3ELi192ELi4ELi2ELi64ELb0Ej6__halfEEvPKT6_PKbPfiPT5_PiiiibdPKfPKS9_SF_,comdat
	.protected	_ZN4vllm3moe22topkGatingSoftplusSqrtILi3ELi192ELi4ELi2ELi64ELb0Ej6__halfEEvPKT6_PKbPfiPT5_PiiiibdPKfPKS9_SF_ ; -- Begin function _ZN4vllm3moe22topkGatingSoftplusSqrtILi3ELi192ELi4ELi2ELi64ELb0Ej6__halfEEvPKT6_PKbPfiPT5_PiiiibdPKfPKS9_SF_
	.globl	_ZN4vllm3moe22topkGatingSoftplusSqrtILi3ELi192ELi4ELi2ELi64ELb0Ej6__halfEEvPKT6_PKbPfiPT5_PiiiibdPKfPKS9_SF_
	.p2align	8
	.type	_ZN4vllm3moe22topkGatingSoftplusSqrtILi3ELi192ELi4ELi2ELi64ELb0Ej6__halfEEvPKT6_PKbPfiPT5_PiiiibdPKfPKS9_SF_,@function
_ZN4vllm3moe22topkGatingSoftplusSqrtILi3ELi192ELi4ELi2ELi64ELb0Ej6__halfEEvPKT6_PKbPfiPT5_PiiiibdPKfPKS9_SF_: ; @_ZN4vllm3moe22topkGatingSoftplusSqrtILi3ELi192ELi4ELi2ELi64ELb0Ej6__halfEEvPKT6_PKbPfiPT5_PiiiibdPKfPKS9_SF_
; %bb.0:
	s_load_dword s30, s[0:1], 0x18
	v_and_b32_e32 v1, 0x3ff, v0
	s_lshl_b32 s2, s2, 2
	v_lshrrev_b32_e32 v2, 6, v1
	v_bfe_u32 v0, v0, 10, 10
	v_add3_u32 v4, s2, v0, v2
	s_waitcnt lgkmcnt(0)
	v_cmp_gt_i32_e32 vcc, s30, v4
	s_and_saveexec_b64 s[2:3], vcc
	s_cbranch_execz .LBB281_55
; %bb.1:
	s_load_dwordx4 s[4:7], s[0:1], 0x0
	s_load_dwordx2 s[20:21], s[0:1], 0x10
	s_waitcnt lgkmcnt(0)
	s_cmp_eq_u64 s[6:7], 0
	s_cbranch_scc1 .LBB281_3
; %bb.2:
	v_ashrrev_i32_e32 v5, 31, v4
	v_lshl_add_u64 v[2:3], s[6:7], 0, v[4:5]
	global_load_ubyte v0, v[2:3], off
	s_waitcnt vmcnt(0)
	v_and_b32_e32 v0, 1, v0
	v_cmp_eq_u32_e32 vcc, 1, v0
	s_xor_b64 s[2:3], vcc, -1
	s_orn2_b64 s[22:23], s[2:3], exec
	s_branch .LBB281_4
.LBB281_3:
	s_mov_b64 s[22:23], -1
.LBB281_4:
	s_movk_i32 s2, 0xc0
	v_mul_lo_u32 v6, v4, s2
	v_mov_b32_e32 v2, s4
	v_mov_b32_e32 v3, s5
	v_ashrrev_i32_e32 v7, 31, v6
	v_lshl_add_u64 v[2:3], v[6:7], 1, v[2:3]
	v_and_b32_e32 v6, 63, v1
	v_mov_b32_e32 v1, 0
	v_lshlrev_b32_e32 v0, 1, v6
	v_lshl_add_u64 v[8:9], v[2:3], 0, v[0:1]
	global_load_ushort v0, v[8:9], off
	global_load_ushort v1, v[8:9], off offset:128
	global_load_ushort v2, v[8:9], off offset:256
	s_mov_b32 s16, 0x800000
	v_mov_b32_e32 v7, 0x4f800000
	s_mov_b32 s7, 0x3f317217
	s_mov_b32 s14, 0x7f800000
	v_mov_b32_e32 v8, 0x41b17218
	s_movk_i32 s6, 0x4d00
	s_mov_b32 s15, 0xf800000
	s_load_dwordx4 s[8:11], s[0:1], 0x40
	s_waitcnt lgkmcnt(0)
	s_cmp_lg_u64 s[10:11], 0
	s_cselect_b64 s[12:13], -1, 0
	s_and_b64 s[2:3], exec, s[12:13]
	s_waitcnt vmcnt(2)
	v_cvt_f32_f16_e32 v9, v0
	v_mul_f32_e32 v3, 0x3fb8aa3b, v9
	v_exp_f32_e32 v3, v3
	s_nop 0
	v_add_f32_e32 v3, 1.0, v3
	v_cmp_gt_f32_e32 vcc, s16, v3
	s_nop 1
	v_cndmask_b32_e32 v5, 1.0, v7, vcc
	v_mul_f32_e32 v3, v3, v5
	v_log_f32_e32 v10, v3
	v_cndmask_b32_e32 v11, 0, v8, vcc
	v_mov_b32_e32 v5, 0x260
	v_lshlrev_b32_e32 v3, 2, v6
	v_mul_f32_e32 v12, 0x3f317217, v10
	v_fma_f32 v12, v10, s7, -v12
	v_fmac_f32_e32 v12, 0x3377d1cf, v10
	v_fmac_f32_e32 v12, 0x3f317217, v10
	v_cmp_lt_f32_e64 vcc, |v10|, s14
	s_nop 1
	v_cndmask_b32_e32 v10, v10, v12, vcc
	v_sub_f32_e32 v10, v10, v11
	v_cmp_lt_f16_e32 vcc, s6, v0
	s_nop 1
	v_cndmask_b32_e32 v0, v10, v9, vcc
	v_mul_f32_e32 v9, 0x4f800000, v0
	v_cmp_gt_f32_e32 vcc, s15, v0
	s_nop 1
	v_cndmask_b32_e32 v0, v0, v9, vcc
	v_sqrt_f32_e32 v9, v0
	s_nop 0
	v_add_u32_e32 v10, -1, v9
	v_add_u32_e32 v11, 1, v9
	v_fma_f32 v12, -v10, v9, v0
	v_fma_f32 v13, -v11, v9, v0
	v_cmp_ge_f32_e64 s[4:5], 0, v12
	s_nop 1
	v_cndmask_b32_e64 v9, v9, v10, s[4:5]
	v_cmp_lt_f32_e64 s[4:5], 0, v13
	s_nop 1
	v_cndmask_b32_e64 v9, v9, v11, s[4:5]
	v_mul_f32_e32 v10, 0x37800000, v9
	v_cndmask_b32_e32 v9, v9, v10, vcc
	v_cmp_class_f32_e32 vcc, v0, v5
	s_nop 1
	v_cndmask_b32_e32 v0, v9, v0, vcc
	s_mov_b64 vcc, s[2:3]
	s_cbranch_vccz .LBB281_6
; %bb.5:
	global_load_dword v9, v3, s[10:11]
	s_waitcnt vmcnt(0)
	v_add_f32_e32 v0, v0, v9
.LBB281_6:
	s_waitcnt vmcnt(1)
	v_cvt_f32_f16_e32 v9, v1
	v_mul_f32_e32 v10, 0x3fb8aa3b, v9
	v_exp_f32_e32 v10, v10
	s_nop 0
	v_add_f32_e32 v10, 1.0, v10
	v_cmp_gt_f32_e32 vcc, s16, v10
	s_nop 1
	v_cndmask_b32_e32 v7, 1.0, v7, vcc
	v_mul_f32_e32 v7, v10, v7
	v_log_f32_e32 v7, v7
	v_cndmask_b32_e32 v8, 0, v8, vcc
	v_mul_f32_e32 v10, 0x3f317217, v7
	v_fma_f32 v10, v7, s7, -v10
	v_fmac_f32_e32 v10, 0x3377d1cf, v7
	v_fmac_f32_e32 v10, 0x3f317217, v7
	v_cmp_lt_f32_e64 vcc, |v7|, s14
	s_nop 1
	v_cndmask_b32_e32 v7, v7, v10, vcc
	v_sub_f32_e32 v7, v7, v8
	v_cmp_lt_f16_e32 vcc, s6, v1
	v_cndmask_b32_e64 v8, 0, 1, s[12:13]
	v_cmp_ne_u32_e64 s[6:7], 1, v8
	v_cndmask_b32_e32 v1, v7, v9, vcc
	v_mul_f32_e32 v7, 0x4f800000, v1
	v_cmp_gt_f32_e64 s[2:3], s15, v1
	s_andn2_b64 vcc, exec, s[12:13]
	s_nop 0
	v_cndmask_b32_e64 v1, v1, v7, s[2:3]
	v_sqrt_f32_e32 v7, v1
	s_nop 0
	v_add_u32_e32 v8, -1, v7
	v_add_u32_e32 v9, 1, v7
	v_fma_f32 v10, -v8, v7, v1
	v_fma_f32 v11, -v9, v7, v1
	v_cmp_ge_f32_e64 s[4:5], 0, v10
	s_nop 1
	v_cndmask_b32_e64 v7, v7, v8, s[4:5]
	v_cmp_lt_f32_e64 s[4:5], 0, v11
	s_nop 1
	v_cndmask_b32_e64 v7, v7, v9, s[4:5]
	v_mul_f32_e32 v8, 0x37800000, v7
	v_cndmask_b32_e64 v7, v7, v8, s[2:3]
	v_cmp_class_f32_e64 s[2:3], v1, v5
	s_nop 1
	v_cndmask_b32_e64 v1, v7, v1, s[2:3]
	s_cbranch_vccnz .LBB281_8
; %bb.7:
	global_load_dword v5, v3, s[10:11] offset:256
	s_waitcnt vmcnt(0)
	v_add_f32_e32 v1, v1, v5
.LBB281_8:
	s_waitcnt vmcnt(0)
	v_cvt_f32_f16_e32 v5, v2
	s_mov_b32 s3, 0x800000
	v_mov_b32_e32 v8, 0x4f800000
	s_mov_b32 s4, 0x3f317217
	v_mul_f32_e32 v7, 0x3fb8aa3b, v5
	v_exp_f32_e32 v7, v7
	s_movk_i32 s2, 0x4d00
	v_add_f32_e32 v7, 1.0, v7
	v_cmp_gt_f32_e32 vcc, s3, v7
	s_mov_b32 s3, 0x7f800000
	s_nop 0
	v_cndmask_b32_e32 v8, 1.0, v8, vcc
	v_mul_f32_e32 v7, v7, v8
	v_log_f32_e32 v7, v7
	v_mov_b32_e32 v8, 0x41b17218
	v_cndmask_b32_e32 v8, 0, v8, vcc
	v_mul_f32_e32 v9, 0x3f317217, v7
	v_fma_f32 v9, v7, s4, -v9
	v_fmamk_f32 v9, v7, 0x3377d1cf, v9
	v_fmac_f32_e32 v9, 0x3f317217, v7
	v_cmp_lt_f32_e64 vcc, |v7|, s3
	s_nop 1
	v_cndmask_b32_e32 v7, v7, v9, vcc
	v_sub_f32_e32 v7, v7, v8
	v_cmp_lt_f16_e32 vcc, s2, v2
	s_mov_b32 s2, 0xf800000
	s_nop 0
	v_cndmask_b32_e32 v2, v7, v5, vcc
	v_mul_f32_e32 v5, 0x4f800000, v2
	v_cmp_gt_f32_e32 vcc, s2, v2
	s_nop 1
	v_cndmask_b32_e32 v2, v2, v5, vcc
	v_sqrt_f32_e32 v5, v2
	s_nop 0
	v_add_u32_e32 v7, -1, v5
	v_fma_f32 v8, -v7, v5, v2
	v_cmp_ge_f32_e64 s[2:3], 0, v8
	v_add_u32_e32 v8, 1, v5
	s_nop 0
	v_cndmask_b32_e64 v7, v5, v7, s[2:3]
	v_fma_f32 v5, -v8, v5, v2
	v_cmp_lt_f32_e64 s[2:3], 0, v5
	s_nop 1
	v_cndmask_b32_e64 v5, v7, v8, s[2:3]
	v_mul_f32_e32 v7, 0x37800000, v5
	v_cndmask_b32_e32 v5, v5, v7, vcc
	v_mov_b32_e32 v7, 0x260
	v_cmp_class_f32_e64 s[2:3], v2, v7
	s_and_b64 vcc, exec, s[6:7]
	s_nop 0
	v_cndmask_b32_e64 v2, v5, v2, s[2:3]
	s_cbranch_vccnz .LBB281_10
; %bb.9:
	global_load_dword v3, v3, s[10:11] offset:512
	s_waitcnt vmcnt(0)
	v_add_f32_e32 v2, v2, v3
.LBB281_10:
	s_load_dwordx4 s[12:15], s[0:1], 0x30
	v_cmp_eq_u32_e64 s[4:5], 0, v6
	s_waitcnt lgkmcnt(0)
	s_bitcmp1_b32 s15, 0
	s_cselect_b64 s[2:3], -1, 0
	s_cmp_gt_i32 s12, 0
	s_cselect_b64 s[24:25], -1, 0
	s_and_b64 vcc, exec, s[24:25]
	s_cbranch_vccz .LBB281_41
; %bb.11:
	v_mbcnt_lo_u32_b32 v3, -1, 0
	v_mbcnt_hi_u32_b32 v3, -1, v3
	v_and_b32_e32 v5, 64, v3
	v_add_u32_e32 v8, 64, v5
	v_xor_b32_e32 v9, 32, v3
	v_cmp_lt_i32_e32 vcc, v9, v8
	s_load_dwordx4 s[16:19], s[0:1], 0x20
	s_mov_b32 s15, 0
	v_cndmask_b32_e32 v9, v3, v9, vcc
	v_lshlrev_b32_e32 v11, 2, v9
	v_xor_b32_e32 v9, 16, v3
	v_cmp_lt_i32_e32 vcc, v9, v8
	v_mul_lo_u32 v5, v4, s12
	v_or_b32_e32 v7, 64, v6
	v_cndmask_b32_e32 v9, v3, v9, vcc
	v_lshlrev_b32_e32 v12, 2, v9
	v_xor_b32_e32 v9, 8, v3
	v_cmp_lt_i32_e32 vcc, v9, v8
	v_or_b32_e32 v10, 0x80, v6
	v_mov_b32_e32 v17, 0xc0
	v_cndmask_b32_e32 v9, v3, v9, vcc
	v_lshlrev_b32_e32 v13, 2, v9
	v_xor_b32_e32 v9, 4, v3
	v_cmp_lt_i32_e32 vcc, v9, v8
	v_mov_b32_e32 v18, 0xc61c4000
	v_mov_b32_e32 v19, v4
	v_cndmask_b32_e32 v9, v3, v9, vcc
	v_lshlrev_b32_e32 v14, 2, v9
	v_xor_b32_e32 v9, 2, v3
	v_cmp_lt_i32_e32 vcc, v9, v8
	s_nop 1
	v_cndmask_b32_e32 v9, v3, v9, vcc
	v_lshlrev_b32_e32 v15, 2, v9
	v_xor_b32_e32 v9, 1, v3
	v_cmp_lt_i32_e32 vcc, v9, v8
	s_nop 1
	v_cndmask_b32_e32 v3, v3, v9, vcc
	v_lshlrev_b32_e32 v16, 2, v3
	v_mov_b32_e32 v3, 0
	s_branch .LBB281_14
.LBB281_12:                             ;   in Loop: Header=BB281_14 Depth=1
	v_add_u32_e32 v22, s15, v5
	v_cmp_le_i32_e32 vcc, s13, v8
	v_cmp_gt_i32_e64 s[0:1], s14, v8
	v_ashrrev_i32_e32 v23, 31, v22
	s_and_b64 s[0:1], vcc, s[0:1]
	v_lshlrev_b64 v[22:23], 2, v[22:23]
	v_lshl_add_u64 v[24:25], s[20:21], 0, v[22:23]
	v_subrev_u32_e32 v9, s13, v8
	s_and_b64 vcc, s[22:23], s[0:1]
	global_store_dword v[24:25], v20, off
	v_cndmask_b32_e32 v9, v17, v9, vcc
	v_lshl_add_u64 v[24:25], s[16:17], 0, v[22:23]
	global_store_dword v[24:25], v9, off
	v_add_f32_e32 v9, v3, v20
	v_lshl_add_u64 v[22:23], s[18:19], 0, v[22:23]
	v_cndmask_b32_e64 v3, v3, v9, s[2:3]
	global_store_dword v[22:23], v19, off
.LBB281_13:                             ;   in Loop: Header=BB281_14 Depth=1
	s_or_b64 exec, exec, s[26:27]
	v_ashrrev_i32_e32 v9, 31, v8
	v_lshrrev_b32_e32 v9, 26, v9
	v_add_u32_e32 v9, v8, v9
	v_ashrrev_i32_e32 v20, 6, v9
	v_and_b32_e32 v9, 0xffffffc0, v9
	s_add_i32 s15, s15, 1
	v_sub_u32_e32 v8, v8, v9
	v_cmp_ne_u32_e64 s[0:1], 0, v20
	s_cmp_lt_i32 s15, s12
	v_cmp_eq_u32_e32 vcc, v6, v8
	v_cndmask_b32_e64 v8, v18, v0, s[0:1]
	v_cmp_ne_u32_e64 s[0:1], 1, v20
	s_cselect_b64 s[26:27], -1, 0
	s_and_b64 vcc, s[26:27], vcc
	v_cndmask_b32_e64 v9, v18, v1, s[0:1]
	v_cmp_ne_u32_e64 s[0:1], 2, v20
	v_cndmask_b32_e32 v1, v1, v9, vcc
	v_cndmask_b32_e32 v0, v0, v8, vcc
	v_cndmask_b32_e64 v20, v18, v2, s[0:1]
	v_cndmask_b32_e32 v2, v2, v20, vcc
	s_cmp_eq_u32 s12, s15
	v_add_u32_e32 v19, s30, v19
	s_cbranch_scc1 .LBB281_42
.LBB281_14:                             ; =>This Inner Loop Header: Depth=1
	v_cmp_gt_f32_e32 vcc, v1, v0
	s_nop 1
	v_cndmask_b32_e32 v9, v0, v1, vcc
	v_cndmask_b32_e32 v8, v6, v7, vcc
	v_cmp_gt_f32_e32 vcc, v2, v9
	s_nop 1
	v_cndmask_b32_e32 v20, v9, v2, vcc
	v_cndmask_b32_e32 v8, v8, v10, vcc
	ds_bpermute_b32 v9, v11, v20
	s_waitcnt lgkmcnt(0)
	ds_bpermute_b32 v21, v11, v8
	s_waitcnt lgkmcnt(0)
	v_cmp_lt_f32_e64 s[26:27], v20, v9
	v_cmp_nlt_f32_e32 vcc, v20, v9
	s_and_saveexec_b64 s[28:29], vcc
; %bb.15:                               ;   in Loop: Header=BB281_14 Depth=1
	v_cmp_eq_f32_e32 vcc, v20, v9
	v_cmp_lt_i32_e64 s[0:1], v21, v8
	s_and_b64 s[0:1], vcc, s[0:1]
	s_andn2_b64 s[26:27], s[26:27], exec
	s_and_b64 s[0:1], s[0:1], exec
	s_or_b64 s[26:27], s[26:27], s[0:1]
; %bb.16:                               ;   in Loop: Header=BB281_14 Depth=1
	s_or_b64 exec, exec, s[28:29]
	s_and_saveexec_b64 s[0:1], s[26:27]
; %bb.17:                               ;   in Loop: Header=BB281_14 Depth=1
	v_mov_b32_e32 v20, v9
	v_mov_b32_e32 v8, v21
; %bb.18:                               ;   in Loop: Header=BB281_14 Depth=1
	s_or_b64 exec, exec, s[0:1]
	ds_bpermute_b32 v9, v12, v20
	ds_bpermute_b32 v21, v12, v8
	s_waitcnt lgkmcnt(1)
	v_cmp_lt_f32_e64 s[26:27], v20, v9
	v_cmp_nlt_f32_e32 vcc, v20, v9
	s_and_saveexec_b64 s[28:29], vcc
	s_cbranch_execz .LBB281_20
; %bb.19:                               ;   in Loop: Header=BB281_14 Depth=1
	v_cmp_eq_f32_e32 vcc, v20, v9
	s_waitcnt lgkmcnt(0)
	v_cmp_lt_i32_e64 s[0:1], v21, v8
	s_and_b64 s[0:1], vcc, s[0:1]
	s_andn2_b64 s[26:27], s[26:27], exec
	s_and_b64 s[0:1], s[0:1], exec
	s_or_b64 s[26:27], s[26:27], s[0:1]
.LBB281_20:                             ;   in Loop: Header=BB281_14 Depth=1
	s_or_b64 exec, exec, s[28:29]
	s_and_saveexec_b64 s[0:1], s[26:27]
	s_cbranch_execz .LBB281_22
; %bb.21:                               ;   in Loop: Header=BB281_14 Depth=1
	v_mov_b32_e32 v20, v9
	s_waitcnt lgkmcnt(0)
	v_mov_b32_e32 v8, v21
.LBB281_22:                             ;   in Loop: Header=BB281_14 Depth=1
	s_or_b64 exec, exec, s[0:1]
	ds_bpermute_b32 v9, v13, v20
	s_waitcnt lgkmcnt(1)
	ds_bpermute_b32 v21, v13, v8
	s_waitcnt lgkmcnt(1)
	v_cmp_lt_f32_e64 s[26:27], v20, v9
	v_cmp_nlt_f32_e32 vcc, v20, v9
	s_and_saveexec_b64 s[28:29], vcc
	s_cbranch_execz .LBB281_24
; %bb.23:                               ;   in Loop: Header=BB281_14 Depth=1
	v_cmp_eq_f32_e32 vcc, v20, v9
	s_waitcnt lgkmcnt(0)
	v_cmp_lt_i32_e64 s[0:1], v21, v8
	s_and_b64 s[0:1], vcc, s[0:1]
	s_andn2_b64 s[26:27], s[26:27], exec
	s_and_b64 s[0:1], s[0:1], exec
	s_or_b64 s[26:27], s[26:27], s[0:1]
.LBB281_24:                             ;   in Loop: Header=BB281_14 Depth=1
	s_or_b64 exec, exec, s[28:29]
	s_and_saveexec_b64 s[0:1], s[26:27]
	s_cbranch_execz .LBB281_26
; %bb.25:                               ;   in Loop: Header=BB281_14 Depth=1
	v_mov_b32_e32 v20, v9
	s_waitcnt lgkmcnt(0)
	v_mov_b32_e32 v8, v21
.LBB281_26:                             ;   in Loop: Header=BB281_14 Depth=1
	s_or_b64 exec, exec, s[0:1]
	ds_bpermute_b32 v9, v14, v20
	s_waitcnt lgkmcnt(1)
	;; [unrolled: 26-line block ×4, first 2 shown]
	ds_bpermute_b32 v21, v16, v8
	s_waitcnt lgkmcnt(1)
	v_cmp_lt_f32_e64 s[26:27], v20, v9
	v_cmp_nlt_f32_e32 vcc, v20, v9
	s_and_saveexec_b64 s[28:29], vcc
	s_cbranch_execnz .LBB281_37
; %bb.35:                               ;   in Loop: Header=BB281_14 Depth=1
	s_or_b64 exec, exec, s[28:29]
	s_and_saveexec_b64 s[0:1], s[26:27]
	s_cbranch_execnz .LBB281_38
.LBB281_36:                             ;   in Loop: Header=BB281_14 Depth=1
	s_or_b64 exec, exec, s[0:1]
	s_and_saveexec_b64 s[26:27], s[4:5]
	s_cbranch_execz .LBB281_13
	s_branch .LBB281_39
.LBB281_37:                             ;   in Loop: Header=BB281_14 Depth=1
	v_cmp_eq_f32_e32 vcc, v20, v9
	s_waitcnt lgkmcnt(0)
	v_cmp_lt_i32_e64 s[0:1], v21, v8
	s_and_b64 s[0:1], vcc, s[0:1]
	s_andn2_b64 s[26:27], s[26:27], exec
	s_and_b64 s[0:1], s[0:1], exec
	s_or_b64 s[26:27], s[26:27], s[0:1]
	s_or_b64 exec, exec, s[28:29]
	s_and_saveexec_b64 s[0:1], s[26:27]
	s_cbranch_execz .LBB281_36
.LBB281_38:                             ;   in Loop: Header=BB281_14 Depth=1
	s_waitcnt lgkmcnt(0)
	v_mov_b32_e32 v8, v21
	v_mov_b32_e32 v20, v9
	s_or_b64 exec, exec, s[0:1]
	s_and_saveexec_b64 s[26:27], s[4:5]
	s_cbranch_execz .LBB281_13
.LBB281_39:                             ;   in Loop: Header=BB281_14 Depth=1
	s_and_b64 vcc, exec, s[6:7]
	s_cbranch_vccnz .LBB281_12
; %bb.40:                               ;   in Loop: Header=BB281_14 Depth=1
	v_ashrrev_i32_e32 v9, 31, v8
	v_lshl_add_u64 v[22:23], v[8:9], 2, s[10:11]
	global_load_dword v9, v[22:23], off
	s_waitcnt vmcnt(0)
	v_sub_f32_e32 v20, v20, v9
	s_branch .LBB281_12
.LBB281_41:
	v_mov_b32_e32 v3, 0
.LBB281_42:
	v_cmp_eq_u32_e32 vcc, 0, v6
	s_and_b64 exec, exec, vcc
	s_cbranch_execz .LBB281_55
; %bb.43:
	s_andn2_b64 vcc, exec, s[2:3]
	v_cvt_f32_f64_e32 v0, s[8:9]
	s_cbranch_vccnz .LBB281_45
; %bb.44:
	v_cmp_lt_f32_e32 vcc, 0, v3
	s_nop 1
	v_cndmask_b32_e32 v1, 1.0, v3, vcc
	v_div_scale_f32 v2, s[0:1], v1, v1, v0
	v_rcp_f32_e32 v3, v2
	s_nop 0
	v_fma_f32 v5, -v2, v3, 1.0
	v_fmac_f32_e32 v3, v5, v3
	v_div_scale_f32 v5, vcc, v0, v1, v0
	v_mul_f32_e32 v6, v5, v3
	v_fma_f32 v7, -v2, v6, v5
	v_fmac_f32_e32 v6, v7, v3
	v_fma_f32 v2, -v2, v6, v5
	v_div_fmas_f32 v2, v2, v3, v6
	v_div_fixup_f32 v0, v2, v1, v0
.LBB281_45:
	s_andn2_b64 vcc, exec, s[24:25]
	s_cbranch_vccnz .LBB281_55
; %bb.46:
	v_mul_lo_u32 v2, v4, s12
	s_cmp_gt_u32 s12, 3
	v_ashrrev_i32_e32 v3, 31, v2
	s_cbranch_scc0 .LBB281_50
; %bb.47:
	s_and_b32 s0, s12, 0x7ffffffc
	v_lshl_add_u64 v[4:5], v[2:3], 2, s[20:21]
	v_mov_b32_e32 v1, v0
	v_lshl_add_u64 v[4:5], v[4:5], 0, 8
	s_mov_b32 s1, s0
.LBB281_48:                             ; =>This Inner Loop Header: Depth=1
	global_load_dwordx4 v[6:9], v[4:5], off offset:-8
	s_add_i32 s1, s1, -4
	s_cmp_lg_u32 s1, 0
	s_waitcnt vmcnt(0)
	v_pk_mul_f32 v[6:7], v[0:1], v[6:7]
	v_pk_mul_f32 v[8:9], v[0:1], v[8:9]
	global_store_dwordx4 v[4:5], v[6:9], off offset:-8
	v_lshl_add_u64 v[4:5], v[4:5], 0, 16
	s_cbranch_scc1 .LBB281_48
; %bb.49:
	s_cmp_lg_u32 s0, s12
	s_cselect_b64 s[2:3], -1, 0
	s_branch .LBB281_52
.LBB281_50:
	s_mov_b64 s[2:3], 0
                                        ; implicit-def: $sgpr0
	s_cbranch_execz .LBB281_52
; %bb.51:
	s_mov_b64 s[2:3], -1
	s_mov_b32 s0, 0
.LBB281_52:
	s_andn2_b64 vcc, exec, s[2:3]
	s_cbranch_vccnz .LBB281_55
; %bb.53:
	s_mov_b32 s1, 0
	v_lshl_add_u64 v[2:3], v[2:3], 0, s[0:1]
	s_sub_i32 s2, s12, s0
	v_lshl_add_u64 v[2:3], v[2:3], 2, s[20:21]
.LBB281_54:                             ; =>This Inner Loop Header: Depth=1
	global_load_dword v1, v[2:3], off
	s_add_i32 s2, s2, -1
	s_cmp_lg_u32 s2, 0
	s_waitcnt vmcnt(0)
	v_mul_f32_e32 v1, v0, v1
	global_store_dword v[2:3], v1, off
	v_lshl_add_u64 v[2:3], v[2:3], 0, 4
	s_cbranch_scc1 .LBB281_54
.LBB281_55:
	s_endpgm
	.section	.rodata,"a",@progbits
	.p2align	6, 0x0
	.amdhsa_kernel _ZN4vllm3moe22topkGatingSoftplusSqrtILi3ELi192ELi4ELi2ELi64ELb0Ej6__halfEEvPKT6_PKbPfiPT5_PiiiibdPKfPKS9_SF_
		.amdhsa_group_segment_fixed_size 0
		.amdhsa_private_segment_fixed_size 0
		.amdhsa_kernarg_size 96
		.amdhsa_user_sgpr_count 2
		.amdhsa_user_sgpr_dispatch_ptr 0
		.amdhsa_user_sgpr_queue_ptr 0
		.amdhsa_user_sgpr_kernarg_segment_ptr 1
		.amdhsa_user_sgpr_dispatch_id 0
		.amdhsa_user_sgpr_kernarg_preload_length 0
		.amdhsa_user_sgpr_kernarg_preload_offset 0
		.amdhsa_user_sgpr_private_segment_size 0
		.amdhsa_uses_dynamic_stack 0
		.amdhsa_enable_private_segment 0
		.amdhsa_system_sgpr_workgroup_id_x 1
		.amdhsa_system_sgpr_workgroup_id_y 0
		.amdhsa_system_sgpr_workgroup_id_z 0
		.amdhsa_system_sgpr_workgroup_info 0
		.amdhsa_system_vgpr_workitem_id 1
		.amdhsa_next_free_vgpr 26
		.amdhsa_next_free_sgpr 31
		.amdhsa_accum_offset 28
		.amdhsa_reserve_vcc 1
		.amdhsa_float_round_mode_32 0
		.amdhsa_float_round_mode_16_64 0
		.amdhsa_float_denorm_mode_32 3
		.amdhsa_float_denorm_mode_16_64 3
		.amdhsa_dx10_clamp 1
		.amdhsa_ieee_mode 1
		.amdhsa_fp16_overflow 0
		.amdhsa_tg_split 0
		.amdhsa_exception_fp_ieee_invalid_op 0
		.amdhsa_exception_fp_denorm_src 0
		.amdhsa_exception_fp_ieee_div_zero 0
		.amdhsa_exception_fp_ieee_overflow 0
		.amdhsa_exception_fp_ieee_underflow 0
		.amdhsa_exception_fp_ieee_inexact 0
		.amdhsa_exception_int_div_zero 0
	.end_amdhsa_kernel
	.section	.text._ZN4vllm3moe22topkGatingSoftplusSqrtILi3ELi192ELi4ELi2ELi64ELb0Ej6__halfEEvPKT6_PKbPfiPT5_PiiiibdPKfPKS9_SF_,"axG",@progbits,_ZN4vllm3moe22topkGatingSoftplusSqrtILi3ELi192ELi4ELi2ELi64ELb0Ej6__halfEEvPKT6_PKbPfiPT5_PiiiibdPKfPKS9_SF_,comdat
.Lfunc_end281:
	.size	_ZN4vllm3moe22topkGatingSoftplusSqrtILi3ELi192ELi4ELi2ELi64ELb0Ej6__halfEEvPKT6_PKbPfiPT5_PiiiibdPKfPKS9_SF_, .Lfunc_end281-_ZN4vllm3moe22topkGatingSoftplusSqrtILi3ELi192ELi4ELi2ELi64ELb0Ej6__halfEEvPKT6_PKbPfiPT5_PiiiibdPKfPKS9_SF_
                                        ; -- End function
	.section	.AMDGPU.csdata,"",@progbits
; Kernel info:
; codeLenInByte = 2672
; NumSgprs: 37
; NumVgprs: 26
; NumAgprs: 0
; TotalNumVgprs: 26
; ScratchSize: 0
; MemoryBound: 0
; FloatMode: 240
; IeeeMode: 1
; LDSByteSize: 0 bytes/workgroup (compile time only)
; SGPRBlocks: 4
; VGPRBlocks: 3
; NumSGPRsForWavesPerEU: 37
; NumVGPRsForWavesPerEU: 26
; AccumOffset: 28
; Occupancy: 8
; WaveLimiterHint : 1
; COMPUTE_PGM_RSRC2:SCRATCH_EN: 0
; COMPUTE_PGM_RSRC2:USER_SGPR: 2
; COMPUTE_PGM_RSRC2:TRAP_HANDLER: 0
; COMPUTE_PGM_RSRC2:TGID_X_EN: 1
; COMPUTE_PGM_RSRC2:TGID_Y_EN: 0
; COMPUTE_PGM_RSRC2:TGID_Z_EN: 0
; COMPUTE_PGM_RSRC2:TIDIG_COMP_CNT: 1
; COMPUTE_PGM_RSRC3_GFX90A:ACCUM_OFFSET: 6
; COMPUTE_PGM_RSRC3_GFX90A:TG_SPLIT: 0
	.section	.text._ZN4vllm3moe22topkGatingSoftplusSqrtILi6ELi192ELi4ELi2ELi32ELb1Ej6__halfEEvPKT6_PKbPfiPT5_PiiiibdPKfPKS9_SF_,"axG",@progbits,_ZN4vllm3moe22topkGatingSoftplusSqrtILi6ELi192ELi4ELi2ELi32ELb1Ej6__halfEEvPKT6_PKbPfiPT5_PiiiibdPKfPKS9_SF_,comdat
	.protected	_ZN4vllm3moe22topkGatingSoftplusSqrtILi6ELi192ELi4ELi2ELi32ELb1Ej6__halfEEvPKT6_PKbPfiPT5_PiiiibdPKfPKS9_SF_ ; -- Begin function _ZN4vllm3moe22topkGatingSoftplusSqrtILi6ELi192ELi4ELi2ELi32ELb1Ej6__halfEEvPKT6_PKbPfiPT5_PiiiibdPKfPKS9_SF_
	.globl	_ZN4vllm3moe22topkGatingSoftplusSqrtILi6ELi192ELi4ELi2ELi32ELb1Ej6__halfEEvPKT6_PKbPfiPT5_PiiiibdPKfPKS9_SF_
	.p2align	8
	.type	_ZN4vllm3moe22topkGatingSoftplusSqrtILi6ELi192ELi4ELi2ELi32ELb1Ej6__halfEEvPKT6_PKbPfiPT5_PiiiibdPKfPKS9_SF_,@function
_ZN4vllm3moe22topkGatingSoftplusSqrtILi6ELi192ELi4ELi2ELi32ELb1Ej6__halfEEvPKT6_PKbPfiPT5_PiiiibdPKfPKS9_SF_: ; @_ZN4vllm3moe22topkGatingSoftplusSqrtILi6ELi192ELi4ELi2ELi32ELb1Ej6__halfEEvPKT6_PKbPfiPT5_PiiiibdPKfPKS9_SF_
; %bb.0:
	s_load_dword s3, s[0:1], 0x18
	v_and_b32_e32 v1, 0x3ff, v0
	s_lshl_b32 s2, s2, 2
	v_lshrrev_b32_e32 v2, 5, v1
	v_bfe_u32 v0, v0, 10, 10
	v_add3_u32 v0, s2, v0, v2
	s_waitcnt lgkmcnt(0)
	v_cmp_gt_i32_e32 vcc, s3, v0
	s_and_saveexec_b64 s[2:3], vcc
	s_cbranch_execz .LBB282_32
; %bb.1:
	s_load_dwordx2 s[2:3], s[0:1], 0x0
	s_load_dword s24, s[0:1], 0x30
	s_load_dwordx4 s[8:11], s[0:1], 0x50
	s_movk_i32 s4, 0xc0
	v_mul_lo_u32 v2, v0, s4
	v_ashrrev_i32_e32 v3, 31, v2
	v_and_b32_e32 v10, 31, v1
	s_waitcnt lgkmcnt(0)
	v_lshl_add_u64 v[2:3], v[2:3], 1, s[2:3]
	v_lshlrev_b32_e32 v4, 1, v10
	v_mov_b32_e32 v5, 0
	v_lshl_add_u64 v[2:3], v[2:3], 0, v[4:5]
	global_load_ushort v6, v[2:3], off
	global_load_ushort v7, v[2:3], off offset:64
	global_load_ushort v8, v[2:3], off offset:128
	;; [unrolled: 1-line block ×5, first 2 shown]
	v_mov_b32_e32 v2, s8
	v_mov_b32_e32 v3, s9
	v_ashrrev_i32_e32 v1, 31, v0
	v_lshl_add_u64 v[2:3], v[0:1], 2, v[2:3]
	global_load_dword v1, v[2:3], off
	s_mov_b32 s14, 0x800000
	v_mov_b32_e32 v2, 0x4f800000
	s_mov_b32 s12, 0x3f317217
	s_mov_b32 s15, 0x7f800000
	v_mov_b32_e32 v3, 0x41b17218
	s_movk_i32 s9, 0x4d00
	s_mov_b32 s13, 0xf800000
	v_mov_b32_e32 v16, 0x260
	s_cmp_gt_i32 s24, 0
	s_mov_b32 s8, 0
	v_mul_lo_u32 v0, v0, s24
	s_waitcnt vmcnt(6)
	v_cvt_f32_f16_e32 v11, v6
	s_waitcnt vmcnt(5)
	v_cvt_f32_f16_e32 v12, v7
	;; [unrolled: 2-line block ×4, first 2 shown]
	v_mul_f32_e32 v4, 0x3fb8aa3b, v11
	v_mul_f32_e32 v20, 0x3fb8aa3b, v12
	v_exp_f32_e32 v22, v4
	v_mul_f32_e32 v21, 0x3fb8aa3b, v13
	v_exp_f32_e32 v20, v20
	v_exp_f32_e32 v21, v21
	s_waitcnt vmcnt(0)
	v_mul_lo_u32 v4, v1, s24
	v_add_f32_e32 v1, 1.0, v22
	v_add_f32_e32 v20, 1.0, v20
	v_cmp_gt_f32_e32 vcc, s14, v1
	v_add_f32_e32 v21, 1.0, v21
	v_cmp_gt_f32_e64 s[2:3], s14, v20
	v_cndmask_b32_e32 v22, 1.0, v2, vcc
	v_cmp_gt_f32_e64 s[4:5], s14, v21
	v_cndmask_b32_e64 v23, 1.0, v2, s[2:3]
	v_mul_f32_e32 v1, v1, v22
	v_cndmask_b32_e64 v24, 1.0, v2, s[4:5]
	v_mul_f32_e32 v20, v20, v23
	v_log_f32_e32 v1, v1
	v_mul_f32_e32 v21, v21, v24
	v_log_f32_e32 v20, v20
	v_log_f32_e32 v21, v21
	v_mul_f32_e32 v25, 0x3f317217, v1
	v_fma_f32 v25, v1, s12, -v25
	v_mul_f32_e32 v26, 0x3f317217, v20
	v_mul_f32_e32 v27, 0x3f317217, v21
	v_fma_f32 v26, v20, s12, -v26
	v_fmac_f32_e32 v25, 0x3377d1cf, v1
	v_cndmask_b32_e32 v22, 0, v3, vcc
	v_fma_f32 v27, v21, s12, -v27
	v_fmac_f32_e32 v26, 0x3377d1cf, v20
	v_fmac_f32_e32 v25, 0x3f317217, v1
	v_cmp_lt_f32_e64 vcc, |v1|, s15
	v_fmac_f32_e32 v27, 0x3377d1cf, v21
	v_fmac_f32_e32 v26, 0x3f317217, v20
	v_cndmask_b32_e32 v1, v1, v25, vcc
	v_cmp_lt_f32_e64 vcc, |v20|, s15
	v_fmac_f32_e32 v27, 0x3f317217, v21
	v_cndmask_b32_e64 v23, 0, v3, s[2:3]
	v_cndmask_b32_e32 v20, v20, v26, vcc
	v_cmp_lt_f32_e64 vcc, |v21|, s15
	v_sub_f32_e32 v1, v1, v22
	v_cndmask_b32_e64 v24, 0, v3, s[4:5]
	v_cndmask_b32_e32 v21, v21, v27, vcc
	v_cmp_lt_f16_e32 vcc, s9, v6
	v_sub_f32_e32 v20, v20, v23
	v_sub_f32_e32 v21, v21, v24
	v_cndmask_b32_e32 v1, v1, v11, vcc
	v_cmp_lt_f16_e32 vcc, s9, v7
	v_cvt_f32_f16_e32 v18, v14
	v_cvt_f32_f16_e32 v19, v15
	v_cndmask_b32_e32 v6, v20, v12, vcc
	v_cmp_lt_f16_e32 vcc, s9, v8
	v_mul_f32_e32 v8, 0x4f800000, v1
	v_mul_f32_e32 v11, 0x4f800000, v6
	v_cndmask_b32_e32 v7, v21, v13, vcc
	v_cmp_gt_f32_e32 vcc, s13, v1
	v_cmp_gt_f32_e64 s[2:3], s13, v6
	v_mul_f32_e32 v12, 0x4f800000, v7
	v_cndmask_b32_e32 v1, v1, v8, vcc
	v_cndmask_b32_e64 v6, v6, v11, s[2:3]
	v_sqrt_f32_e32 v8, v1
	v_sqrt_f32_e32 v11, v6
	v_cmp_gt_f32_e64 s[4:5], s13, v7
	v_add_u32_e32 v20, 1, v8
	s_nop 0
	v_cndmask_b32_e64 v7, v7, v12, s[4:5]
	v_add_u32_e32 v12, -1, v8
	v_add_u32_e32 v21, -1, v11
	v_fma_f32 v23, -v12, v8, v1
	v_fma_f32 v25, -v21, v11, v6
	v_cmp_ge_f32_e64 s[6:7], 0, v23
	v_add_u32_e32 v22, 1, v11
	v_fma_f32 v24, -v20, v8, v1
	v_cndmask_b32_e64 v8, v8, v12, s[6:7]
	v_cmp_ge_f32_e64 s[6:7], 0, v25
	v_fma_f32 v26, -v22, v11, v6
	v_sqrt_f32_e32 v13, v7
	v_cndmask_b32_e64 v11, v11, v21, s[6:7]
	v_cmp_lt_f32_e64 s[6:7], 0, v24
	s_nop 1
	v_cndmask_b32_e64 v8, v8, v20, s[6:7]
	v_cmp_lt_f32_e64 s[6:7], 0, v26
	v_mul_f32_e32 v12, 0x37800000, v8
	v_cndmask_b32_e32 v8, v8, v12, vcc
	v_cndmask_b32_e64 v11, v11, v22, s[6:7]
	v_mul_f32_e32 v20, 0x37800000, v11
	v_cmp_class_f32_e32 vcc, v1, v16
	v_cndmask_b32_e64 v12, v11, v20, s[2:3]
	s_nop 0
	v_cndmask_b32_e32 v11, v8, v1, vcc
	v_mul_f32_e32 v8, 0x3fb8aa3b, v17
	v_exp_f32_e32 v8, v8
	v_cmp_class_f32_e32 vcc, v6, v16
	v_add_u32_e32 v1, -1, v13
	v_add_f32_e32 v8, 1.0, v8
	v_cndmask_b32_e32 v12, v12, v6, vcc
	v_fma_f32 v6, -v1, v13, v7
	v_cmp_ge_f32_e32 vcc, 0, v6
	v_add_u32_e32 v6, 1, v13
	s_nop 0
	v_cndmask_b32_e32 v1, v13, v1, vcc
	v_cmp_gt_f32_e32 vcc, s14, v8
	v_fma_f32 v13, -v6, v13, v7
	v_cmp_lt_f32_e64 s[2:3], 0, v13
	v_cndmask_b32_e32 v20, 1.0, v2, vcc
	v_mul_f32_e32 v8, v8, v20
	v_log_f32_e32 v8, v8
	v_cndmask_b32_e64 v1, v1, v6, s[2:3]
	v_mul_f32_e32 v6, 0x37800000, v1
	v_cndmask_b32_e64 v1, v1, v6, s[4:5]
	v_mul_f32_e32 v13, 0x3f317217, v8
	v_fma_f32 v13, v8, s12, -v13
	v_fmac_f32_e32 v13, 0x3377d1cf, v8
	v_fmac_f32_e32 v13, 0x3f317217, v8
	v_cmp_lt_f32_e64 s[2:3], |v8|, s15
	s_nop 1
	v_cndmask_b32_e64 v8, v8, v13, s[2:3]
	v_cndmask_b32_e32 v13, 0, v3, vcc
	v_sub_f32_e32 v8, v8, v13
	v_cmp_lt_f16_e32 vcc, s9, v9
	v_cmp_class_f32_e64 s[2:3], v7, v16
	s_nop 0
	v_cndmask_b32_e32 v8, v8, v17, vcc
	v_mul_f32_e32 v9, 0x4f800000, v8
	v_cmp_gt_f32_e32 vcc, s13, v8
	v_cndmask_b32_e64 v13, v1, v7, s[2:3]
	v_mul_f32_e32 v7, 0x3fb8aa3b, v18
	v_cndmask_b32_e32 v8, v8, v9, vcc
	v_sqrt_f32_e32 v9, v8
	v_exp_f32_e32 v7, v7
	v_add_u32_e32 v1, -1, v9
	v_fma_f32 v6, -v1, v9, v8
	v_cmp_ge_f32_e64 s[2:3], 0, v6
	v_add_f32_e32 v7, 1.0, v7
	v_add_u32_e32 v6, 1, v9
	v_cndmask_b32_e64 v1, v9, v1, s[2:3]
	v_cmp_gt_f32_e64 s[2:3], s14, v7
	v_fma_f32 v9, -v6, v9, v8
	v_cmp_lt_f32_e64 s[4:5], 0, v9
	v_cndmask_b32_e64 v17, 1.0, v2, s[2:3]
	v_mul_f32_e32 v7, v7, v17
	v_log_f32_e32 v7, v7
	v_cndmask_b32_e64 v1, v1, v6, s[4:5]
	v_mul_f32_e32 v6, 0x37800000, v1
	v_cndmask_b32_e32 v1, v1, v6, vcc
	v_mul_f32_e32 v9, 0x3f317217, v7
	v_fma_f32 v9, v7, s12, -v9
	v_fmac_f32_e32 v9, 0x3377d1cf, v7
	v_fmac_f32_e32 v9, 0x3f317217, v7
	v_cmp_lt_f32_e64 s[4:5], |v7|, s15
	v_cmp_class_f32_e32 vcc, v8, v16
	s_nop 0
	v_cndmask_b32_e64 v7, v7, v9, s[4:5]
	v_cndmask_b32_e64 v9, 0, v3, s[2:3]
	v_sub_f32_e32 v7, v7, v9
	v_cmp_lt_f16_e64 s[2:3], s9, v14
	v_cndmask_b32_e32 v14, v1, v8, vcc
	v_mul_f32_e32 v8, 0x3fb8aa3b, v19
	v_cndmask_b32_e64 v7, v7, v18, s[2:3]
	v_mul_f32_e32 v9, 0x4f800000, v7
	v_cmp_gt_f32_e64 s[2:3], s13, v7
	v_exp_f32_e32 v8, v8
	s_nop 0
	v_cndmask_b32_e64 v7, v7, v9, s[2:3]
	v_sqrt_f32_e32 v9, v7
	v_add_f32_e32 v8, 1.0, v8
	v_add_u32_e32 v1, -1, v9
	v_fma_f32 v6, -v1, v9, v7
	v_cmp_ge_f32_e32 vcc, 0, v6
	v_add_u32_e32 v6, 1, v9
	s_nop 0
	v_cndmask_b32_e32 v1, v9, v1, vcc
	v_cmp_gt_f32_e32 vcc, s14, v8
	v_fma_f32 v9, -v6, v9, v7
	v_cmp_lt_f32_e64 s[4:5], 0, v9
	v_cndmask_b32_e32 v2, 1.0, v2, vcc
	v_mul_f32_e32 v2, v8, v2
	v_log_f32_e32 v2, v2
	v_cndmask_b32_e64 v1, v1, v6, s[4:5]
	v_cndmask_b32_e32 v3, 0, v3, vcc
	v_cmp_lt_f16_e32 vcc, s9, v15
	v_mul_f32_e32 v8, 0x3f317217, v2
	v_fma_f32 v8, v2, s12, -v8
	v_fmac_f32_e32 v8, 0x3377d1cf, v2
	v_fmac_f32_e32 v8, 0x3f317217, v2
	v_cmp_lt_f32_e64 s[4:5], |v2|, s15
	v_mul_f32_e32 v6, 0x37800000, v1
	v_cndmask_b32_e64 v1, v1, v6, s[2:3]
	v_cndmask_b32_e64 v2, v2, v8, s[4:5]
	v_sub_f32_e32 v2, v2, v3
	v_cndmask_b32_e32 v2, v2, v19, vcc
	v_mul_f32_e32 v3, 0x4f800000, v2
	v_cmp_gt_f32_e32 vcc, s13, v2
	v_cmp_class_f32_e64 s[2:3], v7, v16
	s_cselect_b64 s[4:5], -1, 0
	v_cndmask_b32_e32 v2, v2, v3, vcc
	v_sqrt_f32_e32 v3, v2
	v_cndmask_b32_e64 v15, v1, v7, s[2:3]
	s_cmp_lt_i32 s24, 1
	v_add_u32_e32 v1, -1, v3
	v_fma_f32 v6, -v1, v3, v2
	v_cmp_ge_f32_e64 s[2:3], 0, v6
	v_add_u32_e32 v6, 1, v3
	s_nop 0
	v_cndmask_b32_e64 v1, v3, v1, s[2:3]
	v_fma_f32 v3, -v6, v3, v2
	v_cmp_lt_f32_e64 s[2:3], 0, v3
	s_nop 1
	v_cndmask_b32_e64 v1, v1, v6, s[2:3]
	v_mul_f32_e32 v3, 0x37800000, v1
	v_cndmask_b32_e32 v1, v1, v3, vcc
	v_cmp_class_f32_e32 vcc, v2, v16
	s_nop 1
	v_cndmask_b32_e32 v16, v1, v2, vcc
	v_lshl_add_u64 v[2:3], v[4:5], 2, s[10:11]
	s_cbranch_scc1 .LBB282_29
; %bb.2:
	s_load_dwordx2 s[6:7], s[0:1], 0x20
	s_cmp_lt_u32 s24, 4
	s_cbranch_scc1 .LBB282_21
; %bb.3:
	s_mov_b32 s11, 0
	s_and_b32 s8, s24, 0x7ffffffc
	v_ashrrev_i32_e32 v1, 31, v0
	v_mov_b32_e32 v5, 0
	s_mov_b32 s10, s11
	s_branch .LBB282_5
.LBB282_4:                              ;   in Loop: Header=BB282_5 Depth=1
	s_or_b64 exec, exec, s[12:13]
	s_add_i32 s10, s10, 4
	s_cmp_eq_u32 s10, s8
	s_cbranch_scc1 .LBB282_22
.LBB282_5:                              ; =>This Loop Header: Depth=1
                                        ;     Child Loop BB282_7 Depth 2
                                        ;     Child Loop BB282_11 Depth 2
	;; [unrolled: 1-line block ×4, first 2 shown]
	v_lshl_add_u64 v[6:7], s[10:11], 2, v[2:3]
	global_load_dword v4, v[6:7], off
	v_add_u32_e32 v8, s10, v0
	v_ashrrev_i32_e32 v9, 31, v8
	s_waitcnt lgkmcnt(0)
	v_lshl_add_u64 v[8:9], v[8:9], 2, s[6:7]
	s_mov_b64 s[12:13], 0
	v_mov_b32_e32 v17, v10
	s_mov_b64 s[14:15], 0
	s_waitcnt vmcnt(0)
	s_branch .LBB282_7
.LBB282_6:                              ;   in Loop: Header=BB282_7 Depth=2
	s_or_b64 exec, exec, s[16:17]
	s_cmp_gt_u32 s14, 4
	s_cselect_b64 s[2:3], -1, 0
	s_xor_b64 s[16:17], vcc, -1
	s_or_b64 s[2:3], s[16:17], s[2:3]
	s_add_u32 s14, s14, 1
	s_addc_u32 s15, s15, 0
	s_and_b64 s[2:3], exec, s[2:3]
	s_or_b64 s[12:13], s[2:3], s[12:13]
	v_add_u32_e32 v17, 32, v17
	s_andn2_b64 exec, exec, s[12:13]
	s_cbranch_execz .LBB282_9
.LBB282_7:                              ;   Parent Loop BB282_5 Depth=1
                                        ; =>  This Inner Loop Header: Depth=2
	v_cmp_ne_u32_e32 vcc, v4, v17
	v_cmp_eq_u32_e64 s[2:3], v4, v17
	s_and_saveexec_b64 s[16:17], s[2:3]
	s_cbranch_execz .LBB282_6
; %bb.8:                                ;   in Loop: Header=BB282_7 Depth=2
	s_cmp_eq_u32 s14, 1
	s_cselect_b64 s[2:3], -1, 0
	s_cmp_eq_u32 s14, 2
	v_cndmask_b32_e64 v18, v11, v12, s[2:3]
	s_cselect_b64 s[2:3], -1, 0
	s_cmp_eq_u32 s14, 3
	v_cndmask_b32_e64 v18, v18, v13, s[2:3]
	;; [unrolled: 3-line block ×4, first 2 shown]
	s_cselect_b64 s[2:3], -1, 0
	v_cndmask_b32_e64 v18, v18, v16, s[2:3]
	v_add_f32_e32 v5, v5, v18
	global_store_dword v[8:9], v4, off
	s_branch .LBB282_6
.LBB282_9:                              ;   in Loop: Header=BB282_5 Depth=1
	s_or_b64 exec, exec, s[12:13]
	global_load_dword v4, v[6:7], off offset:4
	s_ashr_i32 s3, s10, 31
	s_mov_b32 s2, s10
	v_lshl_add_u64 v[8:9], s[2:3], 0, v[0:1]
	v_lshl_add_u64 v[8:9], v[8:9], 2, s[6:7]
	s_mov_b64 s[12:13], 0
	v_mov_b32_e32 v17, v10
	s_mov_b64 s[14:15], 0
	s_waitcnt vmcnt(0)
	s_branch .LBB282_11
.LBB282_10:                             ;   in Loop: Header=BB282_11 Depth=2
	s_or_b64 exec, exec, s[16:17]
	s_cmp_gt_u32 s14, 4
	s_cselect_b64 s[2:3], -1, 0
	s_xor_b64 s[16:17], vcc, -1
	s_or_b64 s[2:3], s[16:17], s[2:3]
	s_add_u32 s14, s14, 1
	s_addc_u32 s15, s15, 0
	s_and_b64 s[2:3], exec, s[2:3]
	s_or_b64 s[12:13], s[2:3], s[12:13]
	v_add_u32_e32 v17, 32, v17
	s_andn2_b64 exec, exec, s[12:13]
	s_cbranch_execz .LBB282_13
.LBB282_11:                             ;   Parent Loop BB282_5 Depth=1
                                        ; =>  This Inner Loop Header: Depth=2
	v_cmp_ne_u32_e32 vcc, v4, v17
	v_cmp_eq_u32_e64 s[2:3], v4, v17
	s_and_saveexec_b64 s[16:17], s[2:3]
	s_cbranch_execz .LBB282_10
; %bb.12:                               ;   in Loop: Header=BB282_11 Depth=2
	s_cmp_eq_u32 s14, 1
	s_cselect_b64 s[2:3], -1, 0
	s_cmp_eq_u32 s14, 2
	v_cndmask_b32_e64 v18, v11, v12, s[2:3]
	s_cselect_b64 s[2:3], -1, 0
	s_cmp_eq_u32 s14, 3
	v_cndmask_b32_e64 v18, v18, v13, s[2:3]
	;; [unrolled: 3-line block ×4, first 2 shown]
	s_cselect_b64 s[2:3], -1, 0
	v_cndmask_b32_e64 v18, v18, v16, s[2:3]
	v_add_f32_e32 v5, v5, v18
	global_store_dword v[8:9], v4, off offset:4
	s_branch .LBB282_10
.LBB282_13:                             ;   in Loop: Header=BB282_5 Depth=1
	s_or_b64 exec, exec, s[12:13]
	global_load_dword v4, v[6:7], off offset:8
	s_mov_b64 s[12:13], 0
	v_mov_b32_e32 v17, v10
	s_mov_b64 s[14:15], 0
	s_waitcnt vmcnt(0)
	s_branch .LBB282_15
.LBB282_14:                             ;   in Loop: Header=BB282_15 Depth=2
	s_or_b64 exec, exec, s[16:17]
	s_cmp_gt_u32 s14, 4
	s_cselect_b64 s[2:3], -1, 0
	s_xor_b64 s[16:17], vcc, -1
	s_or_b64 s[2:3], s[16:17], s[2:3]
	s_add_u32 s14, s14, 1
	s_addc_u32 s15, s15, 0
	s_and_b64 s[2:3], exec, s[2:3]
	s_or_b64 s[12:13], s[2:3], s[12:13]
	v_add_u32_e32 v17, 32, v17
	s_andn2_b64 exec, exec, s[12:13]
	s_cbranch_execz .LBB282_17
.LBB282_15:                             ;   Parent Loop BB282_5 Depth=1
                                        ; =>  This Inner Loop Header: Depth=2
	v_cmp_ne_u32_e32 vcc, v4, v17
	v_cmp_eq_u32_e64 s[2:3], v4, v17
	s_and_saveexec_b64 s[16:17], s[2:3]
	s_cbranch_execz .LBB282_14
; %bb.16:                               ;   in Loop: Header=BB282_15 Depth=2
	s_cmp_eq_u32 s14, 1
	s_cselect_b64 s[2:3], -1, 0
	s_cmp_eq_u32 s14, 2
	v_cndmask_b32_e64 v18, v11, v12, s[2:3]
	s_cselect_b64 s[2:3], -1, 0
	s_cmp_eq_u32 s14, 3
	v_cndmask_b32_e64 v18, v18, v13, s[2:3]
	;; [unrolled: 3-line block ×4, first 2 shown]
	s_cselect_b64 s[2:3], -1, 0
	v_cndmask_b32_e64 v18, v18, v16, s[2:3]
	v_add_f32_e32 v5, v5, v18
	global_store_dword v[8:9], v4, off offset:8
	s_branch .LBB282_14
.LBB282_17:                             ;   in Loop: Header=BB282_5 Depth=1
	s_or_b64 exec, exec, s[12:13]
	global_load_dword v4, v[6:7], off offset:12
	s_mov_b64 s[12:13], 0
	v_mov_b32_e32 v6, v10
	s_mov_b64 s[14:15], 0
	s_waitcnt vmcnt(0)
	s_branch .LBB282_19
.LBB282_18:                             ;   in Loop: Header=BB282_19 Depth=2
	s_or_b64 exec, exec, s[16:17]
	s_cmp_gt_u32 s14, 4
	s_cselect_b64 s[2:3], -1, 0
	s_xor_b64 s[16:17], vcc, -1
	s_or_b64 s[2:3], s[16:17], s[2:3]
	s_add_u32 s14, s14, 1
	s_addc_u32 s15, s15, 0
	s_and_b64 s[2:3], exec, s[2:3]
	s_or_b64 s[12:13], s[2:3], s[12:13]
	v_add_u32_e32 v6, 32, v6
	s_andn2_b64 exec, exec, s[12:13]
	s_cbranch_execz .LBB282_4
.LBB282_19:                             ;   Parent Loop BB282_5 Depth=1
                                        ; =>  This Inner Loop Header: Depth=2
	v_cmp_ne_u32_e32 vcc, v4, v6
	v_cmp_eq_u32_e64 s[2:3], v4, v6
	s_and_saveexec_b64 s[16:17], s[2:3]
	s_cbranch_execz .LBB282_18
; %bb.20:                               ;   in Loop: Header=BB282_19 Depth=2
	s_cmp_eq_u32 s14, 1
	s_cselect_b64 s[2:3], -1, 0
	s_cmp_eq_u32 s14, 2
	v_cndmask_b32_e64 v7, v11, v12, s[2:3]
	s_cselect_b64 s[2:3], -1, 0
	s_cmp_eq_u32 s14, 3
	v_cndmask_b32_e64 v7, v7, v13, s[2:3]
	;; [unrolled: 3-line block ×4, first 2 shown]
	s_cselect_b64 s[2:3], -1, 0
	v_cndmask_b32_e64 v7, v7, v16, s[2:3]
	v_add_f32_e32 v5, v5, v7
	global_store_dword v[8:9], v4, off offset:12
	s_branch .LBB282_18
.LBB282_21:
	v_mov_b32_e32 v5, 0
.LBB282_22:
	s_and_b32 s16, s24, 3
	s_cmp_eq_u32 s16, 0
	s_mov_b32 s9, 0
	s_cbranch_scc1 .LBB282_29
; %bb.23:
	s_mov_b32 s17, s9
	s_branch .LBB282_25
.LBB282_24:                             ;   in Loop: Header=BB282_25 Depth=1
	s_or_b64 exec, exec, s[10:11]
	s_add_i32 s8, s8, 1
	s_add_i32 s17, s17, 1
	s_cmp_lg_u32 s17, s16
	s_cbranch_scc0 .LBB282_29
.LBB282_25:                             ; =>This Loop Header: Depth=1
                                        ;     Child Loop BB282_27 Depth 2
	v_lshl_add_u64 v[6:7], s[8:9], 2, v[2:3]
	global_load_dword v1, v[6:7], off
	v_add_u32_e32 v6, s8, v0
	v_ashrrev_i32_e32 v7, 31, v6
	s_waitcnt lgkmcnt(0)
	v_lshl_add_u64 v[6:7], v[6:7], 2, s[6:7]
	s_mov_b64 s[10:11], 0
	v_mov_b32_e32 v4, v10
	s_mov_b64 s[12:13], 0
	s_waitcnt vmcnt(0)
	s_branch .LBB282_27
.LBB282_26:                             ;   in Loop: Header=BB282_27 Depth=2
	s_or_b64 exec, exec, s[14:15]
	s_cmp_gt_u32 s12, 4
	s_cselect_b64 s[2:3], -1, 0
	s_xor_b64 s[14:15], vcc, -1
	s_or_b64 s[2:3], s[14:15], s[2:3]
	s_add_u32 s12, s12, 1
	s_addc_u32 s13, s13, 0
	s_and_b64 s[2:3], exec, s[2:3]
	s_or_b64 s[10:11], s[2:3], s[10:11]
	v_add_u32_e32 v4, 32, v4
	s_andn2_b64 exec, exec, s[10:11]
	s_cbranch_execz .LBB282_24
.LBB282_27:                             ;   Parent Loop BB282_25 Depth=1
                                        ; =>  This Inner Loop Header: Depth=2
	v_cmp_ne_u32_e32 vcc, v1, v4
	v_cmp_eq_u32_e64 s[2:3], v1, v4
	s_and_saveexec_b64 s[14:15], s[2:3]
	s_cbranch_execz .LBB282_26
; %bb.28:                               ;   in Loop: Header=BB282_27 Depth=2
	s_cmp_eq_u32 s12, 1
	s_cselect_b64 s[2:3], -1, 0
	s_cmp_eq_u32 s12, 2
	v_cndmask_b32_e64 v8, v11, v12, s[2:3]
	s_cselect_b64 s[2:3], -1, 0
	s_cmp_eq_u32 s12, 3
	v_cndmask_b32_e64 v8, v8, v13, s[2:3]
	;; [unrolled: 3-line block ×4, first 2 shown]
	s_cselect_b64 s[2:3], -1, 0
	v_cndmask_b32_e64 v8, v8, v16, s[2:3]
	v_add_f32_e32 v5, v5, v8
	global_store_dword v[6:7], v1, off
	s_branch .LBB282_26
.LBB282_29:
	s_waitcnt lgkmcnt(0)
	s_load_dword s6, s[0:1], 0x3c
	s_waitcnt lgkmcnt(0)
	s_bitcmp1_b32 s6, 0
	s_cselect_b64 s[2:3], -1, 0
	s_bitcmp0_b32 s6, 0
	s_cbranch_scc0 .LBB282_33
; %bb.30:
	s_load_dwordx2 s[6:7], s[0:1], 0x40
	s_andn2_b64 vcc, exec, s[2:3]
	s_waitcnt lgkmcnt(0)
	v_cvt_f32_f64_e32 v17, s[6:7]
	s_cbranch_vccz .LBB282_34
.LBB282_31:
	s_andn2_b64 vcc, exec, s[4:5]
	s_cbranch_vccz .LBB282_35
.LBB282_32:
	s_endpgm
.LBB282_33:
	v_mbcnt_lo_u32_b32 v1, -1, 0
	v_mbcnt_hi_u32_b32 v1, -1, v1
	v_and_b32_e32 v4, 0x60, v1
	v_add_u32_e32 v4, 32, v4
	v_xor_b32_e32 v6, 16, v1
	v_cmp_lt_i32_e32 vcc, v6, v4
	v_xor_b32_e32 v7, 8, v1
	s_nop 0
	v_cndmask_b32_e32 v6, v1, v6, vcc
	v_lshlrev_b32_e32 v6, 2, v6
	ds_bpermute_b32 v6, v6, v5
	v_cmp_lt_i32_e32 vcc, v7, v4
	s_waitcnt lgkmcnt(0)
	v_add_f32_e32 v5, v5, v6
	v_cndmask_b32_e32 v6, v1, v7, vcc
	v_lshlrev_b32_e32 v6, 2, v6
	ds_bpermute_b32 v6, v6, v5
	v_xor_b32_e32 v7, 4, v1
	v_cmp_lt_i32_e32 vcc, v7, v4
	s_waitcnt lgkmcnt(0)
	v_add_f32_e32 v5, v5, v6
	v_cndmask_b32_e32 v6, v1, v7, vcc
	v_lshlrev_b32_e32 v6, 2, v6
	ds_bpermute_b32 v6, v6, v5
	v_xor_b32_e32 v7, 2, v1
	;; [unrolled: 7-line block ×3, first 2 shown]
	v_cmp_lt_i32_e32 vcc, v7, v4
	s_waitcnt lgkmcnt(0)
	v_add_f32_e32 v5, v5, v6
	v_cndmask_b32_e32 v1, v1, v7, vcc
	v_lshlrev_b32_e32 v1, 2, v1
	ds_bpermute_b32 v1, v1, v5
	s_waitcnt lgkmcnt(0)
	v_add_f32_e32 v5, v5, v1
	s_load_dwordx2 s[6:7], s[0:1], 0x40
	s_andn2_b64 vcc, exec, s[2:3]
	s_waitcnt lgkmcnt(0)
	v_cvt_f32_f64_e32 v17, s[6:7]
	s_cbranch_vccnz .LBB282_31
.LBB282_34:
	v_cmp_lt_f32_e32 vcc, 0, v5
	s_nop 1
	v_cndmask_b32_e32 v1, 1.0, v5, vcc
	v_div_scale_f32 v4, s[2:3], v1, v1, v17
	v_rcp_f32_e32 v5, v4
	s_nop 0
	v_fma_f32 v6, -v4, v5, 1.0
	v_fmac_f32_e32 v5, v6, v5
	v_div_scale_f32 v6, vcc, v17, v1, v17
	v_mul_f32_e32 v7, v6, v5
	v_fma_f32 v8, -v4, v7, v6
	v_fmac_f32_e32 v7, v8, v5
	v_fma_f32 v4, -v4, v7, v6
	v_div_fmas_f32 v4, v4, v5, v7
	v_div_fixup_f32 v17, v4, v1, v17
	s_andn2_b64 vcc, exec, s[4:5]
	s_cbranch_vccnz .LBB282_32
.LBB282_35:
	s_load_dwordx2 s[8:9], s[0:1], 0x10
	v_or_b32_e32 v22, 32, v10
	v_or_b32_e32 v21, 64, v10
	;; [unrolled: 1-line block ×5, first 2 shown]
	s_cmp_eq_u32 s24, 1
	s_mov_b32 s10, 0
	s_cbranch_scc1 .LBB282_62
; %bb.36:
	v_ashrrev_i32_e32 v1, 31, v0
	s_waitcnt lgkmcnt(0)
	v_lshl_add_u64 v[4:5], v[0:1], 2, s[8:9]
	s_and_b32 s10, s24, 0x7ffffffe
	v_lshl_add_u64 v[4:5], v[4:5], 0, 4
	v_lshl_add_u64 v[6:7], v[2:3], 0, 4
	s_mov_b32 s11, 0
	s_branch .LBB282_38
.LBB282_37:                             ;   in Loop: Header=BB282_38 Depth=1
	s_or_b64 exec, exec, s[0:1]
	s_add_i32 s11, s11, 2
	v_lshl_add_u64 v[4:5], v[4:5], 0, 8
	s_cmp_lg_u32 s10, s11
	v_lshl_add_u64 v[6:7], v[6:7], 0, 8
	s_cbranch_scc0 .LBB282_62
.LBB282_38:                             ; =>This Inner Loop Header: Depth=1
	global_load_dword v1, v[6:7], off offset:-4
	v_mov_b64_e32 v[8:9], 0
	s_waitcnt vmcnt(0)
	v_cmp_eq_u32_e32 vcc, v1, v10
	v_cmp_ne_u32_e64 s[0:1], v1, v10
	s_and_saveexec_b64 s[12:13], s[0:1]
	s_cbranch_execz .LBB282_48
; %bb.39:                               ;   in Loop: Header=BB282_38 Depth=1
	v_cmp_eq_u32_e64 s[0:1], v1, v22
	v_cmp_ne_u32_e64 s[2:3], v1, v22
	v_mov_b64_e32 v[8:9], 1
	s_and_saveexec_b64 s[14:15], s[2:3]
	s_cbranch_execz .LBB282_47
; %bb.40:                               ;   in Loop: Header=BB282_38 Depth=1
	v_cmp_eq_u32_e64 s[2:3], v1, v21
	v_cmp_ne_u32_e64 s[4:5], v1, v21
	v_mov_b64_e32 v[8:9], 2
	;; [unrolled: 6-line block ×4, first 2 shown]
	s_and_saveexec_b64 s[22:23], s[6:7]
	s_xor_b64 s[22:23], exec, s[22:23]
; %bb.43:                               ;   in Loop: Header=BB282_38 Depth=1
	v_cmp_eq_u32_e64 s[6:7], v1, v18
	s_andn2_b64 s[20:21], s[20:21], exec
	s_and_b64 s[6:7], s[6:7], exec
	v_mov_b64_e32 v[8:9], 5
	s_or_b64 s[20:21], s[20:21], s[6:7]
; %bb.44:                               ;   in Loop: Header=BB282_38 Depth=1
	s_or_b64 exec, exec, s[22:23]
	s_andn2_b64 s[4:5], s[4:5], exec
	s_and_b64 s[6:7], s[20:21], exec
	s_or_b64 s[4:5], s[4:5], s[6:7]
.LBB282_45:                             ;   in Loop: Header=BB282_38 Depth=1
	s_or_b64 exec, exec, s[18:19]
	s_andn2_b64 s[2:3], s[2:3], exec
	s_and_b64 s[4:5], s[4:5], exec
	s_or_b64 s[2:3], s[2:3], s[4:5]
.LBB282_46:                             ;   in Loop: Header=BB282_38 Depth=1
	s_or_b64 exec, exec, s[16:17]
	s_andn2_b64 s[0:1], s[0:1], exec
	s_and_b64 s[2:3], s[2:3], exec
	s_or_b64 s[0:1], s[0:1], s[2:3]
.LBB282_47:                             ;   in Loop: Header=BB282_38 Depth=1
	s_or_b64 exec, exec, s[14:15]
	s_andn2_b64 s[2:3], vcc, exec
	s_and_b64 s[0:1], s[0:1], exec
	s_or_b64 vcc, s[2:3], s[0:1]
.LBB282_48:                             ;   in Loop: Header=BB282_38 Depth=1
	s_or_b64 exec, exec, s[12:13]
	s_and_saveexec_b64 s[0:1], vcc
	s_cbranch_execz .LBB282_50
; %bb.49:                               ;   in Loop: Header=BB282_38 Depth=1
	v_cmp_eq_u32_e32 vcc, 1, v8
	v_add_u32_e32 v24, s11, v0
	v_ashrrev_i32_e32 v25, 31, v24
	v_cndmask_b32_e32 v1, v11, v12, vcc
	v_cmp_eq_u32_e32 vcc, 2, v8
	s_nop 1
	v_cndmask_b32_e32 v1, v1, v13, vcc
	v_cmp_eq_u32_e32 vcc, 3, v8
	s_nop 1
	;; [unrolled: 3-line block ×3, first 2 shown]
	v_cndmask_b32_e32 v1, v1, v15, vcc
	v_cmp_eq_u32_e32 vcc, 5, v8
	v_lshl_add_u64 v[8:9], v[24:25], 2, s[8:9]
	s_nop 0
	v_cndmask_b32_e32 v1, v1, v16, vcc
	v_mul_f32_e32 v1, v17, v1
	global_store_dword v[8:9], v1, off
.LBB282_50:                             ;   in Loop: Header=BB282_38 Depth=1
	s_or_b64 exec, exec, s[0:1]
	global_load_dword v1, v[6:7], off
	v_mov_b64_e32 v[8:9], 0
	s_waitcnt vmcnt(0)
	v_cmp_eq_u32_e64 s[4:5], v1, v10
	v_cmp_ne_u32_e32 vcc, v1, v10
	s_and_saveexec_b64 s[6:7], vcc
	s_cbranch_execz .LBB282_60
; %bb.51:                               ;   in Loop: Header=BB282_38 Depth=1
	v_cmp_eq_u32_e32 vcc, v1, v22
	v_cmp_ne_u32_e64 s[0:1], v1, v22
	v_mov_b64_e32 v[8:9], 1
	s_and_saveexec_b64 s[12:13], s[0:1]
	s_cbranch_execz .LBB282_59
; %bb.52:                               ;   in Loop: Header=BB282_38 Depth=1
	v_cmp_eq_u32_e64 s[0:1], v1, v21
	v_cmp_ne_u32_e64 s[2:3], v1, v21
	v_mov_b64_e32 v[8:9], 2
	s_and_saveexec_b64 s[14:15], s[2:3]
	s_cbranch_execz .LBB282_58
; %bb.53:                               ;   in Loop: Header=BB282_38 Depth=1
	v_cmp_eq_u32_e64 s[16:17], v1, v20
	;; [unrolled: 6-line block ×3, first 2 shown]
	v_cmp_ne_u32_e64 s[2:3], v1, v19
	v_mov_b64_e32 v[8:9], 4
	s_and_saveexec_b64 s[22:23], s[2:3]
; %bb.55:                               ;   in Loop: Header=BB282_38 Depth=1
	v_cmp_eq_u32_e64 s[2:3], v1, v18
	s_andn2_b64 s[20:21], s[20:21], exec
	s_and_b64 s[2:3], s[2:3], exec
	v_mov_b64_e32 v[8:9], 5
	s_or_b64 s[20:21], s[20:21], s[2:3]
; %bb.56:                               ;   in Loop: Header=BB282_38 Depth=1
	s_or_b64 exec, exec, s[22:23]
	s_andn2_b64 s[2:3], s[16:17], exec
	s_and_b64 s[16:17], s[20:21], exec
	s_or_b64 s[16:17], s[2:3], s[16:17]
.LBB282_57:                             ;   in Loop: Header=BB282_38 Depth=1
	s_or_b64 exec, exec, s[18:19]
	s_andn2_b64 s[0:1], s[0:1], exec
	s_and_b64 s[2:3], s[16:17], exec
	s_or_b64 s[0:1], s[0:1], s[2:3]
.LBB282_58:                             ;   in Loop: Header=BB282_38 Depth=1
	s_or_b64 exec, exec, s[14:15]
	s_andn2_b64 s[2:3], vcc, exec
	s_and_b64 s[0:1], s[0:1], exec
	s_or_b64 vcc, s[2:3], s[0:1]
.LBB282_59:                             ;   in Loop: Header=BB282_38 Depth=1
	s_or_b64 exec, exec, s[12:13]
	s_andn2_b64 s[0:1], s[4:5], exec
	s_and_b64 s[2:3], vcc, exec
	s_or_b64 s[4:5], s[0:1], s[2:3]
.LBB282_60:                             ;   in Loop: Header=BB282_38 Depth=1
	s_or_b64 exec, exec, s[6:7]
	s_and_saveexec_b64 s[0:1], s[4:5]
	s_cbranch_execz .LBB282_37
; %bb.61:                               ;   in Loop: Header=BB282_38 Depth=1
	v_cmp_eq_u32_e32 vcc, 1, v8
	s_nop 1
	v_cndmask_b32_e32 v1, v11, v12, vcc
	v_cmp_eq_u32_e32 vcc, 2, v8
	s_nop 1
	v_cndmask_b32_e32 v1, v1, v13, vcc
	;; [unrolled: 3-line block ×5, first 2 shown]
	v_mul_f32_e32 v1, v17, v1
	global_store_dword v[4:5], v1, off
	s_branch .LBB282_37
.LBB282_62:
	s_bitcmp0_b32 s24, 0
	s_mov_b32 s11, 0
	s_cbranch_scc1 .LBB282_32
; %bb.63:
	v_lshl_add_u64 v[2:3], s[10:11], 2, v[2:3]
	global_load_dword v1, v[2:3], off
	v_mov_b64_e32 v[2:3], 0
	s_waitcnt vmcnt(0)
	v_cmp_eq_u32_e64 s[4:5], v1, v10
	v_cmp_ne_u32_e32 vcc, v1, v10
	s_and_saveexec_b64 s[6:7], vcc
	s_cbranch_execz .LBB282_73
; %bb.64:
	v_cmp_eq_u32_e32 vcc, v1, v22
	v_cmp_ne_u32_e64 s[0:1], v1, v22
	v_mov_b64_e32 v[2:3], 1
	s_and_saveexec_b64 s[12:13], s[0:1]
	s_cbranch_execz .LBB282_72
; %bb.65:
	v_cmp_eq_u32_e64 s[0:1], v1, v21
	v_cmp_ne_u32_e64 s[2:3], v1, v21
	v_mov_b64_e32 v[2:3], 2
	s_and_saveexec_b64 s[14:15], s[2:3]
	s_cbranch_execz .LBB282_71
; %bb.66:
	v_cmp_eq_u32_e64 s[16:17], v1, v20
	;; [unrolled: 6-line block ×3, first 2 shown]
	v_cmp_ne_u32_e64 s[2:3], v1, v19
	v_mov_b64_e32 v[2:3], 4
	s_and_saveexec_b64 s[22:23], s[2:3]
; %bb.68:
	v_cmp_eq_u32_e64 s[2:3], v1, v18
	s_andn2_b64 s[20:21], s[20:21], exec
	s_and_b64 s[2:3], s[2:3], exec
	v_mov_b64_e32 v[2:3], 5
	s_or_b64 s[20:21], s[20:21], s[2:3]
; %bb.69:
	s_or_b64 exec, exec, s[22:23]
	s_andn2_b64 s[2:3], s[16:17], exec
	s_and_b64 s[16:17], s[20:21], exec
	s_or_b64 s[16:17], s[2:3], s[16:17]
.LBB282_70:
	s_or_b64 exec, exec, s[18:19]
	s_andn2_b64 s[0:1], s[0:1], exec
	s_and_b64 s[2:3], s[16:17], exec
	s_or_b64 s[0:1], s[0:1], s[2:3]
.LBB282_71:
	s_or_b64 exec, exec, s[14:15]
	s_andn2_b64 s[2:3], vcc, exec
	s_and_b64 s[0:1], s[0:1], exec
	s_or_b64 vcc, s[2:3], s[0:1]
.LBB282_72:
	s_or_b64 exec, exec, s[12:13]
	s_andn2_b64 s[0:1], s[4:5], exec
	s_and_b64 s[2:3], vcc, exec
	s_or_b64 s[4:5], s[0:1], s[2:3]
.LBB282_73:
	s_or_b64 exec, exec, s[6:7]
	s_and_b64 exec, exec, s[4:5]
	s_cbranch_execz .LBB282_32
; %bb.74:
	v_cmp_eq_u32_e32 vcc, 1, v2
	v_add_u32_e32 v0, s10, v0
	s_nop 0
	v_cndmask_b32_e32 v1, v11, v12, vcc
	v_cmp_eq_u32_e32 vcc, 2, v2
	s_nop 1
	v_cndmask_b32_e32 v1, v1, v13, vcc
	v_cmp_eq_u32_e32 vcc, 3, v2
	;; [unrolled: 3-line block ×4, first 2 shown]
	s_nop 1
	v_cndmask_b32_e32 v1, v1, v16, vcc
	v_mul_f32_e32 v2, v17, v1
	v_ashrrev_i32_e32 v1, 31, v0
	s_waitcnt lgkmcnt(0)
	v_lshl_add_u64 v[0:1], v[0:1], 2, s[8:9]
	global_store_dword v[0:1], v2, off
	s_endpgm
	.section	.rodata,"a",@progbits
	.p2align	6, 0x0
	.amdhsa_kernel _ZN4vllm3moe22topkGatingSoftplusSqrtILi6ELi192ELi4ELi2ELi32ELb1Ej6__halfEEvPKT6_PKbPfiPT5_PiiiibdPKfPKS9_SF_
		.amdhsa_group_segment_fixed_size 0
		.amdhsa_private_segment_fixed_size 0
		.amdhsa_kernarg_size 96
		.amdhsa_user_sgpr_count 2
		.amdhsa_user_sgpr_dispatch_ptr 0
		.amdhsa_user_sgpr_queue_ptr 0
		.amdhsa_user_sgpr_kernarg_segment_ptr 1
		.amdhsa_user_sgpr_dispatch_id 0
		.amdhsa_user_sgpr_kernarg_preload_length 0
		.amdhsa_user_sgpr_kernarg_preload_offset 0
		.amdhsa_user_sgpr_private_segment_size 0
		.amdhsa_uses_dynamic_stack 0
		.amdhsa_enable_private_segment 0
		.amdhsa_system_sgpr_workgroup_id_x 1
		.amdhsa_system_sgpr_workgroup_id_y 0
		.amdhsa_system_sgpr_workgroup_id_z 0
		.amdhsa_system_sgpr_workgroup_info 0
		.amdhsa_system_vgpr_workitem_id 1
		.amdhsa_next_free_vgpr 28
		.amdhsa_next_free_sgpr 25
		.amdhsa_accum_offset 28
		.amdhsa_reserve_vcc 1
		.amdhsa_float_round_mode_32 0
		.amdhsa_float_round_mode_16_64 0
		.amdhsa_float_denorm_mode_32 3
		.amdhsa_float_denorm_mode_16_64 3
		.amdhsa_dx10_clamp 1
		.amdhsa_ieee_mode 1
		.amdhsa_fp16_overflow 0
		.amdhsa_tg_split 0
		.amdhsa_exception_fp_ieee_invalid_op 0
		.amdhsa_exception_fp_denorm_src 0
		.amdhsa_exception_fp_ieee_div_zero 0
		.amdhsa_exception_fp_ieee_overflow 0
		.amdhsa_exception_fp_ieee_underflow 0
		.amdhsa_exception_fp_ieee_inexact 0
		.amdhsa_exception_int_div_zero 0
	.end_amdhsa_kernel
	.section	.text._ZN4vllm3moe22topkGatingSoftplusSqrtILi6ELi192ELi4ELi2ELi32ELb1Ej6__halfEEvPKT6_PKbPfiPT5_PiiiibdPKfPKS9_SF_,"axG",@progbits,_ZN4vllm3moe22topkGatingSoftplusSqrtILi6ELi192ELi4ELi2ELi32ELb1Ej6__halfEEvPKT6_PKbPfiPT5_PiiiibdPKfPKS9_SF_,comdat
.Lfunc_end282:
	.size	_ZN4vllm3moe22topkGatingSoftplusSqrtILi6ELi192ELi4ELi2ELi32ELb1Ej6__halfEEvPKT6_PKbPfiPT5_PiiiibdPKfPKS9_SF_, .Lfunc_end282-_ZN4vllm3moe22topkGatingSoftplusSqrtILi6ELi192ELi4ELi2ELi32ELb1Ej6__halfEEvPKT6_PKbPfiPT5_PiiiibdPKfPKS9_SF_
                                        ; -- End function
	.section	.AMDGPU.csdata,"",@progbits
; Kernel info:
; codeLenInByte = 4300
; NumSgprs: 31
; NumVgprs: 28
; NumAgprs: 0
; TotalNumVgprs: 28
; ScratchSize: 0
; MemoryBound: 0
; FloatMode: 240
; IeeeMode: 1
; LDSByteSize: 0 bytes/workgroup (compile time only)
; SGPRBlocks: 3
; VGPRBlocks: 3
; NumSGPRsForWavesPerEU: 31
; NumVGPRsForWavesPerEU: 28
; AccumOffset: 28
; Occupancy: 8
; WaveLimiterHint : 1
; COMPUTE_PGM_RSRC2:SCRATCH_EN: 0
; COMPUTE_PGM_RSRC2:USER_SGPR: 2
; COMPUTE_PGM_RSRC2:TRAP_HANDLER: 0
; COMPUTE_PGM_RSRC2:TGID_X_EN: 1
; COMPUTE_PGM_RSRC2:TGID_Y_EN: 0
; COMPUTE_PGM_RSRC2:TGID_Z_EN: 0
; COMPUTE_PGM_RSRC2:TIDIG_COMP_CNT: 1
; COMPUTE_PGM_RSRC3_GFX90A:ACCUM_OFFSET: 6
; COMPUTE_PGM_RSRC3_GFX90A:TG_SPLIT: 0
	.section	.text._ZN4vllm3moe22topkGatingSoftplusSqrtILi6ELi192ELi4ELi2ELi32ELb0Ej6__halfEEvPKT6_PKbPfiPT5_PiiiibdPKfPKS9_SF_,"axG",@progbits,_ZN4vllm3moe22topkGatingSoftplusSqrtILi6ELi192ELi4ELi2ELi32ELb0Ej6__halfEEvPKT6_PKbPfiPT5_PiiiibdPKfPKS9_SF_,comdat
	.protected	_ZN4vllm3moe22topkGatingSoftplusSqrtILi6ELi192ELi4ELi2ELi32ELb0Ej6__halfEEvPKT6_PKbPfiPT5_PiiiibdPKfPKS9_SF_ ; -- Begin function _ZN4vllm3moe22topkGatingSoftplusSqrtILi6ELi192ELi4ELi2ELi32ELb0Ej6__halfEEvPKT6_PKbPfiPT5_PiiiibdPKfPKS9_SF_
	.globl	_ZN4vllm3moe22topkGatingSoftplusSqrtILi6ELi192ELi4ELi2ELi32ELb0Ej6__halfEEvPKT6_PKbPfiPT5_PiiiibdPKfPKS9_SF_
	.p2align	8
	.type	_ZN4vllm3moe22topkGatingSoftplusSqrtILi6ELi192ELi4ELi2ELi32ELb0Ej6__halfEEvPKT6_PKbPfiPT5_PiiiibdPKfPKS9_SF_,@function
_ZN4vllm3moe22topkGatingSoftplusSqrtILi6ELi192ELi4ELi2ELi32ELb0Ej6__halfEEvPKT6_PKbPfiPT5_PiiiibdPKfPKS9_SF_: ; @_ZN4vllm3moe22topkGatingSoftplusSqrtILi6ELi192ELi4ELi2ELi32ELb0Ej6__halfEEvPKT6_PKbPfiPT5_PiiiibdPKfPKS9_SF_
; %bb.0:
	s_load_dword s30, s[0:1], 0x18
	v_and_b32_e32 v1, 0x3ff, v0
	s_lshl_b32 s2, s2, 2
	v_lshrrev_b32_e32 v2, 5, v1
	v_bfe_u32 v0, v0, 10, 10
	v_add3_u32 v6, s2, v0, v2
	s_waitcnt lgkmcnt(0)
	v_cmp_gt_i32_e32 vcc, s30, v6
	s_and_saveexec_b64 s[2:3], vcc
	s_cbranch_execz .LBB283_57
; %bb.1:
	s_load_dwordx4 s[4:7], s[0:1], 0x0
	s_load_dwordx2 s[20:21], s[0:1], 0x10
	s_waitcnt lgkmcnt(0)
	s_cmp_eq_u64 s[6:7], 0
	s_cbranch_scc1 .LBB283_3
; %bb.2:
	v_ashrrev_i32_e32 v7, 31, v6
	v_lshl_add_u64 v[2:3], s[6:7], 0, v[6:7]
	global_load_ubyte v0, v[2:3], off
	s_waitcnt vmcnt(0)
	v_and_b32_e32 v0, 1, v0
	v_cmp_eq_u32_e32 vcc, 1, v0
	s_xor_b64 s[2:3], vcc, -1
	s_orn2_b64 s[22:23], s[2:3], exec
	s_branch .LBB283_4
.LBB283_3:
	s_mov_b64 s[22:23], -1
.LBB283_4:
	s_movk_i32 s2, 0xc0
	v_mul_lo_u32 v4, v6, s2
	v_mov_b32_e32 v2, s4
	v_mov_b32_e32 v3, s5
	v_ashrrev_i32_e32 v5, 31, v4
	v_and_b32_e32 v8, 31, v1
	v_lshl_add_u64 v[2:3], v[4:5], 1, v[2:3]
	v_mov_b32_e32 v1, 0
	v_lshlrev_b32_e32 v0, 1, v8
	v_lshl_add_u64 v[10:11], v[2:3], 0, v[0:1]
	global_load_ushort v0, v[10:11], off
	global_load_ushort v1, v[10:11], off offset:64
	global_load_ushort v2, v[10:11], off offset:128
	;; [unrolled: 1-line block ×5, first 2 shown]
	s_mov_b32 s16, 0x800000
	v_mov_b32_e32 v10, 0x4f800000
	s_mov_b32 s13, 0x3f317217
	s_mov_b32 s14, 0x7f800000
	v_mov_b32_e32 v11, 0x41b17218
	s_movk_i32 s12, 0x4d00
	s_mov_b32 s15, 0xf800000
	s_load_dwordx4 s[8:11], s[0:1], 0x40
	s_waitcnt lgkmcnt(0)
	s_cmp_lg_u64 s[10:11], 0
	s_cselect_b64 s[6:7], -1, 0
	s_and_b64 s[2:3], exec, s[6:7]
	s_waitcnt vmcnt(5)
	v_cvt_f32_f16_e32 v12, v0
	v_mul_f32_e32 v7, 0x3fb8aa3b, v12
	v_exp_f32_e32 v7, v7
	s_nop 0
	v_add_f32_e32 v7, 1.0, v7
	v_cmp_gt_f32_e32 vcc, s16, v7
	s_nop 1
	v_cndmask_b32_e32 v9, 1.0, v10, vcc
	v_mul_f32_e32 v7, v7, v9
	v_log_f32_e32 v13, v7
	v_cndmask_b32_e32 v14, 0, v11, vcc
	v_mov_b32_e32 v9, 0x260
	v_lshlrev_b32_e32 v7, 2, v8
	v_mul_f32_e32 v15, 0x3f317217, v13
	v_fma_f32 v15, v13, s13, -v15
	v_fmac_f32_e32 v15, 0x3377d1cf, v13
	v_fmac_f32_e32 v15, 0x3f317217, v13
	v_cmp_lt_f32_e64 vcc, |v13|, s14
	s_nop 1
	v_cndmask_b32_e32 v13, v13, v15, vcc
	v_sub_f32_e32 v13, v13, v14
	v_cmp_lt_f16_e32 vcc, s12, v0
	s_nop 1
	v_cndmask_b32_e32 v0, v13, v12, vcc
	v_mul_f32_e32 v12, 0x4f800000, v0
	v_cmp_gt_f32_e32 vcc, s15, v0
	s_nop 1
	v_cndmask_b32_e32 v0, v0, v12, vcc
	v_sqrt_f32_e32 v12, v0
	s_nop 0
	v_add_u32_e32 v13, -1, v12
	v_add_u32_e32 v14, 1, v12
	v_fma_f32 v15, -v13, v12, v0
	v_fma_f32 v16, -v14, v12, v0
	v_cmp_ge_f32_e64 s[4:5], 0, v15
	s_nop 1
	v_cndmask_b32_e64 v12, v12, v13, s[4:5]
	v_cmp_lt_f32_e64 s[4:5], 0, v16
	s_nop 1
	v_cndmask_b32_e64 v12, v12, v14, s[4:5]
	v_mul_f32_e32 v13, 0x37800000, v12
	v_cndmask_b32_e32 v12, v12, v13, vcc
	v_cmp_class_f32_e32 vcc, v0, v9
	s_nop 1
	v_cndmask_b32_e32 v0, v12, v0, vcc
	s_mov_b64 vcc, s[2:3]
	s_cbranch_vccz .LBB283_6
; %bb.5:
	global_load_dword v12, v7, s[10:11]
	s_waitcnt vmcnt(0)
	v_add_f32_e32 v0, v0, v12
.LBB283_6:
	s_waitcnt vmcnt(4)
	v_cvt_f32_f16_e32 v12, v1
	v_mul_f32_e32 v13, 0x3fb8aa3b, v12
	v_exp_f32_e32 v13, v13
	s_nop 0
	v_add_f32_e32 v13, 1.0, v13
	v_cmp_gt_f32_e32 vcc, s16, v13
	s_nop 1
	v_cndmask_b32_e32 v10, 1.0, v10, vcc
	v_mul_f32_e32 v10, v13, v10
	v_log_f32_e32 v10, v10
	v_cndmask_b32_e32 v11, 0, v11, vcc
	v_mul_f32_e32 v13, 0x3f317217, v10
	v_fma_f32 v13, v10, s13, -v13
	v_fmac_f32_e32 v13, 0x3377d1cf, v10
	v_fmac_f32_e32 v13, 0x3f317217, v10
	v_cmp_lt_f32_e64 vcc, |v10|, s14
	s_nop 1
	v_cndmask_b32_e32 v10, v10, v13, vcc
	v_sub_f32_e32 v10, v10, v11
	v_cmp_lt_f16_e32 vcc, s12, v1
	v_cndmask_b32_e64 v11, 0, 1, s[6:7]
	v_cmp_ne_u32_e64 s[2:3], 1, v11
	v_cndmask_b32_e32 v1, v10, v12, vcc
	v_mul_f32_e32 v10, 0x4f800000, v1
	v_cmp_gt_f32_e64 s[4:5], s15, v1
	s_andn2_b64 vcc, exec, s[6:7]
	s_nop 0
	v_cndmask_b32_e64 v1, v1, v10, s[4:5]
	v_sqrt_f32_e32 v10, v1
	s_nop 0
	v_add_u32_e32 v11, -1, v10
	v_add_u32_e32 v12, 1, v10
	v_fma_f32 v13, -v11, v10, v1
	v_fma_f32 v14, -v12, v10, v1
	v_cmp_ge_f32_e64 s[6:7], 0, v13
	s_nop 1
	v_cndmask_b32_e64 v10, v10, v11, s[6:7]
	v_cmp_lt_f32_e64 s[6:7], 0, v14
	s_nop 1
	v_cndmask_b32_e64 v10, v10, v12, s[6:7]
	v_mul_f32_e32 v11, 0x37800000, v10
	v_cndmask_b32_e64 v10, v10, v11, s[4:5]
	v_cmp_class_f32_e64 s[4:5], v1, v9
	s_nop 1
	v_cndmask_b32_e64 v1, v10, v1, s[4:5]
	s_cbranch_vccnz .LBB283_8
; %bb.7:
	global_load_dword v9, v7, s[10:11] offset:128
	s_waitcnt vmcnt(0)
	v_add_f32_e32 v1, v1, v9
.LBB283_8:
	s_waitcnt vmcnt(3)
	v_cvt_f32_f16_e32 v9, v2
	s_mov_b32 s12, 0x800000
	s_mov_b32 s7, 0x3f317217
	;; [unrolled: 1-line block ×3, first 2 shown]
	v_mul_f32_e32 v10, 0x3fb8aa3b, v9
	v_exp_f32_e32 v11, v10
	v_mov_b32_e32 v10, 0x4f800000
	s_movk_i32 s6, 0x4d00
	s_mov_b32 s14, 0xf800000
	v_add_f32_e32 v11, 1.0, v11
	v_cmp_gt_f32_e32 vcc, s12, v11
	s_nop 1
	v_cndmask_b32_e32 v12, 1.0, v10, vcc
	v_mul_f32_e32 v11, v11, v12
	v_log_f32_e32 v12, v11
	v_mov_b32_e32 v11, 0x41b17218
	v_cndmask_b32_e32 v13, 0, v11, vcc
	v_mul_f32_e32 v14, 0x3f317217, v12
	v_fma_f32 v14, v12, s7, -v14
	v_fmac_f32_e32 v14, 0x3377d1cf, v12
	v_fmac_f32_e32 v14, 0x3f317217, v12
	v_cmp_lt_f32_e64 vcc, |v12|, s13
	s_nop 1
	v_cndmask_b32_e32 v12, v12, v14, vcc
	v_sub_f32_e32 v12, v12, v13
	v_cmp_lt_f16_e32 vcc, s6, v2
	s_nop 1
	v_cndmask_b32_e32 v2, v12, v9, vcc
	v_mul_f32_e32 v9, 0x4f800000, v2
	v_cmp_gt_f32_e32 vcc, s14, v2
	s_nop 1
	v_cndmask_b32_e32 v2, v2, v9, vcc
	v_sqrt_f32_e32 v9, v2
	s_nop 0
	v_add_u32_e32 v12, -1, v9
	v_fma_f32 v13, -v12, v9, v2
	v_cmp_ge_f32_e64 s[4:5], 0, v13
	v_add_u32_e32 v13, 1, v9
	s_nop 0
	v_cndmask_b32_e64 v12, v9, v12, s[4:5]
	v_fma_f32 v9, -v13, v9, v2
	v_cmp_lt_f32_e64 s[4:5], 0, v9
	s_nop 1
	v_cndmask_b32_e64 v9, v12, v13, s[4:5]
	v_mul_f32_e32 v12, 0x37800000, v9
	v_cndmask_b32_e32 v12, v9, v12, vcc
	v_mov_b32_e32 v9, 0x260
	v_cmp_class_f32_e64 s[4:5], v2, v9
	s_and_b64 vcc, exec, s[2:3]
	s_nop 0
	v_cndmask_b32_e64 v2, v12, v2, s[4:5]
	s_cbranch_vccnz .LBB283_10
; %bb.9:
	global_load_dword v12, v7, s[10:11] offset:256
	s_waitcnt vmcnt(0)
	v_add_f32_e32 v2, v2, v12
.LBB283_10:
	s_waitcnt vmcnt(2)
	v_cvt_f32_f16_e32 v12, v3
	v_mul_f32_e32 v13, 0x3fb8aa3b, v12
	v_exp_f32_e32 v13, v13
	s_nop 0
	v_add_f32_e32 v13, 1.0, v13
	v_cmp_gt_f32_e32 vcc, s12, v13
	s_nop 1
	v_cndmask_b32_e32 v10, 1.0, v10, vcc
	v_mul_f32_e32 v10, v13, v10
	v_log_f32_e32 v10, v10
	v_cndmask_b32_e32 v11, 0, v11, vcc
	v_mul_f32_e32 v13, 0x3f317217, v10
	v_fma_f32 v13, v10, s7, -v13
	v_fmac_f32_e32 v13, 0x3377d1cf, v10
	v_fmac_f32_e32 v13, 0x3f317217, v10
	v_cmp_lt_f32_e64 vcc, |v10|, s13
	s_nop 1
	v_cndmask_b32_e32 v10, v10, v13, vcc
	v_sub_f32_e32 v10, v10, v11
	v_cmp_lt_f16_e32 vcc, s6, v3
	s_nop 1
	v_cndmask_b32_e32 v3, v10, v12, vcc
	v_mul_f32_e32 v10, 0x4f800000, v3
	v_cmp_gt_f32_e64 s[4:5], s14, v3
	s_and_b64 vcc, exec, s[2:3]
	s_nop 0
	v_cndmask_b32_e64 v3, v3, v10, s[4:5]
	v_sqrt_f32_e32 v10, v3
	s_nop 0
	v_add_u32_e32 v11, -1, v10
	v_add_u32_e32 v12, 1, v10
	v_fma_f32 v13, -v11, v10, v3
	v_fma_f32 v14, -v12, v10, v3
	v_cmp_ge_f32_e64 s[6:7], 0, v13
	s_nop 1
	v_cndmask_b32_e64 v10, v10, v11, s[6:7]
	v_cmp_lt_f32_e64 s[6:7], 0, v14
	s_nop 1
	v_cndmask_b32_e64 v10, v10, v12, s[6:7]
	v_mul_f32_e32 v11, 0x37800000, v10
	v_cndmask_b32_e64 v10, v10, v11, s[4:5]
	v_cmp_class_f32_e64 s[4:5], v3, v9
	s_nop 1
	v_cndmask_b32_e64 v3, v10, v3, s[4:5]
	s_cbranch_vccnz .LBB283_12
; %bb.11:
	global_load_dword v9, v7, s[10:11] offset:384
	s_waitcnt vmcnt(0)
	v_add_f32_e32 v3, v3, v9
.LBB283_12:
	s_waitcnt vmcnt(1)
	v_cvt_f32_f16_e32 v9, v4
	s_mov_b32 s7, 0x3f317217
	s_movk_i32 s6, 0x4d00
	v_mul_f32_e32 v10, 0x3fb8aa3b, v9
	v_exp_f32_e32 v11, v10
	v_mov_b32_e32 v10, 0x4f800000
	v_add_f32_e32 v11, 1.0, v11
	v_cmp_gt_f32_e32 vcc, s12, v11
	s_nop 1
	v_cndmask_b32_e32 v12, 1.0, v10, vcc
	v_mul_f32_e32 v11, v11, v12
	v_log_f32_e32 v12, v11
	v_mov_b32_e32 v11, 0x41b17218
	v_cndmask_b32_e32 v13, 0, v11, vcc
	v_mul_f32_e32 v14, 0x3f317217, v12
	v_fma_f32 v14, v12, s7, -v14
	v_fmac_f32_e32 v14, 0x3377d1cf, v12
	v_fmac_f32_e32 v14, 0x3f317217, v12
	v_cmp_lt_f32_e64 vcc, |v12|, s13
	s_nop 1
	v_cndmask_b32_e32 v12, v12, v14, vcc
	v_sub_f32_e32 v12, v12, v13
	v_cmp_lt_f16_e32 vcc, s6, v4
	s_nop 1
	v_cndmask_b32_e32 v4, v12, v9, vcc
	v_mul_f32_e32 v9, 0x4f800000, v4
	v_cmp_gt_f32_e32 vcc, s14, v4
	s_nop 1
	v_cndmask_b32_e32 v4, v4, v9, vcc
	v_sqrt_f32_e32 v9, v4
	s_nop 0
	v_add_u32_e32 v12, -1, v9
	v_fma_f32 v13, -v12, v9, v4
	v_cmp_ge_f32_e64 s[4:5], 0, v13
	v_add_u32_e32 v13, 1, v9
	s_nop 0
	v_cndmask_b32_e64 v12, v9, v12, s[4:5]
	v_fma_f32 v9, -v13, v9, v4
	v_cmp_lt_f32_e64 s[4:5], 0, v9
	s_nop 1
	v_cndmask_b32_e64 v9, v12, v13, s[4:5]
	v_mul_f32_e32 v12, 0x37800000, v9
	v_cndmask_b32_e32 v12, v9, v12, vcc
	v_mov_b32_e32 v9, 0x260
	v_cmp_class_f32_e64 s[4:5], v4, v9
	s_and_b64 vcc, exec, s[2:3]
	s_nop 0
	v_cndmask_b32_e64 v4, v12, v4, s[4:5]
	s_cbranch_vccnz .LBB283_14
; %bb.13:
	global_load_dword v12, v7, s[10:11] offset:512
	s_waitcnt vmcnt(0)
	v_add_f32_e32 v4, v4, v12
.LBB283_14:
	s_waitcnt vmcnt(0)
	v_cvt_f32_f16_e32 v12, v5
	v_mul_f32_e32 v13, 0x3fb8aa3b, v12
	v_exp_f32_e32 v13, v13
	s_nop 0
	v_add_f32_e32 v13, 1.0, v13
	v_cmp_gt_f32_e32 vcc, s12, v13
	s_nop 1
	v_cndmask_b32_e32 v10, 1.0, v10, vcc
	v_mul_f32_e32 v10, v13, v10
	v_log_f32_e32 v10, v10
	v_cndmask_b32_e32 v11, 0, v11, vcc
	v_mul_f32_e32 v13, 0x3f317217, v10
	v_fma_f32 v13, v10, s7, -v13
	v_fmac_f32_e32 v13, 0x3377d1cf, v10
	v_fmac_f32_e32 v13, 0x3f317217, v10
	v_cmp_lt_f32_e64 vcc, |v10|, s13
	s_nop 1
	v_cndmask_b32_e32 v10, v10, v13, vcc
	v_sub_f32_e32 v10, v10, v11
	v_cmp_lt_f16_e32 vcc, s6, v5
	s_nop 1
	v_cndmask_b32_e32 v5, v10, v12, vcc
	v_mul_f32_e32 v10, 0x4f800000, v5
	v_cmp_gt_f32_e64 s[4:5], s14, v5
	s_and_b64 vcc, exec, s[2:3]
	s_nop 0
	v_cndmask_b32_e64 v5, v5, v10, s[4:5]
	v_sqrt_f32_e32 v10, v5
	s_nop 0
	v_add_u32_e32 v11, -1, v10
	v_add_u32_e32 v12, 1, v10
	v_fma_f32 v13, -v11, v10, v5
	v_fma_f32 v14, -v12, v10, v5
	v_cmp_ge_f32_e64 s[6:7], 0, v13
	s_nop 1
	v_cndmask_b32_e64 v10, v10, v11, s[6:7]
	v_cmp_lt_f32_e64 s[6:7], 0, v14
	s_nop 1
	v_cndmask_b32_e64 v10, v10, v12, s[6:7]
	v_mul_f32_e32 v11, 0x37800000, v10
	v_cndmask_b32_e64 v10, v10, v11, s[4:5]
	v_cmp_class_f32_e64 s[4:5], v5, v9
	s_nop 1
	v_cndmask_b32_e64 v5, v10, v5, s[4:5]
	s_cbranch_vccnz .LBB283_16
; %bb.15:
	global_load_dword v7, v7, s[10:11] offset:640
	s_waitcnt vmcnt(0)
	v_add_f32_e32 v5, v5, v7
.LBB283_16:
	s_load_dwordx4 s[12:15], s[0:1], 0x30
	s_mov_b32 s31, 0
	v_cmp_eq_u32_e64 s[6:7], 0, v8
	s_waitcnt lgkmcnt(0)
	s_bitcmp1_b32 s15, 0
	s_cselect_b64 s[4:5], -1, 0
	s_cmp_gt_i32 s12, 0
	s_cselect_b64 s[24:25], -1, 0
	s_and_b64 vcc, exec, s[24:25]
	s_cbranch_vccz .LBB283_43
; %bb.17:
	v_mbcnt_lo_u32_b32 v7, -1, 0
	v_mbcnt_hi_u32_b32 v7, -1, v7
	v_and_b32_e32 v9, 0x60, v7
	v_add_u32_e32 v10, 32, v9
	v_xor_b32_e32 v11, 16, v7
	v_cmp_lt_i32_e32 vcc, v11, v10
	s_load_dwordx4 s[16:19], s[0:1], 0x20
	v_mul_lo_u32 v9, v6, s12
	v_cndmask_b32_e32 v11, v7, v11, vcc
	v_lshlrev_b32_e32 v17, 2, v11
	v_xor_b32_e32 v11, 8, v7
	v_cmp_lt_i32_e32 vcc, v11, v10
	v_or_b32_e32 v12, 32, v8
	v_or_b32_e32 v13, 64, v8
	v_cndmask_b32_e32 v11, v7, v11, vcc
	v_lshlrev_b32_e32 v18, 2, v11
	v_xor_b32_e32 v11, 4, v7
	v_cmp_lt_i32_e32 vcc, v11, v10
	v_or_b32_e32 v14, 0x60, v8
	v_or_b32_e32 v15, 0x80, v8
	v_cndmask_b32_e32 v11, v7, v11, vcc
	v_lshlrev_b32_e32 v19, 2, v11
	v_xor_b32_e32 v11, 2, v7
	v_cmp_lt_i32_e32 vcc, v11, v10
	v_or_b32_e32 v16, 0xa0, v8
	v_mov_b32_e32 v22, 0xc0
	v_cndmask_b32_e32 v11, v7, v11, vcc
	v_lshlrev_b32_e32 v20, 2, v11
	v_xor_b32_e32 v11, 1, v7
	v_cmp_lt_i32_e32 vcc, v11, v10
	v_mov_b32_e32 v23, 0xc61c4000
	v_mov_b32_e32 v24, v6
	v_cndmask_b32_e32 v7, v7, v11, vcc
	v_lshlrev_b32_e32 v21, 2, v7
	v_mov_b32_e32 v7, 0
	s_branch .LBB283_20
.LBB283_18:                             ;   in Loop: Header=BB283_20 Depth=1
	s_waitcnt lgkmcnt(0)
	v_add_u32_e32 v26, s31, v9
	v_cmp_le_i32_e32 vcc, s13, v10
	v_cmp_gt_i32_e64 s[0:1], s14, v10
	v_ashrrev_i32_e32 v27, 31, v26
	s_and_b64 s[0:1], vcc, s[0:1]
	v_lshlrev_b64 v[26:27], 2, v[26:27]
	v_lshl_add_u64 v[28:29], s[20:21], 0, v[26:27]
	v_subrev_u32_e32 v11, s13, v10
	s_and_b64 vcc, s[22:23], s[0:1]
	global_store_dword v[28:29], v25, off
	v_cndmask_b32_e32 v11, v22, v11, vcc
	v_lshl_add_u64 v[28:29], s[16:17], 0, v[26:27]
	global_store_dword v[28:29], v11, off
	v_add_f32_e32 v11, v7, v25
	v_lshl_add_u64 v[26:27], s[18:19], 0, v[26:27]
	v_cndmask_b32_e64 v7, v7, v11, s[4:5]
	global_store_dword v[26:27], v24, off
.LBB283_19:                             ;   in Loop: Header=BB283_20 Depth=1
	s_or_b64 exec, exec, s[26:27]
	v_ashrrev_i32_e32 v11, 31, v10
	v_lshrrev_b32_e32 v11, 27, v11
	v_add_u32_e32 v11, v10, v11
	v_ashrrev_i32_e32 v25, 5, v11
	v_and_b32_e32 v11, 0xffffffe0, v11
	v_sub_u32_e32 v10, v10, v11
	v_cmp_ne_u32_e64 s[0:1], 0, v25
	v_cmp_eq_u32_e32 vcc, v8, v10
	s_add_i32 s31, s31, 1
	v_cndmask_b32_e64 v10, v23, v0, s[0:1]
	v_cmp_ne_u32_e64 s[0:1], 1, v25
	s_cmp_lt_i32 s31, s12
	s_cselect_b64 s[26:27], -1, 0
	v_cndmask_b32_e64 v11, v23, v1, s[0:1]
	v_cmp_ne_u32_e64 s[0:1], 2, v25
	s_and_b64 vcc, s[26:27], vcc
	v_cndmask_b32_e32 v1, v1, v11, vcc
	s_waitcnt lgkmcnt(0)
	v_cndmask_b32_e64 v26, v23, v2, s[0:1]
	v_cmp_ne_u32_e64 s[0:1], 3, v25
	v_cndmask_b32_e32 v2, v2, v26, vcc
	v_cndmask_b32_e32 v0, v0, v10, vcc
	v_cndmask_b32_e64 v27, v23, v3, s[0:1]
	v_cmp_ne_u32_e64 s[0:1], 4, v25
	v_cndmask_b32_e32 v3, v3, v27, vcc
	s_cmp_eq_u32 s12, s31
	v_cndmask_b32_e64 v28, v23, v4, s[0:1]
	v_cmp_ne_u32_e64 s[0:1], 5, v25
	v_cndmask_b32_e32 v4, v4, v28, vcc
	v_add_u32_e32 v24, s30, v24
	v_cndmask_b32_e64 v25, v23, v5, s[0:1]
	v_cndmask_b32_e32 v5, v5, v25, vcc
	s_cbranch_scc1 .LBB283_44
.LBB283_20:                             ; =>This Inner Loop Header: Depth=1
	v_cmp_gt_f32_e32 vcc, v1, v0
	s_nop 1
	v_cndmask_b32_e32 v11, v0, v1, vcc
	v_cndmask_b32_e32 v10, v8, v12, vcc
	v_cmp_gt_f32_e32 vcc, v2, v11
	s_nop 1
	v_cndmask_b32_e32 v11, v11, v2, vcc
	v_cndmask_b32_e32 v10, v10, v13, vcc
	;; [unrolled: 4-line block ×5, first 2 shown]
	ds_bpermute_b32 v11, v17, v25
	ds_bpermute_b32 v26, v17, v10
	s_waitcnt lgkmcnt(0)
	v_cmp_lt_f32_e64 s[26:27], v25, v11
	v_cmp_nlt_f32_e32 vcc, v25, v11
	s_and_saveexec_b64 s[28:29], vcc
; %bb.21:                               ;   in Loop: Header=BB283_20 Depth=1
	v_cmp_eq_f32_e32 vcc, v25, v11
	v_cmp_lt_i32_e64 s[0:1], v26, v10
	s_and_b64 s[0:1], vcc, s[0:1]
	s_andn2_b64 s[26:27], s[26:27], exec
	s_and_b64 s[0:1], s[0:1], exec
	s_or_b64 s[26:27], s[26:27], s[0:1]
; %bb.22:                               ;   in Loop: Header=BB283_20 Depth=1
	s_or_b64 exec, exec, s[28:29]
	s_and_saveexec_b64 s[0:1], s[26:27]
; %bb.23:                               ;   in Loop: Header=BB283_20 Depth=1
	v_mov_b32_e32 v25, v11
	v_mov_b32_e32 v10, v26
; %bb.24:                               ;   in Loop: Header=BB283_20 Depth=1
	s_or_b64 exec, exec, s[0:1]
	ds_bpermute_b32 v11, v18, v25
	ds_bpermute_b32 v26, v18, v10
	s_waitcnt lgkmcnt(1)
	v_cmp_lt_f32_e64 s[26:27], v25, v11
	v_cmp_nlt_f32_e32 vcc, v25, v11
	s_and_saveexec_b64 s[28:29], vcc
	s_cbranch_execz .LBB283_26
; %bb.25:                               ;   in Loop: Header=BB283_20 Depth=1
	v_cmp_eq_f32_e32 vcc, v25, v11
	s_waitcnt lgkmcnt(0)
	v_cmp_lt_i32_e64 s[0:1], v26, v10
	s_and_b64 s[0:1], vcc, s[0:1]
	s_andn2_b64 s[26:27], s[26:27], exec
	s_and_b64 s[0:1], s[0:1], exec
	s_or_b64 s[26:27], s[26:27], s[0:1]
.LBB283_26:                             ;   in Loop: Header=BB283_20 Depth=1
	s_or_b64 exec, exec, s[28:29]
	s_and_saveexec_b64 s[0:1], s[26:27]
	s_cbranch_execz .LBB283_28
; %bb.27:                               ;   in Loop: Header=BB283_20 Depth=1
	v_mov_b32_e32 v25, v11
	s_waitcnt lgkmcnt(0)
	v_mov_b32_e32 v10, v26
.LBB283_28:                             ;   in Loop: Header=BB283_20 Depth=1
	s_or_b64 exec, exec, s[0:1]
	ds_bpermute_b32 v11, v19, v25
	s_waitcnt lgkmcnt(1)
	ds_bpermute_b32 v26, v19, v10
	s_waitcnt lgkmcnt(1)
	v_cmp_lt_f32_e64 s[26:27], v25, v11
	v_cmp_nlt_f32_e32 vcc, v25, v11
	s_and_saveexec_b64 s[28:29], vcc
	s_cbranch_execz .LBB283_30
; %bb.29:                               ;   in Loop: Header=BB283_20 Depth=1
	v_cmp_eq_f32_e32 vcc, v25, v11
	s_waitcnt lgkmcnt(0)
	v_cmp_lt_i32_e64 s[0:1], v26, v10
	s_and_b64 s[0:1], vcc, s[0:1]
	s_andn2_b64 s[26:27], s[26:27], exec
	s_and_b64 s[0:1], s[0:1], exec
	s_or_b64 s[26:27], s[26:27], s[0:1]
.LBB283_30:                             ;   in Loop: Header=BB283_20 Depth=1
	s_or_b64 exec, exec, s[28:29]
	s_and_saveexec_b64 s[0:1], s[26:27]
	s_cbranch_execz .LBB283_32
; %bb.31:                               ;   in Loop: Header=BB283_20 Depth=1
	v_mov_b32_e32 v25, v11
	s_waitcnt lgkmcnt(0)
	v_mov_b32_e32 v10, v26
.LBB283_32:                             ;   in Loop: Header=BB283_20 Depth=1
	s_or_b64 exec, exec, s[0:1]
	ds_bpermute_b32 v11, v20, v25
	s_waitcnt lgkmcnt(1)
	;; [unrolled: 26-line block ×3, first 2 shown]
	ds_bpermute_b32 v26, v21, v10
	s_waitcnt lgkmcnt(1)
	v_cmp_lt_f32_e64 s[26:27], v25, v11
	v_cmp_nlt_f32_e32 vcc, v25, v11
	s_and_saveexec_b64 s[28:29], vcc
	s_cbranch_execnz .LBB283_39
; %bb.37:                               ;   in Loop: Header=BB283_20 Depth=1
	s_or_b64 exec, exec, s[28:29]
	s_and_saveexec_b64 s[0:1], s[26:27]
	s_cbranch_execnz .LBB283_40
.LBB283_38:                             ;   in Loop: Header=BB283_20 Depth=1
	s_or_b64 exec, exec, s[0:1]
	s_and_saveexec_b64 s[26:27], s[6:7]
	s_cbranch_execz .LBB283_19
	s_branch .LBB283_41
.LBB283_39:                             ;   in Loop: Header=BB283_20 Depth=1
	v_cmp_eq_f32_e32 vcc, v25, v11
	s_waitcnt lgkmcnt(0)
	v_cmp_lt_i32_e64 s[0:1], v26, v10
	s_and_b64 s[0:1], vcc, s[0:1]
	s_andn2_b64 s[26:27], s[26:27], exec
	s_and_b64 s[0:1], s[0:1], exec
	s_or_b64 s[26:27], s[26:27], s[0:1]
	s_or_b64 exec, exec, s[28:29]
	s_and_saveexec_b64 s[0:1], s[26:27]
	s_cbranch_execz .LBB283_38
.LBB283_40:                             ;   in Loop: Header=BB283_20 Depth=1
	s_waitcnt lgkmcnt(0)
	v_mov_b32_e32 v10, v26
	v_mov_b32_e32 v25, v11
	s_or_b64 exec, exec, s[0:1]
	s_and_saveexec_b64 s[26:27], s[6:7]
	s_cbranch_execz .LBB283_19
.LBB283_41:                             ;   in Loop: Header=BB283_20 Depth=1
	s_and_b64 vcc, exec, s[2:3]
	s_cbranch_vccnz .LBB283_18
; %bb.42:                               ;   in Loop: Header=BB283_20 Depth=1
	v_ashrrev_i32_e32 v11, 31, v10
	s_waitcnt lgkmcnt(0)
	v_lshl_add_u64 v[26:27], v[10:11], 2, s[10:11]
	global_load_dword v11, v[26:27], off
	s_waitcnt vmcnt(0)
	v_sub_f32_e32 v25, v25, v11
	s_branch .LBB283_18
.LBB283_43:
	v_mov_b32_e32 v7, 0
.LBB283_44:
	v_cmp_eq_u32_e32 vcc, 0, v8
	s_and_b64 exec, exec, vcc
	s_cbranch_execz .LBB283_57
; %bb.45:
	s_andn2_b64 vcc, exec, s[4:5]
	v_cvt_f32_f64_e32 v0, s[8:9]
	s_cbranch_vccnz .LBB283_47
; %bb.46:
	v_cmp_lt_f32_e32 vcc, 0, v7
	s_nop 1
	v_cndmask_b32_e32 v1, 1.0, v7, vcc
	v_div_scale_f32 v2, s[0:1], v1, v1, v0
	v_rcp_f32_e32 v3, v2
	s_nop 0
	v_fma_f32 v4, -v2, v3, 1.0
	v_fmac_f32_e32 v3, v4, v3
	v_div_scale_f32 v4, vcc, v0, v1, v0
	v_mul_f32_e32 v5, v4, v3
	v_fma_f32 v7, -v2, v5, v4
	v_fmac_f32_e32 v5, v7, v3
	v_fma_f32 v2, -v2, v5, v4
	v_div_fmas_f32 v2, v2, v3, v5
	v_div_fixup_f32 v0, v2, v1, v0
.LBB283_47:
	s_andn2_b64 vcc, exec, s[24:25]
	s_cbranch_vccnz .LBB283_57
; %bb.48:
	v_mul_lo_u32 v2, v6, s12
	s_cmp_gt_u32 s12, 3
	v_ashrrev_i32_e32 v3, 31, v2
	s_cbranch_scc0 .LBB283_52
; %bb.49:
	s_and_b32 s0, s12, 0x7ffffffc
	v_lshl_add_u64 v[4:5], v[2:3], 2, s[20:21]
	v_mov_b32_e32 v1, v0
	v_lshl_add_u64 v[4:5], v[4:5], 0, 8
	s_mov_b32 s1, s0
.LBB283_50:                             ; =>This Inner Loop Header: Depth=1
	global_load_dwordx4 v[6:9], v[4:5], off offset:-8
	s_add_i32 s1, s1, -4
	s_cmp_lg_u32 s1, 0
	s_waitcnt vmcnt(0)
	v_pk_mul_f32 v[6:7], v[0:1], v[6:7]
	v_pk_mul_f32 v[8:9], v[0:1], v[8:9]
	global_store_dwordx4 v[4:5], v[6:9], off offset:-8
	v_lshl_add_u64 v[4:5], v[4:5], 0, 16
	s_cbranch_scc1 .LBB283_50
; %bb.51:
	s_cmp_lg_u32 s0, s12
	s_cselect_b64 s[2:3], -1, 0
	s_branch .LBB283_54
.LBB283_52:
	s_mov_b64 s[2:3], 0
                                        ; implicit-def: $sgpr0
	s_cbranch_execz .LBB283_54
; %bb.53:
	s_mov_b64 s[2:3], -1
	s_mov_b32 s0, 0
.LBB283_54:
	s_andn2_b64 vcc, exec, s[2:3]
	s_cbranch_vccnz .LBB283_57
; %bb.55:
	s_mov_b32 s1, 0
	v_lshl_add_u64 v[2:3], v[2:3], 0, s[0:1]
	s_sub_i32 s2, s12, s0
	v_lshl_add_u64 v[2:3], v[2:3], 2, s[20:21]
.LBB283_56:                             ; =>This Inner Loop Header: Depth=1
	global_load_dword v1, v[2:3], off
	s_add_i32 s2, s2, -1
	s_cmp_lg_u32 s2, 0
	s_waitcnt vmcnt(0)
	v_mul_f32_e32 v1, v0, v1
	global_store_dword v[2:3], v1, off
	v_lshl_add_u64 v[2:3], v[2:3], 0, 4
	s_cbranch_scc1 .LBB283_56
.LBB283_57:
	s_endpgm
	.section	.rodata,"a",@progbits
	.p2align	6, 0x0
	.amdhsa_kernel _ZN4vllm3moe22topkGatingSoftplusSqrtILi6ELi192ELi4ELi2ELi32ELb0Ej6__halfEEvPKT6_PKbPfiPT5_PiiiibdPKfPKS9_SF_
		.amdhsa_group_segment_fixed_size 0
		.amdhsa_private_segment_fixed_size 0
		.amdhsa_kernarg_size 96
		.amdhsa_user_sgpr_count 2
		.amdhsa_user_sgpr_dispatch_ptr 0
		.amdhsa_user_sgpr_queue_ptr 0
		.amdhsa_user_sgpr_kernarg_segment_ptr 1
		.amdhsa_user_sgpr_dispatch_id 0
		.amdhsa_user_sgpr_kernarg_preload_length 0
		.amdhsa_user_sgpr_kernarg_preload_offset 0
		.amdhsa_user_sgpr_private_segment_size 0
		.amdhsa_uses_dynamic_stack 0
		.amdhsa_enable_private_segment 0
		.amdhsa_system_sgpr_workgroup_id_x 1
		.amdhsa_system_sgpr_workgroup_id_y 0
		.amdhsa_system_sgpr_workgroup_id_z 0
		.amdhsa_system_sgpr_workgroup_info 0
		.amdhsa_system_vgpr_workitem_id 1
		.amdhsa_next_free_vgpr 30
		.amdhsa_next_free_sgpr 32
		.amdhsa_accum_offset 32
		.amdhsa_reserve_vcc 1
		.amdhsa_float_round_mode_32 0
		.amdhsa_float_round_mode_16_64 0
		.amdhsa_float_denorm_mode_32 3
		.amdhsa_float_denorm_mode_16_64 3
		.amdhsa_dx10_clamp 1
		.amdhsa_ieee_mode 1
		.amdhsa_fp16_overflow 0
		.amdhsa_tg_split 0
		.amdhsa_exception_fp_ieee_invalid_op 0
		.amdhsa_exception_fp_denorm_src 0
		.amdhsa_exception_fp_ieee_div_zero 0
		.amdhsa_exception_fp_ieee_overflow 0
		.amdhsa_exception_fp_ieee_underflow 0
		.amdhsa_exception_fp_ieee_inexact 0
		.amdhsa_exception_int_div_zero 0
	.end_amdhsa_kernel
	.section	.text._ZN4vllm3moe22topkGatingSoftplusSqrtILi6ELi192ELi4ELi2ELi32ELb0Ej6__halfEEvPKT6_PKbPfiPT5_PiiiibdPKfPKS9_SF_,"axG",@progbits,_ZN4vllm3moe22topkGatingSoftplusSqrtILi6ELi192ELi4ELi2ELi32ELb0Ej6__halfEEvPKT6_PKbPfiPT5_PiiiibdPKfPKS9_SF_,comdat
.Lfunc_end283:
	.size	_ZN4vllm3moe22topkGatingSoftplusSqrtILi6ELi192ELi4ELi2ELi32ELb0Ej6__halfEEvPKT6_PKbPfiPT5_PiiiibdPKfPKS9_SF_, .Lfunc_end283-_ZN4vllm3moe22topkGatingSoftplusSqrtILi6ELi192ELi4ELi2ELi32ELb0Ej6__halfEEvPKT6_PKbPfiPT5_PiiiibdPKfPKS9_SF_
                                        ; -- End function
	.section	.AMDGPU.csdata,"",@progbits
; Kernel info:
; codeLenInByte = 3556
; NumSgprs: 38
; NumVgprs: 30
; NumAgprs: 0
; TotalNumVgprs: 30
; ScratchSize: 0
; MemoryBound: 0
; FloatMode: 240
; IeeeMode: 1
; LDSByteSize: 0 bytes/workgroup (compile time only)
; SGPRBlocks: 4
; VGPRBlocks: 3
; NumSGPRsForWavesPerEU: 38
; NumVGPRsForWavesPerEU: 30
; AccumOffset: 32
; Occupancy: 8
; WaveLimiterHint : 0
; COMPUTE_PGM_RSRC2:SCRATCH_EN: 0
; COMPUTE_PGM_RSRC2:USER_SGPR: 2
; COMPUTE_PGM_RSRC2:TRAP_HANDLER: 0
; COMPUTE_PGM_RSRC2:TGID_X_EN: 1
; COMPUTE_PGM_RSRC2:TGID_Y_EN: 0
; COMPUTE_PGM_RSRC2:TGID_Z_EN: 0
; COMPUTE_PGM_RSRC2:TIDIG_COMP_CNT: 1
; COMPUTE_PGM_RSRC3_GFX90A:ACCUM_OFFSET: 7
; COMPUTE_PGM_RSRC3_GFX90A:TG_SPLIT: 0
	.section	.text._ZN4vllm3moe22topkGatingSoftplusSqrtILi5ELi320ELi4ELi2ELi64ELb1Ej6__halfEEvPKT6_PKbPfiPT5_PiiiibdPKfPKS9_SF_,"axG",@progbits,_ZN4vllm3moe22topkGatingSoftplusSqrtILi5ELi320ELi4ELi2ELi64ELb1Ej6__halfEEvPKT6_PKbPfiPT5_PiiiibdPKfPKS9_SF_,comdat
	.protected	_ZN4vllm3moe22topkGatingSoftplusSqrtILi5ELi320ELi4ELi2ELi64ELb1Ej6__halfEEvPKT6_PKbPfiPT5_PiiiibdPKfPKS9_SF_ ; -- Begin function _ZN4vllm3moe22topkGatingSoftplusSqrtILi5ELi320ELi4ELi2ELi64ELb1Ej6__halfEEvPKT6_PKbPfiPT5_PiiiibdPKfPKS9_SF_
	.globl	_ZN4vllm3moe22topkGatingSoftplusSqrtILi5ELi320ELi4ELi2ELi64ELb1Ej6__halfEEvPKT6_PKbPfiPT5_PiiiibdPKfPKS9_SF_
	.p2align	8
	.type	_ZN4vllm3moe22topkGatingSoftplusSqrtILi5ELi320ELi4ELi2ELi64ELb1Ej6__halfEEvPKT6_PKbPfiPT5_PiiiibdPKfPKS9_SF_,@function
_ZN4vllm3moe22topkGatingSoftplusSqrtILi5ELi320ELi4ELi2ELi64ELb1Ej6__halfEEvPKT6_PKbPfiPT5_PiiiibdPKfPKS9_SF_: ; @_ZN4vllm3moe22topkGatingSoftplusSqrtILi5ELi320ELi4ELi2ELi64ELb1Ej6__halfEEvPKT6_PKbPfiPT5_PiiiibdPKfPKS9_SF_
; %bb.0:
	s_load_dword s3, s[0:1], 0x18
	v_and_b32_e32 v1, 0x3ff, v0
	s_lshl_b32 s2, s2, 2
	v_lshrrev_b32_e32 v2, 6, v1
	v_bfe_u32 v0, v0, 10, 10
	v_add3_u32 v0, s2, v0, v2
	s_waitcnt lgkmcnt(0)
	v_cmp_gt_i32_e32 vcc, s3, v0
	s_and_saveexec_b64 s[2:3], vcc
	s_cbranch_execz .LBB284_32
; %bb.1:
	s_load_dwordx2 s[2:3], s[0:1], 0x0
	s_load_dword s20, s[0:1], 0x30
	s_load_dwordx4 s[8:11], s[0:1], 0x50
	s_movk_i32 s4, 0x140
	v_mul_lo_u32 v2, v0, s4
	v_ashrrev_i32_e32 v3, 31, v2
	v_and_b32_e32 v10, 63, v1
	s_waitcnt lgkmcnt(0)
	v_lshl_add_u64 v[2:3], v[2:3], 1, s[2:3]
	v_lshlrev_b32_e32 v4, 1, v10
	v_mov_b32_e32 v5, 0
	v_lshl_add_u64 v[2:3], v[2:3], 0, v[4:5]
	global_load_ushort v6, v[2:3], off
	global_load_ushort v7, v[2:3], off offset:128
	global_load_ushort v8, v[2:3], off offset:256
	;; [unrolled: 1-line block ×4, first 2 shown]
	v_mov_b32_e32 v2, s8
	v_mov_b32_e32 v3, s9
	v_ashrrev_i32_e32 v1, 31, v0
	v_lshl_add_u64 v[2:3], v[0:1], 2, v[2:3]
	global_load_dword v1, v[2:3], off
	s_mov_b32 s14, 0x800000
	v_mov_b32_e32 v2, 0x4f800000
	s_mov_b32 s12, 0x3f317217
	s_mov_b32 s15, 0x7f800000
	v_mov_b32_e32 v3, 0x41b17218
	s_movk_i32 s9, 0x4d00
	s_mov_b32 s13, 0xf800000
	v_mov_b32_e32 v15, 0x260
	s_cmp_gt_i32 s20, 0
	s_mov_b32 s8, 0
	v_mul_lo_u32 v0, v0, s20
	s_waitcnt vmcnt(5)
	v_cvt_f32_f16_e32 v11, v6
	s_waitcnt vmcnt(4)
	v_cvt_f32_f16_e32 v12, v7
	;; [unrolled: 2-line block ×4, first 2 shown]
	v_mul_f32_e32 v4, 0x3fb8aa3b, v11
	v_mul_f32_e32 v18, 0x3fb8aa3b, v12
	v_exp_f32_e32 v20, v4
	v_mul_f32_e32 v19, 0x3fb8aa3b, v13
	v_exp_f32_e32 v18, v18
	v_exp_f32_e32 v19, v19
	s_waitcnt vmcnt(0)
	v_mul_lo_u32 v4, v1, s20
	v_add_f32_e32 v1, 1.0, v20
	v_add_f32_e32 v18, 1.0, v18
	v_cmp_gt_f32_e32 vcc, s14, v1
	v_add_f32_e32 v19, 1.0, v19
	v_cmp_gt_f32_e64 s[2:3], s14, v18
	v_cndmask_b32_e32 v20, 1.0, v2, vcc
	v_cmp_gt_f32_e64 s[4:5], s14, v19
	v_cndmask_b32_e64 v21, 1.0, v2, s[2:3]
	v_mul_f32_e32 v1, v1, v20
	v_cndmask_b32_e64 v22, 1.0, v2, s[4:5]
	v_mul_f32_e32 v18, v18, v21
	v_log_f32_e32 v1, v1
	v_mul_f32_e32 v19, v19, v22
	v_log_f32_e32 v18, v18
	v_log_f32_e32 v19, v19
	v_mul_f32_e32 v23, 0x3f317217, v1
	v_fma_f32 v23, v1, s12, -v23
	v_mul_f32_e32 v24, 0x3f317217, v18
	v_mul_f32_e32 v25, 0x3f317217, v19
	v_fma_f32 v24, v18, s12, -v24
	v_fmac_f32_e32 v23, 0x3377d1cf, v1
	v_cndmask_b32_e32 v20, 0, v3, vcc
	v_fma_f32 v25, v19, s12, -v25
	v_fmac_f32_e32 v24, 0x3377d1cf, v18
	v_fmac_f32_e32 v23, 0x3f317217, v1
	v_cmp_lt_f32_e64 vcc, |v1|, s15
	v_fmac_f32_e32 v25, 0x3377d1cf, v19
	v_fmac_f32_e32 v24, 0x3f317217, v18
	v_cndmask_b32_e32 v1, v1, v23, vcc
	v_cmp_lt_f32_e64 vcc, |v18|, s15
	v_fmac_f32_e32 v25, 0x3f317217, v19
	v_cndmask_b32_e64 v21, 0, v3, s[2:3]
	v_cndmask_b32_e32 v18, v18, v24, vcc
	v_cmp_lt_f32_e64 vcc, |v19|, s15
	v_sub_f32_e32 v1, v1, v20
	v_cndmask_b32_e64 v22, 0, v3, s[4:5]
	v_cndmask_b32_e32 v19, v19, v25, vcc
	v_cmp_lt_f16_e32 vcc, s9, v6
	v_sub_f32_e32 v18, v18, v21
	v_sub_f32_e32 v19, v19, v22
	v_cndmask_b32_e32 v1, v1, v11, vcc
	v_cmp_lt_f16_e32 vcc, s9, v7
	v_cvt_f32_f16_e32 v17, v14
	s_nop 0
	v_cndmask_b32_e32 v6, v18, v12, vcc
	v_cmp_lt_f16_e32 vcc, s9, v8
	v_mul_f32_e32 v8, 0x4f800000, v1
	v_mul_f32_e32 v11, 0x4f800000, v6
	v_cndmask_b32_e32 v7, v19, v13, vcc
	v_cmp_gt_f32_e32 vcc, s13, v1
	v_cmp_gt_f32_e64 s[2:3], s13, v6
	v_mul_f32_e32 v12, 0x4f800000, v7
	v_cndmask_b32_e32 v1, v1, v8, vcc
	v_cndmask_b32_e64 v6, v6, v11, s[2:3]
	v_sqrt_f32_e32 v8, v1
	v_sqrt_f32_e32 v11, v6
	v_cmp_gt_f32_e64 s[4:5], s13, v7
	v_add_u32_e32 v18, 1, v8
	s_nop 0
	v_cndmask_b32_e64 v7, v7, v12, s[4:5]
	v_add_u32_e32 v12, -1, v8
	v_add_u32_e32 v19, -1, v11
	v_fma_f32 v21, -v12, v8, v1
	v_fma_f32 v23, -v19, v11, v6
	v_cmp_ge_f32_e64 s[6:7], 0, v21
	v_add_u32_e32 v20, 1, v11
	v_fma_f32 v22, -v18, v8, v1
	v_cndmask_b32_e64 v8, v8, v12, s[6:7]
	v_cmp_ge_f32_e64 s[6:7], 0, v23
	v_fma_f32 v24, -v20, v11, v6
	v_sqrt_f32_e32 v13, v7
	v_cndmask_b32_e64 v11, v11, v19, s[6:7]
	v_cmp_lt_f32_e64 s[6:7], 0, v22
	s_nop 1
	v_cndmask_b32_e64 v8, v8, v18, s[6:7]
	v_cmp_lt_f32_e64 s[6:7], 0, v24
	v_mul_f32_e32 v12, 0x37800000, v8
	v_cndmask_b32_e32 v8, v8, v12, vcc
	v_cndmask_b32_e64 v11, v11, v20, s[6:7]
	v_mul_f32_e32 v18, 0x37800000, v11
	v_cmp_class_f32_e32 vcc, v1, v15
	v_cndmask_b32_e64 v12, v11, v18, s[2:3]
	s_nop 0
	v_cndmask_b32_e32 v11, v8, v1, vcc
	v_mul_f32_e32 v8, 0x3fb8aa3b, v16
	v_exp_f32_e32 v8, v8
	v_cmp_class_f32_e32 vcc, v6, v15
	v_add_u32_e32 v1, -1, v13
	v_add_f32_e32 v8, 1.0, v8
	v_cndmask_b32_e32 v12, v12, v6, vcc
	v_fma_f32 v6, -v1, v13, v7
	v_cmp_ge_f32_e32 vcc, 0, v6
	v_add_u32_e32 v6, 1, v13
	s_nop 0
	v_cndmask_b32_e32 v1, v13, v1, vcc
	v_cmp_gt_f32_e32 vcc, s14, v8
	v_fma_f32 v13, -v6, v13, v7
	v_cmp_lt_f32_e64 s[2:3], 0, v13
	v_cndmask_b32_e32 v18, 1.0, v2, vcc
	v_mul_f32_e32 v8, v8, v18
	v_log_f32_e32 v8, v8
	v_cndmask_b32_e64 v1, v1, v6, s[2:3]
	v_mul_f32_e32 v6, 0x37800000, v1
	v_cndmask_b32_e64 v1, v1, v6, s[4:5]
	v_mul_f32_e32 v13, 0x3f317217, v8
	v_fma_f32 v13, v8, s12, -v13
	v_fmac_f32_e32 v13, 0x3377d1cf, v8
	v_fmac_f32_e32 v13, 0x3f317217, v8
	v_cmp_lt_f32_e64 s[2:3], |v8|, s15
	s_nop 1
	v_cndmask_b32_e64 v8, v8, v13, s[2:3]
	v_cndmask_b32_e32 v13, 0, v3, vcc
	v_sub_f32_e32 v8, v8, v13
	v_cmp_lt_f16_e32 vcc, s9, v9
	v_cmp_class_f32_e64 s[2:3], v7, v15
	s_nop 0
	v_cndmask_b32_e32 v8, v8, v16, vcc
	v_mul_f32_e32 v9, 0x4f800000, v8
	v_cmp_gt_f32_e32 vcc, s13, v8
	v_cndmask_b32_e64 v13, v1, v7, s[2:3]
	v_mul_f32_e32 v7, 0x3fb8aa3b, v17
	v_cndmask_b32_e32 v8, v8, v9, vcc
	v_sqrt_f32_e32 v9, v8
	v_exp_f32_e32 v7, v7
	v_add_u32_e32 v1, -1, v9
	v_fma_f32 v6, -v1, v9, v8
	v_cmp_ge_f32_e64 s[2:3], 0, v6
	v_add_f32_e32 v7, 1.0, v7
	v_add_u32_e32 v6, 1, v9
	v_cndmask_b32_e64 v1, v9, v1, s[2:3]
	v_cmp_gt_f32_e64 s[2:3], s14, v7
	v_fma_f32 v9, -v6, v9, v8
	v_cmp_lt_f32_e64 s[4:5], 0, v9
	v_cndmask_b32_e64 v2, 1.0, v2, s[2:3]
	v_mul_f32_e32 v2, v7, v2
	v_log_f32_e32 v2, v2
	v_cndmask_b32_e64 v1, v1, v6, s[4:5]
	v_cndmask_b32_e64 v3, 0, v3, s[2:3]
	v_cmp_lt_f16_e64 s[2:3], s9, v14
	v_mul_f32_e32 v7, 0x3f317217, v2
	v_fma_f32 v7, v2, s12, -v7
	v_fmac_f32_e32 v7, 0x3377d1cf, v2
	v_fmac_f32_e32 v7, 0x3f317217, v2
	v_cmp_lt_f32_e64 s[4:5], |v2|, s15
	v_mul_f32_e32 v6, 0x37800000, v1
	v_cndmask_b32_e32 v1, v1, v6, vcc
	v_cndmask_b32_e64 v2, v2, v7, s[4:5]
	v_sub_f32_e32 v2, v2, v3
	v_cndmask_b32_e64 v2, v2, v17, s[2:3]
	v_mul_f32_e32 v3, 0x4f800000, v2
	v_cmp_gt_f32_e64 s[2:3], s13, v2
	v_cmp_class_f32_e32 vcc, v8, v15
	s_cselect_b64 s[4:5], -1, 0
	v_cndmask_b32_e64 v2, v2, v3, s[2:3]
	v_sqrt_f32_e32 v3, v2
	v_cndmask_b32_e32 v14, v1, v8, vcc
	s_cmp_lt_i32 s20, 1
	v_add_u32_e32 v1, -1, v3
	v_fma_f32 v6, -v1, v3, v2
	v_cmp_ge_f32_e32 vcc, 0, v6
	v_add_u32_e32 v6, 1, v3
	s_nop 0
	v_cndmask_b32_e32 v1, v3, v1, vcc
	v_fma_f32 v3, -v6, v3, v2
	v_cmp_lt_f32_e32 vcc, 0, v3
	s_nop 1
	v_cndmask_b32_e32 v1, v1, v6, vcc
	v_mul_f32_e32 v3, 0x37800000, v1
	v_cndmask_b32_e64 v1, v1, v3, s[2:3]
	v_cmp_class_f32_e32 vcc, v2, v15
	s_nop 1
	v_cndmask_b32_e32 v15, v1, v2, vcc
	v_lshl_add_u64 v[2:3], v[4:5], 2, s[10:11]
	s_cbranch_scc1 .LBB284_29
; %bb.2:
	s_load_dwordx2 s[6:7], s[0:1], 0x20
	s_cmp_lt_u32 s20, 4
	s_cbranch_scc1 .LBB284_21
; %bb.3:
	s_mov_b32 s11, 0
	s_and_b32 s8, s20, 0x7ffffffc
	v_ashrrev_i32_e32 v1, 31, v0
	v_mov_b32_e32 v5, 0
	s_mov_b32 s10, s11
	s_branch .LBB284_5
.LBB284_4:                              ;   in Loop: Header=BB284_5 Depth=1
	s_or_b64 exec, exec, s[12:13]
	s_add_i32 s10, s10, 4
	s_cmp_eq_u32 s10, s8
	s_cbranch_scc1 .LBB284_22
.LBB284_5:                              ; =>This Loop Header: Depth=1
                                        ;     Child Loop BB284_7 Depth 2
                                        ;     Child Loop BB284_11 Depth 2
	;; [unrolled: 1-line block ×4, first 2 shown]
	v_lshl_add_u64 v[6:7], s[10:11], 2, v[2:3]
	global_load_dword v4, v[6:7], off
	v_add_u32_e32 v8, s10, v0
	v_ashrrev_i32_e32 v9, 31, v8
	s_waitcnt lgkmcnt(0)
	v_lshl_add_u64 v[8:9], v[8:9], 2, s[6:7]
	s_mov_b64 s[12:13], 0
	v_mov_b32_e32 v16, v10
	s_mov_b64 s[14:15], 0
	s_waitcnt vmcnt(0)
	s_branch .LBB284_7
.LBB284_6:                              ;   in Loop: Header=BB284_7 Depth=2
	s_or_b64 exec, exec, s[16:17]
	s_cmp_gt_u32 s14, 3
	s_cselect_b64 s[2:3], -1, 0
	s_xor_b64 s[16:17], vcc, -1
	s_or_b64 s[2:3], s[16:17], s[2:3]
	s_add_u32 s14, s14, 1
	s_addc_u32 s15, s15, 0
	s_and_b64 s[2:3], exec, s[2:3]
	s_or_b64 s[12:13], s[2:3], s[12:13]
	v_add_u32_e32 v16, 64, v16
	s_andn2_b64 exec, exec, s[12:13]
	s_cbranch_execz .LBB284_9
.LBB284_7:                              ;   Parent Loop BB284_5 Depth=1
                                        ; =>  This Inner Loop Header: Depth=2
	v_cmp_ne_u32_e32 vcc, v4, v16
	v_cmp_eq_u32_e64 s[2:3], v4, v16
	s_and_saveexec_b64 s[16:17], s[2:3]
	s_cbranch_execz .LBB284_6
; %bb.8:                                ;   in Loop: Header=BB284_7 Depth=2
	s_cmp_eq_u32 s14, 1
	s_cselect_b64 s[2:3], -1, 0
	s_cmp_eq_u32 s14, 2
	v_cndmask_b32_e64 v17, v11, v12, s[2:3]
	s_cselect_b64 s[2:3], -1, 0
	s_cmp_eq_u32 s14, 3
	v_cndmask_b32_e64 v17, v17, v13, s[2:3]
	;; [unrolled: 3-line block ×3, first 2 shown]
	s_cselect_b64 s[2:3], -1, 0
	v_cndmask_b32_e64 v17, v17, v15, s[2:3]
	v_add_f32_e32 v5, v5, v17
	global_store_dword v[8:9], v4, off
	s_branch .LBB284_6
.LBB284_9:                              ;   in Loop: Header=BB284_5 Depth=1
	s_or_b64 exec, exec, s[12:13]
	global_load_dword v4, v[6:7], off offset:4
	s_ashr_i32 s3, s10, 31
	s_mov_b32 s2, s10
	v_lshl_add_u64 v[8:9], s[2:3], 0, v[0:1]
	v_lshl_add_u64 v[8:9], v[8:9], 2, s[6:7]
	s_mov_b64 s[12:13], 0
	v_mov_b32_e32 v16, v10
	s_mov_b64 s[14:15], 0
	s_waitcnt vmcnt(0)
	s_branch .LBB284_11
.LBB284_10:                             ;   in Loop: Header=BB284_11 Depth=2
	s_or_b64 exec, exec, s[16:17]
	s_cmp_gt_u32 s14, 3
	s_cselect_b64 s[2:3], -1, 0
	s_xor_b64 s[16:17], vcc, -1
	s_or_b64 s[2:3], s[16:17], s[2:3]
	s_add_u32 s14, s14, 1
	s_addc_u32 s15, s15, 0
	s_and_b64 s[2:3], exec, s[2:3]
	s_or_b64 s[12:13], s[2:3], s[12:13]
	v_add_u32_e32 v16, 64, v16
	s_andn2_b64 exec, exec, s[12:13]
	s_cbranch_execz .LBB284_13
.LBB284_11:                             ;   Parent Loop BB284_5 Depth=1
                                        ; =>  This Inner Loop Header: Depth=2
	v_cmp_ne_u32_e32 vcc, v4, v16
	v_cmp_eq_u32_e64 s[2:3], v4, v16
	s_and_saveexec_b64 s[16:17], s[2:3]
	s_cbranch_execz .LBB284_10
; %bb.12:                               ;   in Loop: Header=BB284_11 Depth=2
	s_cmp_eq_u32 s14, 1
	s_cselect_b64 s[2:3], -1, 0
	s_cmp_eq_u32 s14, 2
	v_cndmask_b32_e64 v17, v11, v12, s[2:3]
	s_cselect_b64 s[2:3], -1, 0
	s_cmp_eq_u32 s14, 3
	v_cndmask_b32_e64 v17, v17, v13, s[2:3]
	;; [unrolled: 3-line block ×3, first 2 shown]
	s_cselect_b64 s[2:3], -1, 0
	v_cndmask_b32_e64 v17, v17, v15, s[2:3]
	v_add_f32_e32 v5, v5, v17
	global_store_dword v[8:9], v4, off offset:4
	s_branch .LBB284_10
.LBB284_13:                             ;   in Loop: Header=BB284_5 Depth=1
	s_or_b64 exec, exec, s[12:13]
	global_load_dword v4, v[6:7], off offset:8
	s_mov_b64 s[12:13], 0
	v_mov_b32_e32 v16, v10
	s_mov_b64 s[14:15], 0
	s_waitcnt vmcnt(0)
	s_branch .LBB284_15
.LBB284_14:                             ;   in Loop: Header=BB284_15 Depth=2
	s_or_b64 exec, exec, s[16:17]
	s_cmp_gt_u32 s14, 3
	s_cselect_b64 s[2:3], -1, 0
	s_xor_b64 s[16:17], vcc, -1
	s_or_b64 s[2:3], s[16:17], s[2:3]
	s_add_u32 s14, s14, 1
	s_addc_u32 s15, s15, 0
	s_and_b64 s[2:3], exec, s[2:3]
	s_or_b64 s[12:13], s[2:3], s[12:13]
	v_add_u32_e32 v16, 64, v16
	s_andn2_b64 exec, exec, s[12:13]
	s_cbranch_execz .LBB284_17
.LBB284_15:                             ;   Parent Loop BB284_5 Depth=1
                                        ; =>  This Inner Loop Header: Depth=2
	v_cmp_ne_u32_e32 vcc, v4, v16
	v_cmp_eq_u32_e64 s[2:3], v4, v16
	s_and_saveexec_b64 s[16:17], s[2:3]
	s_cbranch_execz .LBB284_14
; %bb.16:                               ;   in Loop: Header=BB284_15 Depth=2
	s_cmp_eq_u32 s14, 1
	s_cselect_b64 s[2:3], -1, 0
	s_cmp_eq_u32 s14, 2
	v_cndmask_b32_e64 v17, v11, v12, s[2:3]
	s_cselect_b64 s[2:3], -1, 0
	s_cmp_eq_u32 s14, 3
	v_cndmask_b32_e64 v17, v17, v13, s[2:3]
	;; [unrolled: 3-line block ×3, first 2 shown]
	s_cselect_b64 s[2:3], -1, 0
	v_cndmask_b32_e64 v17, v17, v15, s[2:3]
	v_add_f32_e32 v5, v5, v17
	global_store_dword v[8:9], v4, off offset:8
	s_branch .LBB284_14
.LBB284_17:                             ;   in Loop: Header=BB284_5 Depth=1
	s_or_b64 exec, exec, s[12:13]
	global_load_dword v4, v[6:7], off offset:12
	s_mov_b64 s[12:13], 0
	v_mov_b32_e32 v6, v10
	s_mov_b64 s[14:15], 0
	s_waitcnt vmcnt(0)
	s_branch .LBB284_19
.LBB284_18:                             ;   in Loop: Header=BB284_19 Depth=2
	s_or_b64 exec, exec, s[16:17]
	s_cmp_gt_u32 s14, 3
	s_cselect_b64 s[2:3], -1, 0
	s_xor_b64 s[16:17], vcc, -1
	s_or_b64 s[2:3], s[16:17], s[2:3]
	s_add_u32 s14, s14, 1
	s_addc_u32 s15, s15, 0
	s_and_b64 s[2:3], exec, s[2:3]
	s_or_b64 s[12:13], s[2:3], s[12:13]
	v_add_u32_e32 v6, 64, v6
	s_andn2_b64 exec, exec, s[12:13]
	s_cbranch_execz .LBB284_4
.LBB284_19:                             ;   Parent Loop BB284_5 Depth=1
                                        ; =>  This Inner Loop Header: Depth=2
	v_cmp_ne_u32_e32 vcc, v4, v6
	v_cmp_eq_u32_e64 s[2:3], v4, v6
	s_and_saveexec_b64 s[16:17], s[2:3]
	s_cbranch_execz .LBB284_18
; %bb.20:                               ;   in Loop: Header=BB284_19 Depth=2
	s_cmp_eq_u32 s14, 1
	s_cselect_b64 s[2:3], -1, 0
	s_cmp_eq_u32 s14, 2
	v_cndmask_b32_e64 v7, v11, v12, s[2:3]
	s_cselect_b64 s[2:3], -1, 0
	s_cmp_eq_u32 s14, 3
	v_cndmask_b32_e64 v7, v7, v13, s[2:3]
	;; [unrolled: 3-line block ×3, first 2 shown]
	s_cselect_b64 s[2:3], -1, 0
	v_cndmask_b32_e64 v7, v7, v15, s[2:3]
	v_add_f32_e32 v5, v5, v7
	global_store_dword v[8:9], v4, off offset:12
	s_branch .LBB284_18
.LBB284_21:
	v_mov_b32_e32 v5, 0
.LBB284_22:
	s_and_b32 s16, s20, 3
	s_cmp_eq_u32 s16, 0
	s_mov_b32 s9, 0
	s_cbranch_scc1 .LBB284_29
; %bb.23:
	s_mov_b32 s17, s9
	s_branch .LBB284_25
.LBB284_24:                             ;   in Loop: Header=BB284_25 Depth=1
	s_or_b64 exec, exec, s[10:11]
	s_add_i32 s8, s8, 1
	s_add_i32 s17, s17, 1
	s_cmp_lg_u32 s17, s16
	s_cbranch_scc0 .LBB284_29
.LBB284_25:                             ; =>This Loop Header: Depth=1
                                        ;     Child Loop BB284_27 Depth 2
	v_lshl_add_u64 v[6:7], s[8:9], 2, v[2:3]
	global_load_dword v1, v[6:7], off
	v_add_u32_e32 v6, s8, v0
	v_ashrrev_i32_e32 v7, 31, v6
	s_waitcnt lgkmcnt(0)
	v_lshl_add_u64 v[6:7], v[6:7], 2, s[6:7]
	s_mov_b64 s[10:11], 0
	v_mov_b32_e32 v4, v10
	s_mov_b64 s[12:13], 0
	s_waitcnt vmcnt(0)
	s_branch .LBB284_27
.LBB284_26:                             ;   in Loop: Header=BB284_27 Depth=2
	s_or_b64 exec, exec, s[14:15]
	s_cmp_gt_u32 s12, 3
	s_cselect_b64 s[2:3], -1, 0
	s_xor_b64 s[14:15], vcc, -1
	s_or_b64 s[2:3], s[14:15], s[2:3]
	s_add_u32 s12, s12, 1
	s_addc_u32 s13, s13, 0
	s_and_b64 s[2:3], exec, s[2:3]
	s_or_b64 s[10:11], s[2:3], s[10:11]
	v_add_u32_e32 v4, 64, v4
	s_andn2_b64 exec, exec, s[10:11]
	s_cbranch_execz .LBB284_24
.LBB284_27:                             ;   Parent Loop BB284_25 Depth=1
                                        ; =>  This Inner Loop Header: Depth=2
	v_cmp_ne_u32_e32 vcc, v1, v4
	v_cmp_eq_u32_e64 s[2:3], v1, v4
	s_and_saveexec_b64 s[14:15], s[2:3]
	s_cbranch_execz .LBB284_26
; %bb.28:                               ;   in Loop: Header=BB284_27 Depth=2
	s_cmp_eq_u32 s12, 1
	s_cselect_b64 s[2:3], -1, 0
	s_cmp_eq_u32 s12, 2
	v_cndmask_b32_e64 v8, v11, v12, s[2:3]
	s_cselect_b64 s[2:3], -1, 0
	s_cmp_eq_u32 s12, 3
	v_cndmask_b32_e64 v8, v8, v13, s[2:3]
	;; [unrolled: 3-line block ×3, first 2 shown]
	s_cselect_b64 s[2:3], -1, 0
	v_cndmask_b32_e64 v8, v8, v15, s[2:3]
	v_add_f32_e32 v5, v5, v8
	global_store_dword v[6:7], v1, off
	s_branch .LBB284_26
.LBB284_29:
	s_waitcnt lgkmcnt(0)
	s_load_dword s6, s[0:1], 0x3c
	s_waitcnt lgkmcnt(0)
	s_bitcmp1_b32 s6, 0
	s_cselect_b64 s[2:3], -1, 0
	s_bitcmp0_b32 s6, 0
	s_cbranch_scc0 .LBB284_33
; %bb.30:
	s_load_dwordx2 s[6:7], s[0:1], 0x40
	s_andn2_b64 vcc, exec, s[2:3]
	s_waitcnt lgkmcnt(0)
	v_cvt_f32_f64_e32 v16, s[6:7]
	s_cbranch_vccz .LBB284_34
.LBB284_31:
	s_andn2_b64 vcc, exec, s[4:5]
	s_cbranch_vccz .LBB284_35
.LBB284_32:
	s_endpgm
.LBB284_33:
	v_mbcnt_lo_u32_b32 v1, -1, 0
	v_mbcnt_hi_u32_b32 v1, -1, v1
	v_and_b32_e32 v4, 64, v1
	v_add_u32_e32 v4, 64, v4
	v_xor_b32_e32 v6, 32, v1
	v_cmp_lt_i32_e32 vcc, v6, v4
	v_xor_b32_e32 v7, 16, v1
	s_nop 0
	v_cndmask_b32_e32 v6, v1, v6, vcc
	v_lshlrev_b32_e32 v6, 2, v6
	ds_bpermute_b32 v6, v6, v5
	v_cmp_lt_i32_e32 vcc, v7, v4
	s_waitcnt lgkmcnt(0)
	v_add_f32_e32 v5, v5, v6
	v_cndmask_b32_e32 v6, v1, v7, vcc
	v_lshlrev_b32_e32 v6, 2, v6
	ds_bpermute_b32 v6, v6, v5
	v_xor_b32_e32 v7, 8, v1
	v_cmp_lt_i32_e32 vcc, v7, v4
	s_waitcnt lgkmcnt(0)
	v_add_f32_e32 v5, v5, v6
	v_cndmask_b32_e32 v6, v1, v7, vcc
	v_lshlrev_b32_e32 v6, 2, v6
	ds_bpermute_b32 v6, v6, v5
	v_xor_b32_e32 v7, 4, v1
	;; [unrolled: 7-line block ×4, first 2 shown]
	v_cmp_lt_i32_e32 vcc, v7, v4
	s_waitcnt lgkmcnt(0)
	v_add_f32_e32 v5, v5, v6
	v_cndmask_b32_e32 v1, v1, v7, vcc
	v_lshlrev_b32_e32 v1, 2, v1
	ds_bpermute_b32 v1, v1, v5
	s_waitcnt lgkmcnt(0)
	v_add_f32_e32 v5, v5, v1
	s_load_dwordx2 s[6:7], s[0:1], 0x40
	s_andn2_b64 vcc, exec, s[2:3]
	s_waitcnt lgkmcnt(0)
	v_cvt_f32_f64_e32 v16, s[6:7]
	s_cbranch_vccnz .LBB284_31
.LBB284_34:
	v_cmp_lt_f32_e32 vcc, 0, v5
	s_nop 1
	v_cndmask_b32_e32 v1, 1.0, v5, vcc
	v_div_scale_f32 v4, s[2:3], v1, v1, v16
	v_rcp_f32_e32 v5, v4
	s_nop 0
	v_fma_f32 v6, -v4, v5, 1.0
	v_fmac_f32_e32 v5, v6, v5
	v_div_scale_f32 v6, vcc, v16, v1, v16
	v_mul_f32_e32 v7, v6, v5
	v_fma_f32 v8, -v4, v7, v6
	v_fmac_f32_e32 v7, v8, v5
	v_fma_f32 v4, -v4, v7, v6
	v_div_fmas_f32 v4, v4, v5, v7
	v_div_fixup_f32 v16, v4, v1, v16
	s_andn2_b64 vcc, exec, s[4:5]
	s_cbranch_vccnz .LBB284_32
.LBB284_35:
	s_load_dwordx2 s[6:7], s[0:1], 0x10
	v_or_b32_e32 v20, 64, v10
	v_or_b32_e32 v19, 0x80, v10
	;; [unrolled: 1-line block ×4, first 2 shown]
	s_cmp_eq_u32 s20, 1
	s_mov_b32 s8, 0
	s_cbranch_scc1 .LBB284_58
; %bb.36:
	v_ashrrev_i32_e32 v1, 31, v0
	s_waitcnt lgkmcnt(0)
	v_lshl_add_u64 v[4:5], v[0:1], 2, s[6:7]
	s_and_b32 s8, s20, 0x7ffffffe
	v_lshl_add_u64 v[4:5], v[4:5], 0, 4
	v_lshl_add_u64 v[6:7], v[2:3], 0, 4
	s_mov_b32 s9, 0
	s_branch .LBB284_38
.LBB284_37:                             ;   in Loop: Header=BB284_38 Depth=1
	s_or_b64 exec, exec, s[0:1]
	s_add_i32 s9, s9, 2
	v_lshl_add_u64 v[4:5], v[4:5], 0, 8
	s_cmp_lg_u32 s8, s9
	v_lshl_add_u64 v[6:7], v[6:7], 0, 8
	s_cbranch_scc0 .LBB284_58
.LBB284_38:                             ; =>This Inner Loop Header: Depth=1
	global_load_dword v1, v[6:7], off offset:-4
	v_mov_b64_e32 v[8:9], 0
	s_waitcnt vmcnt(0)
	v_cmp_eq_u32_e32 vcc, v1, v10
	v_cmp_ne_u32_e64 s[0:1], v1, v10
	s_and_saveexec_b64 s[10:11], s[0:1]
	s_cbranch_execz .LBB284_46
; %bb.39:                               ;   in Loop: Header=BB284_38 Depth=1
	v_cmp_eq_u32_e64 s[0:1], v1, v20
	v_cmp_ne_u32_e64 s[2:3], v1, v20
	v_mov_b64_e32 v[8:9], 1
	s_and_saveexec_b64 s[12:13], s[2:3]
	s_cbranch_execz .LBB284_45
; %bb.40:                               ;   in Loop: Header=BB284_38 Depth=1
	v_cmp_eq_u32_e64 s[2:3], v1, v19
	v_cmp_ne_u32_e64 s[4:5], v1, v19
	v_mov_b64_e32 v[8:9], 2
	;; [unrolled: 6-line block ×3, first 2 shown]
	s_and_saveexec_b64 s[18:19], s[4:5]
	s_xor_b64 s[18:19], exec, s[18:19]
; %bb.42:                               ;   in Loop: Header=BB284_38 Depth=1
	v_cmp_eq_u32_e64 s[4:5], v1, v17
	s_andn2_b64 s[16:17], s[16:17], exec
	s_and_b64 s[4:5], s[4:5], exec
	v_mov_b64_e32 v[8:9], 4
	s_or_b64 s[16:17], s[16:17], s[4:5]
; %bb.43:                               ;   in Loop: Header=BB284_38 Depth=1
	s_or_b64 exec, exec, s[18:19]
	s_andn2_b64 s[2:3], s[2:3], exec
	s_and_b64 s[4:5], s[16:17], exec
	s_or_b64 s[2:3], s[2:3], s[4:5]
.LBB284_44:                             ;   in Loop: Header=BB284_38 Depth=1
	s_or_b64 exec, exec, s[14:15]
	s_andn2_b64 s[0:1], s[0:1], exec
	s_and_b64 s[2:3], s[2:3], exec
	s_or_b64 s[0:1], s[0:1], s[2:3]
.LBB284_45:                             ;   in Loop: Header=BB284_38 Depth=1
	s_or_b64 exec, exec, s[12:13]
	s_andn2_b64 s[2:3], vcc, exec
	s_and_b64 s[0:1], s[0:1], exec
	s_or_b64 vcc, s[2:3], s[0:1]
.LBB284_46:                             ;   in Loop: Header=BB284_38 Depth=1
	s_or_b64 exec, exec, s[10:11]
	s_and_saveexec_b64 s[0:1], vcc
	s_cbranch_execz .LBB284_48
; %bb.47:                               ;   in Loop: Header=BB284_38 Depth=1
	v_cmp_eq_u32_e32 vcc, 1, v8
	v_add_u32_e32 v22, s9, v0
	v_ashrrev_i32_e32 v23, 31, v22
	v_cndmask_b32_e32 v1, v11, v12, vcc
	v_cmp_eq_u32_e32 vcc, 2, v8
	s_nop 1
	v_cndmask_b32_e32 v1, v1, v13, vcc
	v_cmp_eq_u32_e32 vcc, 3, v8
	s_nop 1
	v_cndmask_b32_e32 v1, v1, v14, vcc
	v_cmp_eq_u32_e32 vcc, 4, v8
	v_lshl_add_u64 v[8:9], v[22:23], 2, s[6:7]
	s_nop 0
	v_cndmask_b32_e32 v1, v1, v15, vcc
	v_mul_f32_e32 v1, v16, v1
	global_store_dword v[8:9], v1, off
.LBB284_48:                             ;   in Loop: Header=BB284_38 Depth=1
	s_or_b64 exec, exec, s[0:1]
	global_load_dword v1, v[6:7], off
	v_mov_b64_e32 v[8:9], 0
	s_waitcnt vmcnt(0)
	v_cmp_eq_u32_e64 s[2:3], v1, v10
	v_cmp_ne_u32_e32 vcc, v1, v10
	s_and_saveexec_b64 s[4:5], vcc
	s_cbranch_execz .LBB284_56
; %bb.49:                               ;   in Loop: Header=BB284_38 Depth=1
	v_cmp_eq_u32_e32 vcc, v1, v20
	v_cmp_ne_u32_e64 s[0:1], v1, v20
	v_mov_b64_e32 v[8:9], 1
	s_and_saveexec_b64 s[10:11], s[0:1]
	s_cbranch_execz .LBB284_55
; %bb.50:                               ;   in Loop: Header=BB284_38 Depth=1
	v_cmp_eq_u32_e64 s[12:13], v1, v19
	v_cmp_ne_u32_e64 s[0:1], v1, v19
	v_mov_b64_e32 v[8:9], 2
	s_and_saveexec_b64 s[14:15], s[0:1]
	s_cbranch_execz .LBB284_54
; %bb.51:                               ;   in Loop: Header=BB284_38 Depth=1
	v_cmp_eq_u32_e64 s[16:17], v1, v18
	v_cmp_ne_u32_e64 s[0:1], v1, v18
	v_mov_b64_e32 v[8:9], 3
	s_and_saveexec_b64 s[18:19], s[0:1]
; %bb.52:                               ;   in Loop: Header=BB284_38 Depth=1
	v_cmp_eq_u32_e64 s[0:1], v1, v17
	s_andn2_b64 s[16:17], s[16:17], exec
	s_and_b64 s[0:1], s[0:1], exec
	v_mov_b64_e32 v[8:9], 4
	s_or_b64 s[16:17], s[16:17], s[0:1]
; %bb.53:                               ;   in Loop: Header=BB284_38 Depth=1
	s_or_b64 exec, exec, s[18:19]
	s_andn2_b64 s[0:1], s[12:13], exec
	s_and_b64 s[12:13], s[16:17], exec
	s_or_b64 s[12:13], s[0:1], s[12:13]
.LBB284_54:                             ;   in Loop: Header=BB284_38 Depth=1
	s_or_b64 exec, exec, s[14:15]
	s_andn2_b64 s[0:1], vcc, exec
	s_and_b64 s[12:13], s[12:13], exec
	s_or_b64 vcc, s[0:1], s[12:13]
.LBB284_55:                             ;   in Loop: Header=BB284_38 Depth=1
	s_or_b64 exec, exec, s[10:11]
	s_andn2_b64 s[0:1], s[2:3], exec
	s_and_b64 s[2:3], vcc, exec
	s_or_b64 s[2:3], s[0:1], s[2:3]
.LBB284_56:                             ;   in Loop: Header=BB284_38 Depth=1
	s_or_b64 exec, exec, s[4:5]
	s_and_saveexec_b64 s[0:1], s[2:3]
	s_cbranch_execz .LBB284_37
; %bb.57:                               ;   in Loop: Header=BB284_38 Depth=1
	v_cmp_eq_u32_e32 vcc, 1, v8
	s_nop 1
	v_cndmask_b32_e32 v1, v11, v12, vcc
	v_cmp_eq_u32_e32 vcc, 2, v8
	s_nop 1
	v_cndmask_b32_e32 v1, v1, v13, vcc
	v_cmp_eq_u32_e32 vcc, 3, v8
	s_nop 1
	v_cndmask_b32_e32 v1, v1, v14, vcc
	v_cmp_eq_u32_e32 vcc, 4, v8
	s_nop 1
	v_cndmask_b32_e32 v1, v1, v15, vcc
	v_mul_f32_e32 v1, v16, v1
	global_store_dword v[4:5], v1, off
	s_branch .LBB284_37
.LBB284_58:
	s_bitcmp0_b32 s20, 0
	s_mov_b32 s9, 0
	s_cbranch_scc1 .LBB284_32
; %bb.59:
	v_lshl_add_u64 v[2:3], s[8:9], 2, v[2:3]
	global_load_dword v1, v[2:3], off
	v_mov_b64_e32 v[2:3], 0
	s_waitcnt vmcnt(0)
	v_cmp_eq_u32_e64 s[2:3], v1, v10
	v_cmp_ne_u32_e32 vcc, v1, v10
	s_and_saveexec_b64 s[4:5], vcc
	s_cbranch_execz .LBB284_67
; %bb.60:
	v_cmp_eq_u32_e32 vcc, v1, v20
	v_cmp_ne_u32_e64 s[0:1], v1, v20
	v_mov_b64_e32 v[2:3], 1
	s_and_saveexec_b64 s[10:11], s[0:1]
	s_cbranch_execz .LBB284_66
; %bb.61:
	v_cmp_eq_u32_e64 s[12:13], v1, v19
	v_cmp_ne_u32_e64 s[0:1], v1, v19
	v_mov_b64_e32 v[2:3], 2
	s_and_saveexec_b64 s[14:15], s[0:1]
	s_cbranch_execz .LBB284_65
; %bb.62:
	v_cmp_eq_u32_e64 s[16:17], v1, v18
	v_cmp_ne_u32_e64 s[0:1], v1, v18
	v_mov_b64_e32 v[2:3], 3
	s_and_saveexec_b64 s[18:19], s[0:1]
; %bb.63:
	v_cmp_eq_u32_e64 s[0:1], v1, v17
	s_andn2_b64 s[16:17], s[16:17], exec
	s_and_b64 s[0:1], s[0:1], exec
	v_mov_b64_e32 v[2:3], 4
	s_or_b64 s[16:17], s[16:17], s[0:1]
; %bb.64:
	s_or_b64 exec, exec, s[18:19]
	s_andn2_b64 s[0:1], s[12:13], exec
	s_and_b64 s[12:13], s[16:17], exec
	s_or_b64 s[12:13], s[0:1], s[12:13]
.LBB284_65:
	s_or_b64 exec, exec, s[14:15]
	s_andn2_b64 s[0:1], vcc, exec
	s_and_b64 s[12:13], s[12:13], exec
	s_or_b64 vcc, s[0:1], s[12:13]
.LBB284_66:
	s_or_b64 exec, exec, s[10:11]
	s_andn2_b64 s[0:1], s[2:3], exec
	s_and_b64 s[2:3], vcc, exec
	s_or_b64 s[2:3], s[0:1], s[2:3]
.LBB284_67:
	s_or_b64 exec, exec, s[4:5]
	s_and_b64 exec, exec, s[2:3]
	s_cbranch_execz .LBB284_32
; %bb.68:
	v_cmp_eq_u32_e32 vcc, 1, v2
	v_add_u32_e32 v0, s8, v0
	s_nop 0
	v_cndmask_b32_e32 v1, v11, v12, vcc
	v_cmp_eq_u32_e32 vcc, 2, v2
	s_nop 1
	v_cndmask_b32_e32 v1, v1, v13, vcc
	v_cmp_eq_u32_e32 vcc, 3, v2
	;; [unrolled: 3-line block ×3, first 2 shown]
	s_nop 1
	v_cndmask_b32_e32 v1, v1, v15, vcc
	v_mul_f32_e32 v2, v16, v1
	v_ashrrev_i32_e32 v1, 31, v0
	s_waitcnt lgkmcnt(0)
	v_lshl_add_u64 v[0:1], v[0:1], 2, s[6:7]
	global_store_dword v[0:1], v2, off
	s_endpgm
	.section	.rodata,"a",@progbits
	.p2align	6, 0x0
	.amdhsa_kernel _ZN4vllm3moe22topkGatingSoftplusSqrtILi5ELi320ELi4ELi2ELi64ELb1Ej6__halfEEvPKT6_PKbPfiPT5_PiiiibdPKfPKS9_SF_
		.amdhsa_group_segment_fixed_size 0
		.amdhsa_private_segment_fixed_size 0
		.amdhsa_kernarg_size 96
		.amdhsa_user_sgpr_count 2
		.amdhsa_user_sgpr_dispatch_ptr 0
		.amdhsa_user_sgpr_queue_ptr 0
		.amdhsa_user_sgpr_kernarg_segment_ptr 1
		.amdhsa_user_sgpr_dispatch_id 0
		.amdhsa_user_sgpr_kernarg_preload_length 0
		.amdhsa_user_sgpr_kernarg_preload_offset 0
		.amdhsa_user_sgpr_private_segment_size 0
		.amdhsa_uses_dynamic_stack 0
		.amdhsa_enable_private_segment 0
		.amdhsa_system_sgpr_workgroup_id_x 1
		.amdhsa_system_sgpr_workgroup_id_y 0
		.amdhsa_system_sgpr_workgroup_id_z 0
		.amdhsa_system_sgpr_workgroup_info 0
		.amdhsa_system_vgpr_workitem_id 1
		.amdhsa_next_free_vgpr 26
		.amdhsa_next_free_sgpr 21
		.amdhsa_accum_offset 28
		.amdhsa_reserve_vcc 1
		.amdhsa_float_round_mode_32 0
		.amdhsa_float_round_mode_16_64 0
		.amdhsa_float_denorm_mode_32 3
		.amdhsa_float_denorm_mode_16_64 3
		.amdhsa_dx10_clamp 1
		.amdhsa_ieee_mode 1
		.amdhsa_fp16_overflow 0
		.amdhsa_tg_split 0
		.amdhsa_exception_fp_ieee_invalid_op 0
		.amdhsa_exception_fp_denorm_src 0
		.amdhsa_exception_fp_ieee_div_zero 0
		.amdhsa_exception_fp_ieee_overflow 0
		.amdhsa_exception_fp_ieee_underflow 0
		.amdhsa_exception_fp_ieee_inexact 0
		.amdhsa_exception_int_div_zero 0
	.end_amdhsa_kernel
	.section	.text._ZN4vllm3moe22topkGatingSoftplusSqrtILi5ELi320ELi4ELi2ELi64ELb1Ej6__halfEEvPKT6_PKbPfiPT5_PiiiibdPKfPKS9_SF_,"axG",@progbits,_ZN4vllm3moe22topkGatingSoftplusSqrtILi5ELi320ELi4ELi2ELi64ELb1Ej6__halfEEvPKT6_PKbPfiPT5_PiiiibdPKfPKS9_SF_,comdat
.Lfunc_end284:
	.size	_ZN4vllm3moe22topkGatingSoftplusSqrtILi5ELi320ELi4ELi2ELi64ELb1Ej6__halfEEvPKT6_PKbPfiPT5_PiiiibdPKfPKS9_SF_, .Lfunc_end284-_ZN4vllm3moe22topkGatingSoftplusSqrtILi5ELi320ELi4ELi2ELi64ELb1Ej6__halfEEvPKT6_PKbPfiPT5_PiiiibdPKfPKS9_SF_
                                        ; -- End function
	.section	.AMDGPU.csdata,"",@progbits
; Kernel info:
; codeLenInByte = 3848
; NumSgprs: 27
; NumVgprs: 26
; NumAgprs: 0
; TotalNumVgprs: 26
; ScratchSize: 0
; MemoryBound: 0
; FloatMode: 240
; IeeeMode: 1
; LDSByteSize: 0 bytes/workgroup (compile time only)
; SGPRBlocks: 3
; VGPRBlocks: 3
; NumSGPRsForWavesPerEU: 27
; NumVGPRsForWavesPerEU: 26
; AccumOffset: 28
; Occupancy: 8
; WaveLimiterHint : 1
; COMPUTE_PGM_RSRC2:SCRATCH_EN: 0
; COMPUTE_PGM_RSRC2:USER_SGPR: 2
; COMPUTE_PGM_RSRC2:TRAP_HANDLER: 0
; COMPUTE_PGM_RSRC2:TGID_X_EN: 1
; COMPUTE_PGM_RSRC2:TGID_Y_EN: 0
; COMPUTE_PGM_RSRC2:TGID_Z_EN: 0
; COMPUTE_PGM_RSRC2:TIDIG_COMP_CNT: 1
; COMPUTE_PGM_RSRC3_GFX90A:ACCUM_OFFSET: 6
; COMPUTE_PGM_RSRC3_GFX90A:TG_SPLIT: 0
	.section	.text._ZN4vllm3moe22topkGatingSoftplusSqrtILi5ELi320ELi4ELi2ELi64ELb0Ej6__halfEEvPKT6_PKbPfiPT5_PiiiibdPKfPKS9_SF_,"axG",@progbits,_ZN4vllm3moe22topkGatingSoftplusSqrtILi5ELi320ELi4ELi2ELi64ELb0Ej6__halfEEvPKT6_PKbPfiPT5_PiiiibdPKfPKS9_SF_,comdat
	.protected	_ZN4vllm3moe22topkGatingSoftplusSqrtILi5ELi320ELi4ELi2ELi64ELb0Ej6__halfEEvPKT6_PKbPfiPT5_PiiiibdPKfPKS9_SF_ ; -- Begin function _ZN4vllm3moe22topkGatingSoftplusSqrtILi5ELi320ELi4ELi2ELi64ELb0Ej6__halfEEvPKT6_PKbPfiPT5_PiiiibdPKfPKS9_SF_
	.globl	_ZN4vllm3moe22topkGatingSoftplusSqrtILi5ELi320ELi4ELi2ELi64ELb0Ej6__halfEEvPKT6_PKbPfiPT5_PiiiibdPKfPKS9_SF_
	.p2align	8
	.type	_ZN4vllm3moe22topkGatingSoftplusSqrtILi5ELi320ELi4ELi2ELi64ELb0Ej6__halfEEvPKT6_PKbPfiPT5_PiiiibdPKfPKS9_SF_,@function
_ZN4vllm3moe22topkGatingSoftplusSqrtILi5ELi320ELi4ELi2ELi64ELb0Ej6__halfEEvPKT6_PKbPfiPT5_PiiiibdPKfPKS9_SF_: ; @_ZN4vllm3moe22topkGatingSoftplusSqrtILi5ELi320ELi4ELi2ELi64ELb0Ej6__halfEEvPKT6_PKbPfiPT5_PiiiibdPKfPKS9_SF_
; %bb.0:
	s_load_dword s30, s[0:1], 0x18
	v_and_b32_e32 v1, 0x3ff, v0
	s_lshl_b32 s2, s2, 2
	v_lshrrev_b32_e32 v2, 6, v1
	v_bfe_u32 v0, v0, 10, 10
	v_add3_u32 v6, s2, v0, v2
	s_waitcnt lgkmcnt(0)
	v_cmp_gt_i32_e32 vcc, s30, v6
	s_and_saveexec_b64 s[2:3], vcc
	s_cbranch_execz .LBB285_59
; %bb.1:
	s_load_dwordx4 s[4:7], s[0:1], 0x0
	s_load_dwordx2 s[20:21], s[0:1], 0x10
	s_waitcnt lgkmcnt(0)
	s_cmp_eq_u64 s[6:7], 0
	s_cbranch_scc1 .LBB285_3
; %bb.2:
	v_ashrrev_i32_e32 v7, 31, v6
	v_lshl_add_u64 v[2:3], s[6:7], 0, v[6:7]
	global_load_ubyte v0, v[2:3], off
	s_waitcnt vmcnt(0)
	v_and_b32_e32 v0, 1, v0
	v_cmp_eq_u32_e32 vcc, 1, v0
	s_xor_b64 s[2:3], vcc, -1
	s_orn2_b64 s[22:23], s[2:3], exec
	s_branch .LBB285_4
.LBB285_3:
	s_mov_b64 s[22:23], -1
.LBB285_4:
	s_movk_i32 s2, 0x140
	v_mul_lo_u32 v4, v6, s2
	v_mov_b32_e32 v2, s4
	v_mov_b32_e32 v3, s5
	v_ashrrev_i32_e32 v5, 31, v4
	v_and_b32_e32 v8, 63, v1
	v_lshl_add_u64 v[2:3], v[4:5], 1, v[2:3]
	v_mov_b32_e32 v1, 0
	v_lshlrev_b32_e32 v0, 1, v8
	v_lshl_add_u64 v[10:11], v[2:3], 0, v[0:1]
	global_load_ushort v0, v[10:11], off
	global_load_ushort v1, v[10:11], off offset:128
	global_load_ushort v2, v[10:11], off offset:256
	;; [unrolled: 1-line block ×4, first 2 shown]
	s_mov_b32 s16, 0x800000
	v_mov_b32_e32 v9, 0x4f800000
	s_mov_b32 s13, 0x3f317217
	s_mov_b32 s14, 0x7f800000
	v_mov_b32_e32 v10, 0x41b17218
	s_movk_i32 s12, 0x4d00
	s_mov_b32 s15, 0xf800000
	s_load_dwordx4 s[8:11], s[0:1], 0x40
	s_waitcnt lgkmcnt(0)
	s_cmp_lg_u64 s[10:11], 0
	s_cselect_b64 s[6:7], -1, 0
	s_and_b64 s[2:3], exec, s[6:7]
	s_waitcnt vmcnt(4)
	v_cvt_f32_f16_e32 v11, v0
	v_mul_f32_e32 v5, 0x3fb8aa3b, v11
	v_exp_f32_e32 v5, v5
	s_nop 0
	v_add_f32_e32 v5, 1.0, v5
	v_cmp_gt_f32_e32 vcc, s16, v5
	s_nop 1
	v_cndmask_b32_e32 v7, 1.0, v9, vcc
	v_mul_f32_e32 v5, v5, v7
	v_log_f32_e32 v12, v5
	v_cndmask_b32_e32 v13, 0, v10, vcc
	v_mov_b32_e32 v7, 0x260
	v_lshlrev_b32_e32 v5, 2, v8
	v_mul_f32_e32 v14, 0x3f317217, v12
	v_fma_f32 v14, v12, s13, -v14
	v_fmac_f32_e32 v14, 0x3377d1cf, v12
	v_fmac_f32_e32 v14, 0x3f317217, v12
	v_cmp_lt_f32_e64 vcc, |v12|, s14
	s_nop 1
	v_cndmask_b32_e32 v12, v12, v14, vcc
	v_sub_f32_e32 v12, v12, v13
	v_cmp_lt_f16_e32 vcc, s12, v0
	s_nop 1
	v_cndmask_b32_e32 v0, v12, v11, vcc
	v_mul_f32_e32 v11, 0x4f800000, v0
	v_cmp_gt_f32_e32 vcc, s15, v0
	s_nop 1
	v_cndmask_b32_e32 v0, v0, v11, vcc
	v_sqrt_f32_e32 v11, v0
	s_nop 0
	v_add_u32_e32 v12, -1, v11
	v_add_u32_e32 v13, 1, v11
	v_fma_f32 v14, -v12, v11, v0
	v_fma_f32 v15, -v13, v11, v0
	v_cmp_ge_f32_e64 s[4:5], 0, v14
	s_nop 1
	v_cndmask_b32_e64 v11, v11, v12, s[4:5]
	v_cmp_lt_f32_e64 s[4:5], 0, v15
	s_nop 1
	v_cndmask_b32_e64 v11, v11, v13, s[4:5]
	v_mul_f32_e32 v12, 0x37800000, v11
	v_cndmask_b32_e32 v11, v11, v12, vcc
	v_cmp_class_f32_e32 vcc, v0, v7
	s_nop 1
	v_cndmask_b32_e32 v0, v11, v0, vcc
	s_mov_b64 vcc, s[2:3]
	s_cbranch_vccz .LBB285_6
; %bb.5:
	global_load_dword v11, v5, s[10:11]
	s_waitcnt vmcnt(0)
	v_add_f32_e32 v0, v0, v11
.LBB285_6:
	s_waitcnt vmcnt(3)
	v_cvt_f32_f16_e32 v11, v1
	v_mul_f32_e32 v12, 0x3fb8aa3b, v11
	v_exp_f32_e32 v12, v12
	s_nop 0
	v_add_f32_e32 v12, 1.0, v12
	v_cmp_gt_f32_e32 vcc, s16, v12
	s_nop 1
	v_cndmask_b32_e32 v9, 1.0, v9, vcc
	v_mul_f32_e32 v9, v12, v9
	v_log_f32_e32 v9, v9
	v_cndmask_b32_e32 v10, 0, v10, vcc
	v_mul_f32_e32 v12, 0x3f317217, v9
	v_fma_f32 v12, v9, s13, -v12
	v_fmac_f32_e32 v12, 0x3377d1cf, v9
	v_fmac_f32_e32 v12, 0x3f317217, v9
	v_cmp_lt_f32_e64 vcc, |v9|, s14
	s_nop 1
	v_cndmask_b32_e32 v9, v9, v12, vcc
	v_sub_f32_e32 v9, v9, v10
	v_cmp_lt_f16_e32 vcc, s12, v1
	v_cndmask_b32_e64 v10, 0, 1, s[6:7]
	v_cmp_ne_u32_e64 s[4:5], 1, v10
	v_cndmask_b32_e32 v1, v9, v11, vcc
	v_mul_f32_e32 v9, 0x4f800000, v1
	v_cmp_gt_f32_e64 s[2:3], s15, v1
	s_andn2_b64 vcc, exec, s[6:7]
	s_nop 0
	v_cndmask_b32_e64 v1, v1, v9, s[2:3]
	v_sqrt_f32_e32 v9, v1
	s_nop 0
	v_add_u32_e32 v10, -1, v9
	v_add_u32_e32 v11, 1, v9
	v_fma_f32 v12, -v10, v9, v1
	v_fma_f32 v13, -v11, v9, v1
	v_cmp_ge_f32_e64 s[6:7], 0, v12
	s_nop 1
	v_cndmask_b32_e64 v9, v9, v10, s[6:7]
	v_cmp_lt_f32_e64 s[6:7], 0, v13
	s_nop 1
	v_cndmask_b32_e64 v9, v9, v11, s[6:7]
	v_mul_f32_e32 v10, 0x37800000, v9
	v_cndmask_b32_e64 v9, v9, v10, s[2:3]
	v_cmp_class_f32_e64 s[2:3], v1, v7
	s_nop 1
	v_cndmask_b32_e64 v1, v9, v1, s[2:3]
	s_cbranch_vccnz .LBB285_8
; %bb.7:
	global_load_dword v7, v5, s[10:11] offset:256
	s_waitcnt vmcnt(0)
	v_add_f32_e32 v1, v1, v7
.LBB285_8:
	s_waitcnt vmcnt(2)
	v_cvt_f32_f16_e32 v7, v2
	s_mov_b32 s12, 0x800000
	s_mov_b32 s7, 0x3f317217
	;; [unrolled: 1-line block ×3, first 2 shown]
	v_mul_f32_e32 v9, 0x3fb8aa3b, v7
	v_exp_f32_e32 v10, v9
	v_mov_b32_e32 v9, 0x4f800000
	s_movk_i32 s6, 0x4d00
	s_mov_b32 s14, 0xf800000
	v_add_f32_e32 v10, 1.0, v10
	v_cmp_gt_f32_e32 vcc, s12, v10
	s_nop 1
	v_cndmask_b32_e32 v11, 1.0, v9, vcc
	v_mul_f32_e32 v10, v10, v11
	v_log_f32_e32 v11, v10
	v_mov_b32_e32 v10, 0x41b17218
	v_cndmask_b32_e32 v12, 0, v10, vcc
	v_mul_f32_e32 v13, 0x3f317217, v11
	v_fma_f32 v13, v11, s7, -v13
	v_fmac_f32_e32 v13, 0x3377d1cf, v11
	v_fmac_f32_e32 v13, 0x3f317217, v11
	v_cmp_lt_f32_e64 vcc, |v11|, s13
	s_nop 1
	v_cndmask_b32_e32 v11, v11, v13, vcc
	v_sub_f32_e32 v11, v11, v12
	v_cmp_lt_f16_e32 vcc, s6, v2
	s_nop 1
	v_cndmask_b32_e32 v2, v11, v7, vcc
	v_mul_f32_e32 v7, 0x4f800000, v2
	v_cmp_gt_f32_e32 vcc, s14, v2
	s_nop 1
	v_cndmask_b32_e32 v2, v2, v7, vcc
	v_sqrt_f32_e32 v7, v2
	s_nop 0
	v_add_u32_e32 v11, -1, v7
	v_fma_f32 v12, -v11, v7, v2
	v_cmp_ge_f32_e64 s[2:3], 0, v12
	v_add_u32_e32 v12, 1, v7
	s_nop 0
	v_cndmask_b32_e64 v11, v7, v11, s[2:3]
	v_fma_f32 v7, -v12, v7, v2
	v_cmp_lt_f32_e64 s[2:3], 0, v7
	s_nop 1
	v_cndmask_b32_e64 v7, v11, v12, s[2:3]
	v_mul_f32_e32 v11, 0x37800000, v7
	v_cndmask_b32_e32 v11, v7, v11, vcc
	v_mov_b32_e32 v7, 0x260
	v_cmp_class_f32_e64 s[2:3], v2, v7
	s_and_b64 vcc, exec, s[4:5]
	s_nop 0
	v_cndmask_b32_e64 v2, v11, v2, s[2:3]
	s_cbranch_vccnz .LBB285_10
; %bb.9:
	global_load_dword v11, v5, s[10:11] offset:512
	s_waitcnt vmcnt(0)
	v_add_f32_e32 v2, v2, v11
.LBB285_10:
	s_waitcnt vmcnt(1)
	v_cvt_f32_f16_e32 v11, v3
	v_mul_f32_e32 v12, 0x3fb8aa3b, v11
	v_exp_f32_e32 v12, v12
	s_nop 0
	v_add_f32_e32 v12, 1.0, v12
	v_cmp_gt_f32_e32 vcc, s12, v12
	s_nop 1
	v_cndmask_b32_e32 v9, 1.0, v9, vcc
	v_mul_f32_e32 v9, v12, v9
	v_log_f32_e32 v9, v9
	v_cndmask_b32_e32 v10, 0, v10, vcc
	v_mul_f32_e32 v12, 0x3f317217, v9
	v_fma_f32 v12, v9, s7, -v12
	v_fmac_f32_e32 v12, 0x3377d1cf, v9
	v_fmac_f32_e32 v12, 0x3f317217, v9
	v_cmp_lt_f32_e64 vcc, |v9|, s13
	s_nop 1
	v_cndmask_b32_e32 v9, v9, v12, vcc
	v_sub_f32_e32 v9, v9, v10
	v_cmp_lt_f16_e32 vcc, s6, v3
	s_nop 1
	v_cndmask_b32_e32 v3, v9, v11, vcc
	v_mul_f32_e32 v9, 0x4f800000, v3
	v_cmp_gt_f32_e64 s[2:3], s14, v3
	s_and_b64 vcc, exec, s[4:5]
	s_nop 0
	v_cndmask_b32_e64 v3, v3, v9, s[2:3]
	v_sqrt_f32_e32 v9, v3
	s_nop 0
	v_add_u32_e32 v10, -1, v9
	v_add_u32_e32 v11, 1, v9
	v_fma_f32 v12, -v10, v9, v3
	v_fma_f32 v13, -v11, v9, v3
	v_cmp_ge_f32_e64 s[6:7], 0, v12
	s_nop 1
	v_cndmask_b32_e64 v9, v9, v10, s[6:7]
	v_cmp_lt_f32_e64 s[6:7], 0, v13
	s_nop 1
	v_cndmask_b32_e64 v9, v9, v11, s[6:7]
	v_mul_f32_e32 v10, 0x37800000, v9
	v_cndmask_b32_e64 v9, v9, v10, s[2:3]
	v_cmp_class_f32_e64 s[2:3], v3, v7
	s_nop 1
	v_cndmask_b32_e64 v3, v9, v3, s[2:3]
	s_cbranch_vccnz .LBB285_12
; %bb.11:
	global_load_dword v7, v5, s[10:11] offset:768
	s_waitcnt vmcnt(0)
	v_add_f32_e32 v3, v3, v7
.LBB285_12:
	s_waitcnt vmcnt(0)
	v_cvt_f32_f16_e32 v7, v4
	s_mov_b32 s3, 0x800000
	v_mov_b32_e32 v10, 0x4f800000
	s_mov_b32 s6, 0x3f317217
	v_mul_f32_e32 v9, 0x3fb8aa3b, v7
	v_exp_f32_e32 v9, v9
	s_movk_i32 s2, 0x4d00
	v_add_f32_e32 v9, 1.0, v9
	v_cmp_gt_f32_e32 vcc, s3, v9
	s_mov_b32 s3, 0x7f800000
	s_nop 0
	v_cndmask_b32_e32 v10, 1.0, v10, vcc
	v_mul_f32_e32 v9, v9, v10
	v_log_f32_e32 v9, v9
	v_mov_b32_e32 v10, 0x41b17218
	v_cndmask_b32_e32 v10, 0, v10, vcc
	v_mul_f32_e32 v11, 0x3f317217, v9
	v_fma_f32 v11, v9, s6, -v11
	v_fmamk_f32 v11, v9, 0x3377d1cf, v11
	v_fmac_f32_e32 v11, 0x3f317217, v9
	v_cmp_lt_f32_e64 vcc, |v9|, s3
	s_nop 1
	v_cndmask_b32_e32 v9, v9, v11, vcc
	v_sub_f32_e32 v9, v9, v10
	v_cmp_lt_f16_e32 vcc, s2, v4
	s_mov_b32 s2, 0xf800000
	s_nop 0
	v_cndmask_b32_e32 v4, v9, v7, vcc
	v_mul_f32_e32 v7, 0x4f800000, v4
	v_cmp_gt_f32_e32 vcc, s2, v4
	s_nop 1
	v_cndmask_b32_e32 v4, v4, v7, vcc
	v_sqrt_f32_e32 v7, v4
	s_nop 0
	v_add_u32_e32 v9, -1, v7
	v_fma_f32 v10, -v9, v7, v4
	v_cmp_ge_f32_e64 s[2:3], 0, v10
	v_add_u32_e32 v10, 1, v7
	s_nop 0
	v_cndmask_b32_e64 v9, v7, v9, s[2:3]
	v_fma_f32 v7, -v10, v7, v4
	v_cmp_lt_f32_e64 s[2:3], 0, v7
	s_nop 1
	v_cndmask_b32_e64 v7, v9, v10, s[2:3]
	v_mul_f32_e32 v9, 0x37800000, v7
	v_cndmask_b32_e32 v7, v7, v9, vcc
	v_mov_b32_e32 v9, 0x260
	v_cmp_class_f32_e64 s[2:3], v4, v9
	s_and_b64 vcc, exec, s[4:5]
	s_nop 0
	v_cndmask_b32_e64 v4, v7, v4, s[2:3]
	s_cbranch_vccnz .LBB285_14
; %bb.13:
	global_load_dword v5, v5, s[10:11] offset:1024
	s_waitcnt vmcnt(0)
	v_add_f32_e32 v4, v4, v5
.LBB285_14:
	s_load_dwordx4 s[12:15], s[0:1], 0x30
	v_cmp_eq_u32_e64 s[6:7], 0, v8
	s_waitcnt lgkmcnt(0)
	s_bitcmp1_b32 s15, 0
	s_cselect_b64 s[2:3], -1, 0
	s_cmp_gt_i32 s12, 0
	s_cselect_b64 s[24:25], -1, 0
	s_and_b64 vcc, exec, s[24:25]
	s_cbranch_vccz .LBB285_45
; %bb.15:
	v_mbcnt_lo_u32_b32 v5, -1, 0
	v_mbcnt_hi_u32_b32 v7, -1, v5
	v_and_b32_e32 v5, 64, v7
	v_add_u32_e32 v10, 64, v5
	v_xor_b32_e32 v11, 32, v7
	v_cmp_lt_i32_e32 vcc, v11, v10
	s_load_dwordx4 s[16:19], s[0:1], 0x20
	s_mov_b32 s15, 0
	v_cndmask_b32_e32 v11, v7, v11, vcc
	v_lshlrev_b32_e32 v15, 2, v11
	v_xor_b32_e32 v11, 16, v7
	v_cmp_lt_i32_e32 vcc, v11, v10
	v_mul_lo_u32 v5, v6, s12
	v_or_b32_e32 v9, 64, v8
	v_cndmask_b32_e32 v11, v7, v11, vcc
	v_lshlrev_b32_e32 v16, 2, v11
	v_xor_b32_e32 v11, 8, v7
	v_cmp_lt_i32_e32 vcc, v11, v10
	v_or_b32_e32 v12, 0x80, v8
	v_or_b32_e32 v13, 0xc0, v8
	v_cndmask_b32_e32 v11, v7, v11, vcc
	v_lshlrev_b32_e32 v17, 2, v11
	v_xor_b32_e32 v11, 4, v7
	v_cmp_lt_i32_e32 vcc, v11, v10
	v_or_b32_e32 v14, 0x100, v8
	v_mov_b32_e32 v21, 0x140
	v_cndmask_b32_e32 v11, v7, v11, vcc
	v_lshlrev_b32_e32 v18, 2, v11
	v_xor_b32_e32 v11, 2, v7
	v_cmp_lt_i32_e32 vcc, v11, v10
	v_mov_b32_e32 v22, 0xc61c4000
	v_mov_b32_e32 v23, v6
	v_cndmask_b32_e32 v11, v7, v11, vcc
	v_lshlrev_b32_e32 v19, 2, v11
	v_xor_b32_e32 v11, 1, v7
	v_cmp_lt_i32_e32 vcc, v11, v10
	s_nop 1
	v_cndmask_b32_e32 v7, v7, v11, vcc
	v_lshlrev_b32_e32 v20, 2, v7
	v_mov_b32_e32 v7, 0
	s_branch .LBB285_18
.LBB285_16:                             ;   in Loop: Header=BB285_18 Depth=1
	v_add_u32_e32 v26, s15, v5
	v_cmp_le_i32_e32 vcc, s13, v10
	v_cmp_gt_i32_e64 s[0:1], s14, v10
	v_ashrrev_i32_e32 v27, 31, v26
	s_and_b64 s[0:1], vcc, s[0:1]
	v_lshlrev_b64 v[26:27], 2, v[26:27]
	v_lshl_add_u64 v[28:29], s[20:21], 0, v[26:27]
	v_subrev_u32_e32 v11, s13, v10
	s_and_b64 vcc, s[22:23], s[0:1]
	global_store_dword v[28:29], v24, off
	v_cndmask_b32_e32 v11, v21, v11, vcc
	v_lshl_add_u64 v[28:29], s[16:17], 0, v[26:27]
	global_store_dword v[28:29], v11, off
	v_add_f32_e32 v11, v7, v24
	v_lshl_add_u64 v[26:27], s[18:19], 0, v[26:27]
	v_cndmask_b32_e64 v7, v7, v11, s[2:3]
	global_store_dword v[26:27], v23, off
.LBB285_17:                             ;   in Loop: Header=BB285_18 Depth=1
	s_or_b64 exec, exec, s[26:27]
	v_ashrrev_i32_e32 v11, 31, v10
	v_lshrrev_b32_e32 v11, 26, v11
	v_add_u32_e32 v11, v10, v11
	v_ashrrev_i32_e32 v24, 6, v11
	v_and_b32_e32 v11, 0xffffffc0, v11
	v_sub_u32_e32 v10, v10, v11
	v_cmp_ne_u32_e64 s[0:1], 0, v24
	v_cmp_eq_u32_e32 vcc, v8, v10
	s_add_i32 s15, s15, 1
	v_cndmask_b32_e64 v10, v22, v0, s[0:1]
	v_cmp_ne_u32_e64 s[0:1], 1, v24
	s_cmp_lt_i32 s15, s12
	s_cselect_b64 s[26:27], -1, 0
	v_cndmask_b32_e64 v11, v22, v1, s[0:1]
	v_cmp_ne_u32_e64 s[0:1], 2, v24
	s_and_b64 vcc, s[26:27], vcc
	v_cndmask_b32_e32 v1, v1, v11, vcc
	s_waitcnt lgkmcnt(0)
	v_cndmask_b32_e64 v25, v22, v2, s[0:1]
	v_cmp_ne_u32_e64 s[0:1], 3, v24
	v_cndmask_b32_e32 v2, v2, v25, vcc
	v_cndmask_b32_e32 v0, v0, v10, vcc
	v_cndmask_b32_e64 v26, v22, v3, s[0:1]
	v_cmp_ne_u32_e64 s[0:1], 4, v24
	v_cndmask_b32_e32 v3, v3, v26, vcc
	s_cmp_eq_u32 s12, s15
	v_cndmask_b32_e64 v24, v22, v4, s[0:1]
	v_cndmask_b32_e32 v4, v4, v24, vcc
	v_add_u32_e32 v23, s30, v23
	s_cbranch_scc1 .LBB285_46
.LBB285_18:                             ; =>This Inner Loop Header: Depth=1
	v_cmp_gt_f32_e32 vcc, v1, v0
	s_nop 1
	v_cndmask_b32_e32 v11, v0, v1, vcc
	v_cndmask_b32_e32 v10, v8, v9, vcc
	v_cmp_gt_f32_e32 vcc, v2, v11
	s_nop 1
	v_cndmask_b32_e32 v11, v11, v2, vcc
	v_cndmask_b32_e32 v10, v10, v12, vcc
	;; [unrolled: 4-line block ×4, first 2 shown]
	ds_bpermute_b32 v11, v15, v24
	ds_bpermute_b32 v25, v15, v10
	s_waitcnt lgkmcnt(0)
	v_cmp_lt_f32_e64 s[26:27], v24, v11
	v_cmp_nlt_f32_e32 vcc, v24, v11
	s_and_saveexec_b64 s[28:29], vcc
; %bb.19:                               ;   in Loop: Header=BB285_18 Depth=1
	v_cmp_eq_f32_e32 vcc, v24, v11
	v_cmp_lt_i32_e64 s[0:1], v25, v10
	s_and_b64 s[0:1], vcc, s[0:1]
	s_andn2_b64 s[26:27], s[26:27], exec
	s_and_b64 s[0:1], s[0:1], exec
	s_or_b64 s[26:27], s[26:27], s[0:1]
; %bb.20:                               ;   in Loop: Header=BB285_18 Depth=1
	s_or_b64 exec, exec, s[28:29]
	s_and_saveexec_b64 s[0:1], s[26:27]
; %bb.21:                               ;   in Loop: Header=BB285_18 Depth=1
	v_mov_b32_e32 v24, v11
	v_mov_b32_e32 v10, v25
; %bb.22:                               ;   in Loop: Header=BB285_18 Depth=1
	s_or_b64 exec, exec, s[0:1]
	ds_bpermute_b32 v11, v16, v24
	ds_bpermute_b32 v25, v16, v10
	s_waitcnt lgkmcnt(1)
	v_cmp_lt_f32_e64 s[26:27], v24, v11
	v_cmp_nlt_f32_e32 vcc, v24, v11
	s_and_saveexec_b64 s[28:29], vcc
	s_cbranch_execz .LBB285_24
; %bb.23:                               ;   in Loop: Header=BB285_18 Depth=1
	v_cmp_eq_f32_e32 vcc, v24, v11
	s_waitcnt lgkmcnt(0)
	v_cmp_lt_i32_e64 s[0:1], v25, v10
	s_and_b64 s[0:1], vcc, s[0:1]
	s_andn2_b64 s[26:27], s[26:27], exec
	s_and_b64 s[0:1], s[0:1], exec
	s_or_b64 s[26:27], s[26:27], s[0:1]
.LBB285_24:                             ;   in Loop: Header=BB285_18 Depth=1
	s_or_b64 exec, exec, s[28:29]
	s_and_saveexec_b64 s[0:1], s[26:27]
	s_cbranch_execz .LBB285_26
; %bb.25:                               ;   in Loop: Header=BB285_18 Depth=1
	v_mov_b32_e32 v24, v11
	s_waitcnt lgkmcnt(0)
	v_mov_b32_e32 v10, v25
.LBB285_26:                             ;   in Loop: Header=BB285_18 Depth=1
	s_or_b64 exec, exec, s[0:1]
	ds_bpermute_b32 v11, v17, v24
	s_waitcnt lgkmcnt(1)
	ds_bpermute_b32 v25, v17, v10
	s_waitcnt lgkmcnt(1)
	v_cmp_lt_f32_e64 s[26:27], v24, v11
	v_cmp_nlt_f32_e32 vcc, v24, v11
	s_and_saveexec_b64 s[28:29], vcc
	s_cbranch_execz .LBB285_28
; %bb.27:                               ;   in Loop: Header=BB285_18 Depth=1
	v_cmp_eq_f32_e32 vcc, v24, v11
	s_waitcnt lgkmcnt(0)
	v_cmp_lt_i32_e64 s[0:1], v25, v10
	s_and_b64 s[0:1], vcc, s[0:1]
	s_andn2_b64 s[26:27], s[26:27], exec
	s_and_b64 s[0:1], s[0:1], exec
	s_or_b64 s[26:27], s[26:27], s[0:1]
.LBB285_28:                             ;   in Loop: Header=BB285_18 Depth=1
	s_or_b64 exec, exec, s[28:29]
	s_and_saveexec_b64 s[0:1], s[26:27]
	s_cbranch_execz .LBB285_30
; %bb.29:                               ;   in Loop: Header=BB285_18 Depth=1
	v_mov_b32_e32 v24, v11
	s_waitcnt lgkmcnt(0)
	v_mov_b32_e32 v10, v25
.LBB285_30:                             ;   in Loop: Header=BB285_18 Depth=1
	s_or_b64 exec, exec, s[0:1]
	ds_bpermute_b32 v11, v18, v24
	s_waitcnt lgkmcnt(1)
	;; [unrolled: 26-line block ×4, first 2 shown]
	ds_bpermute_b32 v25, v20, v10
	s_waitcnt lgkmcnt(1)
	v_cmp_lt_f32_e64 s[26:27], v24, v11
	v_cmp_nlt_f32_e32 vcc, v24, v11
	s_and_saveexec_b64 s[28:29], vcc
	s_cbranch_execnz .LBB285_41
; %bb.39:                               ;   in Loop: Header=BB285_18 Depth=1
	s_or_b64 exec, exec, s[28:29]
	s_and_saveexec_b64 s[0:1], s[26:27]
	s_cbranch_execnz .LBB285_42
.LBB285_40:                             ;   in Loop: Header=BB285_18 Depth=1
	s_or_b64 exec, exec, s[0:1]
	s_and_saveexec_b64 s[26:27], s[6:7]
	s_cbranch_execz .LBB285_17
	s_branch .LBB285_43
.LBB285_41:                             ;   in Loop: Header=BB285_18 Depth=1
	v_cmp_eq_f32_e32 vcc, v24, v11
	s_waitcnt lgkmcnt(0)
	v_cmp_lt_i32_e64 s[0:1], v25, v10
	s_and_b64 s[0:1], vcc, s[0:1]
	s_andn2_b64 s[26:27], s[26:27], exec
	s_and_b64 s[0:1], s[0:1], exec
	s_or_b64 s[26:27], s[26:27], s[0:1]
	s_or_b64 exec, exec, s[28:29]
	s_and_saveexec_b64 s[0:1], s[26:27]
	s_cbranch_execz .LBB285_40
.LBB285_42:                             ;   in Loop: Header=BB285_18 Depth=1
	s_waitcnt lgkmcnt(0)
	v_mov_b32_e32 v10, v25
	v_mov_b32_e32 v24, v11
	s_or_b64 exec, exec, s[0:1]
	s_and_saveexec_b64 s[26:27], s[6:7]
	s_cbranch_execz .LBB285_17
.LBB285_43:                             ;   in Loop: Header=BB285_18 Depth=1
	s_and_b64 vcc, exec, s[4:5]
	s_cbranch_vccnz .LBB285_16
; %bb.44:                               ;   in Loop: Header=BB285_18 Depth=1
	v_ashrrev_i32_e32 v11, 31, v10
	v_lshl_add_u64 v[26:27], v[10:11], 2, s[10:11]
	global_load_dword v11, v[26:27], off
	s_waitcnt vmcnt(0)
	v_sub_f32_e32 v24, v24, v11
	s_branch .LBB285_16
.LBB285_45:
	v_mov_b32_e32 v7, 0
.LBB285_46:
	v_cmp_eq_u32_e32 vcc, 0, v8
	s_and_b64 exec, exec, vcc
	s_cbranch_execz .LBB285_59
; %bb.47:
	s_andn2_b64 vcc, exec, s[2:3]
	v_cvt_f32_f64_e32 v0, s[8:9]
	s_cbranch_vccnz .LBB285_49
; %bb.48:
	v_cmp_lt_f32_e32 vcc, 0, v7
	s_nop 1
	v_cndmask_b32_e32 v1, 1.0, v7, vcc
	v_div_scale_f32 v2, s[0:1], v1, v1, v0
	v_rcp_f32_e32 v3, v2
	s_nop 0
	v_fma_f32 v4, -v2, v3, 1.0
	v_fmac_f32_e32 v3, v4, v3
	v_div_scale_f32 v4, vcc, v0, v1, v0
	v_mul_f32_e32 v5, v4, v3
	v_fma_f32 v7, -v2, v5, v4
	v_fmac_f32_e32 v5, v7, v3
	v_fma_f32 v2, -v2, v5, v4
	v_div_fmas_f32 v2, v2, v3, v5
	v_div_fixup_f32 v0, v2, v1, v0
.LBB285_49:
	s_andn2_b64 vcc, exec, s[24:25]
	s_cbranch_vccnz .LBB285_59
; %bb.50:
	v_mul_lo_u32 v2, v6, s12
	s_cmp_gt_u32 s12, 3
	v_ashrrev_i32_e32 v3, 31, v2
	s_cbranch_scc0 .LBB285_54
; %bb.51:
	s_and_b32 s0, s12, 0x7ffffffc
	v_lshl_add_u64 v[4:5], v[2:3], 2, s[20:21]
	v_mov_b32_e32 v1, v0
	v_lshl_add_u64 v[4:5], v[4:5], 0, 8
	s_mov_b32 s1, s0
.LBB285_52:                             ; =>This Inner Loop Header: Depth=1
	global_load_dwordx4 v[6:9], v[4:5], off offset:-8
	s_add_i32 s1, s1, -4
	s_cmp_lg_u32 s1, 0
	s_waitcnt vmcnt(0)
	v_pk_mul_f32 v[6:7], v[0:1], v[6:7]
	v_pk_mul_f32 v[8:9], v[0:1], v[8:9]
	global_store_dwordx4 v[4:5], v[6:9], off offset:-8
	v_lshl_add_u64 v[4:5], v[4:5], 0, 16
	s_cbranch_scc1 .LBB285_52
; %bb.53:
	s_cmp_lg_u32 s0, s12
	s_cselect_b64 s[2:3], -1, 0
	s_branch .LBB285_56
.LBB285_54:
	s_mov_b64 s[2:3], 0
                                        ; implicit-def: $sgpr0
	s_cbranch_execz .LBB285_56
; %bb.55:
	s_mov_b64 s[2:3], -1
	s_mov_b32 s0, 0
.LBB285_56:
	s_andn2_b64 vcc, exec, s[2:3]
	s_cbranch_vccnz .LBB285_59
; %bb.57:
	s_mov_b32 s1, 0
	v_lshl_add_u64 v[2:3], v[2:3], 0, s[0:1]
	s_sub_i32 s2, s12, s0
	v_lshl_add_u64 v[2:3], v[2:3], 2, s[20:21]
.LBB285_58:                             ; =>This Inner Loop Header: Depth=1
	global_load_dword v1, v[2:3], off
	s_add_i32 s2, s2, -1
	s_cmp_lg_u32 s2, 0
	s_waitcnt vmcnt(0)
	v_mul_f32_e32 v1, v0, v1
	global_store_dword v[2:3], v1, off
	v_lshl_add_u64 v[2:3], v[2:3], 0, 4
	s_cbranch_scc1 .LBB285_58
.LBB285_59:
	s_endpgm
	.section	.rodata,"a",@progbits
	.p2align	6, 0x0
	.amdhsa_kernel _ZN4vllm3moe22topkGatingSoftplusSqrtILi5ELi320ELi4ELi2ELi64ELb0Ej6__halfEEvPKT6_PKbPfiPT5_PiiiibdPKfPKS9_SF_
		.amdhsa_group_segment_fixed_size 0
		.amdhsa_private_segment_fixed_size 0
		.amdhsa_kernarg_size 96
		.amdhsa_user_sgpr_count 2
		.amdhsa_user_sgpr_dispatch_ptr 0
		.amdhsa_user_sgpr_queue_ptr 0
		.amdhsa_user_sgpr_kernarg_segment_ptr 1
		.amdhsa_user_sgpr_dispatch_id 0
		.amdhsa_user_sgpr_kernarg_preload_length 0
		.amdhsa_user_sgpr_kernarg_preload_offset 0
		.amdhsa_user_sgpr_private_segment_size 0
		.amdhsa_uses_dynamic_stack 0
		.amdhsa_enable_private_segment 0
		.amdhsa_system_sgpr_workgroup_id_x 1
		.amdhsa_system_sgpr_workgroup_id_y 0
		.amdhsa_system_sgpr_workgroup_id_z 0
		.amdhsa_system_sgpr_workgroup_info 0
		.amdhsa_system_vgpr_workitem_id 1
		.amdhsa_next_free_vgpr 30
		.amdhsa_next_free_sgpr 31
		.amdhsa_accum_offset 32
		.amdhsa_reserve_vcc 1
		.amdhsa_float_round_mode_32 0
		.amdhsa_float_round_mode_16_64 0
		.amdhsa_float_denorm_mode_32 3
		.amdhsa_float_denorm_mode_16_64 3
		.amdhsa_dx10_clamp 1
		.amdhsa_ieee_mode 1
		.amdhsa_fp16_overflow 0
		.amdhsa_tg_split 0
		.amdhsa_exception_fp_ieee_invalid_op 0
		.amdhsa_exception_fp_denorm_src 0
		.amdhsa_exception_fp_ieee_div_zero 0
		.amdhsa_exception_fp_ieee_overflow 0
		.amdhsa_exception_fp_ieee_underflow 0
		.amdhsa_exception_fp_ieee_inexact 0
		.amdhsa_exception_int_div_zero 0
	.end_amdhsa_kernel
	.section	.text._ZN4vllm3moe22topkGatingSoftplusSqrtILi5ELi320ELi4ELi2ELi64ELb0Ej6__halfEEvPKT6_PKbPfiPT5_PiiiibdPKfPKS9_SF_,"axG",@progbits,_ZN4vllm3moe22topkGatingSoftplusSqrtILi5ELi320ELi4ELi2ELi64ELb0Ej6__halfEEvPKT6_PKbPfiPT5_PiiiibdPKfPKS9_SF_,comdat
.Lfunc_end285:
	.size	_ZN4vllm3moe22topkGatingSoftplusSqrtILi5ELi320ELi4ELi2ELi64ELb0Ej6__halfEEvPKT6_PKbPfiPT5_PiiiibdPKfPKS9_SF_, .Lfunc_end285-_ZN4vllm3moe22topkGatingSoftplusSqrtILi5ELi320ELi4ELi2ELi64ELb0Ej6__halfEEvPKT6_PKbPfiPT5_PiiiibdPKfPKS9_SF_
                                        ; -- End function
	.section	.AMDGPU.csdata,"",@progbits
; Kernel info:
; codeLenInByte = 3368
; NumSgprs: 37
; NumVgprs: 30
; NumAgprs: 0
; TotalNumVgprs: 30
; ScratchSize: 0
; MemoryBound: 0
; FloatMode: 240
; IeeeMode: 1
; LDSByteSize: 0 bytes/workgroup (compile time only)
; SGPRBlocks: 4
; VGPRBlocks: 3
; NumSGPRsForWavesPerEU: 37
; NumVGPRsForWavesPerEU: 30
; AccumOffset: 32
; Occupancy: 8
; WaveLimiterHint : 1
; COMPUTE_PGM_RSRC2:SCRATCH_EN: 0
; COMPUTE_PGM_RSRC2:USER_SGPR: 2
; COMPUTE_PGM_RSRC2:TRAP_HANDLER: 0
; COMPUTE_PGM_RSRC2:TGID_X_EN: 1
; COMPUTE_PGM_RSRC2:TGID_Y_EN: 0
; COMPUTE_PGM_RSRC2:TGID_Z_EN: 0
; COMPUTE_PGM_RSRC2:TIDIG_COMP_CNT: 1
; COMPUTE_PGM_RSRC3_GFX90A:ACCUM_OFFSET: 7
; COMPUTE_PGM_RSRC3_GFX90A:TG_SPLIT: 0
	.section	.text._ZN4vllm3moe22topkGatingSoftplusSqrtILi10ELi320ELi4ELi2ELi32ELb1Ej6__halfEEvPKT6_PKbPfiPT5_PiiiibdPKfPKS9_SF_,"axG",@progbits,_ZN4vllm3moe22topkGatingSoftplusSqrtILi10ELi320ELi4ELi2ELi32ELb1Ej6__halfEEvPKT6_PKbPfiPT5_PiiiibdPKfPKS9_SF_,comdat
	.protected	_ZN4vllm3moe22topkGatingSoftplusSqrtILi10ELi320ELi4ELi2ELi32ELb1Ej6__halfEEvPKT6_PKbPfiPT5_PiiiibdPKfPKS9_SF_ ; -- Begin function _ZN4vllm3moe22topkGatingSoftplusSqrtILi10ELi320ELi4ELi2ELi32ELb1Ej6__halfEEvPKT6_PKbPfiPT5_PiiiibdPKfPKS9_SF_
	.globl	_ZN4vllm3moe22topkGatingSoftplusSqrtILi10ELi320ELi4ELi2ELi32ELb1Ej6__halfEEvPKT6_PKbPfiPT5_PiiiibdPKfPKS9_SF_
	.p2align	8
	.type	_ZN4vllm3moe22topkGatingSoftplusSqrtILi10ELi320ELi4ELi2ELi32ELb1Ej6__halfEEvPKT6_PKbPfiPT5_PiiiibdPKfPKS9_SF_,@function
_ZN4vllm3moe22topkGatingSoftplusSqrtILi10ELi320ELi4ELi2ELi32ELb1Ej6__halfEEvPKT6_PKbPfiPT5_PiiiibdPKfPKS9_SF_: ; @_ZN4vllm3moe22topkGatingSoftplusSqrtILi10ELi320ELi4ELi2ELi32ELb1Ej6__halfEEvPKT6_PKbPfiPT5_PiiiibdPKfPKS9_SF_
; %bb.0:
	s_load_dword s3, s[0:1], 0x18
	v_and_b32_e32 v1, 0x3ff, v0
	s_lshl_b32 s2, s2, 2
	v_lshrrev_b32_e32 v2, 5, v1
	v_bfe_u32 v0, v0, 10, 10
	v_add3_u32 v10, s2, v0, v2
	s_waitcnt lgkmcnt(0)
	v_cmp_gt_i32_e32 vcc, s3, v10
	s_and_saveexec_b64 s[2:3], vcc
	s_cbranch_execz .LBB286_32
; %bb.1:
	s_load_dwordx2 s[2:3], s[0:1], 0x0
	s_load_dword s19, s[0:1], 0x30
	s_load_dwordx4 s[4:7], s[0:1], 0x50
	s_movk_i32 s8, 0x140
	v_mul_lo_u32 v2, v10, s8
	v_ashrrev_i32_e32 v3, 31, v2
	v_and_b32_e32 v20, 31, v1
	s_waitcnt lgkmcnt(0)
	v_lshl_add_u64 v[2:3], v[2:3], 1, s[2:3]
	v_lshlrev_b32_e32 v12, 1, v20
	v_mov_b32_e32 v13, 0
	v_lshl_add_u64 v[0:1], v[2:3], 0, v[12:13]
	global_load_ushort v2, v[0:1], off
	global_load_ushort v3, v[0:1], off offset:64
	global_load_ushort v4, v[0:1], off offset:128
	;; [unrolled: 1-line block ×9, first 2 shown]
	v_mov_b32_e32 v0, s4
	v_mov_b32_e32 v1, s5
	v_ashrrev_i32_e32 v11, 31, v10
	v_lshl_add_u64 v[0:1], v[10:11], 2, v[0:1]
	global_load_dword v0, v[0:1], off
	s_mov_b32 s12, 0x800000
	v_mov_b32_e32 v11, 0x4f800000
	s_mov_b32 s10, 0x3f317217
	s_mov_b32 s13, 0x7f800000
	v_mov_b32_e32 v16, 0x41b17218
	s_movk_i32 s9, 0x4d00
	s_mov_b32 s11, 0xf800000
	v_mov_b32_e32 v17, 0x260
	s_cmp_gt_i32 s19, 0
	s_mov_b32 s8, 0
	v_mul_lo_u32 v10, v10, s19
	s_waitcnt vmcnt(10)
	v_cvt_f32_f16_e32 v1, v2
	s_waitcnt vmcnt(9)
	v_cvt_f32_f16_e32 v18, v3
	;; [unrolled: 2-line block ×4, first 2 shown]
	v_mul_f32_e32 v12, 0x3fb8aa3b, v1
	v_mul_f32_e32 v28, 0x3fb8aa3b, v18
	v_exp_f32_e32 v30, v12
	v_exp_f32_e32 v28, v28
	v_mul_f32_e32 v29, 0x3fb8aa3b, v19
	v_exp_f32_e32 v29, v29
	s_waitcnt vmcnt(6)
	v_cvt_f32_f16_e32 v22, v6
	v_add_f32_e32 v28, 1.0, v28
	v_cmp_gt_f32_e64 s[2:3], s12, v28
	v_add_f32_e32 v29, 1.0, v29
	s_waitcnt vmcnt(0)
	v_mul_lo_u32 v12, v0, s19
	v_add_f32_e32 v0, 1.0, v30
	v_cmp_gt_f32_e32 vcc, s12, v0
	v_cndmask_b32_e64 v31, 1.0, v11, s[2:3]
	v_mul_f32_e32 v28, v28, v31
	v_cndmask_b32_e32 v30, 1.0, v11, vcc
	v_mul_f32_e32 v0, v0, v30
	v_log_f32_e32 v0, v0
	v_log_f32_e32 v28, v28
	v_cndmask_b32_e32 v30, 0, v16, vcc
	v_cmp_gt_f32_e64 s[4:5], s12, v29
	v_mul_f32_e32 v33, 0x3f317217, v0
	v_mul_f32_e32 v34, 0x3f317217, v28
	v_fma_f32 v33, v0, s10, -v33
	v_fma_f32 v34, v28, s10, -v34
	v_fmac_f32_e32 v33, 0x3377d1cf, v0
	v_fmac_f32_e32 v34, 0x3377d1cf, v28
	;; [unrolled: 1-line block ×3, first 2 shown]
	v_cmp_lt_f32_e64 vcc, |v0|, s13
	v_fmac_f32_e32 v34, 0x3f317217, v28
	v_cndmask_b32_e64 v32, 1.0, v11, s[4:5]
	v_cndmask_b32_e32 v0, v0, v33, vcc
	v_cmp_lt_f32_e64 vcc, |v28|, s13
	v_cndmask_b32_e64 v31, 0, v16, s[2:3]
	v_sub_f32_e32 v0, v0, v30
	v_cndmask_b32_e32 v28, v28, v34, vcc
	v_cmp_lt_f16_e32 vcc, s9, v2
	v_mul_f32_e32 v29, v29, v32
	v_sub_f32_e32 v28, v28, v31
	v_cndmask_b32_e32 v0, v0, v1, vcc
	v_cmp_lt_f16_e32 vcc, s9, v3
	v_log_f32_e32 v29, v29
	v_mul_f32_e32 v2, 0x4f800000, v0
	v_cndmask_b32_e32 v1, v28, v18, vcc
	v_cmp_gt_f32_e32 vcc, s11, v0
	v_mul_f32_e32 v3, 0x4f800000, v1
	v_cmp_gt_f32_e64 s[2:3], s11, v1
	v_cndmask_b32_e32 v0, v0, v2, vcc
	v_sqrt_f32_e32 v2, v0
	v_cndmask_b32_e64 v1, v1, v3, s[2:3]
	v_sqrt_f32_e32 v3, v1
	v_mul_f32_e32 v35, 0x3f317217, v29
	v_fma_f32 v35, v29, s10, -v35
	v_fmac_f32_e32 v35, 0x3377d1cf, v29
	v_add_u32_e32 v28, -1, v2
	v_cndmask_b32_e64 v32, 0, v16, s[4:5]
	v_fmac_f32_e32 v35, 0x3f317217, v29
	v_cmp_lt_f32_e64 s[4:5], |v29|, s13
	v_add_u32_e32 v30, -1, v3
	v_fma_f32 v33, -v28, v2, v0
	v_cndmask_b32_e64 v18, v29, v35, s[4:5]
	v_add_u32_e32 v29, 1, v2
	v_fma_f32 v35, -v30, v3, v1
	v_cmp_ge_f32_e64 s[4:5], 0, v33
	v_add_u32_e32 v31, 1, v3
	v_fma_f32 v34, -v29, v2, v0
	v_cndmask_b32_e64 v2, v2, v28, s[4:5]
	v_cmp_ge_f32_e64 s[4:5], 0, v35
	v_fma_f32 v36, -v31, v3, v1
	v_cvt_f32_f16_e32 v23, v7
	v_cndmask_b32_e64 v3, v3, v30, s[4:5]
	v_cmp_lt_f32_e64 s[4:5], 0, v34
	v_cvt_f32_f16_e32 v24, v9
	v_cvt_f32_f16_e32 v25, v14
	v_cndmask_b32_e64 v2, v2, v29, s[4:5]
	v_mul_f32_e32 v28, 0x37800000, v2
	v_cndmask_b32_e32 v2, v2, v28, vcc
	v_cmp_class_f32_e32 vcc, v0, v17
	v_cmp_lt_f32_e64 s[4:5], 0, v36
	v_cvt_f32_f16_e32 v26, v15
	v_cndmask_b32_e32 v0, v2, v0, vcc
	v_sub_f32_e32 v2, v18, v32
	v_cmp_lt_f16_e32 vcc, s9, v4
	v_cndmask_b32_e64 v3, v3, v31, s[4:5]
	v_mul_f32_e32 v29, 0x37800000, v3
	v_cndmask_b32_e32 v2, v2, v19, vcc
	v_mul_f32_e32 v4, 0x4f800000, v2
	v_cmp_gt_f32_e32 vcc, s11, v2
	v_mul_f32_e32 v19, 0x3fb8aa3b, v21
	v_exp_f32_e32 v19, v19
	v_cndmask_b32_e32 v2, v2, v4, vcc
	v_sqrt_f32_e32 v4, v2
	v_cndmask_b32_e64 v3, v3, v29, s[2:3]
	v_cmp_class_f32_e64 s[2:3], v1, v17
	v_add_f32_e32 v19, 1.0, v19
	v_cvt_f32_f16_e32 v27, v8
	v_cndmask_b32_e64 v1, v3, v1, s[2:3]
	v_add_u32_e32 v3, -1, v4
	v_fma_f32 v18, -v3, v4, v2
	v_cmp_ge_f32_e64 s[2:3], 0, v18
	v_add_u32_e32 v18, 1, v4
	s_nop 0
	v_cndmask_b32_e64 v3, v4, v3, s[2:3]
	v_cmp_gt_f32_e64 s[2:3], s12, v19
	v_fma_f32 v4, -v18, v4, v2
	v_cmp_lt_f32_e64 s[4:5], 0, v4
	v_cndmask_b32_e64 v28, 1.0, v11, s[2:3]
	v_mul_f32_e32 v19, v19, v28
	v_log_f32_e32 v19, v19
	v_cndmask_b32_e64 v3, v3, v18, s[4:5]
	v_mul_f32_e32 v4, 0x37800000, v3
	v_cndmask_b32_e32 v3, v3, v4, vcc
	v_mul_f32_e32 v18, 0x3f317217, v19
	v_fma_f32 v18, v19, s10, -v18
	v_fmac_f32_e32 v18, 0x3377d1cf, v19
	v_fmac_f32_e32 v18, 0x3f317217, v19
	v_cmp_lt_f32_e64 s[4:5], |v19|, s13
	v_cmp_class_f32_e32 vcc, v2, v17
	s_nop 0
	v_cndmask_b32_e64 v18, v19, v18, s[4:5]
	v_cndmask_b32_e64 v19, 0, v16, s[2:3]
	v_sub_f32_e32 v18, v18, v19
	v_cmp_lt_f16_e64 s[2:3], s9, v5
	v_mul_f32_e32 v19, 0x3fb8aa3b, v22
	v_exp_f32_e32 v19, v19
	v_cndmask_b32_e64 v5, v18, v21, s[2:3]
	v_mul_f32_e32 v18, 0x4f800000, v5
	v_cmp_gt_f32_e64 s[2:3], s11, v5
	v_cndmask_b32_e32 v2, v3, v2, vcc
	v_add_f32_e32 v19, 1.0, v19
	v_cndmask_b32_e64 v5, v5, v18, s[2:3]
	v_sqrt_f32_e32 v18, v5
	s_nop 0
	v_add_u32_e32 v3, -1, v18
	v_fma_f32 v4, -v3, v18, v5
	v_cmp_ge_f32_e32 vcc, 0, v4
	v_add_u32_e32 v4, 1, v18
	s_nop 0
	v_cndmask_b32_e32 v3, v18, v3, vcc
	v_cmp_gt_f32_e32 vcc, s12, v19
	v_fma_f32 v18, -v4, v18, v5
	v_cmp_lt_f32_e64 s[4:5], 0, v18
	v_cndmask_b32_e32 v21, 1.0, v11, vcc
	v_mul_f32_e32 v19, v19, v21
	v_log_f32_e32 v19, v19
	v_cndmask_b32_e64 v3, v3, v4, s[4:5]
	v_mul_f32_e32 v4, 0x37800000, v3
	v_cndmask_b32_e64 v3, v3, v4, s[2:3]
	v_mul_f32_e32 v18, 0x3f317217, v19
	v_fma_f32 v18, v19, s10, -v18
	v_fmac_f32_e32 v18, 0x3377d1cf, v19
	v_fmac_f32_e32 v18, 0x3f317217, v19
	v_cmp_lt_f32_e64 s[4:5], |v19|, s13
	v_cmp_class_f32_e64 s[2:3], v5, v17
	s_nop 0
	v_cndmask_b32_e64 v18, v19, v18, s[4:5]
	v_cndmask_b32_e32 v19, 0, v16, vcc
	v_sub_f32_e32 v18, v18, v19
	v_cmp_lt_f16_e32 vcc, s9, v6
	v_mul_f32_e32 v19, 0x3fb8aa3b, v23
	v_exp_f32_e32 v19, v19
	v_cndmask_b32_e32 v6, v18, v22, vcc
	v_mul_f32_e32 v18, 0x4f800000, v6
	v_cmp_gt_f32_e32 vcc, s11, v6
	v_cndmask_b32_e64 v3, v3, v5, s[2:3]
	v_add_f32_e32 v19, 1.0, v19
	v_cndmask_b32_e32 v6, v6, v18, vcc
	v_sqrt_f32_e32 v18, v6
	s_nop 0
	v_add_u32_e32 v4, -1, v18
	v_fma_f32 v5, -v4, v18, v6
	v_cmp_ge_f32_e64 s[2:3], 0, v5
	v_add_u32_e32 v5, 1, v18
	s_nop 0
	v_cndmask_b32_e64 v4, v18, v4, s[2:3]
	v_cmp_gt_f32_e64 s[2:3], s12, v19
	v_fma_f32 v18, -v5, v18, v6
	v_cmp_lt_f32_e64 s[4:5], 0, v18
	v_cndmask_b32_e64 v21, 1.0, v11, s[2:3]
	v_mul_f32_e32 v19, v19, v21
	v_log_f32_e32 v19, v19
	v_cndmask_b32_e64 v4, v4, v5, s[4:5]
	v_mul_f32_e32 v5, 0x37800000, v4
	v_cndmask_b32_e32 v4, v4, v5, vcc
	v_mul_f32_e32 v18, 0x3f317217, v19
	v_fma_f32 v18, v19, s10, -v18
	v_fmac_f32_e32 v18, 0x3377d1cf, v19
	v_fmac_f32_e32 v18, 0x3f317217, v19
	v_cmp_lt_f32_e64 s[4:5], |v19|, s13
	v_cmp_class_f32_e32 vcc, v6, v17
	s_nop 0
	v_cndmask_b32_e64 v18, v19, v18, s[4:5]
	v_cndmask_b32_e64 v19, 0, v16, s[2:3]
	v_sub_f32_e32 v18, v18, v19
	v_cmp_lt_f16_e64 s[2:3], s9, v7
	v_mul_f32_e32 v19, 0x3fb8aa3b, v24
	v_exp_f32_e32 v19, v19
	v_cndmask_b32_e64 v7, v18, v23, s[2:3]
	v_mul_f32_e32 v18, 0x4f800000, v7
	v_cmp_gt_f32_e64 s[2:3], s11, v7
	v_cndmask_b32_e32 v4, v4, v6, vcc
	v_add_f32_e32 v19, 1.0, v19
	v_cndmask_b32_e64 v7, v7, v18, s[2:3]
	v_sqrt_f32_e32 v18, v7
	s_nop 0
	v_add_u32_e32 v5, -1, v18
	v_fma_f32 v6, -v5, v18, v7
	v_cmp_ge_f32_e32 vcc, 0, v6
	v_add_u32_e32 v6, 1, v18
	s_nop 0
	v_cndmask_b32_e32 v5, v18, v5, vcc
	v_cmp_gt_f32_e32 vcc, s12, v19
	v_fma_f32 v18, -v6, v18, v7
	v_cmp_lt_f32_e64 s[4:5], 0, v18
	v_cndmask_b32_e32 v21, 1.0, v11, vcc
	v_mul_f32_e32 v19, v19, v21
	v_log_f32_e32 v19, v19
	v_cndmask_b32_e64 v5, v5, v6, s[4:5]
	v_mul_f32_e32 v6, 0x37800000, v5
	v_cndmask_b32_e64 v5, v5, v6, s[2:3]
	v_mul_f32_e32 v18, 0x3f317217, v19
	v_fma_f32 v18, v19, s10, -v18
	v_fmac_f32_e32 v18, 0x3377d1cf, v19
	v_fmac_f32_e32 v18, 0x3f317217, v19
	v_cmp_lt_f32_e64 s[4:5], |v19|, s13
	v_cmp_class_f32_e64 s[2:3], v7, v17
	s_nop 0
	v_cndmask_b32_e64 v18, v19, v18, s[4:5]
	v_cndmask_b32_e32 v19, 0, v16, vcc
	v_sub_f32_e32 v18, v18, v19
	v_cmp_lt_f16_e32 vcc, s9, v9
	v_mul_f32_e32 v19, 0x3fb8aa3b, v25
	v_exp_f32_e32 v19, v19
	v_cndmask_b32_e32 v9, v18, v24, vcc
	v_mul_f32_e32 v18, 0x4f800000, v9
	v_cmp_gt_f32_e32 vcc, s11, v9
	v_cndmask_b32_e64 v5, v5, v7, s[2:3]
	v_add_f32_e32 v19, 1.0, v19
	v_cndmask_b32_e32 v9, v9, v18, vcc
	v_sqrt_f32_e32 v18, v9
	s_nop 0
	v_add_u32_e32 v6, -1, v18
	v_fma_f32 v7, -v6, v18, v9
	v_cmp_ge_f32_e64 s[2:3], 0, v7
	v_add_u32_e32 v7, 1, v18
	s_nop 0
	v_cndmask_b32_e64 v6, v18, v6, s[2:3]
	v_cmp_gt_f32_e64 s[2:3], s12, v19
	v_fma_f32 v18, -v7, v18, v9
	v_cmp_lt_f32_e64 s[4:5], 0, v18
	v_cndmask_b32_e64 v21, 1.0, v11, s[2:3]
	v_mul_f32_e32 v19, v19, v21
	v_log_f32_e32 v19, v19
	v_cndmask_b32_e64 v6, v6, v7, s[4:5]
	v_mul_f32_e32 v7, 0x37800000, v6
	v_cndmask_b32_e32 v6, v6, v7, vcc
	v_mul_f32_e32 v18, 0x3f317217, v19
	v_fma_f32 v18, v19, s10, -v18
	v_fmac_f32_e32 v18, 0x3377d1cf, v19
	v_fmac_f32_e32 v18, 0x3f317217, v19
	v_cmp_lt_f32_e64 s[4:5], |v19|, s13
	v_cmp_class_f32_e32 vcc, v9, v17
	s_nop 0
	v_cndmask_b32_e64 v18, v19, v18, s[4:5]
	v_cndmask_b32_e64 v19, 0, v16, s[2:3]
	v_sub_f32_e32 v18, v18, v19
	v_cmp_lt_f16_e64 s[2:3], s9, v14
	v_mul_f32_e32 v19, 0x3fb8aa3b, v26
	v_exp_f32_e32 v19, v19
	v_cndmask_b32_e64 v14, v18, v25, s[2:3]
	v_mul_f32_e32 v18, 0x4f800000, v14
	v_cmp_gt_f32_e64 s[2:3], s11, v14
	v_cndmask_b32_e32 v6, v6, v9, vcc
	v_add_f32_e32 v19, 1.0, v19
	v_cndmask_b32_e64 v14, v14, v18, s[2:3]
	v_sqrt_f32_e32 v18, v14
	s_nop 0
	v_add_u32_e32 v7, -1, v18
	v_fma_f32 v9, -v7, v18, v14
	v_cmp_ge_f32_e32 vcc, 0, v9
	v_add_u32_e32 v9, 1, v18
	s_nop 0
	v_cndmask_b32_e32 v7, v18, v7, vcc
	v_cmp_gt_f32_e32 vcc, s12, v19
	v_fma_f32 v18, -v9, v18, v14
	v_cmp_lt_f32_e64 s[4:5], 0, v18
	v_cndmask_b32_e32 v21, 1.0, v11, vcc
	v_mul_f32_e32 v19, v19, v21
	v_log_f32_e32 v19, v19
	v_cndmask_b32_e64 v7, v7, v9, s[4:5]
	v_mul_f32_e32 v9, 0x37800000, v7
	v_cndmask_b32_e64 v7, v7, v9, s[2:3]
	v_mul_f32_e32 v18, 0x3f317217, v19
	v_fma_f32 v18, v19, s10, -v18
	v_fmac_f32_e32 v18, 0x3377d1cf, v19
	v_fmac_f32_e32 v18, 0x3f317217, v19
	v_cmp_lt_f32_e64 s[4:5], |v19|, s13
	v_cmp_class_f32_e64 s[2:3], v14, v17
	s_nop 0
	v_cndmask_b32_e64 v18, v19, v18, s[4:5]
	v_cndmask_b32_e32 v19, 0, v16, vcc
	v_sub_f32_e32 v18, v18, v19
	v_cmp_lt_f16_e32 vcc, s9, v15
	v_mul_f32_e32 v19, 0x3fb8aa3b, v27
	v_exp_f32_e32 v19, v19
	v_cndmask_b32_e32 v15, v18, v26, vcc
	v_mul_f32_e32 v18, 0x4f800000, v15
	v_cmp_gt_f32_e32 vcc, s11, v15
	v_cndmask_b32_e64 v7, v7, v14, s[2:3]
	v_add_f32_e32 v19, 1.0, v19
	v_cndmask_b32_e32 v15, v15, v18, vcc
	v_sqrt_f32_e32 v18, v15
	s_nop 0
	v_add_u32_e32 v9, -1, v18
	v_fma_f32 v14, -v9, v18, v15
	v_cmp_ge_f32_e64 s[2:3], 0, v14
	v_add_u32_e32 v14, 1, v18
	s_nop 0
	v_cndmask_b32_e64 v9, v18, v9, s[2:3]
	v_cmp_gt_f32_e64 s[2:3], s12, v19
	v_fma_f32 v18, -v14, v18, v15
	v_cmp_lt_f32_e64 s[4:5], 0, v18
	v_cndmask_b32_e64 v11, 1.0, v11, s[2:3]
	v_mul_f32_e32 v11, v19, v11
	v_log_f32_e32 v11, v11
	v_cndmask_b32_e64 v9, v9, v14, s[4:5]
	v_cndmask_b32_e64 v16, 0, v16, s[2:3]
	v_cmp_lt_f16_e64 s[2:3], s9, v8
	v_mul_f32_e32 v18, 0x3f317217, v11
	v_fma_f32 v18, v11, s10, -v18
	v_fmac_f32_e32 v18, 0x3377d1cf, v11
	v_fmac_f32_e32 v18, 0x3f317217, v11
	v_cmp_lt_f32_e64 s[4:5], |v11|, s13
	v_mul_f32_e32 v14, 0x37800000, v9
	s_nop 0
	v_cndmask_b32_e64 v11, v11, v18, s[4:5]
	v_sub_f32_e32 v11, v11, v16
	v_cndmask_b32_e64 v8, v11, v27, s[2:3]
	v_mul_f32_e32 v11, 0x4f800000, v8
	v_cmp_gt_f32_e64 s[2:3], s11, v8
	s_cselect_b64 s[4:5], -1, 0
	s_cmp_lt_i32 s19, 1
	v_cndmask_b32_e64 v11, v8, v11, s[2:3]
	v_sqrt_f32_e32 v16, v11
	v_cndmask_b32_e32 v8, v9, v14, vcc
	v_cmp_class_f32_e32 vcc, v15, v17
	v_add_u32_e32 v9, -1, v16
	v_fma_f32 v14, -v9, v16, v11
	v_cndmask_b32_e32 v8, v8, v15, vcc
	v_cmp_ge_f32_e32 vcc, 0, v14
	v_add_u32_e32 v14, 1, v16
	v_fma_f32 v15, -v14, v16, v11
	v_cndmask_b32_e32 v9, v16, v9, vcc
	v_cmp_lt_f32_e32 vcc, 0, v15
	s_nop 1
	v_cndmask_b32_e32 v9, v9, v14, vcc
	v_mul_f32_e32 v14, 0x37800000, v9
	v_cndmask_b32_e64 v9, v9, v14, s[2:3]
	v_cmp_class_f32_e32 vcc, v11, v17
	v_lshl_add_u64 v[14:15], v[12:13], 2, s[6:7]
	s_nop 0
	v_cndmask_b32_e32 v9, v9, v11, vcc
	s_cbranch_scc1 .LBB286_29
; %bb.2:
	s_load_dwordx2 s[6:7], s[0:1], 0x20
	s_cmp_lt_u32 s19, 4
	s_cbranch_scc1 .LBB286_21
; %bb.3:
	s_mov_b32 s11, 0
	s_and_b32 s8, s19, 0x7ffffffc
	v_ashrrev_i32_e32 v11, 31, v10
	v_mov_b32_e32 v13, 0
	s_mov_b32 s10, s11
	s_branch .LBB286_5
.LBB286_4:                              ;   in Loop: Header=BB286_5 Depth=1
	s_or_b64 exec, exec, s[12:13]
	s_add_i32 s10, s10, 4
	s_cmp_eq_u32 s10, s8
	s_cbranch_scc1 .LBB286_22
.LBB286_5:                              ; =>This Loop Header: Depth=1
                                        ;     Child Loop BB286_7 Depth 2
                                        ;     Child Loop BB286_11 Depth 2
	;; [unrolled: 1-line block ×4, first 2 shown]
	v_lshl_add_u64 v[16:17], s[10:11], 2, v[14:15]
	global_load_dword v12, v[16:17], off
	v_add_u32_e32 v18, s10, v10
	v_ashrrev_i32_e32 v19, 31, v18
	s_waitcnt lgkmcnt(0)
	v_lshl_add_u64 v[18:19], v[18:19], 2, s[6:7]
	s_mov_b64 s[12:13], 0
	v_mov_b32_e32 v21, v20
	s_mov_b64 s[14:15], 0
	s_waitcnt vmcnt(0)
	s_branch .LBB286_7
.LBB286_6:                              ;   in Loop: Header=BB286_7 Depth=2
	s_or_b64 exec, exec, s[16:17]
	s_cmp_gt_u32 s14, 8
	s_cselect_b64 s[2:3], -1, 0
	s_xor_b64 s[16:17], vcc, -1
	s_or_b64 s[2:3], s[16:17], s[2:3]
	s_add_u32 s14, s14, 1
	s_addc_u32 s15, s15, 0
	s_and_b64 s[2:3], exec, s[2:3]
	s_or_b64 s[12:13], s[2:3], s[12:13]
	v_add_u32_e32 v21, 32, v21
	s_andn2_b64 exec, exec, s[12:13]
	s_cbranch_execz .LBB286_9
.LBB286_7:                              ;   Parent Loop BB286_5 Depth=1
                                        ; =>  This Inner Loop Header: Depth=2
	v_cmp_ne_u32_e32 vcc, v12, v21
	v_cmp_eq_u32_e64 s[2:3], v12, v21
	s_and_saveexec_b64 s[16:17], s[2:3]
	s_cbranch_execz .LBB286_6
; %bb.8:                                ;   in Loop: Header=BB286_7 Depth=2
	s_set_gpr_idx_on s14, gpr_idx(SRC0)
	v_mov_b32_e32 v22, v0
	s_set_gpr_idx_off
	v_add_f32_e32 v13, v13, v22
	global_store_dword v[18:19], v12, off
	s_branch .LBB286_6
.LBB286_9:                              ;   in Loop: Header=BB286_5 Depth=1
	s_or_b64 exec, exec, s[12:13]
	global_load_dword v12, v[16:17], off offset:4
	s_ashr_i32 s3, s10, 31
	s_mov_b32 s2, s10
	v_lshl_add_u64 v[18:19], s[2:3], 0, v[10:11]
	v_lshl_add_u64 v[18:19], v[18:19], 2, s[6:7]
	s_mov_b64 s[12:13], 0
	v_mov_b32_e32 v21, v20
	s_mov_b64 s[14:15], 0
	s_waitcnt vmcnt(0)
	s_branch .LBB286_11
.LBB286_10:                             ;   in Loop: Header=BB286_11 Depth=2
	s_or_b64 exec, exec, s[16:17]
	s_cmp_gt_u32 s14, 8
	s_cselect_b64 s[2:3], -1, 0
	s_xor_b64 s[16:17], vcc, -1
	s_or_b64 s[2:3], s[16:17], s[2:3]
	s_add_u32 s14, s14, 1
	s_addc_u32 s15, s15, 0
	s_and_b64 s[2:3], exec, s[2:3]
	s_or_b64 s[12:13], s[2:3], s[12:13]
	v_add_u32_e32 v21, 32, v21
	s_andn2_b64 exec, exec, s[12:13]
	s_cbranch_execz .LBB286_13
.LBB286_11:                             ;   Parent Loop BB286_5 Depth=1
                                        ; =>  This Inner Loop Header: Depth=2
	v_cmp_ne_u32_e32 vcc, v12, v21
	v_cmp_eq_u32_e64 s[2:3], v12, v21
	s_and_saveexec_b64 s[16:17], s[2:3]
	s_cbranch_execz .LBB286_10
; %bb.12:                               ;   in Loop: Header=BB286_11 Depth=2
	s_set_gpr_idx_on s14, gpr_idx(SRC0)
	v_mov_b32_e32 v22, v0
	s_set_gpr_idx_off
	v_add_f32_e32 v13, v13, v22
	global_store_dword v[18:19], v12, off offset:4
	s_branch .LBB286_10
.LBB286_13:                             ;   in Loop: Header=BB286_5 Depth=1
	s_or_b64 exec, exec, s[12:13]
	global_load_dword v12, v[16:17], off offset:8
	s_mov_b64 s[12:13], 0
	v_mov_b32_e32 v21, v20
	s_mov_b64 s[14:15], 0
	s_waitcnt vmcnt(0)
	s_branch .LBB286_15
.LBB286_14:                             ;   in Loop: Header=BB286_15 Depth=2
	s_or_b64 exec, exec, s[16:17]
	s_cmp_gt_u32 s14, 8
	s_cselect_b64 s[2:3], -1, 0
	s_xor_b64 s[16:17], vcc, -1
	s_or_b64 s[2:3], s[16:17], s[2:3]
	s_add_u32 s14, s14, 1
	s_addc_u32 s15, s15, 0
	s_and_b64 s[2:3], exec, s[2:3]
	s_or_b64 s[12:13], s[2:3], s[12:13]
	v_add_u32_e32 v21, 32, v21
	s_andn2_b64 exec, exec, s[12:13]
	s_cbranch_execz .LBB286_17
.LBB286_15:                             ;   Parent Loop BB286_5 Depth=1
                                        ; =>  This Inner Loop Header: Depth=2
	v_cmp_ne_u32_e32 vcc, v12, v21
	v_cmp_eq_u32_e64 s[2:3], v12, v21
	s_and_saveexec_b64 s[16:17], s[2:3]
	s_cbranch_execz .LBB286_14
; %bb.16:                               ;   in Loop: Header=BB286_15 Depth=2
	s_set_gpr_idx_on s14, gpr_idx(SRC0)
	v_mov_b32_e32 v22, v0
	s_set_gpr_idx_off
	v_add_f32_e32 v13, v13, v22
	global_store_dword v[18:19], v12, off offset:8
	s_branch .LBB286_14
.LBB286_17:                             ;   in Loop: Header=BB286_5 Depth=1
	s_or_b64 exec, exec, s[12:13]
	global_load_dword v12, v[16:17], off offset:12
	s_mov_b64 s[12:13], 0
	v_mov_b32_e32 v16, v20
	s_mov_b64 s[14:15], 0
	s_waitcnt vmcnt(0)
	s_branch .LBB286_19
.LBB286_18:                             ;   in Loop: Header=BB286_19 Depth=2
	s_or_b64 exec, exec, s[16:17]
	s_cmp_gt_u32 s14, 8
	s_cselect_b64 s[2:3], -1, 0
	s_xor_b64 s[16:17], vcc, -1
	s_or_b64 s[2:3], s[16:17], s[2:3]
	s_add_u32 s14, s14, 1
	s_addc_u32 s15, s15, 0
	s_and_b64 s[2:3], exec, s[2:3]
	s_or_b64 s[12:13], s[2:3], s[12:13]
	v_add_u32_e32 v16, 32, v16
	s_andn2_b64 exec, exec, s[12:13]
	s_cbranch_execz .LBB286_4
.LBB286_19:                             ;   Parent Loop BB286_5 Depth=1
                                        ; =>  This Inner Loop Header: Depth=2
	v_cmp_ne_u32_e32 vcc, v12, v16
	v_cmp_eq_u32_e64 s[2:3], v12, v16
	s_and_saveexec_b64 s[16:17], s[2:3]
	s_cbranch_execz .LBB286_18
; %bb.20:                               ;   in Loop: Header=BB286_19 Depth=2
	s_set_gpr_idx_on s14, gpr_idx(SRC0)
	v_mov_b32_e32 v17, v0
	s_set_gpr_idx_off
	v_add_f32_e32 v13, v13, v17
	global_store_dword v[18:19], v12, off offset:12
	s_branch .LBB286_18
.LBB286_21:
	v_mov_b32_e32 v13, 0
.LBB286_22:
	s_and_b32 s16, s19, 3
	s_cmp_eq_u32 s16, 0
	s_mov_b32 s9, 0
	s_cbranch_scc1 .LBB286_29
; %bb.23:
	s_mov_b32 s17, s9
	s_branch .LBB286_25
.LBB286_24:                             ;   in Loop: Header=BB286_25 Depth=1
	s_or_b64 exec, exec, s[10:11]
	s_add_i32 s8, s8, 1
	s_add_i32 s17, s17, 1
	s_cmp_lg_u32 s17, s16
	s_cbranch_scc0 .LBB286_29
.LBB286_25:                             ; =>This Loop Header: Depth=1
                                        ;     Child Loop BB286_27 Depth 2
	v_lshl_add_u64 v[16:17], s[8:9], 2, v[14:15]
	global_load_dword v11, v[16:17], off
	v_add_u32_e32 v16, s8, v10
	v_ashrrev_i32_e32 v17, 31, v16
	s_waitcnt lgkmcnt(0)
	v_lshl_add_u64 v[16:17], v[16:17], 2, s[6:7]
	s_mov_b64 s[10:11], 0
	v_mov_b32_e32 v12, v20
	s_mov_b64 s[12:13], 0
	s_waitcnt vmcnt(0)
	s_branch .LBB286_27
.LBB286_26:                             ;   in Loop: Header=BB286_27 Depth=2
	s_or_b64 exec, exec, s[14:15]
	s_cmp_gt_u32 s12, 8
	s_cselect_b64 s[2:3], -1, 0
	s_xor_b64 s[14:15], vcc, -1
	s_or_b64 s[2:3], s[14:15], s[2:3]
	s_add_u32 s12, s12, 1
	s_addc_u32 s13, s13, 0
	s_and_b64 s[2:3], exec, s[2:3]
	s_or_b64 s[10:11], s[2:3], s[10:11]
	v_add_u32_e32 v12, 32, v12
	s_andn2_b64 exec, exec, s[10:11]
	s_cbranch_execz .LBB286_24
.LBB286_27:                             ;   Parent Loop BB286_25 Depth=1
                                        ; =>  This Inner Loop Header: Depth=2
	v_cmp_ne_u32_e32 vcc, v11, v12
	v_cmp_eq_u32_e64 s[2:3], v11, v12
	s_and_saveexec_b64 s[14:15], s[2:3]
	s_cbranch_execz .LBB286_26
; %bb.28:                               ;   in Loop: Header=BB286_27 Depth=2
	s_set_gpr_idx_on s12, gpr_idx(SRC0)
	v_mov_b32_e32 v18, v0
	s_set_gpr_idx_off
	v_add_f32_e32 v13, v13, v18
	global_store_dword v[16:17], v11, off
	s_branch .LBB286_26
.LBB286_29:
	s_waitcnt lgkmcnt(0)
	s_load_dword s6, s[0:1], 0x3c
	s_waitcnt lgkmcnt(0)
	s_bitcmp1_b32 s6, 0
	s_cselect_b64 s[2:3], -1, 0
	s_bitcmp0_b32 s6, 0
	s_cbranch_scc0 .LBB286_33
; %bb.30:
	s_load_dwordx2 s[6:7], s[0:1], 0x40
	s_andn2_b64 vcc, exec, s[2:3]
	s_waitcnt lgkmcnt(0)
	v_cvt_f32_f64_e32 v21, s[6:7]
	s_cbranch_vccz .LBB286_34
.LBB286_31:
	s_andn2_b64 vcc, exec, s[4:5]
	s_cbranch_vccz .LBB286_35
.LBB286_32:
	s_endpgm
.LBB286_33:
	v_mbcnt_lo_u32_b32 v11, -1, 0
	v_mbcnt_hi_u32_b32 v11, -1, v11
	v_and_b32_e32 v12, 0x60, v11
	v_add_u32_e32 v12, 32, v12
	v_xor_b32_e32 v16, 16, v11
	v_cmp_lt_i32_e32 vcc, v16, v12
	v_xor_b32_e32 v17, 8, v11
	s_nop 0
	v_cndmask_b32_e32 v16, v11, v16, vcc
	v_lshlrev_b32_e32 v16, 2, v16
	ds_bpermute_b32 v16, v16, v13
	v_cmp_lt_i32_e32 vcc, v17, v12
	s_waitcnt lgkmcnt(0)
	v_add_f32_e32 v13, v13, v16
	v_cndmask_b32_e32 v16, v11, v17, vcc
	v_lshlrev_b32_e32 v16, 2, v16
	ds_bpermute_b32 v16, v16, v13
	v_xor_b32_e32 v17, 4, v11
	v_cmp_lt_i32_e32 vcc, v17, v12
	s_waitcnt lgkmcnt(0)
	v_add_f32_e32 v13, v13, v16
	v_cndmask_b32_e32 v16, v11, v17, vcc
	v_lshlrev_b32_e32 v16, 2, v16
	ds_bpermute_b32 v16, v16, v13
	v_xor_b32_e32 v17, 2, v11
	;; [unrolled: 7-line block ×3, first 2 shown]
	v_cmp_lt_i32_e32 vcc, v17, v12
	s_waitcnt lgkmcnt(0)
	v_add_f32_e32 v13, v13, v16
	v_cndmask_b32_e32 v11, v11, v17, vcc
	v_lshlrev_b32_e32 v11, 2, v11
	ds_bpermute_b32 v11, v11, v13
	s_waitcnt lgkmcnt(0)
	v_add_f32_e32 v13, v13, v11
	s_load_dwordx2 s[6:7], s[0:1], 0x40
	s_andn2_b64 vcc, exec, s[2:3]
	s_waitcnt lgkmcnt(0)
	v_cvt_f32_f64_e32 v21, s[6:7]
	s_cbranch_vccnz .LBB286_31
.LBB286_34:
	v_cmp_lt_f32_e32 vcc, 0, v13
	s_nop 1
	v_cndmask_b32_e32 v11, 1.0, v13, vcc
	v_div_scale_f32 v12, s[2:3], v11, v11, v21
	v_rcp_f32_e32 v13, v12
	s_nop 0
	v_fma_f32 v16, -v12, v13, 1.0
	v_fmac_f32_e32 v13, v16, v13
	v_div_scale_f32 v16, vcc, v21, v11, v21
	v_mul_f32_e32 v17, v16, v13
	v_fma_f32 v18, -v12, v17, v16
	v_fmac_f32_e32 v17, v18, v13
	v_fma_f32 v12, -v12, v17, v16
	v_div_fmas_f32 v12, v12, v13, v17
	v_div_fixup_f32 v21, v12, v11, v21
	s_andn2_b64 vcc, exec, s[4:5]
	s_cbranch_vccnz .LBB286_32
.LBB286_35:
	s_load_dwordx2 s[16:17], s[0:1], 0x10
	v_or_b32_e32 v30, 32, v20
	v_or_b32_e32 v29, 64, v20
	;; [unrolled: 1-line block ×9, first 2 shown]
	s_cmp_eq_u32 s19, 1
	s_mov_b32 s18, 0
	s_cbranch_scc1 .LBB286_78
; %bb.36:
	v_ashrrev_i32_e32 v11, 31, v10
	s_waitcnt lgkmcnt(0)
	v_lshl_add_u64 v[12:13], v[10:11], 2, s[16:17]
	s_and_b32 s18, s19, 0x7ffffffe
	v_lshl_add_u64 v[12:13], v[12:13], 0, 4
	v_lshl_add_u64 v[16:17], v[14:15], 0, 4
	s_mov_b32 s33, 0
	s_branch .LBB286_38
.LBB286_37:                             ;   in Loop: Header=BB286_38 Depth=1
	s_or_b64 exec, exec, s[0:1]
	s_add_i32 s33, s33, 2
	v_lshl_add_u64 v[12:13], v[12:13], 0, 8
	s_cmp_lg_u32 s18, s33
	v_lshl_add_u64 v[16:17], v[16:17], 0, 8
	s_cbranch_scc0 .LBB286_78
.LBB286_38:                             ; =>This Inner Loop Header: Depth=1
	global_load_dword v11, v[16:17], off offset:-4
	v_mov_b64_e32 v[18:19], 0
	s_waitcnt vmcnt(0)
	v_cmp_eq_u32_e32 vcc, v11, v20
	v_cmp_ne_u32_e64 s[0:1], v11, v20
	s_and_saveexec_b64 s[20:21], s[0:1]
	s_cbranch_execz .LBB286_56
; %bb.39:                               ;   in Loop: Header=BB286_38 Depth=1
	v_cmp_eq_u32_e64 s[0:1], v11, v30
	v_cmp_ne_u32_e64 s[2:3], v11, v30
	v_mov_b64_e32 v[18:19], 1
	s_and_saveexec_b64 s[22:23], s[2:3]
	s_cbranch_execz .LBB286_55
; %bb.40:                               ;   in Loop: Header=BB286_38 Depth=1
	v_cmp_eq_u32_e64 s[2:3], v11, v29
	v_cmp_ne_u32_e64 s[4:5], v11, v29
	v_mov_b64_e32 v[18:19], 2
	;; [unrolled: 6-line block ×8, first 2 shown]
	s_and_saveexec_b64 s[40:41], s[14:15]
	s_xor_b64 s[40:41], exec, s[40:41]
; %bb.47:                               ;   in Loop: Header=BB286_38 Depth=1
	v_cmp_eq_u32_e64 s[14:15], v11, v22
	s_andn2_b64 s[38:39], s[38:39], exec
	s_and_b64 s[14:15], s[14:15], exec
	v_mov_b64_e32 v[18:19], 9
	s_or_b64 s[38:39], s[38:39], s[14:15]
; %bb.48:                               ;   in Loop: Header=BB286_38 Depth=1
	s_or_b64 exec, exec, s[40:41]
	s_andn2_b64 s[12:13], s[12:13], exec
	s_and_b64 s[14:15], s[38:39], exec
	s_or_b64 s[12:13], s[12:13], s[14:15]
.LBB286_49:                             ;   in Loop: Header=BB286_38 Depth=1
	s_or_b64 exec, exec, s[36:37]
	s_andn2_b64 s[10:11], s[10:11], exec
	s_and_b64 s[12:13], s[12:13], exec
	s_or_b64 s[10:11], s[10:11], s[12:13]
.LBB286_50:                             ;   in Loop: Header=BB286_38 Depth=1
	s_or_b64 exec, exec, s[34:35]
	s_andn2_b64 s[8:9], s[8:9], exec
	s_and_b64 s[10:11], s[10:11], exec
	s_or_b64 s[8:9], s[8:9], s[10:11]
.LBB286_51:                             ;   in Loop: Header=BB286_38 Depth=1
	s_or_b64 exec, exec, s[30:31]
	s_andn2_b64 s[6:7], s[6:7], exec
	s_and_b64 s[8:9], s[8:9], exec
	s_or_b64 s[6:7], s[6:7], s[8:9]
.LBB286_52:                             ;   in Loop: Header=BB286_38 Depth=1
	s_or_b64 exec, exec, s[28:29]
	s_andn2_b64 s[4:5], s[4:5], exec
	s_and_b64 s[6:7], s[6:7], exec
	s_or_b64 s[4:5], s[4:5], s[6:7]
.LBB286_53:                             ;   in Loop: Header=BB286_38 Depth=1
	s_or_b64 exec, exec, s[26:27]
	s_andn2_b64 s[2:3], s[2:3], exec
	s_and_b64 s[4:5], s[4:5], exec
	s_or_b64 s[2:3], s[2:3], s[4:5]
.LBB286_54:                             ;   in Loop: Header=BB286_38 Depth=1
	s_or_b64 exec, exec, s[24:25]
	s_andn2_b64 s[0:1], s[0:1], exec
	s_and_b64 s[2:3], s[2:3], exec
	s_or_b64 s[0:1], s[0:1], s[2:3]
.LBB286_55:                             ;   in Loop: Header=BB286_38 Depth=1
	s_or_b64 exec, exec, s[22:23]
	s_andn2_b64 s[2:3], vcc, exec
	s_and_b64 s[0:1], s[0:1], exec
	s_or_b64 vcc, s[2:3], s[0:1]
.LBB286_56:                             ;   in Loop: Header=BB286_38 Depth=1
	s_or_b64 exec, exec, s[20:21]
	s_and_saveexec_b64 s[0:1], vcc
	s_cbranch_execz .LBB286_58
; %bb.57:                               ;   in Loop: Header=BB286_38 Depth=1
	v_cmp_eq_u32_e32 vcc, 1, v18
	v_add_u32_e32 v32, s33, v10
	v_ashrrev_i32_e32 v33, 31, v32
	v_cndmask_b32_e32 v11, v0, v1, vcc
	v_cmp_eq_u32_e32 vcc, 2, v18
	s_nop 1
	v_cndmask_b32_e32 v11, v11, v2, vcc
	v_cmp_eq_u32_e32 vcc, 3, v18
	s_nop 1
	;; [unrolled: 3-line block ×7, first 2 shown]
	v_cndmask_b32_e32 v11, v11, v8, vcc
	v_cmp_eq_u32_e32 vcc, 9, v18
	v_lshl_add_u64 v[18:19], v[32:33], 2, s[16:17]
	s_nop 0
	v_cndmask_b32_e32 v11, v11, v9, vcc
	v_mul_f32_e32 v11, v21, v11
	global_store_dword v[18:19], v11, off
.LBB286_58:                             ;   in Loop: Header=BB286_38 Depth=1
	s_or_b64 exec, exec, s[0:1]
	global_load_dword v11, v[16:17], off
	v_mov_b64_e32 v[18:19], 0
	s_waitcnt vmcnt(0)
	v_cmp_eq_u32_e64 s[12:13], v11, v20
	v_cmp_ne_u32_e32 vcc, v11, v20
	s_and_saveexec_b64 s[14:15], vcc
	s_cbranch_execz .LBB286_76
; %bb.59:                               ;   in Loop: Header=BB286_38 Depth=1
	v_cmp_eq_u32_e32 vcc, v11, v30
	v_cmp_ne_u32_e64 s[0:1], v11, v30
	v_mov_b64_e32 v[18:19], 1
	s_and_saveexec_b64 s[20:21], s[0:1]
	s_cbranch_execz .LBB286_75
; %bb.60:                               ;   in Loop: Header=BB286_38 Depth=1
	v_cmp_eq_u32_e64 s[0:1], v11, v29
	v_cmp_ne_u32_e64 s[2:3], v11, v29
	v_mov_b64_e32 v[18:19], 2
	s_and_saveexec_b64 s[22:23], s[2:3]
	s_cbranch_execz .LBB286_74
; %bb.61:                               ;   in Loop: Header=BB286_38 Depth=1
	v_cmp_eq_u32_e64 s[2:3], v11, v28
	;; [unrolled: 6-line block ×7, first 2 shown]
	v_cmp_ne_u32_e64 s[10:11], v11, v23
	v_mov_b64_e32 v[18:19], 8
	s_and_saveexec_b64 s[40:41], s[10:11]
; %bb.67:                               ;   in Loop: Header=BB286_38 Depth=1
	v_cmp_eq_u32_e64 s[10:11], v11, v22
	s_andn2_b64 s[38:39], s[38:39], exec
	s_and_b64 s[10:11], s[10:11], exec
	v_mov_b64_e32 v[18:19], 9
	s_or_b64 s[38:39], s[38:39], s[10:11]
; %bb.68:                               ;   in Loop: Header=BB286_38 Depth=1
	s_or_b64 exec, exec, s[40:41]
	s_andn2_b64 s[10:11], s[34:35], exec
	s_and_b64 s[34:35], s[38:39], exec
	s_or_b64 s[34:35], s[10:11], s[34:35]
.LBB286_69:                             ;   in Loop: Header=BB286_38 Depth=1
	s_or_b64 exec, exec, s[36:37]
	s_andn2_b64 s[8:9], s[8:9], exec
	s_and_b64 s[10:11], s[34:35], exec
	s_or_b64 s[8:9], s[8:9], s[10:11]
.LBB286_70:                             ;   in Loop: Header=BB286_38 Depth=1
	s_or_b64 exec, exec, s[30:31]
	s_andn2_b64 s[6:7], s[6:7], exec
	s_and_b64 s[8:9], s[8:9], exec
	s_or_b64 s[6:7], s[6:7], s[8:9]
.LBB286_71:                             ;   in Loop: Header=BB286_38 Depth=1
	s_or_b64 exec, exec, s[28:29]
	s_andn2_b64 s[4:5], s[4:5], exec
	s_and_b64 s[6:7], s[6:7], exec
	s_or_b64 s[4:5], s[4:5], s[6:7]
.LBB286_72:                             ;   in Loop: Header=BB286_38 Depth=1
	s_or_b64 exec, exec, s[26:27]
	s_andn2_b64 s[2:3], s[2:3], exec
	s_and_b64 s[4:5], s[4:5], exec
	s_or_b64 s[2:3], s[2:3], s[4:5]
.LBB286_73:                             ;   in Loop: Header=BB286_38 Depth=1
	s_or_b64 exec, exec, s[24:25]
	s_andn2_b64 s[0:1], s[0:1], exec
	s_and_b64 s[2:3], s[2:3], exec
	s_or_b64 s[0:1], s[0:1], s[2:3]
.LBB286_74:                             ;   in Loop: Header=BB286_38 Depth=1
	s_or_b64 exec, exec, s[22:23]
	s_andn2_b64 s[2:3], vcc, exec
	s_and_b64 s[0:1], s[0:1], exec
	s_or_b64 vcc, s[2:3], s[0:1]
.LBB286_75:                             ;   in Loop: Header=BB286_38 Depth=1
	s_or_b64 exec, exec, s[20:21]
	s_andn2_b64 s[0:1], s[12:13], exec
	s_and_b64 s[2:3], vcc, exec
	s_or_b64 s[12:13], s[0:1], s[2:3]
.LBB286_76:                             ;   in Loop: Header=BB286_38 Depth=1
	s_or_b64 exec, exec, s[14:15]
	s_and_saveexec_b64 s[0:1], s[12:13]
	s_cbranch_execz .LBB286_37
; %bb.77:                               ;   in Loop: Header=BB286_38 Depth=1
	v_cmp_eq_u32_e32 vcc, 1, v18
	s_nop 1
	v_cndmask_b32_e32 v11, v0, v1, vcc
	v_cmp_eq_u32_e32 vcc, 2, v18
	s_nop 1
	v_cndmask_b32_e32 v11, v11, v2, vcc
	;; [unrolled: 3-line block ×9, first 2 shown]
	v_mul_f32_e32 v11, v21, v11
	global_store_dword v[12:13], v11, off
	s_branch .LBB286_37
.LBB286_78:
	s_bitcmp0_b32 s19, 0
	s_mov_b32 s19, 0
	s_cbranch_scc1 .LBB286_32
; %bb.79:
	v_lshl_add_u64 v[12:13], s[18:19], 2, v[14:15]
	global_load_dword v11, v[12:13], off
	v_mov_b64_e32 v[12:13], 0
	s_waitcnt vmcnt(0)
	v_cmp_eq_u32_e64 s[12:13], v11, v20
	v_cmp_ne_u32_e32 vcc, v11, v20
	s_and_saveexec_b64 s[14:15], vcc
	s_cbranch_execz .LBB286_97
; %bb.80:
	v_cmp_eq_u32_e32 vcc, v11, v30
	v_cmp_ne_u32_e64 s[0:1], v11, v30
	v_mov_b64_e32 v[12:13], 1
	s_and_saveexec_b64 s[20:21], s[0:1]
	s_cbranch_execz .LBB286_96
; %bb.81:
	v_cmp_eq_u32_e64 s[0:1], v11, v29
	v_cmp_ne_u32_e64 s[2:3], v11, v29
	v_mov_b64_e32 v[12:13], 2
	s_and_saveexec_b64 s[22:23], s[2:3]
	s_cbranch_execz .LBB286_95
; %bb.82:
	v_cmp_eq_u32_e64 s[2:3], v11, v28
	;; [unrolled: 6-line block ×7, first 2 shown]
	v_cmp_ne_u32_e64 s[10:11], v11, v23
	v_mov_b64_e32 v[12:13], 8
	s_and_saveexec_b64 s[40:41], s[10:11]
; %bb.88:
	v_cmp_eq_u32_e64 s[10:11], v11, v22
	s_andn2_b64 s[38:39], s[38:39], exec
	s_and_b64 s[10:11], s[10:11], exec
	v_mov_b64_e32 v[12:13], 9
	s_or_b64 s[38:39], s[38:39], s[10:11]
; %bb.89:
	s_or_b64 exec, exec, s[40:41]
	s_andn2_b64 s[10:11], s[34:35], exec
	s_and_b64 s[34:35], s[38:39], exec
	s_or_b64 s[34:35], s[10:11], s[34:35]
.LBB286_90:
	s_or_b64 exec, exec, s[36:37]
	s_andn2_b64 s[8:9], s[8:9], exec
	s_and_b64 s[10:11], s[34:35], exec
	s_or_b64 s[8:9], s[8:9], s[10:11]
.LBB286_91:
	s_or_b64 exec, exec, s[30:31]
	s_andn2_b64 s[6:7], s[6:7], exec
	s_and_b64 s[8:9], s[8:9], exec
	s_or_b64 s[6:7], s[6:7], s[8:9]
.LBB286_92:
	s_or_b64 exec, exec, s[28:29]
	s_andn2_b64 s[4:5], s[4:5], exec
	s_and_b64 s[6:7], s[6:7], exec
	s_or_b64 s[4:5], s[4:5], s[6:7]
.LBB286_93:
	s_or_b64 exec, exec, s[26:27]
	s_andn2_b64 s[2:3], s[2:3], exec
	s_and_b64 s[4:5], s[4:5], exec
	s_or_b64 s[2:3], s[2:3], s[4:5]
.LBB286_94:
	s_or_b64 exec, exec, s[24:25]
	s_andn2_b64 s[0:1], s[0:1], exec
	s_and_b64 s[2:3], s[2:3], exec
	s_or_b64 s[0:1], s[0:1], s[2:3]
.LBB286_95:
	s_or_b64 exec, exec, s[22:23]
	s_andn2_b64 s[2:3], vcc, exec
	s_and_b64 s[0:1], s[0:1], exec
	s_or_b64 vcc, s[2:3], s[0:1]
.LBB286_96:
	s_or_b64 exec, exec, s[20:21]
	s_andn2_b64 s[0:1], s[12:13], exec
	s_and_b64 s[2:3], vcc, exec
	s_or_b64 s[12:13], s[0:1], s[2:3]
.LBB286_97:
	s_or_b64 exec, exec, s[14:15]
	s_and_b64 exec, exec, s[12:13]
	s_cbranch_execz .LBB286_32
; %bb.98:
	v_cmp_eq_u32_e32 vcc, 1, v12
	v_add_u32_e32 v10, s18, v10
	v_ashrrev_i32_e32 v11, 31, v10
	v_cndmask_b32_e32 v0, v0, v1, vcc
	v_cmp_eq_u32_e32 vcc, 2, v12
	s_nop 1
	v_cndmask_b32_e32 v0, v0, v2, vcc
	v_cmp_eq_u32_e32 vcc, 3, v12
	s_nop 1
	;; [unrolled: 3-line block ×8, first 2 shown]
	v_cndmask_b32_e32 v0, v0, v9, vcc
	v_mul_f32_e32 v2, v21, v0
	s_waitcnt lgkmcnt(0)
	v_lshl_add_u64 v[0:1], v[10:11], 2, s[16:17]
	global_store_dword v[0:1], v2, off
	s_endpgm
	.section	.rodata,"a",@progbits
	.p2align	6, 0x0
	.amdhsa_kernel _ZN4vllm3moe22topkGatingSoftplusSqrtILi10ELi320ELi4ELi2ELi32ELb1Ej6__halfEEvPKT6_PKbPfiPT5_PiiiibdPKfPKS9_SF_
		.amdhsa_group_segment_fixed_size 0
		.amdhsa_private_segment_fixed_size 0
		.amdhsa_kernarg_size 96
		.amdhsa_user_sgpr_count 2
		.amdhsa_user_sgpr_dispatch_ptr 0
		.amdhsa_user_sgpr_queue_ptr 0
		.amdhsa_user_sgpr_kernarg_segment_ptr 1
		.amdhsa_user_sgpr_dispatch_id 0
		.amdhsa_user_sgpr_kernarg_preload_length 0
		.amdhsa_user_sgpr_kernarg_preload_offset 0
		.amdhsa_user_sgpr_private_segment_size 0
		.amdhsa_uses_dynamic_stack 0
		.amdhsa_enable_private_segment 0
		.amdhsa_system_sgpr_workgroup_id_x 1
		.amdhsa_system_sgpr_workgroup_id_y 0
		.amdhsa_system_sgpr_workgroup_id_z 0
		.amdhsa_system_sgpr_workgroup_info 0
		.amdhsa_system_vgpr_workitem_id 1
		.amdhsa_next_free_vgpr 37
		.amdhsa_next_free_sgpr 42
		.amdhsa_accum_offset 40
		.amdhsa_reserve_vcc 1
		.amdhsa_float_round_mode_32 0
		.amdhsa_float_round_mode_16_64 0
		.amdhsa_float_denorm_mode_32 3
		.amdhsa_float_denorm_mode_16_64 3
		.amdhsa_dx10_clamp 1
		.amdhsa_ieee_mode 1
		.amdhsa_fp16_overflow 0
		.amdhsa_tg_split 0
		.amdhsa_exception_fp_ieee_invalid_op 0
		.amdhsa_exception_fp_denorm_src 0
		.amdhsa_exception_fp_ieee_div_zero 0
		.amdhsa_exception_fp_ieee_overflow 0
		.amdhsa_exception_fp_ieee_underflow 0
		.amdhsa_exception_fp_ieee_inexact 0
		.amdhsa_exception_int_div_zero 0
	.end_amdhsa_kernel
	.section	.text._ZN4vllm3moe22topkGatingSoftplusSqrtILi10ELi320ELi4ELi2ELi32ELb1Ej6__halfEEvPKT6_PKbPfiPT5_PiiiibdPKfPKS9_SF_,"axG",@progbits,_ZN4vllm3moe22topkGatingSoftplusSqrtILi10ELi320ELi4ELi2ELi32ELb1Ej6__halfEEvPKT6_PKbPfiPT5_PiiiibdPKfPKS9_SF_,comdat
.Lfunc_end286:
	.size	_ZN4vllm3moe22topkGatingSoftplusSqrtILi10ELi320ELi4ELi2ELi32ELb1Ej6__halfEEvPKT6_PKbPfiPT5_PiiiibdPKfPKS9_SF_, .Lfunc_end286-_ZN4vllm3moe22topkGatingSoftplusSqrtILi10ELi320ELi4ELi2ELi32ELb1Ej6__halfEEvPKT6_PKbPfiPT5_PiiiibdPKfPKS9_SF_
                                        ; -- End function
	.section	.AMDGPU.csdata,"",@progbits
; Kernel info:
; codeLenInByte = 5600
; NumSgprs: 48
; NumVgprs: 37
; NumAgprs: 0
; TotalNumVgprs: 37
; ScratchSize: 0
; MemoryBound: 0
; FloatMode: 240
; IeeeMode: 1
; LDSByteSize: 0 bytes/workgroup (compile time only)
; SGPRBlocks: 5
; VGPRBlocks: 4
; NumSGPRsForWavesPerEU: 48
; NumVGPRsForWavesPerEU: 37
; AccumOffset: 40
; Occupancy: 8
; WaveLimiterHint : 1
; COMPUTE_PGM_RSRC2:SCRATCH_EN: 0
; COMPUTE_PGM_RSRC2:USER_SGPR: 2
; COMPUTE_PGM_RSRC2:TRAP_HANDLER: 0
; COMPUTE_PGM_RSRC2:TGID_X_EN: 1
; COMPUTE_PGM_RSRC2:TGID_Y_EN: 0
; COMPUTE_PGM_RSRC2:TGID_Z_EN: 0
; COMPUTE_PGM_RSRC2:TIDIG_COMP_CNT: 1
; COMPUTE_PGM_RSRC3_GFX90A:ACCUM_OFFSET: 9
; COMPUTE_PGM_RSRC3_GFX90A:TG_SPLIT: 0
	.section	.text._ZN4vllm3moe22topkGatingSoftplusSqrtILi10ELi320ELi4ELi2ELi32ELb0Ej6__halfEEvPKT6_PKbPfiPT5_PiiiibdPKfPKS9_SF_,"axG",@progbits,_ZN4vllm3moe22topkGatingSoftplusSqrtILi10ELi320ELi4ELi2ELi32ELb0Ej6__halfEEvPKT6_PKbPfiPT5_PiiiibdPKfPKS9_SF_,comdat
	.protected	_ZN4vllm3moe22topkGatingSoftplusSqrtILi10ELi320ELi4ELi2ELi32ELb0Ej6__halfEEvPKT6_PKbPfiPT5_PiiiibdPKfPKS9_SF_ ; -- Begin function _ZN4vllm3moe22topkGatingSoftplusSqrtILi10ELi320ELi4ELi2ELi32ELb0Ej6__halfEEvPKT6_PKbPfiPT5_PiiiibdPKfPKS9_SF_
	.globl	_ZN4vllm3moe22topkGatingSoftplusSqrtILi10ELi320ELi4ELi2ELi32ELb0Ej6__halfEEvPKT6_PKbPfiPT5_PiiiibdPKfPKS9_SF_
	.p2align	8
	.type	_ZN4vllm3moe22topkGatingSoftplusSqrtILi10ELi320ELi4ELi2ELi32ELb0Ej6__halfEEvPKT6_PKbPfiPT5_PiiiibdPKfPKS9_SF_,@function
_ZN4vllm3moe22topkGatingSoftplusSqrtILi10ELi320ELi4ELi2ELi32ELb0Ej6__halfEEvPKT6_PKbPfiPT5_PiiiibdPKfPKS9_SF_: ; @_ZN4vllm3moe22topkGatingSoftplusSqrtILi10ELi320ELi4ELi2ELi32ELb0Ej6__halfEEvPKT6_PKbPfiPT5_PiiiibdPKfPKS9_SF_
; %bb.0:
	s_load_dword s30, s[0:1], 0x18
	v_and_b32_e32 v1, 0x3ff, v0
	s_lshl_b32 s2, s2, 2
	v_lshrrev_b32_e32 v2, 5, v1
	v_bfe_u32 v0, v0, 10, 10
	v_add3_u32 v10, s2, v0, v2
	s_waitcnt lgkmcnt(0)
	v_cmp_gt_i32_e32 vcc, s30, v10
	s_and_saveexec_b64 s[2:3], vcc
	s_cbranch_execz .LBB287_65
; %bb.1:
	s_load_dwordx4 s[4:7], s[0:1], 0x0
	s_load_dwordx2 s[20:21], s[0:1], 0x10
	s_waitcnt lgkmcnt(0)
	s_cmp_eq_u64 s[6:7], 0
	s_cbranch_scc1 .LBB287_3
; %bb.2:
	v_ashrrev_i32_e32 v11, 31, v10
	v_lshl_add_u64 v[2:3], s[6:7], 0, v[10:11]
	global_load_ubyte v0, v[2:3], off
	s_waitcnt vmcnt(0)
	v_and_b32_e32 v0, 1, v0
	v_cmp_eq_u32_e32 vcc, 1, v0
	s_xor_b64 s[2:3], vcc, -1
	s_orn2_b64 s[22:23], s[2:3], exec
	s_branch .LBB287_4
.LBB287_3:
	s_mov_b64 s[22:23], -1
.LBB287_4:
	s_movk_i32 s2, 0x140
	v_mul_lo_u32 v4, v10, s2
	v_mov_b32_e32 v2, s4
	v_mov_b32_e32 v3, s5
	v_ashrrev_i32_e32 v5, 31, v4
	v_and_b32_e32 v12, 31, v1
	v_lshl_add_u64 v[2:3], v[4:5], 1, v[2:3]
	v_mov_b32_e32 v1, 0
	v_lshlrev_b32_e32 v0, 1, v12
	v_lshl_add_u64 v[14:15], v[2:3], 0, v[0:1]
	global_load_ushort v0, v[14:15], off
	global_load_ushort v1, v[14:15], off offset:64
	global_load_ushort v2, v[14:15], off offset:128
	;; [unrolled: 1-line block ×9, first 2 shown]
	s_mov_b32 s16, 0x800000
	v_mov_b32_e32 v14, 0x4f800000
	s_mov_b32 s13, 0x3f317217
	s_mov_b32 s14, 0x7f800000
	v_mov_b32_e32 v15, 0x41b17218
	s_movk_i32 s12, 0x4d00
	s_mov_b32 s15, 0xf800000
	s_load_dwordx4 s[8:11], s[0:1], 0x40
	s_waitcnt lgkmcnt(0)
	s_cmp_lg_u64 s[10:11], 0
	s_cselect_b64 s[6:7], -1, 0
	s_and_b64 s[2:3], exec, s[6:7]
	s_waitcnt vmcnt(9)
	v_cvt_f32_f16_e32 v16, v0
	v_mul_f32_e32 v11, 0x3fb8aa3b, v16
	v_exp_f32_e32 v11, v11
	s_nop 0
	v_add_f32_e32 v11, 1.0, v11
	v_cmp_gt_f32_e32 vcc, s16, v11
	s_nop 1
	v_cndmask_b32_e32 v13, 1.0, v14, vcc
	v_mul_f32_e32 v11, v11, v13
	v_log_f32_e32 v17, v11
	v_cndmask_b32_e32 v18, 0, v15, vcc
	v_mov_b32_e32 v13, 0x260
	v_lshlrev_b32_e32 v11, 2, v12
	v_mul_f32_e32 v19, 0x3f317217, v17
	v_fma_f32 v19, v17, s13, -v19
	v_fmac_f32_e32 v19, 0x3377d1cf, v17
	v_fmac_f32_e32 v19, 0x3f317217, v17
	v_cmp_lt_f32_e64 vcc, |v17|, s14
	s_nop 1
	v_cndmask_b32_e32 v17, v17, v19, vcc
	v_sub_f32_e32 v17, v17, v18
	v_cmp_lt_f16_e32 vcc, s12, v0
	s_nop 1
	v_cndmask_b32_e32 v0, v17, v16, vcc
	v_mul_f32_e32 v16, 0x4f800000, v0
	v_cmp_gt_f32_e32 vcc, s15, v0
	s_nop 1
	v_cndmask_b32_e32 v0, v0, v16, vcc
	v_sqrt_f32_e32 v16, v0
	s_nop 0
	v_add_u32_e32 v17, -1, v16
	v_add_u32_e32 v18, 1, v16
	v_fma_f32 v19, -v17, v16, v0
	v_fma_f32 v20, -v18, v16, v0
	v_cmp_ge_f32_e64 s[4:5], 0, v19
	s_nop 1
	v_cndmask_b32_e64 v16, v16, v17, s[4:5]
	v_cmp_lt_f32_e64 s[4:5], 0, v20
	s_nop 1
	v_cndmask_b32_e64 v16, v16, v18, s[4:5]
	v_mul_f32_e32 v17, 0x37800000, v16
	v_cndmask_b32_e32 v16, v16, v17, vcc
	v_cmp_class_f32_e32 vcc, v0, v13
	s_nop 1
	v_cndmask_b32_e32 v0, v16, v0, vcc
	s_mov_b64 vcc, s[2:3]
	s_cbranch_vccz .LBB287_6
; %bb.5:
	global_load_dword v16, v11, s[10:11]
	s_waitcnt vmcnt(0)
	v_add_f32_e32 v0, v0, v16
.LBB287_6:
	s_waitcnt vmcnt(8)
	v_cvt_f32_f16_e32 v16, v1
	v_mul_f32_e32 v17, 0x3fb8aa3b, v16
	v_exp_f32_e32 v17, v17
	s_nop 0
	v_add_f32_e32 v17, 1.0, v17
	v_cmp_gt_f32_e32 vcc, s16, v17
	s_nop 1
	v_cndmask_b32_e32 v14, 1.0, v14, vcc
	v_mul_f32_e32 v14, v17, v14
	v_log_f32_e32 v14, v14
	v_cndmask_b32_e32 v15, 0, v15, vcc
	v_mul_f32_e32 v17, 0x3f317217, v14
	v_fma_f32 v17, v14, s13, -v17
	v_fmac_f32_e32 v17, 0x3377d1cf, v14
	v_fmac_f32_e32 v17, 0x3f317217, v14
	v_cmp_lt_f32_e64 vcc, |v14|, s14
	s_nop 1
	v_cndmask_b32_e32 v14, v14, v17, vcc
	v_sub_f32_e32 v14, v14, v15
	v_cmp_lt_f16_e32 vcc, s12, v1
	v_cndmask_b32_e64 v15, 0, 1, s[6:7]
	v_cmp_ne_u32_e64 s[2:3], 1, v15
	v_cndmask_b32_e32 v1, v14, v16, vcc
	v_mul_f32_e32 v14, 0x4f800000, v1
	v_cmp_gt_f32_e64 s[4:5], s15, v1
	s_andn2_b64 vcc, exec, s[6:7]
	s_nop 0
	v_cndmask_b32_e64 v1, v1, v14, s[4:5]
	v_sqrt_f32_e32 v14, v1
	s_nop 0
	v_add_u32_e32 v15, -1, v14
	v_add_u32_e32 v16, 1, v14
	v_fma_f32 v17, -v15, v14, v1
	v_fma_f32 v18, -v16, v14, v1
	v_cmp_ge_f32_e64 s[6:7], 0, v17
	s_nop 1
	v_cndmask_b32_e64 v14, v14, v15, s[6:7]
	v_cmp_lt_f32_e64 s[6:7], 0, v18
	s_nop 1
	v_cndmask_b32_e64 v14, v14, v16, s[6:7]
	v_mul_f32_e32 v15, 0x37800000, v14
	v_cndmask_b32_e64 v14, v14, v15, s[4:5]
	v_cmp_class_f32_e64 s[4:5], v1, v13
	s_nop 1
	v_cndmask_b32_e64 v1, v14, v1, s[4:5]
	s_cbranch_vccnz .LBB287_8
; %bb.7:
	global_load_dword v13, v11, s[10:11] offset:128
	s_waitcnt vmcnt(0)
	v_add_f32_e32 v1, v1, v13
.LBB287_8:
	s_waitcnt vmcnt(7)
	v_cvt_f32_f16_e32 v13, v2
	s_mov_b32 s12, 0x800000
	s_mov_b32 s7, 0x3f317217
	;; [unrolled: 1-line block ×3, first 2 shown]
	v_mul_f32_e32 v14, 0x3fb8aa3b, v13
	v_exp_f32_e32 v15, v14
	v_mov_b32_e32 v14, 0x4f800000
	s_movk_i32 s6, 0x4d00
	s_mov_b32 s14, 0xf800000
	v_add_f32_e32 v15, 1.0, v15
	v_cmp_gt_f32_e32 vcc, s12, v15
	s_nop 1
	v_cndmask_b32_e32 v16, 1.0, v14, vcc
	v_mul_f32_e32 v15, v15, v16
	v_log_f32_e32 v16, v15
	v_mov_b32_e32 v15, 0x41b17218
	v_cndmask_b32_e32 v17, 0, v15, vcc
	v_mul_f32_e32 v18, 0x3f317217, v16
	v_fma_f32 v18, v16, s7, -v18
	v_fmac_f32_e32 v18, 0x3377d1cf, v16
	v_fmac_f32_e32 v18, 0x3f317217, v16
	v_cmp_lt_f32_e64 vcc, |v16|, s13
	s_nop 1
	v_cndmask_b32_e32 v16, v16, v18, vcc
	v_sub_f32_e32 v16, v16, v17
	v_cmp_lt_f16_e32 vcc, s6, v2
	s_nop 1
	v_cndmask_b32_e32 v2, v16, v13, vcc
	v_mul_f32_e32 v13, 0x4f800000, v2
	v_cmp_gt_f32_e32 vcc, s14, v2
	s_nop 1
	v_cndmask_b32_e32 v2, v2, v13, vcc
	v_sqrt_f32_e32 v13, v2
	s_nop 0
	v_add_u32_e32 v16, -1, v13
	v_fma_f32 v17, -v16, v13, v2
	v_cmp_ge_f32_e64 s[4:5], 0, v17
	v_add_u32_e32 v17, 1, v13
	s_nop 0
	v_cndmask_b32_e64 v16, v13, v16, s[4:5]
	v_fma_f32 v13, -v17, v13, v2
	v_cmp_lt_f32_e64 s[4:5], 0, v13
	s_nop 1
	v_cndmask_b32_e64 v13, v16, v17, s[4:5]
	v_mul_f32_e32 v16, 0x37800000, v13
	v_cndmask_b32_e32 v16, v13, v16, vcc
	v_mov_b32_e32 v13, 0x260
	v_cmp_class_f32_e64 s[4:5], v2, v13
	s_and_b64 vcc, exec, s[2:3]
	s_nop 0
	v_cndmask_b32_e64 v2, v16, v2, s[4:5]
	s_cbranch_vccnz .LBB287_10
; %bb.9:
	global_load_dword v16, v11, s[10:11] offset:256
	s_waitcnt vmcnt(0)
	v_add_f32_e32 v2, v2, v16
.LBB287_10:
	s_waitcnt vmcnt(6)
	v_cvt_f32_f16_e32 v16, v3
	v_mul_f32_e32 v17, 0x3fb8aa3b, v16
	v_exp_f32_e32 v17, v17
	s_nop 0
	v_add_f32_e32 v17, 1.0, v17
	v_cmp_gt_f32_e32 vcc, s12, v17
	s_nop 1
	v_cndmask_b32_e32 v14, 1.0, v14, vcc
	v_mul_f32_e32 v14, v17, v14
	v_log_f32_e32 v14, v14
	v_cndmask_b32_e32 v15, 0, v15, vcc
	v_mul_f32_e32 v17, 0x3f317217, v14
	v_fma_f32 v17, v14, s7, -v17
	v_fmac_f32_e32 v17, 0x3377d1cf, v14
	v_fmac_f32_e32 v17, 0x3f317217, v14
	v_cmp_lt_f32_e64 vcc, |v14|, s13
	s_nop 1
	v_cndmask_b32_e32 v14, v14, v17, vcc
	v_sub_f32_e32 v14, v14, v15
	v_cmp_lt_f16_e32 vcc, s6, v3
	s_nop 1
	v_cndmask_b32_e32 v3, v14, v16, vcc
	v_mul_f32_e32 v14, 0x4f800000, v3
	v_cmp_gt_f32_e64 s[4:5], s14, v3
	s_and_b64 vcc, exec, s[2:3]
	s_nop 0
	v_cndmask_b32_e64 v3, v3, v14, s[4:5]
	v_sqrt_f32_e32 v14, v3
	s_nop 0
	v_add_u32_e32 v15, -1, v14
	v_add_u32_e32 v16, 1, v14
	v_fma_f32 v17, -v15, v14, v3
	v_fma_f32 v18, -v16, v14, v3
	v_cmp_ge_f32_e64 s[6:7], 0, v17
	s_nop 1
	v_cndmask_b32_e64 v14, v14, v15, s[6:7]
	v_cmp_lt_f32_e64 s[6:7], 0, v18
	s_nop 1
	v_cndmask_b32_e64 v14, v14, v16, s[6:7]
	v_mul_f32_e32 v15, 0x37800000, v14
	v_cndmask_b32_e64 v14, v14, v15, s[4:5]
	v_cmp_class_f32_e64 s[4:5], v3, v13
	s_nop 1
	v_cndmask_b32_e64 v3, v14, v3, s[4:5]
	s_cbranch_vccnz .LBB287_12
; %bb.11:
	global_load_dword v13, v11, s[10:11] offset:384
	s_waitcnt vmcnt(0)
	v_add_f32_e32 v3, v3, v13
.LBB287_12:
	s_waitcnt vmcnt(5)
	v_cvt_f32_f16_e32 v13, v4
	s_mov_b32 s7, 0x3f317217
	s_movk_i32 s6, 0x4d00
	v_mul_f32_e32 v14, 0x3fb8aa3b, v13
	v_exp_f32_e32 v15, v14
	v_mov_b32_e32 v14, 0x4f800000
	v_add_f32_e32 v15, 1.0, v15
	v_cmp_gt_f32_e32 vcc, s12, v15
	s_nop 1
	v_cndmask_b32_e32 v16, 1.0, v14, vcc
	v_mul_f32_e32 v15, v15, v16
	v_log_f32_e32 v16, v15
	v_mov_b32_e32 v15, 0x41b17218
	v_cndmask_b32_e32 v17, 0, v15, vcc
	v_mul_f32_e32 v18, 0x3f317217, v16
	v_fma_f32 v18, v16, s7, -v18
	v_fmac_f32_e32 v18, 0x3377d1cf, v16
	v_fmac_f32_e32 v18, 0x3f317217, v16
	v_cmp_lt_f32_e64 vcc, |v16|, s13
	s_nop 1
	v_cndmask_b32_e32 v16, v16, v18, vcc
	v_sub_f32_e32 v16, v16, v17
	v_cmp_lt_f16_e32 vcc, s6, v4
	s_nop 1
	v_cndmask_b32_e32 v4, v16, v13, vcc
	v_mul_f32_e32 v13, 0x4f800000, v4
	v_cmp_gt_f32_e32 vcc, s14, v4
	s_nop 1
	v_cndmask_b32_e32 v4, v4, v13, vcc
	v_sqrt_f32_e32 v13, v4
	s_nop 0
	v_add_u32_e32 v16, -1, v13
	v_fma_f32 v17, -v16, v13, v4
	v_cmp_ge_f32_e64 s[4:5], 0, v17
	v_add_u32_e32 v17, 1, v13
	s_nop 0
	v_cndmask_b32_e64 v16, v13, v16, s[4:5]
	v_fma_f32 v13, -v17, v13, v4
	v_cmp_lt_f32_e64 s[4:5], 0, v13
	s_nop 1
	v_cndmask_b32_e64 v13, v16, v17, s[4:5]
	v_mul_f32_e32 v16, 0x37800000, v13
	v_cndmask_b32_e32 v16, v13, v16, vcc
	v_mov_b32_e32 v13, 0x260
	v_cmp_class_f32_e64 s[4:5], v4, v13
	s_and_b64 vcc, exec, s[2:3]
	s_nop 0
	v_cndmask_b32_e64 v4, v16, v4, s[4:5]
	s_cbranch_vccnz .LBB287_14
; %bb.13:
	global_load_dword v16, v11, s[10:11] offset:512
	s_waitcnt vmcnt(0)
	v_add_f32_e32 v4, v4, v16
.LBB287_14:
	s_waitcnt vmcnt(4)
	v_cvt_f32_f16_e32 v16, v5
	v_mul_f32_e32 v17, 0x3fb8aa3b, v16
	v_exp_f32_e32 v17, v17
	s_nop 0
	v_add_f32_e32 v17, 1.0, v17
	v_cmp_gt_f32_e32 vcc, s12, v17
	s_nop 1
	v_cndmask_b32_e32 v14, 1.0, v14, vcc
	v_mul_f32_e32 v14, v17, v14
	v_log_f32_e32 v14, v14
	v_cndmask_b32_e32 v15, 0, v15, vcc
	v_mul_f32_e32 v17, 0x3f317217, v14
	v_fma_f32 v17, v14, s7, -v17
	v_fmac_f32_e32 v17, 0x3377d1cf, v14
	v_fmac_f32_e32 v17, 0x3f317217, v14
	v_cmp_lt_f32_e64 vcc, |v14|, s13
	s_nop 1
	v_cndmask_b32_e32 v14, v14, v17, vcc
	v_sub_f32_e32 v14, v14, v15
	v_cmp_lt_f16_e32 vcc, s6, v5
	s_nop 1
	v_cndmask_b32_e32 v5, v14, v16, vcc
	v_mul_f32_e32 v14, 0x4f800000, v5
	v_cmp_gt_f32_e64 s[4:5], s14, v5
	s_and_b64 vcc, exec, s[2:3]
	s_nop 0
	v_cndmask_b32_e64 v5, v5, v14, s[4:5]
	v_sqrt_f32_e32 v14, v5
	s_nop 0
	v_add_u32_e32 v15, -1, v14
	v_add_u32_e32 v16, 1, v14
	v_fma_f32 v17, -v15, v14, v5
	v_fma_f32 v18, -v16, v14, v5
	v_cmp_ge_f32_e64 s[6:7], 0, v17
	s_nop 1
	v_cndmask_b32_e64 v14, v14, v15, s[6:7]
	v_cmp_lt_f32_e64 s[6:7], 0, v18
	s_nop 1
	v_cndmask_b32_e64 v14, v14, v16, s[6:7]
	v_mul_f32_e32 v15, 0x37800000, v14
	v_cndmask_b32_e64 v14, v14, v15, s[4:5]
	v_cmp_class_f32_e64 s[4:5], v5, v13
	s_nop 1
	v_cndmask_b32_e64 v5, v14, v5, s[4:5]
	s_cbranch_vccnz .LBB287_16
; %bb.15:
	global_load_dword v13, v11, s[10:11] offset:640
	s_waitcnt vmcnt(0)
	v_add_f32_e32 v5, v5, v13
.LBB287_16:
	s_waitcnt vmcnt(3)
	v_cvt_f32_f16_e32 v13, v6
	s_mov_b32 s7, 0x3f317217
	s_movk_i32 s6, 0x4d00
	v_mul_f32_e32 v14, 0x3fb8aa3b, v13
	v_exp_f32_e32 v15, v14
	v_mov_b32_e32 v14, 0x4f800000
	v_add_f32_e32 v15, 1.0, v15
	v_cmp_gt_f32_e32 vcc, s12, v15
	s_nop 1
	v_cndmask_b32_e32 v16, 1.0, v14, vcc
	v_mul_f32_e32 v15, v15, v16
	v_log_f32_e32 v16, v15
	v_mov_b32_e32 v15, 0x41b17218
	v_cndmask_b32_e32 v17, 0, v15, vcc
	v_mul_f32_e32 v18, 0x3f317217, v16
	v_fma_f32 v18, v16, s7, -v18
	v_fmac_f32_e32 v18, 0x3377d1cf, v16
	v_fmac_f32_e32 v18, 0x3f317217, v16
	v_cmp_lt_f32_e64 vcc, |v16|, s13
	s_nop 1
	v_cndmask_b32_e32 v16, v16, v18, vcc
	v_sub_f32_e32 v16, v16, v17
	v_cmp_lt_f16_e32 vcc, s6, v6
	s_nop 1
	v_cndmask_b32_e32 v6, v16, v13, vcc
	v_mul_f32_e32 v13, 0x4f800000, v6
	v_cmp_gt_f32_e32 vcc, s14, v6
	s_nop 1
	v_cndmask_b32_e32 v6, v6, v13, vcc
	v_sqrt_f32_e32 v13, v6
	s_nop 0
	v_add_u32_e32 v16, -1, v13
	v_fma_f32 v17, -v16, v13, v6
	v_cmp_ge_f32_e64 s[4:5], 0, v17
	v_add_u32_e32 v17, 1, v13
	s_nop 0
	v_cndmask_b32_e64 v16, v13, v16, s[4:5]
	v_fma_f32 v13, -v17, v13, v6
	v_cmp_lt_f32_e64 s[4:5], 0, v13
	s_nop 1
	v_cndmask_b32_e64 v13, v16, v17, s[4:5]
	v_mul_f32_e32 v16, 0x37800000, v13
	v_cndmask_b32_e32 v16, v13, v16, vcc
	v_mov_b32_e32 v13, 0x260
	v_cmp_class_f32_e64 s[4:5], v6, v13
	s_and_b64 vcc, exec, s[2:3]
	s_nop 0
	v_cndmask_b32_e64 v6, v16, v6, s[4:5]
	s_cbranch_vccnz .LBB287_18
; %bb.17:
	global_load_dword v16, v11, s[10:11] offset:768
	s_waitcnt vmcnt(0)
	v_add_f32_e32 v6, v6, v16
.LBB287_18:
	s_waitcnt vmcnt(2)
	v_cvt_f32_f16_e32 v16, v7
	v_mul_f32_e32 v17, 0x3fb8aa3b, v16
	v_exp_f32_e32 v17, v17
	s_nop 0
	v_add_f32_e32 v17, 1.0, v17
	v_cmp_gt_f32_e32 vcc, s12, v17
	s_nop 1
	v_cndmask_b32_e32 v14, 1.0, v14, vcc
	v_mul_f32_e32 v14, v17, v14
	v_log_f32_e32 v14, v14
	v_cndmask_b32_e32 v15, 0, v15, vcc
	v_mul_f32_e32 v17, 0x3f317217, v14
	v_fma_f32 v17, v14, s7, -v17
	v_fmac_f32_e32 v17, 0x3377d1cf, v14
	v_fmac_f32_e32 v17, 0x3f317217, v14
	v_cmp_lt_f32_e64 vcc, |v14|, s13
	s_nop 1
	v_cndmask_b32_e32 v14, v14, v17, vcc
	v_sub_f32_e32 v14, v14, v15
	v_cmp_lt_f16_e32 vcc, s6, v7
	s_nop 1
	v_cndmask_b32_e32 v7, v14, v16, vcc
	v_mul_f32_e32 v14, 0x4f800000, v7
	v_cmp_gt_f32_e64 s[4:5], s14, v7
	s_and_b64 vcc, exec, s[2:3]
	s_nop 0
	v_cndmask_b32_e64 v7, v7, v14, s[4:5]
	v_sqrt_f32_e32 v14, v7
	s_nop 0
	v_add_u32_e32 v15, -1, v14
	v_add_u32_e32 v16, 1, v14
	v_fma_f32 v17, -v15, v14, v7
	v_fma_f32 v18, -v16, v14, v7
	v_cmp_ge_f32_e64 s[6:7], 0, v17
	s_nop 1
	v_cndmask_b32_e64 v14, v14, v15, s[6:7]
	v_cmp_lt_f32_e64 s[6:7], 0, v18
	s_nop 1
	v_cndmask_b32_e64 v14, v14, v16, s[6:7]
	v_mul_f32_e32 v15, 0x37800000, v14
	v_cndmask_b32_e64 v14, v14, v15, s[4:5]
	v_cmp_class_f32_e64 s[4:5], v7, v13
	s_nop 1
	v_cndmask_b32_e64 v7, v14, v7, s[4:5]
	s_cbranch_vccnz .LBB287_20
; %bb.19:
	global_load_dword v13, v11, s[10:11] offset:896
	s_waitcnt vmcnt(0)
	v_add_f32_e32 v7, v7, v13
.LBB287_20:
	s_waitcnt vmcnt(1)
	v_cvt_f32_f16_e32 v13, v8
	s_mov_b32 s7, 0x3f317217
	s_movk_i32 s6, 0x4d00
	v_mul_f32_e32 v14, 0x3fb8aa3b, v13
	v_exp_f32_e32 v15, v14
	v_mov_b32_e32 v14, 0x4f800000
	v_add_f32_e32 v15, 1.0, v15
	v_cmp_gt_f32_e32 vcc, s12, v15
	s_nop 1
	v_cndmask_b32_e32 v16, 1.0, v14, vcc
	v_mul_f32_e32 v15, v15, v16
	v_log_f32_e32 v16, v15
	v_mov_b32_e32 v15, 0x41b17218
	v_cndmask_b32_e32 v17, 0, v15, vcc
	v_mul_f32_e32 v18, 0x3f317217, v16
	v_fma_f32 v18, v16, s7, -v18
	v_fmac_f32_e32 v18, 0x3377d1cf, v16
	v_fmac_f32_e32 v18, 0x3f317217, v16
	v_cmp_lt_f32_e64 vcc, |v16|, s13
	s_nop 1
	v_cndmask_b32_e32 v16, v16, v18, vcc
	v_sub_f32_e32 v16, v16, v17
	v_cmp_lt_f16_e32 vcc, s6, v8
	s_nop 1
	v_cndmask_b32_e32 v8, v16, v13, vcc
	v_mul_f32_e32 v13, 0x4f800000, v8
	v_cmp_gt_f32_e32 vcc, s14, v8
	s_nop 1
	v_cndmask_b32_e32 v8, v8, v13, vcc
	v_sqrt_f32_e32 v13, v8
	s_nop 0
	v_add_u32_e32 v16, -1, v13
	v_fma_f32 v17, -v16, v13, v8
	v_cmp_ge_f32_e64 s[4:5], 0, v17
	v_add_u32_e32 v17, 1, v13
	s_nop 0
	v_cndmask_b32_e64 v16, v13, v16, s[4:5]
	v_fma_f32 v13, -v17, v13, v8
	v_cmp_lt_f32_e64 s[4:5], 0, v13
	s_nop 1
	v_cndmask_b32_e64 v13, v16, v17, s[4:5]
	v_mul_f32_e32 v16, 0x37800000, v13
	v_cndmask_b32_e32 v16, v13, v16, vcc
	v_mov_b32_e32 v13, 0x260
	v_cmp_class_f32_e64 s[4:5], v8, v13
	s_and_b64 vcc, exec, s[2:3]
	s_nop 0
	v_cndmask_b32_e64 v8, v16, v8, s[4:5]
	s_cbranch_vccnz .LBB287_22
; %bb.21:
	global_load_dword v16, v11, s[10:11] offset:1024
	s_waitcnt vmcnt(0)
	v_add_f32_e32 v8, v8, v16
.LBB287_22:
	s_waitcnt vmcnt(0)
	v_cvt_f32_f16_e32 v16, v9
	v_mul_f32_e32 v17, 0x3fb8aa3b, v16
	v_exp_f32_e32 v17, v17
	s_nop 0
	v_add_f32_e32 v17, 1.0, v17
	v_cmp_gt_f32_e32 vcc, s12, v17
	s_nop 1
	v_cndmask_b32_e32 v14, 1.0, v14, vcc
	v_mul_f32_e32 v14, v17, v14
	v_log_f32_e32 v14, v14
	v_cndmask_b32_e32 v15, 0, v15, vcc
	v_mul_f32_e32 v17, 0x3f317217, v14
	v_fma_f32 v17, v14, s7, -v17
	v_fmac_f32_e32 v17, 0x3377d1cf, v14
	v_fmac_f32_e32 v17, 0x3f317217, v14
	v_cmp_lt_f32_e64 vcc, |v14|, s13
	s_nop 1
	v_cndmask_b32_e32 v14, v14, v17, vcc
	v_sub_f32_e32 v14, v14, v15
	v_cmp_lt_f16_e32 vcc, s6, v9
	s_nop 1
	v_cndmask_b32_e32 v9, v14, v16, vcc
	v_mul_f32_e32 v14, 0x4f800000, v9
	v_cmp_gt_f32_e64 s[4:5], s14, v9
	s_and_b64 vcc, exec, s[2:3]
	s_nop 0
	v_cndmask_b32_e64 v9, v9, v14, s[4:5]
	v_sqrt_f32_e32 v14, v9
	s_nop 0
	v_add_u32_e32 v15, -1, v14
	v_add_u32_e32 v16, 1, v14
	v_fma_f32 v17, -v15, v14, v9
	v_fma_f32 v18, -v16, v14, v9
	v_cmp_ge_f32_e64 s[6:7], 0, v17
	s_nop 1
	v_cndmask_b32_e64 v14, v14, v15, s[6:7]
	v_cmp_lt_f32_e64 s[6:7], 0, v18
	s_nop 1
	v_cndmask_b32_e64 v14, v14, v16, s[6:7]
	v_mul_f32_e32 v15, 0x37800000, v14
	v_cndmask_b32_e64 v14, v14, v15, s[4:5]
	v_cmp_class_f32_e64 s[4:5], v9, v13
	s_nop 1
	v_cndmask_b32_e64 v9, v14, v9, s[4:5]
	s_cbranch_vccnz .LBB287_24
; %bb.23:
	global_load_dword v11, v11, s[10:11] offset:1152
	s_waitcnt vmcnt(0)
	v_add_f32_e32 v9, v9, v11
.LBB287_24:
	s_load_dwordx4 s[12:15], s[0:1], 0x30
	s_mov_b32 s31, 0
	v_cmp_eq_u32_e64 s[6:7], 0, v12
	s_waitcnt lgkmcnt(0)
	s_bitcmp1_b32 s15, 0
	s_cselect_b64 s[4:5], -1, 0
	s_cmp_gt_i32 s12, 0
	s_cselect_b64 s[24:25], -1, 0
	s_and_b64 vcc, exec, s[24:25]
	s_cbranch_vccz .LBB287_51
; %bb.25:
	v_mbcnt_lo_u32_b32 v11, -1, 0
	v_mbcnt_hi_u32_b32 v14, -1, v11
	v_and_b32_e32 v11, 0x60, v14
	v_add_u32_e32 v15, 32, v11
	v_xor_b32_e32 v16, 16, v14
	v_cmp_lt_i32_e32 vcc, v16, v15
	s_load_dwordx4 s[16:19], s[0:1], 0x20
	v_mul_lo_u32 v11, v10, s12
	v_cndmask_b32_e32 v16, v14, v16, vcc
	v_lshlrev_b32_e32 v25, 2, v16
	v_xor_b32_e32 v16, 8, v14
	v_cmp_lt_i32_e32 vcc, v16, v15
	v_or_b32_e32 v13, 32, v12
	v_or_b32_e32 v17, 64, v12
	v_cndmask_b32_e32 v16, v14, v16, vcc
	v_lshlrev_b32_e32 v26, 2, v16
	v_xor_b32_e32 v16, 4, v14
	v_cmp_lt_i32_e32 vcc, v16, v15
	v_or_b32_e32 v18, 0x60, v12
	v_or_b32_e32 v19, 0x80, v12
	;; [unrolled: 6-line block ×4, first 2 shown]
	v_cndmask_b32_e32 v14, v14, v16, vcc
	v_or_b32_e32 v24, 0x120, v12
	v_lshlrev_b32_e32 v29, 2, v14
	v_mov_b32_e32 v16, 0
	v_mov_b32_e32 v30, 0x140
	;; [unrolled: 1-line block ×4, first 2 shown]
	s_branch .LBB287_28
.LBB287_26:                             ;   in Loop: Header=BB287_28 Depth=1
	s_waitcnt lgkmcnt(0)
	v_add_u32_e32 v34, s31, v11
	v_cmp_le_i32_e32 vcc, s13, v14
	v_cmp_gt_i32_e64 s[0:1], s14, v14
	v_ashrrev_i32_e32 v35, 31, v34
	s_and_b64 s[0:1], vcc, s[0:1]
	v_lshlrev_b64 v[34:35], 2, v[34:35]
	v_lshl_add_u64 v[36:37], s[20:21], 0, v[34:35]
	v_subrev_u32_e32 v15, s13, v14
	s_and_b64 vcc, s[22:23], s[0:1]
	global_store_dword v[36:37], v33, off
	v_cndmask_b32_e32 v15, v30, v15, vcc
	v_lshl_add_u64 v[36:37], s[16:17], 0, v[34:35]
	global_store_dword v[36:37], v15, off
	v_add_f32_e32 v15, v16, v33
	v_lshl_add_u64 v[34:35], s[18:19], 0, v[34:35]
	v_cndmask_b32_e64 v16, v16, v15, s[4:5]
	global_store_dword v[34:35], v32, off
.LBB287_27:                             ;   in Loop: Header=BB287_28 Depth=1
	s_or_b64 exec, exec, s[26:27]
	v_ashrrev_i32_e32 v15, 31, v14
	v_lshrrev_b32_e32 v15, 27, v15
	v_add_u32_e32 v15, v14, v15
	v_and_b32_e32 v33, 0xffffffe0, v15
	v_sub_u32_e32 v14, v14, v33
	s_add_i32 s31, s31, 1
	v_cmp_eq_u32_e32 vcc, v12, v14
	s_cmp_lt_i32 s31, s12
	v_ashrrev_i32_e32 v14, 5, v15
	s_cselect_b64 s[26:27], -1, 0
	v_cmp_ne_u32_e64 s[0:1], 9, v14
	s_and_b64 vcc, s[26:27], vcc
	s_cmp_eq_u32 s12, s31
	v_cndmask_b32_e64 v15, v31, v9, s[0:1]
	v_cmp_ne_u32_e64 s[0:1], 8, v14
	v_cndmask_b32_e32 v9, v9, v15, vcc
	v_add_u32_e32 v32, s30, v32
	v_cndmask_b32_e64 v15, v31, v8, s[0:1]
	v_cmp_ne_u32_e64 s[0:1], 7, v14
	v_cndmask_b32_e32 v8, v8, v15, vcc
	s_nop 0
	v_cndmask_b32_e64 v15, v31, v7, s[0:1]
	v_cmp_ne_u32_e64 s[0:1], 6, v14
	v_cndmask_b32_e32 v7, v7, v15, vcc
	s_nop 0
	;; [unrolled: 4-line block ×8, first 2 shown]
	v_cndmask_b32_e64 v14, v31, v0, s[0:1]
	v_cndmask_b32_e32 v0, v0, v14, vcc
	s_cbranch_scc1 .LBB287_52
.LBB287_28:                             ; =>This Inner Loop Header: Depth=1
	v_cmp_gt_f32_e32 vcc, v1, v0
	s_nop 1
	v_cndmask_b32_e32 v15, v0, v1, vcc
	v_cndmask_b32_e32 v14, v12, v13, vcc
	v_cmp_gt_f32_e32 vcc, v2, v15
	s_nop 1
	v_cndmask_b32_e32 v15, v15, v2, vcc
	v_cndmask_b32_e32 v14, v14, v17, vcc
	;; [unrolled: 4-line block ×9, first 2 shown]
	ds_bpermute_b32 v15, v25, v33
	s_waitcnt lgkmcnt(0)
	ds_bpermute_b32 v34, v25, v14
	s_waitcnt lgkmcnt(0)
	v_cmp_lt_f32_e64 s[26:27], v33, v15
	v_cmp_nlt_f32_e32 vcc, v33, v15
	s_and_saveexec_b64 s[28:29], vcc
; %bb.29:                               ;   in Loop: Header=BB287_28 Depth=1
	v_cmp_eq_f32_e32 vcc, v33, v15
	v_cmp_lt_i32_e64 s[0:1], v34, v14
	s_and_b64 s[0:1], vcc, s[0:1]
	s_andn2_b64 s[26:27], s[26:27], exec
	s_and_b64 s[0:1], s[0:1], exec
	s_or_b64 s[26:27], s[26:27], s[0:1]
; %bb.30:                               ;   in Loop: Header=BB287_28 Depth=1
	s_or_b64 exec, exec, s[28:29]
	s_and_saveexec_b64 s[0:1], s[26:27]
; %bb.31:                               ;   in Loop: Header=BB287_28 Depth=1
	v_mov_b32_e32 v33, v15
	v_mov_b32_e32 v14, v34
; %bb.32:                               ;   in Loop: Header=BB287_28 Depth=1
	s_or_b64 exec, exec, s[0:1]
	ds_bpermute_b32 v15, v26, v33
	ds_bpermute_b32 v34, v26, v14
	s_waitcnt lgkmcnt(1)
	v_cmp_lt_f32_e64 s[26:27], v33, v15
	v_cmp_nlt_f32_e32 vcc, v33, v15
	s_and_saveexec_b64 s[28:29], vcc
	s_cbranch_execz .LBB287_34
; %bb.33:                               ;   in Loop: Header=BB287_28 Depth=1
	v_cmp_eq_f32_e32 vcc, v33, v15
	s_waitcnt lgkmcnt(0)
	v_cmp_lt_i32_e64 s[0:1], v34, v14
	s_and_b64 s[0:1], vcc, s[0:1]
	s_andn2_b64 s[26:27], s[26:27], exec
	s_and_b64 s[0:1], s[0:1], exec
	s_or_b64 s[26:27], s[26:27], s[0:1]
.LBB287_34:                             ;   in Loop: Header=BB287_28 Depth=1
	s_or_b64 exec, exec, s[28:29]
	s_and_saveexec_b64 s[0:1], s[26:27]
	s_cbranch_execz .LBB287_36
; %bb.35:                               ;   in Loop: Header=BB287_28 Depth=1
	v_mov_b32_e32 v33, v15
	s_waitcnt lgkmcnt(0)
	v_mov_b32_e32 v14, v34
.LBB287_36:                             ;   in Loop: Header=BB287_28 Depth=1
	s_or_b64 exec, exec, s[0:1]
	ds_bpermute_b32 v15, v27, v33
	s_waitcnt lgkmcnt(1)
	ds_bpermute_b32 v34, v27, v14
	s_waitcnt lgkmcnt(1)
	v_cmp_lt_f32_e64 s[26:27], v33, v15
	v_cmp_nlt_f32_e32 vcc, v33, v15
	s_and_saveexec_b64 s[28:29], vcc
	s_cbranch_execz .LBB287_38
; %bb.37:                               ;   in Loop: Header=BB287_28 Depth=1
	v_cmp_eq_f32_e32 vcc, v33, v15
	s_waitcnt lgkmcnt(0)
	v_cmp_lt_i32_e64 s[0:1], v34, v14
	s_and_b64 s[0:1], vcc, s[0:1]
	s_andn2_b64 s[26:27], s[26:27], exec
	s_and_b64 s[0:1], s[0:1], exec
	s_or_b64 s[26:27], s[26:27], s[0:1]
.LBB287_38:                             ;   in Loop: Header=BB287_28 Depth=1
	s_or_b64 exec, exec, s[28:29]
	s_and_saveexec_b64 s[0:1], s[26:27]
	s_cbranch_execz .LBB287_40
; %bb.39:                               ;   in Loop: Header=BB287_28 Depth=1
	v_mov_b32_e32 v33, v15
	s_waitcnt lgkmcnt(0)
	v_mov_b32_e32 v14, v34
.LBB287_40:                             ;   in Loop: Header=BB287_28 Depth=1
	s_or_b64 exec, exec, s[0:1]
	ds_bpermute_b32 v15, v28, v33
	s_waitcnt lgkmcnt(1)
	;; [unrolled: 26-line block ×3, first 2 shown]
	ds_bpermute_b32 v34, v29, v14
	s_waitcnt lgkmcnt(1)
	v_cmp_lt_f32_e64 s[26:27], v33, v15
	v_cmp_nlt_f32_e32 vcc, v33, v15
	s_and_saveexec_b64 s[28:29], vcc
	s_cbranch_execnz .LBB287_47
; %bb.45:                               ;   in Loop: Header=BB287_28 Depth=1
	s_or_b64 exec, exec, s[28:29]
	s_and_saveexec_b64 s[0:1], s[26:27]
	s_cbranch_execnz .LBB287_48
.LBB287_46:                             ;   in Loop: Header=BB287_28 Depth=1
	s_or_b64 exec, exec, s[0:1]
	s_and_saveexec_b64 s[26:27], s[6:7]
	s_cbranch_execz .LBB287_27
	s_branch .LBB287_49
.LBB287_47:                             ;   in Loop: Header=BB287_28 Depth=1
	v_cmp_eq_f32_e32 vcc, v33, v15
	s_waitcnt lgkmcnt(0)
	v_cmp_lt_i32_e64 s[0:1], v34, v14
	s_and_b64 s[0:1], vcc, s[0:1]
	s_andn2_b64 s[26:27], s[26:27], exec
	s_and_b64 s[0:1], s[0:1], exec
	s_or_b64 s[26:27], s[26:27], s[0:1]
	s_or_b64 exec, exec, s[28:29]
	s_and_saveexec_b64 s[0:1], s[26:27]
	s_cbranch_execz .LBB287_46
.LBB287_48:                             ;   in Loop: Header=BB287_28 Depth=1
	s_waitcnt lgkmcnt(0)
	v_mov_b32_e32 v14, v34
	v_mov_b32_e32 v33, v15
	s_or_b64 exec, exec, s[0:1]
	s_and_saveexec_b64 s[26:27], s[6:7]
	s_cbranch_execz .LBB287_27
.LBB287_49:                             ;   in Loop: Header=BB287_28 Depth=1
	s_and_b64 vcc, exec, s[2:3]
	s_cbranch_vccnz .LBB287_26
; %bb.50:                               ;   in Loop: Header=BB287_28 Depth=1
	v_ashrrev_i32_e32 v15, 31, v14
	s_waitcnt lgkmcnt(0)
	v_lshl_add_u64 v[34:35], v[14:15], 2, s[10:11]
	global_load_dword v15, v[34:35], off
	s_waitcnt vmcnt(0)
	v_sub_f32_e32 v33, v33, v15
	s_branch .LBB287_26
.LBB287_51:
	v_mov_b32_e32 v16, 0
.LBB287_52:
	v_cmp_eq_u32_e32 vcc, 0, v12
	s_and_b64 exec, exec, vcc
	s_cbranch_execz .LBB287_65
; %bb.53:
	s_andn2_b64 vcc, exec, s[4:5]
	v_cvt_f32_f64_e32 v0, s[8:9]
	s_cbranch_vccnz .LBB287_55
; %bb.54:
	v_cmp_lt_f32_e32 vcc, 0, v16
	s_nop 1
	v_cndmask_b32_e32 v1, 1.0, v16, vcc
	v_div_scale_f32 v2, s[0:1], v1, v1, v0
	v_rcp_f32_e32 v3, v2
	s_nop 0
	v_fma_f32 v4, -v2, v3, 1.0
	v_fmac_f32_e32 v3, v4, v3
	v_div_scale_f32 v4, vcc, v0, v1, v0
	v_mul_f32_e32 v5, v4, v3
	v_fma_f32 v6, -v2, v5, v4
	v_fmac_f32_e32 v5, v6, v3
	v_fma_f32 v2, -v2, v5, v4
	v_div_fmas_f32 v2, v2, v3, v5
	v_div_fixup_f32 v0, v2, v1, v0
.LBB287_55:
	s_andn2_b64 vcc, exec, s[24:25]
	s_cbranch_vccnz .LBB287_65
; %bb.56:
	v_mul_lo_u32 v2, v10, s12
	s_cmp_gt_u32 s12, 3
	v_ashrrev_i32_e32 v3, 31, v2
	s_cbranch_scc0 .LBB287_60
; %bb.57:
	s_and_b32 s0, s12, 0x7ffffffc
	v_lshl_add_u64 v[4:5], v[2:3], 2, s[20:21]
	v_mov_b32_e32 v1, v0
	v_lshl_add_u64 v[4:5], v[4:5], 0, 8
	s_mov_b32 s1, s0
.LBB287_58:                             ; =>This Inner Loop Header: Depth=1
	global_load_dwordx4 v[6:9], v[4:5], off offset:-8
	s_add_i32 s1, s1, -4
	s_cmp_lg_u32 s1, 0
	s_waitcnt vmcnt(0)
	v_pk_mul_f32 v[6:7], v[0:1], v[6:7]
	v_pk_mul_f32 v[8:9], v[0:1], v[8:9]
	global_store_dwordx4 v[4:5], v[6:9], off offset:-8
	v_lshl_add_u64 v[4:5], v[4:5], 0, 16
	s_cbranch_scc1 .LBB287_58
; %bb.59:
	s_cmp_lg_u32 s0, s12
	s_cselect_b64 s[2:3], -1, 0
	s_branch .LBB287_62
.LBB287_60:
	s_mov_b64 s[2:3], 0
                                        ; implicit-def: $sgpr0
	s_cbranch_execz .LBB287_62
; %bb.61:
	s_mov_b64 s[2:3], -1
	s_mov_b32 s0, 0
.LBB287_62:
	s_andn2_b64 vcc, exec, s[2:3]
	s_cbranch_vccnz .LBB287_65
; %bb.63:
	s_mov_b32 s1, 0
	v_lshl_add_u64 v[2:3], v[2:3], 0, s[0:1]
	s_sub_i32 s2, s12, s0
	v_lshl_add_u64 v[2:3], v[2:3], 2, s[20:21]
.LBB287_64:                             ; =>This Inner Loop Header: Depth=1
	global_load_dword v1, v[2:3], off
	s_add_i32 s2, s2, -1
	s_cmp_lg_u32 s2, 0
	s_waitcnt vmcnt(0)
	v_mul_f32_e32 v1, v0, v1
	global_store_dword v[2:3], v1, off
	v_lshl_add_u64 v[2:3], v[2:3], 0, 4
	s_cbranch_scc1 .LBB287_64
.LBB287_65:
	s_endpgm
	.section	.rodata,"a",@progbits
	.p2align	6, 0x0
	.amdhsa_kernel _ZN4vllm3moe22topkGatingSoftplusSqrtILi10ELi320ELi4ELi2ELi32ELb0Ej6__halfEEvPKT6_PKbPfiPT5_PiiiibdPKfPKS9_SF_
		.amdhsa_group_segment_fixed_size 0
		.amdhsa_private_segment_fixed_size 0
		.amdhsa_kernarg_size 96
		.amdhsa_user_sgpr_count 2
		.amdhsa_user_sgpr_dispatch_ptr 0
		.amdhsa_user_sgpr_queue_ptr 0
		.amdhsa_user_sgpr_kernarg_segment_ptr 1
		.amdhsa_user_sgpr_dispatch_id 0
		.amdhsa_user_sgpr_kernarg_preload_length 0
		.amdhsa_user_sgpr_kernarg_preload_offset 0
		.amdhsa_user_sgpr_private_segment_size 0
		.amdhsa_uses_dynamic_stack 0
		.amdhsa_enable_private_segment 0
		.amdhsa_system_sgpr_workgroup_id_x 1
		.amdhsa_system_sgpr_workgroup_id_y 0
		.amdhsa_system_sgpr_workgroup_id_z 0
		.amdhsa_system_sgpr_workgroup_info 0
		.amdhsa_system_vgpr_workitem_id 1
		.amdhsa_next_free_vgpr 38
		.amdhsa_next_free_sgpr 32
		.amdhsa_accum_offset 40
		.amdhsa_reserve_vcc 1
		.amdhsa_float_round_mode_32 0
		.amdhsa_float_round_mode_16_64 0
		.amdhsa_float_denorm_mode_32 3
		.amdhsa_float_denorm_mode_16_64 3
		.amdhsa_dx10_clamp 1
		.amdhsa_ieee_mode 1
		.amdhsa_fp16_overflow 0
		.amdhsa_tg_split 0
		.amdhsa_exception_fp_ieee_invalid_op 0
		.amdhsa_exception_fp_denorm_src 0
		.amdhsa_exception_fp_ieee_div_zero 0
		.amdhsa_exception_fp_ieee_overflow 0
		.amdhsa_exception_fp_ieee_underflow 0
		.amdhsa_exception_fp_ieee_inexact 0
		.amdhsa_exception_int_div_zero 0
	.end_amdhsa_kernel
	.section	.text._ZN4vllm3moe22topkGatingSoftplusSqrtILi10ELi320ELi4ELi2ELi32ELb0Ej6__halfEEvPKT6_PKbPfiPT5_PiiiibdPKfPKS9_SF_,"axG",@progbits,_ZN4vllm3moe22topkGatingSoftplusSqrtILi10ELi320ELi4ELi2ELi32ELb0Ej6__halfEEvPKT6_PKbPfiPT5_PiiiibdPKfPKS9_SF_,comdat
.Lfunc_end287:
	.size	_ZN4vllm3moe22topkGatingSoftplusSqrtILi10ELi320ELi4ELi2ELi32ELb0Ej6__halfEEvPKT6_PKbPfiPT5_PiiiibdPKfPKS9_SF_, .Lfunc_end287-_ZN4vllm3moe22topkGatingSoftplusSqrtILi10ELi320ELi4ELi2ELi32ELb0Ej6__halfEEvPKT6_PKbPfiPT5_PiiiibdPKfPKS9_SF_
                                        ; -- End function
	.section	.AMDGPU.csdata,"",@progbits
; Kernel info:
; codeLenInByte = 4940
; NumSgprs: 38
; NumVgprs: 38
; NumAgprs: 0
; TotalNumVgprs: 38
; ScratchSize: 0
; MemoryBound: 0
; FloatMode: 240
; IeeeMode: 1
; LDSByteSize: 0 bytes/workgroup (compile time only)
; SGPRBlocks: 4
; VGPRBlocks: 4
; NumSGPRsForWavesPerEU: 38
; NumVGPRsForWavesPerEU: 38
; AccumOffset: 40
; Occupancy: 8
; WaveLimiterHint : 0
; COMPUTE_PGM_RSRC2:SCRATCH_EN: 0
; COMPUTE_PGM_RSRC2:USER_SGPR: 2
; COMPUTE_PGM_RSRC2:TRAP_HANDLER: 0
; COMPUTE_PGM_RSRC2:TGID_X_EN: 1
; COMPUTE_PGM_RSRC2:TGID_Y_EN: 0
; COMPUTE_PGM_RSRC2:TGID_Z_EN: 0
; COMPUTE_PGM_RSRC2:TIDIG_COMP_CNT: 1
; COMPUTE_PGM_RSRC3_GFX90A:ACCUM_OFFSET: 9
; COMPUTE_PGM_RSRC3_GFX90A:TG_SPLIT: 0
	.section	.text._ZN4vllm3moe22topkGatingSoftplusSqrtILi6ELi384ELi4ELi4ELi64ELb1Ej6__halfEEvPKT6_PKbPfiPT5_PiiiibdPKfPKS9_SF_,"axG",@progbits,_ZN4vllm3moe22topkGatingSoftplusSqrtILi6ELi384ELi4ELi4ELi64ELb1Ej6__halfEEvPKT6_PKbPfiPT5_PiiiibdPKfPKS9_SF_,comdat
	.protected	_ZN4vllm3moe22topkGatingSoftplusSqrtILi6ELi384ELi4ELi4ELi64ELb1Ej6__halfEEvPKT6_PKbPfiPT5_PiiiibdPKfPKS9_SF_ ; -- Begin function _ZN4vllm3moe22topkGatingSoftplusSqrtILi6ELi384ELi4ELi4ELi64ELb1Ej6__halfEEvPKT6_PKbPfiPT5_PiiiibdPKfPKS9_SF_
	.globl	_ZN4vllm3moe22topkGatingSoftplusSqrtILi6ELi384ELi4ELi4ELi64ELb1Ej6__halfEEvPKT6_PKbPfiPT5_PiiiibdPKfPKS9_SF_
	.p2align	8
	.type	_ZN4vllm3moe22topkGatingSoftplusSqrtILi6ELi384ELi4ELi4ELi64ELb1Ej6__halfEEvPKT6_PKbPfiPT5_PiiiibdPKfPKS9_SF_,@function
_ZN4vllm3moe22topkGatingSoftplusSqrtILi6ELi384ELi4ELi4ELi64ELb1Ej6__halfEEvPKT6_PKbPfiPT5_PiiiibdPKfPKS9_SF_: ; @_ZN4vllm3moe22topkGatingSoftplusSqrtILi6ELi384ELi4ELi4ELi64ELb1Ej6__halfEEvPKT6_PKbPfiPT5_PiiiibdPKfPKS9_SF_
; %bb.0:
	s_load_dword s3, s[0:1], 0x18
	v_and_b32_e32 v1, 0x3ff, v0
	s_lshl_b32 s2, s2, 2
	v_lshrrev_b32_e32 v2, 6, v1
	v_bfe_u32 v0, v0, 10, 10
	v_add3_u32 v0, s2, v0, v2
	s_waitcnt lgkmcnt(0)
	v_cmp_gt_i32_e32 vcc, s3, v0
	s_and_saveexec_b64 s[2:3], vcc
	s_cbranch_execz .LBB288_32
; %bb.1:
	s_load_dwordx2 s[2:3], s[0:1], 0x0
	s_load_dword s24, s[0:1], 0x30
	s_movk_i32 s4, 0x180
	v_mul_lo_u32 v2, v0, s4
	v_lshlrev_b32_e32 v1, 1, v1
	v_ashrrev_i32_e32 v3, 31, v2
	v_and_b32_e32 v10, 0x7e, v1
	s_waitcnt lgkmcnt(0)
	v_lshl_add_u64 v[4:5], v[2:3], 1, s[2:3]
	v_lshlrev_b32_e32 v2, 1, v10
	v_mov_b32_e32 v3, 0
	v_lshl_add_u64 v[4:5], v[4:5], 0, v[2:3]
	global_load_dword v8, v[4:5], off
	global_load_dword v9, v[4:5], off offset:256
	s_load_dwordx4 s[8:11], s[0:1], 0x50
	v_ashrrev_i32_e32 v1, 31, v0
	global_load_dword v13, v[4:5], off offset:512
	s_mov_b32 s15, 0x800000
	v_mov_b32_e32 v11, 0x4f800000
	s_waitcnt lgkmcnt(0)
	v_mov_b32_e32 v6, s8
	v_mov_b32_e32 v7, s9
	v_lshl_add_u64 v[6:7], v[0:1], 2, v[6:7]
	global_load_dword v1, v[6:7], off
	s_mov_b32 s13, 0x3f317217
	s_mov_b32 s14, 0x7f800000
	v_mov_b32_e32 v12, 0x41b17218
	s_movk_i32 s9, 0x4d00
	s_mov_b32 s12, 0xf800000
	v_mov_b32_e32 v18, 0x260
	s_cmp_gt_i32 s24, 0
	s_mov_b32 s8, 0
	v_mul_lo_u32 v0, v0, s24
	s_waitcnt vmcnt(3)
	v_cvt_f32_f16_e32 v14, v8
	v_cvt_f32_f16_sdwa v15, v8 dst_sel:DWORD dst_unused:UNUSED_PAD src0_sel:WORD_1
	s_waitcnt vmcnt(2)
	v_cvt_f32_f16_e32 v16, v9
	v_cvt_f32_f16_sdwa v17, v9 dst_sel:DWORD dst_unused:UNUSED_PAD src0_sel:WORD_1
	v_mul_f32_e32 v2, 0x3fb8aa3b, v14
	v_mul_f32_e32 v5, 0x3fb8aa3b, v15
	v_exp_f32_e32 v4, v2
	v_exp_f32_e32 v5, v5
	v_mul_f32_e32 v6, 0x3fb8aa3b, v16
	v_mul_f32_e32 v7, 0x3fb8aa3b, v17
	v_exp_f32_e32 v6, v6
	v_exp_f32_e32 v7, v7
	v_pk_add_f32 v[4:5], v[4:5], 1.0 op_sel_hi:[1,0]
	s_waitcnt vmcnt(0)
	v_mul_lo_u32 v2, v1, s24
	v_cmp_gt_f32_e32 vcc, s15, v5
	v_pk_add_f32 v[6:7], v[6:7], 1.0 op_sel_hi:[1,0]
	v_cmp_gt_f32_e64 s[2:3], s15, v4
	v_cndmask_b32_e32 v1, 1.0, v11, vcc
	v_cmp_gt_f32_e64 s[4:5], s15, v7
	v_cndmask_b32_e64 v19, 1.0, v11, s[2:3]
	v_mul_f32_e32 v1, v5, v1
	v_cndmask_b32_e64 v20, 1.0, v11, s[4:5]
	v_mul_f32_e32 v4, v4, v19
	v_log_f32_e32 v1, v1
	v_mul_f32_e32 v7, v7, v20
	v_log_f32_e32 v4, v4
	v_cmp_gt_f32_e64 s[6:7], s15, v6
	v_log_f32_e32 v7, v7
	v_cndmask_b32_e32 v5, 0, v12, vcc
	v_cndmask_b32_e64 v21, 1.0, v11, s[6:7]
	v_mul_f32_e32 v6, v6, v21
	v_mul_f32_e32 v21, 0x3f317217, v1
	v_mul_f32_e32 v22, 0x3f317217, v4
	v_fma_f32 v21, v1, s13, -v21
	v_mul_f32_e32 v23, 0x3f317217, v7
	v_fma_f32 v22, v4, s13, -v22
	v_fmac_f32_e32 v21, 0x3377d1cf, v1
	v_fma_f32 v23, v7, s13, -v23
	v_fmac_f32_e32 v22, 0x3377d1cf, v4
	v_fmac_f32_e32 v21, 0x3f317217, v1
	v_cmp_lt_f32_e64 vcc, |v1|, s14
	v_fmac_f32_e32 v23, 0x3377d1cf, v7
	v_fmac_f32_e32 v22, 0x3f317217, v4
	v_cndmask_b32_e32 v1, v1, v21, vcc
	v_cmp_lt_f32_e64 vcc, |v4|, s14
	v_cndmask_b32_e64 v19, 0, v12, s[2:3]
	v_fmac_f32_e32 v23, 0x3f317217, v7
	v_cndmask_b32_e32 v4, v4, v22, vcc
	v_cmp_lt_f32_e64 vcc, |v7|, s14
	v_sub_f32_e32 v4, v4, v19
	v_sub_f32_e32 v1, v1, v5
	v_cndmask_b32_e32 v7, v7, v23, vcc
	v_cmp_lt_f16_e32 vcc, s9, v8
	v_cndmask_b32_e64 v20, 0, v12, s[4:5]
	v_log_f32_e32 v6, v6
	v_cndmask_b32_e32 v4, v4, v14, vcc
	v_cmp_gt_f16_sdwa vcc, v8, s9 src0_sel:WORD_1 src1_sel:DWORD
	v_mul_f32_e32 v8, 0x4f800000, v4
	v_cmp_gt_f32_e64 s[2:3], s12, v4
	v_cndmask_b32_e32 v1, v1, v15, vcc
	v_mul_f32_e32 v5, 0x4f800000, v1
	v_cmp_gt_f32_e32 vcc, s12, v1
	v_cndmask_b32_e64 v4, v4, v8, s[2:3]
	v_sqrt_f32_e32 v8, v4
	v_cndmask_b32_e32 v1, v1, v5, vcc
	v_sqrt_f32_e32 v5, v1
	v_sub_f32_e32 v7, v7, v20
	v_add_u32_e32 v19, -1, v8
	v_fma_f32 v23, -v19, v8, v4
	v_add_u32_e32 v14, -1, v5
	v_fma_f32 v21, -v14, v5, v1
	v_add_u32_e32 v15, 1, v5
	v_cmp_ge_f32_e64 s[4:5], 0, v21
	v_add_u32_e32 v20, 1, v8
	v_fma_f32 v22, -v15, v5, v1
	v_cndmask_b32_e64 v5, v5, v14, s[4:5]
	v_cmp_ge_f32_e64 s[4:5], 0, v23
	v_fma_f32 v25, -v20, v8, v4
	v_mul_f32_e32 v24, 0x3f317217, v6
	v_cndmask_b32_e64 v8, v8, v19, s[4:5]
	v_cmp_lt_f32_e64 s[4:5], 0, v22
	v_fma_f32 v24, v6, s13, -v24
	v_fmac_f32_e32 v24, 0x3377d1cf, v6
	v_cndmask_b32_e64 v5, v5, v15, s[4:5]
	v_cmp_lt_f32_e64 s[4:5], 0, v25
	v_mul_f32_e32 v14, 0x37800000, v5
	v_cndmask_b32_e32 v5, v5, v14, vcc
	v_cndmask_b32_e64 v8, v8, v20, s[4:5]
	v_mul_f32_e32 v15, 0x37800000, v8
	v_cmp_class_f32_e32 vcc, v1, v18
	v_cndmask_b32_e64 v8, v8, v15, s[2:3]
	v_fmac_f32_e32 v24, 0x3f317217, v6
	v_cndmask_b32_e32 v5, v5, v1, vcc
	v_cmp_class_f32_e32 vcc, v4, v18
	v_cmp_lt_f16_e64 s[2:3], s9, v9
	v_cvt_f32_f16_e32 v14, v13
	v_cndmask_b32_e32 v4, v8, v4, vcc
	v_cmp_lt_f32_e64 vcc, |v6|, s14
	s_nop 1
	v_cndmask_b32_e32 v1, v6, v24, vcc
	v_cmp_gt_f16_sdwa vcc, v9, s9 src0_sel:WORD_1 src1_sel:DWORD
	v_cndmask_b32_e64 v6, 0, v12, s[6:7]
	v_sub_f32_e32 v1, v1, v6
	v_cndmask_b32_e32 v7, v7, v17, vcc
	v_mul_f32_e32 v8, 0x4f800000, v7
	v_cmp_gt_f32_e32 vcc, s12, v7
	v_cndmask_b32_e64 v1, v1, v16, s[2:3]
	v_cvt_f32_f16_sdwa v16, v13 dst_sel:DWORD dst_unused:UNUSED_PAD src0_sel:WORD_1
	v_cndmask_b32_e32 v7, v7, v8, vcc
	v_sqrt_f32_e32 v8, v7
	s_nop 0
	v_add_u32_e32 v6, -1, v8
	v_fma_f32 v9, -v6, v8, v7
	v_cmp_ge_f32_e64 s[2:3], 0, v9
	v_add_u32_e32 v9, 1, v8
	s_nop 0
	v_cndmask_b32_e64 v6, v8, v6, s[2:3]
	v_fma_f32 v8, -v9, v8, v7
	v_cmp_lt_f32_e64 s[2:3], 0, v8
	s_nop 1
	v_cndmask_b32_e64 v6, v6, v9, s[2:3]
	v_mul_f32_e32 v9, 0x4f800000, v1
	v_cmp_gt_f32_e64 s[2:3], s12, v1
	v_mul_f32_e32 v8, 0x37800000, v6
	v_cndmask_b32_e32 v6, v6, v8, vcc
	v_cndmask_b32_e64 v1, v1, v9, s[2:3]
	v_sqrt_f32_e32 v9, v1
	v_cmp_class_f32_e32 vcc, v7, v18
	v_add_u32_e32 v15, 1, v9
	s_nop 0
	v_cndmask_b32_e32 v7, v6, v7, vcc
	v_add_u32_e32 v6, -1, v9
	v_fma_f32 v8, -v6, v9, v1
	v_cmp_ge_f32_e32 vcc, 0, v8
	v_fma_f32 v17, -v15, v9, v1
	v_mul_f32_e32 v8, 0x3fb8aa3b, v14
	v_cndmask_b32_e32 v6, v9, v6, vcc
	v_mul_f32_e32 v9, 0x3fb8aa3b, v16
	v_exp_f32_e32 v8, v8
	v_exp_f32_e32 v9, v9
	v_cmp_lt_f32_e32 vcc, 0, v17
	v_pk_add_f32 v[8:9], v[8:9], 1.0 op_sel_hi:[1,0]
	s_nop 0
	v_cndmask_b32_e32 v6, v6, v15, vcc
	v_mul_f32_e32 v15, 0x37800000, v6
	v_cmp_gt_f32_e32 vcc, s15, v9
	v_cndmask_b32_e64 v6, v6, v15, s[2:3]
	v_cmp_class_f32_e64 s[2:3], v1, v18
	v_cndmask_b32_e32 v15, 1.0, v11, vcc
	v_mul_f32_e32 v9, v9, v15
	v_log_f32_e32 v9, v9
	v_cndmask_b32_e64 v6, v6, v1, s[2:3]
	v_cmp_gt_f32_e64 s[2:3], s15, v8
	scratch_store_dwordx4 off, v[4:7], off
	v_mul_f32_e32 v1, 0x3f317217, v9
	v_fma_f32 v1, v9, s13, -v1
	v_cndmask_b32_e64 v4, 1.0, v11, s[2:3]
	v_mul_f32_e32 v4, v8, v4
	v_log_f32_e32 v4, v4
	v_fmac_f32_e32 v1, 0x3377d1cf, v9
	v_fmac_f32_e32 v1, 0x3f317217, v9
	v_cmp_lt_f32_e64 s[4:5], |v9|, s14
	v_cndmask_b32_e32 v5, 0, v12, vcc
	v_cmp_lt_f32_e64 vcc, |v4|, s14
	v_cndmask_b32_e64 v1, v9, v1, s[4:5]
	v_sub_f32_e32 v1, v1, v5
	v_mul_f32_e32 v5, 0x3f317217, v4
	v_fma_f32 v5, v4, s13, -v5
	v_fmac_f32_e32 v5, 0x3377d1cf, v4
	v_fmac_f32_e32 v5, 0x3f317217, v4
	v_cndmask_b32_e32 v4, v4, v5, vcc
	v_cmp_gt_f16_sdwa vcc, v13, s9 src0_sel:WORD_1 src1_sel:DWORD
	v_cndmask_b32_e64 v5, 0, v12, s[2:3]
	v_sub_f32_e32 v4, v4, v5
	v_cndmask_b32_e32 v1, v1, v16, vcc
	v_mul_f32_e32 v6, 0x4f800000, v1
	v_cmp_gt_f32_e32 vcc, s12, v1
	v_cmp_lt_f16_e64 s[2:3], s9, v13
	s_cselect_b64 s[4:5], -1, 0
	v_cndmask_b32_e32 v1, v1, v6, vcc
	v_sqrt_f32_e32 v6, v1
	v_cndmask_b32_e64 v4, v4, v14, s[2:3]
	s_cmp_lt_i32 s24, 1
	v_add_u32_e32 v5, -1, v6
	v_fma_f32 v7, -v5, v6, v1
	v_cmp_ge_f32_e64 s[2:3], 0, v7
	v_add_u32_e32 v7, 1, v6
	s_nop 0
	v_cndmask_b32_e64 v5, v6, v5, s[2:3]
	v_fma_f32 v6, -v7, v6, v1
	v_cmp_lt_f32_e64 s[2:3], 0, v6
	s_nop 1
	v_cndmask_b32_e64 v5, v5, v7, s[2:3]
	v_mul_f32_e32 v7, 0x4f800000, v4
	v_cmp_gt_f32_e64 s[2:3], s12, v4
	v_mul_f32_e32 v6, 0x37800000, v5
	v_cndmask_b32_e32 v5, v5, v6, vcc
	v_cndmask_b32_e64 v4, v4, v7, s[2:3]
	v_sqrt_f32_e32 v7, v4
	v_cmp_class_f32_e32 vcc, v1, v18
	s_nop 1
	v_cndmask_b32_e32 v5, v5, v1, vcc
	v_add_u32_e32 v1, -1, v7
	v_fma_f32 v6, -v1, v7, v4
	v_cmp_ge_f32_e32 vcc, 0, v6
	v_add_u32_e32 v6, 1, v7
	s_nop 0
	v_cndmask_b32_e32 v1, v7, v1, vcc
	v_fma_f32 v7, -v6, v7, v4
	v_cmp_lt_f32_e32 vcc, 0, v7
	s_nop 1
	v_cndmask_b32_e32 v1, v1, v6, vcc
	v_mul_f32_e32 v6, 0x37800000, v1
	v_cndmask_b32_e64 v1, v1, v6, s[2:3]
	v_cmp_class_f32_e32 vcc, v4, v18
	s_nop 1
	v_cndmask_b32_e32 v4, v1, v4, vcc
	scratch_store_dwordx2 off, v[4:5], off offset:16
	v_lshl_add_u64 v[4:5], v[2:3], 2, s[10:11]
	s_cbranch_scc1 .LBB288_29
; %bb.2:
	s_load_dwordx2 s[6:7], s[0:1], 0x20
	s_cmp_lt_u32 s24, 4
	s_cbranch_scc1 .LBB288_21
; %bb.3:
	s_mov_b32 s11, 0
	s_and_b32 s8, s24, 0x7ffffffc
	v_ashrrev_i32_e32 v1, 31, v0
	v_mov_b32_e32 v3, 0
	s_mov_b32 s10, s11
	s_branch .LBB288_5
.LBB288_4:                              ;   in Loop: Header=BB288_5 Depth=1
	s_or_b64 exec, exec, s[12:13]
	s_add_i32 s10, s10, 4
	s_cmp_eq_u32 s10, s8
	s_cbranch_scc1 .LBB288_22
.LBB288_5:                              ; =>This Loop Header: Depth=1
                                        ;     Child Loop BB288_7 Depth 2
                                        ;     Child Loop BB288_11 Depth 2
	;; [unrolled: 1-line block ×4, first 2 shown]
	v_lshl_add_u64 v[6:7], s[10:11], 2, v[4:5]
	global_load_dword v2, v[6:7], off
	v_add_u32_e32 v8, s10, v0
	v_ashrrev_i32_e32 v9, 31, v8
	s_waitcnt lgkmcnt(0)
	v_lshl_add_u64 v[8:9], v[8:9], 2, s[6:7]
	v_mov_b32_e32 v11, 0
	s_mov_b64 s[12:13], 0
	s_mov_b32 s9, 0
	s_mov_b32 s16, 0
	s_branch .LBB288_7
.LBB288_6:                              ;   in Loop: Header=BB288_7 Depth=2
	s_or_b64 exec, exec, s[14:15]
	s_add_i32 s17, s16, 1
	s_cmp_gt_u32 s16, 4
	s_cselect_b64 s[2:3], -1, 0
	s_xor_b64 s[14:15], vcc, -1
	s_or_b64 s[2:3], s[14:15], s[2:3]
	s_add_i32 s9, s9, 64
	s_and_b64 s[2:3], exec, s[2:3]
	v_add_u32_e32 v11, 4, v11
	s_or_b64 s[12:13], s[2:3], s[12:13]
	s_mov_b32 s16, s17
	s_andn2_b64 exec, exec, s[12:13]
	s_cbranch_execz .LBB288_9
.LBB288_7:                              ;   Parent Loop BB288_5 Depth=1
                                        ; =>  This Inner Loop Header: Depth=2
	s_and_b32 s2, s16, 1
	s_and_b32 s3, s9, 0x180
	s_or_b32 s2, s2, s3
	v_or_b32_e32 v12, s2, v10
	s_waitcnt vmcnt(0)
	v_cmp_ne_u32_e32 vcc, v2, v12
	v_cmp_eq_u32_e64 s[2:3], v2, v12
	s_and_saveexec_b64 s[14:15], s[2:3]
	s_cbranch_execz .LBB288_6
; %bb.8:                                ;   in Loop: Header=BB288_7 Depth=2
	scratch_load_dword v12, v11, off
	s_waitcnt vmcnt(0)
	v_add_f32_e32 v3, v3, v12
	global_store_dword v[8:9], v2, off
	s_branch .LBB288_6
.LBB288_9:                              ;   in Loop: Header=BB288_5 Depth=1
	s_or_b64 exec, exec, s[12:13]
	global_load_dword v2, v[6:7], off offset:4
	s_ashr_i32 s3, s10, 31
	s_mov_b32 s2, s10
	v_lshl_add_u64 v[8:9], s[2:3], 0, v[0:1]
	v_lshl_add_u64 v[8:9], v[8:9], 2, s[6:7]
	v_mov_b32_e32 v11, 0
	s_mov_b32 s9, 0
	s_mov_b64 s[12:13], 0
	s_mov_b32 s16, 0
	s_branch .LBB288_11
.LBB288_10:                             ;   in Loop: Header=BB288_11 Depth=2
	s_or_b64 exec, exec, s[14:15]
	s_add_i32 s17, s16, 1
	s_cmp_gt_u32 s16, 4
	s_cselect_b64 s[2:3], -1, 0
	s_xor_b64 s[14:15], vcc, -1
	s_or_b64 s[2:3], s[14:15], s[2:3]
	s_add_i32 s9, s9, 64
	s_and_b64 s[2:3], exec, s[2:3]
	v_add_u32_e32 v11, 4, v11
	s_or_b64 s[12:13], s[2:3], s[12:13]
	s_mov_b32 s16, s17
	s_andn2_b64 exec, exec, s[12:13]
	s_cbranch_execz .LBB288_13
.LBB288_11:                             ;   Parent Loop BB288_5 Depth=1
                                        ; =>  This Inner Loop Header: Depth=2
	s_and_b32 s2, s16, 1
	s_and_b32 s3, s9, 0x180
	s_or_b32 s2, s2, s3
	v_or_b32_e32 v12, s2, v10
	s_waitcnt vmcnt(0)
	v_cmp_ne_u32_e32 vcc, v2, v12
	v_cmp_eq_u32_e64 s[2:3], v2, v12
	s_and_saveexec_b64 s[14:15], s[2:3]
	s_cbranch_execz .LBB288_10
; %bb.12:                               ;   in Loop: Header=BB288_11 Depth=2
	scratch_load_dword v12, v11, off
	s_waitcnt vmcnt(0)
	v_add_f32_e32 v3, v3, v12
	global_store_dword v[8:9], v2, off offset:4
	s_branch .LBB288_10
.LBB288_13:                             ;   in Loop: Header=BB288_5 Depth=1
	s_or_b64 exec, exec, s[12:13]
	global_load_dword v2, v[6:7], off offset:8
	v_mov_b32_e32 v11, 0
	s_mov_b32 s9, 0
	s_mov_b64 s[12:13], 0
	s_mov_b32 s16, 0
	s_branch .LBB288_15
.LBB288_14:                             ;   in Loop: Header=BB288_15 Depth=2
	s_or_b64 exec, exec, s[14:15]
	s_add_i32 s17, s16, 1
	s_cmp_gt_u32 s16, 4
	s_cselect_b64 s[2:3], -1, 0
	s_xor_b64 s[14:15], vcc, -1
	s_or_b64 s[2:3], s[14:15], s[2:3]
	s_add_i32 s9, s9, 64
	s_and_b64 s[2:3], exec, s[2:3]
	v_add_u32_e32 v11, 4, v11
	s_or_b64 s[12:13], s[2:3], s[12:13]
	s_mov_b32 s16, s17
	s_andn2_b64 exec, exec, s[12:13]
	s_cbranch_execz .LBB288_17
.LBB288_15:                             ;   Parent Loop BB288_5 Depth=1
                                        ; =>  This Inner Loop Header: Depth=2
	s_and_b32 s2, s16, 1
	s_and_b32 s3, s9, 0x180
	s_or_b32 s2, s2, s3
	v_or_b32_e32 v12, s2, v10
	s_waitcnt vmcnt(0)
	v_cmp_ne_u32_e32 vcc, v2, v12
	v_cmp_eq_u32_e64 s[2:3], v2, v12
	s_and_saveexec_b64 s[14:15], s[2:3]
	s_cbranch_execz .LBB288_14
; %bb.16:                               ;   in Loop: Header=BB288_15 Depth=2
	scratch_load_dword v12, v11, off
	s_waitcnt vmcnt(0)
	v_add_f32_e32 v3, v3, v12
	global_store_dword v[8:9], v2, off offset:8
	s_branch .LBB288_14
.LBB288_17:                             ;   in Loop: Header=BB288_5 Depth=1
	s_or_b64 exec, exec, s[12:13]
	global_load_dword v2, v[6:7], off offset:12
	v_mov_b32_e32 v6, 0
	s_mov_b32 s9, 0
	s_mov_b64 s[12:13], 0
	s_mov_b32 s16, 0
	s_branch .LBB288_19
.LBB288_18:                             ;   in Loop: Header=BB288_19 Depth=2
	s_or_b64 exec, exec, s[14:15]
	s_add_i32 s17, s16, 1
	s_cmp_gt_u32 s16, 4
	s_cselect_b64 s[2:3], -1, 0
	s_xor_b64 s[14:15], vcc, -1
	s_or_b64 s[2:3], s[14:15], s[2:3]
	s_add_i32 s9, s9, 64
	s_and_b64 s[2:3], exec, s[2:3]
	v_add_u32_e32 v6, 4, v6
	s_or_b64 s[12:13], s[2:3], s[12:13]
	s_mov_b32 s16, s17
	s_andn2_b64 exec, exec, s[12:13]
	s_cbranch_execz .LBB288_4
.LBB288_19:                             ;   Parent Loop BB288_5 Depth=1
                                        ; =>  This Inner Loop Header: Depth=2
	s_and_b32 s2, s16, 1
	s_and_b32 s3, s9, 0x180
	s_or_b32 s2, s2, s3
	v_or_b32_e32 v7, s2, v10
	s_waitcnt vmcnt(0)
	v_cmp_ne_u32_e32 vcc, v2, v7
	v_cmp_eq_u32_e64 s[2:3], v2, v7
	s_and_saveexec_b64 s[14:15], s[2:3]
	s_cbranch_execz .LBB288_18
; %bb.20:                               ;   in Loop: Header=BB288_19 Depth=2
	scratch_load_dword v7, v6, off
	s_waitcnt vmcnt(0)
	v_add_f32_e32 v3, v3, v7
	global_store_dword v[8:9], v2, off offset:12
	s_branch .LBB288_18
.LBB288_21:
	v_mov_b32_e32 v3, 0
.LBB288_22:
	s_and_b32 s14, s24, 3
	s_cmp_eq_u32 s14, 0
	s_mov_b32 s9, 0
	s_cbranch_scc1 .LBB288_29
; %bb.23:
	s_mov_b32 s15, s9
	s_branch .LBB288_25
.LBB288_24:                             ;   in Loop: Header=BB288_25 Depth=1
	s_or_b64 exec, exec, s[10:11]
	s_add_i32 s8, s8, 1
	s_add_i32 s15, s15, 1
	s_cmp_lg_u32 s15, s14
	s_cbranch_scc0 .LBB288_29
.LBB288_25:                             ; =>This Loop Header: Depth=1
                                        ;     Child Loop BB288_27 Depth 2
	v_lshl_add_u64 v[6:7], s[8:9], 2, v[4:5]
	global_load_dword v1, v[6:7], off
	v_add_u32_e32 v6, s8, v0
	v_ashrrev_i32_e32 v7, 31, v6
	s_waitcnt lgkmcnt(0)
	v_lshl_add_u64 v[6:7], v[6:7], 2, s[6:7]
	v_mov_b32_e32 v2, 0
	s_mov_b32 s16, 0
	s_mov_b64 s[10:11], 0
	s_mov_b32 s17, 0
	s_branch .LBB288_27
.LBB288_26:                             ;   in Loop: Header=BB288_27 Depth=2
	s_or_b64 exec, exec, s[12:13]
	s_add_i32 s18, s17, 1
	s_cmp_gt_u32 s17, 4
	s_cselect_b64 s[2:3], -1, 0
	s_xor_b64 s[12:13], vcc, -1
	s_or_b64 s[2:3], s[12:13], s[2:3]
	s_add_i32 s16, s16, 64
	s_and_b64 s[2:3], exec, s[2:3]
	v_add_u32_e32 v2, 4, v2
	s_or_b64 s[10:11], s[2:3], s[10:11]
	s_mov_b32 s17, s18
	s_andn2_b64 exec, exec, s[10:11]
	s_cbranch_execz .LBB288_24
.LBB288_27:                             ;   Parent Loop BB288_25 Depth=1
                                        ; =>  This Inner Loop Header: Depth=2
	s_and_b32 s2, s17, 1
	s_and_b32 s3, s16, 0x180
	s_or_b32 s2, s2, s3
	v_or_b32_e32 v8, s2, v10
	s_waitcnt vmcnt(0)
	v_cmp_ne_u32_e32 vcc, v1, v8
	v_cmp_eq_u32_e64 s[2:3], v1, v8
	s_and_saveexec_b64 s[12:13], s[2:3]
	s_cbranch_execz .LBB288_26
; %bb.28:                               ;   in Loop: Header=BB288_27 Depth=2
	scratch_load_dword v8, v2, off
	s_waitcnt vmcnt(0)
	v_add_f32_e32 v3, v3, v8
	global_store_dword v[6:7], v1, off
	s_branch .LBB288_26
.LBB288_29:
	s_waitcnt lgkmcnt(0)
	s_load_dword s6, s[0:1], 0x3c
	s_waitcnt lgkmcnt(0)
	s_bitcmp1_b32 s6, 0
	s_cselect_b64 s[2:3], -1, 0
	s_bitcmp0_b32 s6, 0
	s_cbranch_scc0 .LBB288_33
; %bb.30:
	s_load_dwordx2 s[6:7], s[0:1], 0x40
	s_andn2_b64 vcc, exec, s[2:3]
	s_waitcnt lgkmcnt(0)
	v_cvt_f32_f64_e32 v8, s[6:7]
	s_cbranch_vccz .LBB288_34
.LBB288_31:
	s_andn2_b64 vcc, exec, s[4:5]
	s_cbranch_vccz .LBB288_35
.LBB288_32:
	s_endpgm
.LBB288_33:
	v_mbcnt_lo_u32_b32 v1, -1, 0
	v_mbcnt_hi_u32_b32 v1, -1, v1
	v_and_b32_e32 v2, 64, v1
	v_add_u32_e32 v2, 64, v2
	v_xor_b32_e32 v6, 32, v1
	v_cmp_lt_i32_e32 vcc, v6, v2
	v_xor_b32_e32 v7, 16, v1
	s_nop 0
	v_cndmask_b32_e32 v6, v1, v6, vcc
	v_lshlrev_b32_e32 v6, 2, v6
	ds_bpermute_b32 v6, v6, v3
	v_cmp_lt_i32_e32 vcc, v7, v2
	s_waitcnt lgkmcnt(0)
	v_add_f32_e32 v3, v3, v6
	v_cndmask_b32_e32 v6, v1, v7, vcc
	v_lshlrev_b32_e32 v6, 2, v6
	ds_bpermute_b32 v6, v6, v3
	v_xor_b32_e32 v7, 8, v1
	v_cmp_lt_i32_e32 vcc, v7, v2
	s_waitcnt lgkmcnt(0)
	v_add_f32_e32 v3, v3, v6
	v_cndmask_b32_e32 v6, v1, v7, vcc
	v_lshlrev_b32_e32 v6, 2, v6
	ds_bpermute_b32 v6, v6, v3
	v_xor_b32_e32 v7, 4, v1
	;; [unrolled: 7-line block ×4, first 2 shown]
	v_cmp_lt_i32_e32 vcc, v7, v2
	s_waitcnt lgkmcnt(0)
	v_add_f32_e32 v3, v3, v6
	v_cndmask_b32_e32 v1, v1, v7, vcc
	v_lshlrev_b32_e32 v1, 2, v1
	ds_bpermute_b32 v1, v1, v3
	s_waitcnt lgkmcnt(0)
	v_add_f32_e32 v3, v3, v1
	s_load_dwordx2 s[6:7], s[0:1], 0x40
	s_andn2_b64 vcc, exec, s[2:3]
	s_waitcnt lgkmcnt(0)
	v_cvt_f32_f64_e32 v8, s[6:7]
	s_cbranch_vccnz .LBB288_31
.LBB288_34:
	v_cmp_lt_f32_e32 vcc, 0, v3
	s_nop 1
	v_cndmask_b32_e32 v1, 1.0, v3, vcc
	v_div_scale_f32 v2, s[2:3], v1, v1, v8
	v_rcp_f32_e32 v3, v2
	s_nop 0
	v_fma_f32 v6, -v2, v3, 1.0
	v_fmac_f32_e32 v3, v6, v3
	v_div_scale_f32 v6, vcc, v8, v1, v8
	v_mul_f32_e32 v7, v6, v3
	v_fma_f32 v9, -v2, v7, v6
	v_fmac_f32_e32 v7, v9, v3
	v_fma_f32 v2, -v2, v7, v6
	v_div_fmas_f32 v2, v2, v3, v7
	v_div_fixup_f32 v8, v2, v1, v8
	s_andn2_b64 vcc, exec, s[4:5]
	s_cbranch_vccnz .LBB288_32
.LBB288_35:
	s_load_dwordx2 s[8:9], s[0:1], 0x10
	v_mov_b32_e32 v1, 0
	v_or_b32_e32 v16, 4, v1
	v_or_b32_e32 v14, 8, v1
	;; [unrolled: 1-line block ×3, first 2 shown]
	v_add_u32_e32 v9, 16, v1
	v_add_u32_e32 v11, 20, v1
	v_or_b32_e32 v19, 1, v10
	v_or_b32_e32 v18, 0x80, v10
	;; [unrolled: 1-line block ×5, first 2 shown]
	s_cmp_eq_u32 s24, 1
	s_mov_b32 s10, 0
	s_cbranch_scc1 .LBB288_62
; %bb.36:
	v_ashrrev_i32_e32 v1, 31, v0
	s_waitcnt lgkmcnt(0)
	v_lshl_add_u64 v[2:3], v[0:1], 2, s[8:9]
	s_and_b32 s10, s24, 0x7ffffffe
	v_lshl_add_u64 v[2:3], v[2:3], 0, 4
	v_lshl_add_u64 v[6:7], v[4:5], 0, 4
	s_mov_b32 s11, 0
	s_branch .LBB288_38
.LBB288_37:                             ;   in Loop: Header=BB288_38 Depth=1
	s_or_b64 exec, exec, s[0:1]
	s_add_i32 s11, s11, 2
	v_lshl_add_u64 v[2:3], v[2:3], 0, 8
	s_cmp_eq_u32 s10, s11
	v_lshl_add_u64 v[6:7], v[6:7], 0, 8
	s_cbranch_scc1 .LBB288_62
.LBB288_38:                             ; =>This Inner Loop Header: Depth=1
	global_load_dword v20, v[6:7], off offset:-4
	v_mov_b32_e32 v1, 0
	s_waitcnt vmcnt(0)
	v_cmp_eq_u32_e32 vcc, v20, v10
	v_cmp_ne_u32_e64 s[0:1], v20, v10
	s_and_saveexec_b64 s[12:13], s[0:1]
	s_cbranch_execz .LBB288_48
; %bb.39:                               ;   in Loop: Header=BB288_38 Depth=1
	v_cmp_eq_u32_e64 s[0:1], v20, v19
	v_cmp_ne_u32_e64 s[2:3], v20, v19
	v_mov_b32_e32 v1, v16
	s_and_saveexec_b64 s[14:15], s[2:3]
	s_cbranch_execz .LBB288_47
; %bb.40:                               ;   in Loop: Header=BB288_38 Depth=1
	v_cmp_eq_u32_e64 s[2:3], v20, v18
	v_cmp_ne_u32_e64 s[4:5], v20, v18
	v_mov_b32_e32 v1, v14
	;; [unrolled: 6-line block ×4, first 2 shown]
	s_and_saveexec_b64 s[22:23], s[6:7]
	s_xor_b64 s[22:23], exec, s[22:23]
; %bb.43:                               ;   in Loop: Header=BB288_38 Depth=1
	v_cmp_eq_u32_e64 s[6:7], v20, v13
	s_andn2_b64 s[20:21], s[20:21], exec
	s_and_b64 s[6:7], s[6:7], exec
	s_or_b64 s[20:21], s[20:21], s[6:7]
	v_mov_b32_e32 v1, v11
; %bb.44:                               ;   in Loop: Header=BB288_38 Depth=1
	s_or_b64 exec, exec, s[22:23]
	s_andn2_b64 s[4:5], s[4:5], exec
	s_and_b64 s[6:7], s[20:21], exec
	s_or_b64 s[4:5], s[4:5], s[6:7]
.LBB288_45:                             ;   in Loop: Header=BB288_38 Depth=1
	s_or_b64 exec, exec, s[18:19]
	s_andn2_b64 s[2:3], s[2:3], exec
	s_and_b64 s[4:5], s[4:5], exec
	s_or_b64 s[2:3], s[2:3], s[4:5]
.LBB288_46:                             ;   in Loop: Header=BB288_38 Depth=1
	s_or_b64 exec, exec, s[16:17]
	s_andn2_b64 s[0:1], s[0:1], exec
	s_and_b64 s[2:3], s[2:3], exec
	s_or_b64 s[0:1], s[0:1], s[2:3]
.LBB288_47:                             ;   in Loop: Header=BB288_38 Depth=1
	s_or_b64 exec, exec, s[14:15]
	s_andn2_b64 s[2:3], vcc, exec
	s_and_b64 s[0:1], s[0:1], exec
	s_or_b64 vcc, s[2:3], s[0:1]
.LBB288_48:                             ;   in Loop: Header=BB288_38 Depth=1
	s_or_b64 exec, exec, s[12:13]
	s_and_saveexec_b64 s[0:1], vcc
	s_cbranch_execz .LBB288_50
; %bb.49:                               ;   in Loop: Header=BB288_38 Depth=1
	scratch_load_dword v1, v1, off
	v_add_u32_e32 v20, s11, v0
	v_ashrrev_i32_e32 v21, 31, v20
	v_lshl_add_u64 v[20:21], v[20:21], 2, s[8:9]
	s_waitcnt vmcnt(0)
	v_mul_f32_e32 v1, v8, v1
	global_store_dword v[20:21], v1, off
.LBB288_50:                             ;   in Loop: Header=BB288_38 Depth=1
	s_or_b64 exec, exec, s[0:1]
	global_load_dword v20, v[6:7], off
	v_mov_b32_e32 v1, 0
	s_waitcnt vmcnt(0)
	v_cmp_eq_u32_e64 s[4:5], v20, v10
	v_cmp_ne_u32_e32 vcc, v20, v10
	s_and_saveexec_b64 s[6:7], vcc
	s_cbranch_execz .LBB288_60
; %bb.51:                               ;   in Loop: Header=BB288_38 Depth=1
	v_cmp_eq_u32_e32 vcc, v20, v19
	v_cmp_ne_u32_e64 s[0:1], v20, v19
	v_mov_b32_e32 v1, v16
	s_and_saveexec_b64 s[12:13], s[0:1]
	s_cbranch_execz .LBB288_59
; %bb.52:                               ;   in Loop: Header=BB288_38 Depth=1
	v_cmp_eq_u32_e64 s[0:1], v20, v18
	v_cmp_ne_u32_e64 s[2:3], v20, v18
	v_mov_b32_e32 v1, v14
	s_and_saveexec_b64 s[14:15], s[2:3]
	s_cbranch_execz .LBB288_58
; %bb.53:                               ;   in Loop: Header=BB288_38 Depth=1
	v_cmp_eq_u32_e64 s[16:17], v20, v17
	;; [unrolled: 6-line block ×3, first 2 shown]
	v_cmp_ne_u32_e64 s[2:3], v20, v15
	v_mov_b32_e32 v1, v9
	s_and_saveexec_b64 s[22:23], s[2:3]
; %bb.55:                               ;   in Loop: Header=BB288_38 Depth=1
	v_cmp_eq_u32_e64 s[2:3], v20, v13
	s_andn2_b64 s[20:21], s[20:21], exec
	s_and_b64 s[2:3], s[2:3], exec
	s_or_b64 s[20:21], s[20:21], s[2:3]
	v_mov_b32_e32 v1, v11
; %bb.56:                               ;   in Loop: Header=BB288_38 Depth=1
	s_or_b64 exec, exec, s[22:23]
	s_andn2_b64 s[2:3], s[16:17], exec
	s_and_b64 s[16:17], s[20:21], exec
	s_or_b64 s[16:17], s[2:3], s[16:17]
.LBB288_57:                             ;   in Loop: Header=BB288_38 Depth=1
	s_or_b64 exec, exec, s[18:19]
	s_andn2_b64 s[0:1], s[0:1], exec
	s_and_b64 s[2:3], s[16:17], exec
	s_or_b64 s[0:1], s[0:1], s[2:3]
.LBB288_58:                             ;   in Loop: Header=BB288_38 Depth=1
	s_or_b64 exec, exec, s[14:15]
	s_andn2_b64 s[2:3], vcc, exec
	s_and_b64 s[0:1], s[0:1], exec
	s_or_b64 vcc, s[2:3], s[0:1]
.LBB288_59:                             ;   in Loop: Header=BB288_38 Depth=1
	s_or_b64 exec, exec, s[12:13]
	s_andn2_b64 s[0:1], s[4:5], exec
	s_and_b64 s[2:3], vcc, exec
	s_or_b64 s[4:5], s[0:1], s[2:3]
.LBB288_60:                             ;   in Loop: Header=BB288_38 Depth=1
	s_or_b64 exec, exec, s[6:7]
	s_and_saveexec_b64 s[0:1], s[4:5]
	s_cbranch_execz .LBB288_37
; %bb.61:                               ;   in Loop: Header=BB288_38 Depth=1
	scratch_load_dword v1, v1, off
	s_waitcnt vmcnt(0)
	v_mul_f32_e32 v1, v8, v1
	global_store_dword v[2:3], v1, off
	s_branch .LBB288_37
.LBB288_62:
	s_bitcmp0_b32 s24, 0
	s_mov_b32 s11, 0
	s_cbranch_scc1 .LBB288_32
; %bb.63:
	v_lshl_add_u64 v[2:3], s[10:11], 2, v[4:5]
	global_load_dword v1, v[2:3], off
	v_mov_b32_e32 v2, 0
	s_waitcnt vmcnt(0)
	v_cmp_eq_u32_e64 s[4:5], v1, v10
	v_cmp_ne_u32_e32 vcc, v1, v10
	s_and_saveexec_b64 s[6:7], vcc
	s_cbranch_execz .LBB288_73
; %bb.64:
	v_cmp_eq_u32_e32 vcc, v1, v19
	v_cmp_ne_u32_e64 s[0:1], v1, v19
	s_and_saveexec_b64 s[12:13], s[0:1]
	s_cbranch_execz .LBB288_72
; %bb.65:
	v_cmp_eq_u32_e64 s[0:1], v1, v18
	v_cmp_ne_u32_e64 s[2:3], v1, v18
	s_and_saveexec_b64 s[14:15], s[2:3]
	s_cbranch_execz .LBB288_71
; %bb.66:
	v_cmp_eq_u32_e64 s[16:17], v1, v17
	;; [unrolled: 5-line block ×3, first 2 shown]
	v_cmp_ne_u32_e64 s[2:3], v1, v15
	s_and_saveexec_b64 s[22:23], s[2:3]
; %bb.68:
	v_cmp_eq_u32_e64 s[2:3], v1, v13
	s_andn2_b64 s[20:21], s[20:21], exec
	s_and_b64 s[2:3], s[2:3], exec
	s_or_b64 s[20:21], s[20:21], s[2:3]
	v_mov_b32_e32 v9, v11
; %bb.69:
	s_or_b64 exec, exec, s[22:23]
	s_andn2_b64 s[2:3], s[16:17], exec
	s_and_b64 s[16:17], s[20:21], exec
	s_or_b64 s[16:17], s[2:3], s[16:17]
	v_mov_b32_e32 v12, v9
.LBB288_70:
	s_or_b64 exec, exec, s[18:19]
	s_andn2_b64 s[0:1], s[0:1], exec
	s_and_b64 s[2:3], s[16:17], exec
	s_or_b64 s[0:1], s[0:1], s[2:3]
	v_mov_b32_e32 v14, v12
.LBB288_71:
	s_or_b64 exec, exec, s[14:15]
	s_andn2_b64 s[2:3], vcc, exec
	s_and_b64 s[0:1], s[0:1], exec
	s_or_b64 vcc, s[2:3], s[0:1]
	v_mov_b32_e32 v16, v14
.LBB288_72:
	s_or_b64 exec, exec, s[12:13]
	s_andn2_b64 s[0:1], s[4:5], exec
	s_and_b64 s[2:3], vcc, exec
	s_or_b64 s[4:5], s[0:1], s[2:3]
	v_mov_b32_e32 v2, v16
.LBB288_73:
	s_or_b64 exec, exec, s[6:7]
	s_and_b64 exec, exec, s[4:5]
	s_cbranch_execz .LBB288_32
; %bb.74:
	scratch_load_dword v2, v2, off
	v_add_u32_e32 v0, s10, v0
	v_ashrrev_i32_e32 v1, 31, v0
	s_waitcnt lgkmcnt(0)
	v_lshl_add_u64 v[0:1], v[0:1], 2, s[8:9]
	s_waitcnt vmcnt(0)
	v_mul_f32_e32 v2, v8, v2
	global_store_dword v[0:1], v2, off
	s_endpgm
	.section	.rodata,"a",@progbits
	.p2align	6, 0x0
	.amdhsa_kernel _ZN4vllm3moe22topkGatingSoftplusSqrtILi6ELi384ELi4ELi4ELi64ELb1Ej6__halfEEvPKT6_PKbPfiPT5_PiiiibdPKfPKS9_SF_
		.amdhsa_group_segment_fixed_size 0
		.amdhsa_private_segment_fixed_size 32
		.amdhsa_kernarg_size 96
		.amdhsa_user_sgpr_count 2
		.amdhsa_user_sgpr_dispatch_ptr 0
		.amdhsa_user_sgpr_queue_ptr 0
		.amdhsa_user_sgpr_kernarg_segment_ptr 1
		.amdhsa_user_sgpr_dispatch_id 0
		.amdhsa_user_sgpr_kernarg_preload_length 0
		.amdhsa_user_sgpr_kernarg_preload_offset 0
		.amdhsa_user_sgpr_private_segment_size 0
		.amdhsa_uses_dynamic_stack 0
		.amdhsa_enable_private_segment 1
		.amdhsa_system_sgpr_workgroup_id_x 1
		.amdhsa_system_sgpr_workgroup_id_y 0
		.amdhsa_system_sgpr_workgroup_id_z 0
		.amdhsa_system_sgpr_workgroup_info 0
		.amdhsa_system_vgpr_workitem_id 1
		.amdhsa_next_free_vgpr 26
		.amdhsa_next_free_sgpr 25
		.amdhsa_accum_offset 28
		.amdhsa_reserve_vcc 1
		.amdhsa_float_round_mode_32 0
		.amdhsa_float_round_mode_16_64 0
		.amdhsa_float_denorm_mode_32 3
		.amdhsa_float_denorm_mode_16_64 3
		.amdhsa_dx10_clamp 1
		.amdhsa_ieee_mode 1
		.amdhsa_fp16_overflow 0
		.amdhsa_tg_split 0
		.amdhsa_exception_fp_ieee_invalid_op 0
		.amdhsa_exception_fp_denorm_src 0
		.amdhsa_exception_fp_ieee_div_zero 0
		.amdhsa_exception_fp_ieee_overflow 0
		.amdhsa_exception_fp_ieee_underflow 0
		.amdhsa_exception_fp_ieee_inexact 0
		.amdhsa_exception_int_div_zero 0
	.end_amdhsa_kernel
	.section	.text._ZN4vllm3moe22topkGatingSoftplusSqrtILi6ELi384ELi4ELi4ELi64ELb1Ej6__halfEEvPKT6_PKbPfiPT5_PiiiibdPKfPKS9_SF_,"axG",@progbits,_ZN4vllm3moe22topkGatingSoftplusSqrtILi6ELi384ELi4ELi4ELi64ELb1Ej6__halfEEvPKT6_PKbPfiPT5_PiiiibdPKfPKS9_SF_,comdat
.Lfunc_end288:
	.size	_ZN4vllm3moe22topkGatingSoftplusSqrtILi6ELi384ELi4ELi4ELi64ELb1Ej6__halfEEvPKT6_PKbPfiPT5_PiiiibdPKfPKS9_SF_, .Lfunc_end288-_ZN4vllm3moe22topkGatingSoftplusSqrtILi6ELi384ELi4ELi4ELi64ELb1Ej6__halfEEvPKT6_PKbPfiPT5_PiiiibdPKfPKS9_SF_
                                        ; -- End function
	.section	.AMDGPU.csdata,"",@progbits
; Kernel info:
; codeLenInByte = 4024
; NumSgprs: 31
; NumVgprs: 26
; NumAgprs: 0
; TotalNumVgprs: 26
; ScratchSize: 32
; MemoryBound: 0
; FloatMode: 240
; IeeeMode: 1
; LDSByteSize: 0 bytes/workgroup (compile time only)
; SGPRBlocks: 3
; VGPRBlocks: 3
; NumSGPRsForWavesPerEU: 31
; NumVGPRsForWavesPerEU: 26
; AccumOffset: 28
; Occupancy: 8
; WaveLimiterHint : 1
; COMPUTE_PGM_RSRC2:SCRATCH_EN: 1
; COMPUTE_PGM_RSRC2:USER_SGPR: 2
; COMPUTE_PGM_RSRC2:TRAP_HANDLER: 0
; COMPUTE_PGM_RSRC2:TGID_X_EN: 1
; COMPUTE_PGM_RSRC2:TGID_Y_EN: 0
; COMPUTE_PGM_RSRC2:TGID_Z_EN: 0
; COMPUTE_PGM_RSRC2:TIDIG_COMP_CNT: 1
; COMPUTE_PGM_RSRC3_GFX90A:ACCUM_OFFSET: 6
; COMPUTE_PGM_RSRC3_GFX90A:TG_SPLIT: 0
	.section	.text._ZN4vllm3moe22topkGatingSoftplusSqrtILi6ELi384ELi4ELi4ELi64ELb0Ej6__halfEEvPKT6_PKbPfiPT5_PiiiibdPKfPKS9_SF_,"axG",@progbits,_ZN4vllm3moe22topkGatingSoftplusSqrtILi6ELi384ELi4ELi4ELi64ELb0Ej6__halfEEvPKT6_PKbPfiPT5_PiiiibdPKfPKS9_SF_,comdat
	.protected	_ZN4vllm3moe22topkGatingSoftplusSqrtILi6ELi384ELi4ELi4ELi64ELb0Ej6__halfEEvPKT6_PKbPfiPT5_PiiiibdPKfPKS9_SF_ ; -- Begin function _ZN4vllm3moe22topkGatingSoftplusSqrtILi6ELi384ELi4ELi4ELi64ELb0Ej6__halfEEvPKT6_PKbPfiPT5_PiiiibdPKfPKS9_SF_
	.globl	_ZN4vllm3moe22topkGatingSoftplusSqrtILi6ELi384ELi4ELi4ELi64ELb0Ej6__halfEEvPKT6_PKbPfiPT5_PiiiibdPKfPKS9_SF_
	.p2align	8
	.type	_ZN4vllm3moe22topkGatingSoftplusSqrtILi6ELi384ELi4ELi4ELi64ELb0Ej6__halfEEvPKT6_PKbPfiPT5_PiiiibdPKfPKS9_SF_,@function
_ZN4vllm3moe22topkGatingSoftplusSqrtILi6ELi384ELi4ELi4ELi64ELb0Ej6__halfEEvPKT6_PKbPfiPT5_PiiiibdPKfPKS9_SF_: ; @_ZN4vllm3moe22topkGatingSoftplusSqrtILi6ELi384ELi4ELi4ELi64ELb0Ej6__halfEEvPKT6_PKbPfiPT5_PiiiibdPKfPKS9_SF_
; %bb.0:
	s_load_dword s30, s[0:1], 0x18
	v_and_b32_e32 v1, 0x3ff, v0
	s_lshl_b32 s2, s2, 2
	v_lshrrev_b32_e32 v2, 6, v1
	v_bfe_u32 v0, v0, 10, 10
	v_add3_u32 v6, s2, v0, v2
	s_waitcnt lgkmcnt(0)
	v_cmp_gt_i32_e32 vcc, s30, v6
	s_and_saveexec_b64 s[2:3], vcc
	s_cbranch_execz .LBB289_65
; %bb.1:
	s_load_dwordx4 s[4:7], s[0:1], 0x0
	s_load_dwordx2 s[20:21], s[0:1], 0x10
	s_waitcnt lgkmcnt(0)
	s_cmp_eq_u64 s[6:7], 0
	s_cbranch_scc1 .LBB289_3
; %bb.2:
	v_ashrrev_i32_e32 v7, 31, v6
	v_lshl_add_u64 v[2:3], s[6:7], 0, v[6:7]
	global_load_ubyte v0, v[2:3], off
	s_waitcnt vmcnt(0)
	v_and_b32_e32 v0, 1, v0
	v_cmp_eq_u32_e32 vcc, 1, v0
	s_xor_b64 s[2:3], vcc, -1
	s_orn2_b64 s[22:23], s[2:3], exec
	s_branch .LBB289_4
.LBB289_3:
	s_mov_b64 s[22:23], -1
.LBB289_4:
	s_movk_i32 s2, 0x180
	v_mul_lo_u32 v4, v6, s2
	v_mov_b32_e32 v2, s4
	v_mov_b32_e32 v3, s5
	v_ashrrev_i32_e32 v5, 31, v4
	v_and_b32_e32 v7, 63, v1
	v_lshl_add_u64 v[2:3], v[4:5], 1, v[2:3]
	v_mov_b32_e32 v1, 0
	v_lshlrev_b32_e32 v0, 2, v7
	v_lshl_add_u64 v[8:9], v[2:3], 0, v[0:1]
	global_load_dword v1, v[8:9], off
	global_load_dword v3, v[8:9], off offset:256
	global_load_dword v5, v[8:9], off offset:512
	s_mov_b32 s16, 0x800000
	v_mov_b32_e32 v4, 0x4f800000
	s_mov_b32 s13, 0x3f317217
	s_mov_b32 s14, 0x7f800000
	v_mov_b32_e32 v9, 0x41b17218
	s_movk_i32 s12, 0x4d00
	s_mov_b32 s15, 0xf800000
	s_load_dwordx4 s[8:11], s[0:1], 0x40
	s_waitcnt lgkmcnt(0)
	s_cmp_lg_u64 s[10:11], 0
	s_cselect_b64 s[6:7], -1, 0
	s_and_b64 s[2:3], exec, s[6:7]
	s_waitcnt vmcnt(2)
	v_cvt_f32_f16_e32 v0, v1
	v_mul_f32_e32 v2, 0x3fb8aa3b, v0
	v_exp_f32_e32 v8, v2
	v_mov_b32_e32 v2, 0x260
	v_add_f32_e32 v8, 1.0, v8
	v_cmp_gt_f32_e32 vcc, s16, v8
	s_nop 1
	v_cndmask_b32_e32 v10, 1.0, v4, vcc
	v_mul_f32_e32 v8, v8, v10
	v_log_f32_e32 v11, v8
	v_cndmask_b32_e32 v12, 0, v9, vcc
	v_lshlrev_b32_e32 v10, 1, v7
	v_lshlrev_b32_e32 v8, 2, v10
	v_mul_f32_e32 v13, 0x3f317217, v11
	v_fma_f32 v13, v11, s13, -v13
	v_fmac_f32_e32 v13, 0x3377d1cf, v11
	v_fmac_f32_e32 v13, 0x3f317217, v11
	v_cmp_lt_f32_e64 vcc, |v11|, s14
	s_nop 1
	v_cndmask_b32_e32 v11, v11, v13, vcc
	v_sub_f32_e32 v11, v11, v12
	v_cmp_lt_f16_e32 vcc, s12, v1
	s_nop 1
	v_cndmask_b32_e32 v0, v11, v0, vcc
	v_mul_f32_e32 v11, 0x4f800000, v0
	v_cmp_gt_f32_e32 vcc, s15, v0
	s_nop 1
	v_cndmask_b32_e32 v0, v0, v11, vcc
	v_sqrt_f32_e32 v11, v0
	s_nop 0
	v_add_u32_e32 v12, -1, v11
	v_add_u32_e32 v13, 1, v11
	v_fma_f32 v14, -v12, v11, v0
	v_fma_f32 v15, -v13, v11, v0
	v_cmp_ge_f32_e64 s[4:5], 0, v14
	s_nop 1
	v_cndmask_b32_e64 v11, v11, v12, s[4:5]
	v_cmp_lt_f32_e64 s[4:5], 0, v15
	s_nop 1
	v_cndmask_b32_e64 v11, v11, v13, s[4:5]
	v_mul_f32_e32 v12, 0x37800000, v11
	v_cndmask_b32_e32 v11, v11, v12, vcc
	v_cmp_class_f32_e32 vcc, v0, v2
	s_nop 1
	v_cndmask_b32_e32 v0, v11, v0, vcc
	s_mov_b64 vcc, s[2:3]
	s_cbranch_vccz .LBB289_6
; %bb.5:
	global_load_dword v11, v8, s[10:11]
	s_waitcnt vmcnt(0)
	v_add_f32_e32 v0, v0, v11
.LBB289_6:
	v_cvt_f32_f16_sdwa v11, v1 dst_sel:DWORD dst_unused:UNUSED_PAD src0_sel:WORD_1
	v_mul_f32_e32 v12, 0x3fb8aa3b, v11
	v_exp_f32_e32 v12, v12
	s_nop 0
	v_add_f32_e32 v12, 1.0, v12
	v_cmp_gt_f32_e32 vcc, s16, v12
	s_nop 1
	v_cndmask_b32_e32 v4, 1.0, v4, vcc
	v_mul_f32_e32 v4, v12, v4
	v_log_f32_e32 v4, v4
	v_cndmask_b32_e32 v9, 0, v9, vcc
	v_mul_f32_e32 v12, 0x3f317217, v4
	v_fma_f32 v12, v4, s13, -v12
	v_fmac_f32_e32 v12, 0x3377d1cf, v4
	v_fmac_f32_e32 v12, 0x3f317217, v4
	v_cmp_lt_f32_e64 vcc, |v4|, s14
	s_nop 1
	v_cndmask_b32_e32 v4, v4, v12, vcc
	v_sub_f32_e32 v4, v4, v9
	v_cmp_gt_f16_sdwa vcc, v1, s12 src0_sel:WORD_1 src1_sel:DWORD
	v_cndmask_b32_e64 v9, 0, 1, s[6:7]
	v_cmp_ne_u32_e64 s[2:3], 1, v9
	v_cndmask_b32_e32 v1, v4, v11, vcc
	v_mul_f32_e32 v4, 0x4f800000, v1
	v_cmp_gt_f32_e64 s[4:5], s15, v1
	s_andn2_b64 vcc, exec, s[6:7]
	s_nop 0
	v_cndmask_b32_e64 v1, v1, v4, s[4:5]
	v_sqrt_f32_e32 v4, v1
	s_nop 0
	v_add_u32_e32 v9, -1, v4
	v_add_u32_e32 v11, 1, v4
	v_fma_f32 v12, -v9, v4, v1
	v_fma_f32 v13, -v11, v4, v1
	v_cmp_ge_f32_e64 s[6:7], 0, v12
	s_nop 1
	v_cndmask_b32_e64 v4, v4, v9, s[6:7]
	v_cmp_lt_f32_e64 s[6:7], 0, v13
	s_nop 1
	v_cndmask_b32_e64 v4, v4, v11, s[6:7]
	v_mul_f32_e32 v9, 0x37800000, v4
	v_cndmask_b32_e64 v4, v4, v9, s[4:5]
	v_cmp_class_f32_e64 s[4:5], v1, v2
	s_nop 1
	v_cndmask_b32_e64 v1, v4, v1, s[4:5]
	s_cbranch_vccnz .LBB289_8
; %bb.7:
	global_load_dword v2, v8, s[10:11] offset:4
	s_waitcnt vmcnt(0)
	v_add_f32_e32 v1, v1, v2
.LBB289_8:
	s_waitcnt vmcnt(1)
	v_cvt_f32_f16_e32 v2, v3
	s_mov_b32 s12, 0x800000
	v_mov_b32_e32 v9, 0x4f800000
	s_mov_b32 s7, 0x3f317217
	v_mul_f32_e32 v4, 0x3fb8aa3b, v2
	v_exp_f32_e32 v4, v4
	s_mov_b32 s13, 0x7f800000
	s_movk_i32 s6, 0x4d00
	s_mov_b32 s14, 0xf800000
	v_add_f32_e32 v4, 1.0, v4
	v_cmp_gt_f32_e32 vcc, s12, v4
	s_nop 1
	v_cndmask_b32_e32 v11, 1.0, v9, vcc
	v_mul_f32_e32 v4, v4, v11
	v_log_f32_e32 v4, v4
	v_mov_b32_e32 v11, 0x41b17218
	v_cndmask_b32_e32 v12, 0, v11, vcc
	v_mul_f32_e32 v13, 0x3f317217, v4
	v_fma_f32 v13, v4, s7, -v13
	v_fmac_f32_e32 v13, 0x3377d1cf, v4
	v_fmac_f32_e32 v13, 0x3f317217, v4
	v_cmp_lt_f32_e64 vcc, |v4|, s13
	s_nop 1
	v_cndmask_b32_e32 v4, v4, v13, vcc
	v_sub_f32_e32 v4, v4, v12
	v_cmp_lt_f16_e32 vcc, s6, v3
	s_nop 1
	v_cndmask_b32_e32 v2, v4, v2, vcc
	v_mul_f32_e32 v4, 0x4f800000, v2
	v_cmp_gt_f32_e32 vcc, s14, v2
	s_nop 1
	v_cndmask_b32_e32 v2, v2, v4, vcc
	v_sqrt_f32_e32 v4, v2
	s_nop 0
	v_add_u32_e32 v12, -1, v4
	v_fma_f32 v13, -v12, v4, v2
	v_cmp_ge_f32_e64 s[4:5], 0, v13
	v_add_u32_e32 v13, 1, v4
	s_nop 0
	v_cndmask_b32_e64 v12, v4, v12, s[4:5]
	v_fma_f32 v4, -v13, v4, v2
	v_cmp_lt_f32_e64 s[4:5], 0, v4
	s_nop 1
	v_cndmask_b32_e64 v4, v12, v13, s[4:5]
	v_mul_f32_e32 v12, 0x37800000, v4
	v_cndmask_b32_e32 v12, v4, v12, vcc
	v_mov_b32_e32 v4, 0x260
	v_cmp_class_f32_e64 s[4:5], v2, v4
	s_and_b64 vcc, exec, s[2:3]
	s_nop 0
	v_cndmask_b32_e64 v2, v12, v2, s[4:5]
	s_cbranch_vccnz .LBB289_10
; %bb.9:
	global_load_dword v12, v8, s[10:11] offset:512
	s_waitcnt vmcnt(0)
	v_add_f32_e32 v2, v2, v12
.LBB289_10:
	v_cvt_f32_f16_sdwa v12, v3 dst_sel:DWORD dst_unused:UNUSED_PAD src0_sel:WORD_1
	v_mul_f32_e32 v13, 0x3fb8aa3b, v12
	v_exp_f32_e32 v13, v13
	s_nop 0
	v_add_f32_e32 v13, 1.0, v13
	v_cmp_gt_f32_e32 vcc, s12, v13
	s_nop 1
	v_cndmask_b32_e32 v9, 1.0, v9, vcc
	v_mul_f32_e32 v9, v13, v9
	v_log_f32_e32 v9, v9
	v_cndmask_b32_e32 v11, 0, v11, vcc
	v_mul_f32_e32 v13, 0x3f317217, v9
	v_fma_f32 v13, v9, s7, -v13
	v_fmac_f32_e32 v13, 0x3377d1cf, v9
	v_fmac_f32_e32 v13, 0x3f317217, v9
	v_cmp_lt_f32_e64 vcc, |v9|, s13
	s_nop 1
	v_cndmask_b32_e32 v9, v9, v13, vcc
	v_sub_f32_e32 v9, v9, v11
	v_cmp_gt_f16_sdwa vcc, v3, s6 src0_sel:WORD_1 src1_sel:DWORD
	s_nop 1
	v_cndmask_b32_e32 v3, v9, v12, vcc
	v_mul_f32_e32 v9, 0x4f800000, v3
	v_cmp_gt_f32_e64 s[4:5], s14, v3
	s_and_b64 vcc, exec, s[2:3]
	s_nop 0
	v_cndmask_b32_e64 v3, v3, v9, s[4:5]
	v_sqrt_f32_e32 v9, v3
	s_nop 0
	v_add_u32_e32 v11, -1, v9
	v_add_u32_e32 v12, 1, v9
	v_fma_f32 v13, -v11, v9, v3
	v_fma_f32 v14, -v12, v9, v3
	v_cmp_ge_f32_e64 s[6:7], 0, v13
	s_nop 1
	v_cndmask_b32_e64 v9, v9, v11, s[6:7]
	v_cmp_lt_f32_e64 s[6:7], 0, v14
	s_nop 1
	v_cndmask_b32_e64 v9, v9, v12, s[6:7]
	v_mul_f32_e32 v11, 0x37800000, v9
	v_cndmask_b32_e64 v9, v9, v11, s[4:5]
	v_cmp_class_f32_e64 s[4:5], v3, v4
	s_nop 1
	v_cndmask_b32_e64 v3, v9, v3, s[4:5]
	s_cbranch_vccnz .LBB289_12
; %bb.11:
	global_load_dword v4, v8, s[10:11] offset:516
	s_waitcnt vmcnt(0)
	v_add_f32_e32 v3, v3, v4
.LBB289_12:
	s_waitcnt vmcnt(0)
	v_cvt_f32_f16_e32 v4, v5
	v_mov_b32_e32 v11, 0x4f800000
	s_mov_b32 s7, 0x3f317217
	s_movk_i32 s6, 0x4d00
	v_mul_f32_e32 v9, 0x3fb8aa3b, v4
	v_exp_f32_e32 v9, v9
	s_nop 0
	v_add_f32_e32 v9, 1.0, v9
	v_cmp_gt_f32_e32 vcc, s12, v9
	s_nop 1
	v_cndmask_b32_e32 v12, 1.0, v11, vcc
	v_mul_f32_e32 v9, v9, v12
	v_log_f32_e32 v9, v9
	v_mov_b32_e32 v12, 0x41b17218
	v_cndmask_b32_e32 v13, 0, v12, vcc
	v_mul_f32_e32 v14, 0x3f317217, v9
	v_fma_f32 v14, v9, s7, -v14
	v_fmac_f32_e32 v14, 0x3377d1cf, v9
	v_fmac_f32_e32 v14, 0x3f317217, v9
	v_cmp_lt_f32_e64 vcc, |v9|, s13
	s_nop 1
	v_cndmask_b32_e32 v9, v9, v14, vcc
	v_sub_f32_e32 v9, v9, v13
	v_cmp_lt_f16_e32 vcc, s6, v5
	s_nop 1
	v_cndmask_b32_e32 v4, v9, v4, vcc
	v_mul_f32_e32 v9, 0x4f800000, v4
	v_cmp_gt_f32_e32 vcc, s14, v4
	s_nop 1
	v_cndmask_b32_e32 v4, v4, v9, vcc
	v_sqrt_f32_e32 v9, v4
	s_nop 0
	v_add_u32_e32 v13, -1, v9
	v_fma_f32 v14, -v13, v9, v4
	v_cmp_ge_f32_e64 s[4:5], 0, v14
	v_add_u32_e32 v14, 1, v9
	s_nop 0
	v_cndmask_b32_e64 v13, v9, v13, s[4:5]
	v_fma_f32 v9, -v14, v9, v4
	v_cmp_lt_f32_e64 s[4:5], 0, v9
	s_nop 1
	v_cndmask_b32_e64 v9, v13, v14, s[4:5]
	v_mul_f32_e32 v13, 0x37800000, v9
	v_cndmask_b32_e32 v13, v9, v13, vcc
	v_mov_b32_e32 v9, 0x260
	v_cmp_class_f32_e64 s[4:5], v4, v9
	s_and_b64 vcc, exec, s[2:3]
	s_nop 0
	v_cndmask_b32_e64 v4, v13, v4, s[4:5]
	s_cbranch_vccnz .LBB289_14
; %bb.13:
	global_load_dword v13, v8, s[10:11] offset:1024
	s_waitcnt vmcnt(0)
	v_add_f32_e32 v4, v4, v13
.LBB289_14:
	v_cvt_f32_f16_sdwa v13, v5 dst_sel:DWORD dst_unused:UNUSED_PAD src0_sel:WORD_1
	v_mul_f32_e32 v14, 0x3fb8aa3b, v13
	v_exp_f32_e32 v14, v14
	s_nop 0
	v_add_f32_e32 v14, 1.0, v14
	v_cmp_gt_f32_e32 vcc, s12, v14
	s_nop 1
	v_cndmask_b32_e32 v11, 1.0, v11, vcc
	v_mul_f32_e32 v11, v14, v11
	v_log_f32_e32 v11, v11
	v_cndmask_b32_e32 v12, 0, v12, vcc
	v_mul_f32_e32 v14, 0x3f317217, v11
	v_fma_f32 v14, v11, s7, -v14
	v_fmac_f32_e32 v14, 0x3377d1cf, v11
	v_fmac_f32_e32 v14, 0x3f317217, v11
	v_cmp_lt_f32_e64 vcc, |v11|, s13
	s_nop 1
	v_cndmask_b32_e32 v11, v11, v14, vcc
	v_sub_f32_e32 v11, v11, v12
	v_cmp_gt_f16_sdwa vcc, v5, s6 src0_sel:WORD_1 src1_sel:DWORD
	s_nop 1
	v_cndmask_b32_e32 v5, v11, v13, vcc
	v_mul_f32_e32 v11, 0x4f800000, v5
	v_cmp_gt_f32_e64 s[4:5], s14, v5
	s_and_b64 vcc, exec, s[2:3]
	s_nop 0
	v_cndmask_b32_e64 v5, v5, v11, s[4:5]
	v_sqrt_f32_e32 v11, v5
	s_nop 0
	v_add_u32_e32 v12, -1, v11
	v_add_u32_e32 v13, 1, v11
	v_fma_f32 v14, -v12, v11, v5
	v_fma_f32 v15, -v13, v11, v5
	v_cmp_ge_f32_e64 s[6:7], 0, v14
	s_nop 1
	v_cndmask_b32_e64 v11, v11, v12, s[6:7]
	v_cmp_lt_f32_e64 s[6:7], 0, v15
	s_nop 1
	v_cndmask_b32_e64 v11, v11, v13, s[6:7]
	v_mul_f32_e32 v12, 0x37800000, v11
	v_cndmask_b32_e64 v11, v11, v12, s[4:5]
	v_cmp_class_f32_e64 s[4:5], v5, v9
	s_nop 1
	v_cndmask_b32_e64 v5, v11, v5, s[4:5]
	s_cbranch_vccnz .LBB289_16
; %bb.15:
	global_load_dword v8, v8, s[10:11] offset:1028
	s_waitcnt vmcnt(0)
	v_add_f32_e32 v5, v5, v8
.LBB289_16:
	s_load_dwordx4 s[12:15], s[0:1], 0x30
	s_mov_b32 s31, 0
	v_cmp_eq_u32_e64 s[6:7], 0, v7
	s_waitcnt lgkmcnt(0)
	s_bitcmp1_b32 s15, 0
	s_cselect_b64 s[4:5], -1, 0
	s_cmp_gt_i32 s12, 0
	s_cselect_b64 s[24:25], -1, 0
	s_and_b64 vcc, exec, s[24:25]
	s_cbranch_vccz .LBB289_51
; %bb.17:
	v_mbcnt_lo_u32_b32 v8, -1, 0
	v_mbcnt_hi_u32_b32 v8, -1, v8
	v_and_b32_e32 v9, 64, v8
	v_add_u32_e32 v9, 64, v9
	v_xor_b32_e32 v11, 32, v8
	v_cmp_lt_i32_e32 vcc, v11, v9
	s_load_dwordx4 s[16:19], s[0:1], 0x20
	v_mul_lo_u32 v12, v6, s12
	v_cndmask_b32_e32 v11, v8, v11, vcc
	v_lshlrev_b32_e32 v13, 2, v11
	v_xor_b32_e32 v11, 16, v8
	v_cmp_lt_i32_e32 vcc, v11, v9
	v_mov_b32_e32 v19, 0x80
	v_mov_b32_e32 v20, 0x81
	v_cndmask_b32_e32 v11, v8, v11, vcc
	v_lshlrev_b32_e32 v14, 2, v11
	v_xor_b32_e32 v11, 8, v8
	v_cmp_lt_i32_e32 vcc, v11, v9
	v_mov_b32_e32 v21, 0x100
	v_mov_b32_e32 v22, 0x101
	;; [unrolled: 6-line block ×3, first 2 shown]
	v_cndmask_b32_e32 v11, v8, v11, vcc
	v_lshlrev_b32_e32 v16, 2, v11
	v_xor_b32_e32 v11, 2, v8
	v_cmp_lt_i32_e32 vcc, v11, v9
	v_mov_b32_e32 v25, v6
	s_nop 0
	v_cndmask_b32_e32 v11, v8, v11, vcc
	v_lshlrev_b32_e32 v17, 2, v11
	v_xor_b32_e32 v11, 1, v8
	v_cmp_lt_i32_e32 vcc, v11, v9
	s_nop 1
	v_cndmask_b32_e32 v8, v8, v11, vcc
	v_lshlrev_b32_e32 v18, 2, v8
	v_mov_b32_e32 v11, 0
	s_branch .LBB289_20
.LBB289_18:                             ;   in Loop: Header=BB289_20 Depth=1
	s_or_b64 exec, exec, s[0:1]
.LBB289_19:                             ;   in Loop: Header=BB289_20 Depth=1
	s_cmp_eq_u32 s12, s31
	v_add_u32_e32 v25, s30, v25
	s_cbranch_scc1 .LBB289_52
.LBB289_20:                             ; =>This Inner Loop Header: Depth=1
	v_cmp_gt_f32_e32 vcc, v1, v0
	s_nop 1
	v_cndmask_b32_e32 v9, v0, v1, vcc
	v_cndmask_b32_e64 v8, 0, 1, vcc
	v_cmp_gt_f32_e32 vcc, v2, v9
	s_nop 1
	v_cndmask_b32_e32 v9, v9, v2, vcc
	v_cndmask_b32_e32 v8, v8, v19, vcc
	v_cmp_gt_f32_e32 vcc, v3, v9
	s_nop 1
	v_cndmask_b32_e32 v9, v9, v3, vcc
	v_cndmask_b32_e32 v8, v8, v20, vcc
	;; [unrolled: 4-line block ×4, first 2 shown]
	ds_bpermute_b32 v9, v13, v26
	v_or_b32_e32 v8, v10, v8
	s_waitcnt lgkmcnt(0)
	ds_bpermute_b32 v27, v13, v8
	s_waitcnt lgkmcnt(0)
	v_cmp_lt_f32_e64 s[26:27], v26, v9
	v_cmp_nlt_f32_e32 vcc, v26, v9
	s_and_saveexec_b64 s[28:29], vcc
; %bb.21:                               ;   in Loop: Header=BB289_20 Depth=1
	v_cmp_eq_f32_e32 vcc, v26, v9
	v_cmp_lt_i32_e64 s[0:1], v27, v8
	s_and_b64 s[0:1], vcc, s[0:1]
	s_andn2_b64 s[26:27], s[26:27], exec
	s_and_b64 s[0:1], s[0:1], exec
	s_or_b64 s[26:27], s[26:27], s[0:1]
; %bb.22:                               ;   in Loop: Header=BB289_20 Depth=1
	s_or_b64 exec, exec, s[28:29]
	s_and_saveexec_b64 s[0:1], s[26:27]
; %bb.23:                               ;   in Loop: Header=BB289_20 Depth=1
	v_mov_b32_e32 v26, v9
	v_mov_b32_e32 v8, v27
; %bb.24:                               ;   in Loop: Header=BB289_20 Depth=1
	s_or_b64 exec, exec, s[0:1]
	ds_bpermute_b32 v9, v14, v26
	ds_bpermute_b32 v27, v14, v8
	s_waitcnt lgkmcnt(1)
	v_cmp_lt_f32_e64 s[26:27], v26, v9
	v_cmp_nlt_f32_e32 vcc, v26, v9
	s_and_saveexec_b64 s[28:29], vcc
	s_cbranch_execz .LBB289_26
; %bb.25:                               ;   in Loop: Header=BB289_20 Depth=1
	v_cmp_eq_f32_e32 vcc, v26, v9
	s_waitcnt lgkmcnt(0)
	v_cmp_lt_i32_e64 s[0:1], v27, v8
	s_and_b64 s[0:1], vcc, s[0:1]
	s_andn2_b64 s[26:27], s[26:27], exec
	s_and_b64 s[0:1], s[0:1], exec
	s_or_b64 s[26:27], s[26:27], s[0:1]
.LBB289_26:                             ;   in Loop: Header=BB289_20 Depth=1
	s_or_b64 exec, exec, s[28:29]
	s_and_saveexec_b64 s[0:1], s[26:27]
	s_cbranch_execz .LBB289_28
; %bb.27:                               ;   in Loop: Header=BB289_20 Depth=1
	v_mov_b32_e32 v26, v9
	s_waitcnt lgkmcnt(0)
	v_mov_b32_e32 v8, v27
.LBB289_28:                             ;   in Loop: Header=BB289_20 Depth=1
	s_or_b64 exec, exec, s[0:1]
	ds_bpermute_b32 v9, v15, v26
	s_waitcnt lgkmcnt(1)
	ds_bpermute_b32 v27, v15, v8
	s_waitcnt lgkmcnt(1)
	v_cmp_lt_f32_e64 s[26:27], v26, v9
	v_cmp_nlt_f32_e32 vcc, v26, v9
	s_and_saveexec_b64 s[28:29], vcc
	s_cbranch_execz .LBB289_30
; %bb.29:                               ;   in Loop: Header=BB289_20 Depth=1
	v_cmp_eq_f32_e32 vcc, v26, v9
	s_waitcnt lgkmcnt(0)
	v_cmp_lt_i32_e64 s[0:1], v27, v8
	s_and_b64 s[0:1], vcc, s[0:1]
	s_andn2_b64 s[26:27], s[26:27], exec
	s_and_b64 s[0:1], s[0:1], exec
	s_or_b64 s[26:27], s[26:27], s[0:1]
.LBB289_30:                             ;   in Loop: Header=BB289_20 Depth=1
	s_or_b64 exec, exec, s[28:29]
	s_and_saveexec_b64 s[0:1], s[26:27]
	s_cbranch_execz .LBB289_32
; %bb.31:                               ;   in Loop: Header=BB289_20 Depth=1
	v_mov_b32_e32 v26, v9
	s_waitcnt lgkmcnt(0)
	v_mov_b32_e32 v8, v27
.LBB289_32:                             ;   in Loop: Header=BB289_20 Depth=1
	s_or_b64 exec, exec, s[0:1]
	ds_bpermute_b32 v9, v16, v26
	s_waitcnt lgkmcnt(1)
	;; [unrolled: 26-line block ×4, first 2 shown]
	ds_bpermute_b32 v27, v18, v8
	s_waitcnt lgkmcnt(1)
	v_cmp_lt_f32_e64 s[26:27], v26, v9
	v_cmp_nlt_f32_e32 vcc, v26, v9
	s_and_saveexec_b64 s[28:29], vcc
	s_cbranch_execnz .LBB289_44
; %bb.41:                               ;   in Loop: Header=BB289_20 Depth=1
	s_or_b64 exec, exec, s[28:29]
	s_and_saveexec_b64 s[0:1], s[26:27]
	s_cbranch_execnz .LBB289_45
.LBB289_42:                             ;   in Loop: Header=BB289_20 Depth=1
	s_or_b64 exec, exec, s[0:1]
	s_and_saveexec_b64 s[26:27], s[6:7]
	s_cbranch_execnz .LBB289_46
.LBB289_43:                             ;   in Loop: Header=BB289_20 Depth=1
	s_or_b64 exec, exec, s[26:27]
	s_add_i32 s31, s31, 1
	s_cmp_ge_i32 s31, s12
	s_cbranch_scc1 .LBB289_19
	s_branch .LBB289_49
.LBB289_44:                             ;   in Loop: Header=BB289_20 Depth=1
	v_cmp_eq_f32_e32 vcc, v26, v9
	s_waitcnt lgkmcnt(0)
	v_cmp_lt_i32_e64 s[0:1], v27, v8
	s_and_b64 s[0:1], vcc, s[0:1]
	s_andn2_b64 s[26:27], s[26:27], exec
	s_and_b64 s[0:1], s[0:1], exec
	s_or_b64 s[26:27], s[26:27], s[0:1]
	s_or_b64 exec, exec, s[28:29]
	s_and_saveexec_b64 s[0:1], s[26:27]
	s_cbranch_execz .LBB289_42
.LBB289_45:                             ;   in Loop: Header=BB289_20 Depth=1
	s_waitcnt lgkmcnt(0)
	v_mov_b32_e32 v8, v27
	v_mov_b32_e32 v26, v9
	s_or_b64 exec, exec, s[0:1]
	s_and_saveexec_b64 s[26:27], s[6:7]
	s_cbranch_execz .LBB289_43
.LBB289_46:                             ;   in Loop: Header=BB289_20 Depth=1
	s_and_b64 vcc, exec, s[2:3]
	s_cbranch_vccnz .LBB289_48
; %bb.47:                               ;   in Loop: Header=BB289_20 Depth=1
	v_ashrrev_i32_e32 v9, 31, v8
	v_lshl_add_u64 v[28:29], v[8:9], 2, s[10:11]
	global_load_dword v9, v[28:29], off
	s_waitcnt vmcnt(0)
	v_sub_f32_e32 v26, v26, v9
.LBB289_48:                             ;   in Loop: Header=BB289_20 Depth=1
	v_add_u32_e32 v28, s31, v12
	v_cmp_le_i32_e32 vcc, s13, v8
	v_cmp_gt_i32_e64 s[0:1], s14, v8
	v_ashrrev_i32_e32 v29, 31, v28
	s_and_b64 s[0:1], vcc, s[0:1]
	v_lshlrev_b64 v[28:29], 2, v[28:29]
	v_lshl_add_u64 v[30:31], s[20:21], 0, v[28:29]
	v_subrev_u32_e32 v9, s13, v8
	s_and_b64 vcc, s[22:23], s[0:1]
	global_store_dword v[30:31], v26, off
	v_cndmask_b32_e32 v9, v23, v9, vcc
	v_lshl_add_u64 v[30:31], s[16:17], 0, v[28:29]
	global_store_dword v[30:31], v9, off
	v_add_f32_e32 v9, v11, v26
	v_lshl_add_u64 v[28:29], s[18:19], 0, v[28:29]
	v_cndmask_b32_e64 v11, v11, v9, s[4:5]
	global_store_dword v[28:29], v25, off
	s_or_b64 exec, exec, s[26:27]
	s_add_i32 s31, s31, 1
	s_cmp_ge_i32 s31, s12
	s_cbranch_scc1 .LBB289_19
.LBB289_49:                             ;   in Loop: Header=BB289_20 Depth=1
	v_lshrrev_b32_e32 v9, 31, v8
	v_add_u32_e32 v26, v8, v9
	v_ashrrev_i32_e32 v9, 1, v26
	v_ashrrev_i32_e32 v26, 31, v26
	v_lshrrev_b32_e32 v26, 26, v26
	v_add_u32_e32 v26, v9, v26
	v_and_b32_e32 v26, 0xffffffc0, v26
	v_sub_u32_e32 v26, v9, v26
	v_cmp_eq_u32_e32 vcc, v7, v26
	s_and_saveexec_b64 s[0:1], vcc
	s_cbranch_execz .LBB289_18
; %bb.50:                               ;   in Loop: Header=BB289_20 Depth=1
	v_ashrrev_i32_e32 v26, 31, v8
	v_lshrrev_b32_e32 v26, 25, v26
	v_add_u32_e32 v26, v8, v26
	v_lshlrev_b32_e32 v9, 1, v9
	v_ashrrev_i32_e32 v26, 7, v26
	v_sub_u32_e32 v8, v8, v9
	v_lshl_add_u32 v8, v26, 1, v8
	v_cmp_ne_u32_e32 vcc, 5, v8
	s_nop 1
	v_cndmask_b32_e32 v5, v24, v5, vcc
	v_cmp_ne_u32_e32 vcc, 4, v8
	s_nop 1
	v_cndmask_b32_e32 v4, v24, v4, vcc
	;; [unrolled: 3-line block ×6, first 2 shown]
	s_branch .LBB289_18
.LBB289_51:
	v_mov_b32_e32 v11, 0
.LBB289_52:
	v_cmp_eq_u32_e32 vcc, 0, v7
	s_and_b64 exec, exec, vcc
	s_cbranch_execz .LBB289_65
; %bb.53:
	s_andn2_b64 vcc, exec, s[4:5]
	v_cvt_f32_f64_e32 v0, s[8:9]
	s_cbranch_vccnz .LBB289_55
; %bb.54:
	v_cmp_lt_f32_e32 vcc, 0, v11
	s_nop 1
	v_cndmask_b32_e32 v1, 1.0, v11, vcc
	v_div_scale_f32 v2, s[0:1], v1, v1, v0
	v_rcp_f32_e32 v3, v2
	s_nop 0
	v_fma_f32 v4, -v2, v3, 1.0
	v_fmac_f32_e32 v3, v4, v3
	v_div_scale_f32 v4, vcc, v0, v1, v0
	v_mul_f32_e32 v5, v4, v3
	v_fma_f32 v7, -v2, v5, v4
	v_fmac_f32_e32 v5, v7, v3
	v_fma_f32 v2, -v2, v5, v4
	v_div_fmas_f32 v2, v2, v3, v5
	v_div_fixup_f32 v0, v2, v1, v0
.LBB289_55:
	s_andn2_b64 vcc, exec, s[24:25]
	s_cbranch_vccnz .LBB289_65
; %bb.56:
	v_mul_lo_u32 v2, v6, s12
	s_cmp_gt_u32 s12, 3
	v_ashrrev_i32_e32 v3, 31, v2
	s_cbranch_scc0 .LBB289_60
; %bb.57:
	s_and_b32 s0, s12, 0x7ffffffc
	v_lshl_add_u64 v[4:5], v[2:3], 2, s[20:21]
	v_mov_b32_e32 v1, v0
	v_lshl_add_u64 v[4:5], v[4:5], 0, 8
	s_mov_b32 s1, s0
.LBB289_58:                             ; =>This Inner Loop Header: Depth=1
	global_load_dwordx4 v[6:9], v[4:5], off offset:-8
	s_add_i32 s1, s1, -4
	s_cmp_lg_u32 s1, 0
	s_waitcnt vmcnt(0)
	v_pk_mul_f32 v[6:7], v[0:1], v[6:7]
	v_pk_mul_f32 v[8:9], v[0:1], v[8:9]
	global_store_dwordx4 v[4:5], v[6:9], off offset:-8
	v_lshl_add_u64 v[4:5], v[4:5], 0, 16
	s_cbranch_scc1 .LBB289_58
; %bb.59:
	s_cmp_lg_u32 s0, s12
	s_cselect_b64 s[2:3], -1, 0
	s_branch .LBB289_62
.LBB289_60:
	s_mov_b64 s[2:3], 0
                                        ; implicit-def: $sgpr0
	s_cbranch_execz .LBB289_62
; %bb.61:
	s_mov_b64 s[2:3], -1
	s_mov_b32 s0, 0
.LBB289_62:
	s_andn2_b64 vcc, exec, s[2:3]
	s_cbranch_vccnz .LBB289_65
; %bb.63:
	s_mov_b32 s1, 0
	v_lshl_add_u64 v[2:3], v[2:3], 0, s[0:1]
	s_sub_i32 s2, s12, s0
	v_lshl_add_u64 v[2:3], v[2:3], 2, s[20:21]
.LBB289_64:                             ; =>This Inner Loop Header: Depth=1
	global_load_dword v1, v[2:3], off
	s_add_i32 s2, s2, -1
	s_cmp_lg_u32 s2, 0
	s_waitcnt vmcnt(0)
	v_mul_f32_e32 v1, v0, v1
	global_store_dword v[2:3], v1, off
	v_lshl_add_u64 v[2:3], v[2:3], 0, 4
	s_cbranch_scc1 .LBB289_64
.LBB289_65:
	s_endpgm
	.section	.rodata,"a",@progbits
	.p2align	6, 0x0
	.amdhsa_kernel _ZN4vllm3moe22topkGatingSoftplusSqrtILi6ELi384ELi4ELi4ELi64ELb0Ej6__halfEEvPKT6_PKbPfiPT5_PiiiibdPKfPKS9_SF_
		.amdhsa_group_segment_fixed_size 0
		.amdhsa_private_segment_fixed_size 0
		.amdhsa_kernarg_size 96
		.amdhsa_user_sgpr_count 2
		.amdhsa_user_sgpr_dispatch_ptr 0
		.amdhsa_user_sgpr_queue_ptr 0
		.amdhsa_user_sgpr_kernarg_segment_ptr 1
		.amdhsa_user_sgpr_dispatch_id 0
		.amdhsa_user_sgpr_kernarg_preload_length 0
		.amdhsa_user_sgpr_kernarg_preload_offset 0
		.amdhsa_user_sgpr_private_segment_size 0
		.amdhsa_uses_dynamic_stack 0
		.amdhsa_enable_private_segment 0
		.amdhsa_system_sgpr_workgroup_id_x 1
		.amdhsa_system_sgpr_workgroup_id_y 0
		.amdhsa_system_sgpr_workgroup_id_z 0
		.amdhsa_system_sgpr_workgroup_info 0
		.amdhsa_system_vgpr_workitem_id 1
		.amdhsa_next_free_vgpr 32
		.amdhsa_next_free_sgpr 32
		.amdhsa_accum_offset 32
		.amdhsa_reserve_vcc 1
		.amdhsa_float_round_mode_32 0
		.amdhsa_float_round_mode_16_64 0
		.amdhsa_float_denorm_mode_32 3
		.amdhsa_float_denorm_mode_16_64 3
		.amdhsa_dx10_clamp 1
		.amdhsa_ieee_mode 1
		.amdhsa_fp16_overflow 0
		.amdhsa_tg_split 0
		.amdhsa_exception_fp_ieee_invalid_op 0
		.amdhsa_exception_fp_denorm_src 0
		.amdhsa_exception_fp_ieee_div_zero 0
		.amdhsa_exception_fp_ieee_overflow 0
		.amdhsa_exception_fp_ieee_underflow 0
		.amdhsa_exception_fp_ieee_inexact 0
		.amdhsa_exception_int_div_zero 0
	.end_amdhsa_kernel
	.section	.text._ZN4vllm3moe22topkGatingSoftplusSqrtILi6ELi384ELi4ELi4ELi64ELb0Ej6__halfEEvPKT6_PKbPfiPT5_PiiiibdPKfPKS9_SF_,"axG",@progbits,_ZN4vllm3moe22topkGatingSoftplusSqrtILi6ELi384ELi4ELi4ELi64ELb0Ej6__halfEEvPKT6_PKbPfiPT5_PiiiibdPKfPKS9_SF_,comdat
.Lfunc_end289:
	.size	_ZN4vllm3moe22topkGatingSoftplusSqrtILi6ELi384ELi4ELi4ELi64ELb0Ej6__halfEEvPKT6_PKbPfiPT5_PiiiibdPKfPKS9_SF_, .Lfunc_end289-_ZN4vllm3moe22topkGatingSoftplusSqrtILi6ELi384ELi4ELi4ELi64ELb0Ej6__halfEEvPKT6_PKbPfiPT5_PiiiibdPKfPKS9_SF_
                                        ; -- End function
	.section	.AMDGPU.csdata,"",@progbits
; Kernel info:
; codeLenInByte = 3688
; NumSgprs: 38
; NumVgprs: 32
; NumAgprs: 0
; TotalNumVgprs: 32
; ScratchSize: 0
; MemoryBound: 0
; FloatMode: 240
; IeeeMode: 1
; LDSByteSize: 0 bytes/workgroup (compile time only)
; SGPRBlocks: 4
; VGPRBlocks: 3
; NumSGPRsForWavesPerEU: 38
; NumVGPRsForWavesPerEU: 32
; AccumOffset: 32
; Occupancy: 8
; WaveLimiterHint : 1
; COMPUTE_PGM_RSRC2:SCRATCH_EN: 0
; COMPUTE_PGM_RSRC2:USER_SGPR: 2
; COMPUTE_PGM_RSRC2:TRAP_HANDLER: 0
; COMPUTE_PGM_RSRC2:TGID_X_EN: 1
; COMPUTE_PGM_RSRC2:TGID_Y_EN: 0
; COMPUTE_PGM_RSRC2:TGID_Z_EN: 0
; COMPUTE_PGM_RSRC2:TIDIG_COMP_CNT: 1
; COMPUTE_PGM_RSRC3_GFX90A:ACCUM_OFFSET: 7
; COMPUTE_PGM_RSRC3_GFX90A:TG_SPLIT: 0
	.section	.text._ZN4vllm3moe22topkGatingSoftplusSqrtILi12ELi384ELi4ELi4ELi32ELb1Ej6__halfEEvPKT6_PKbPfiPT5_PiiiibdPKfPKS9_SF_,"axG",@progbits,_ZN4vllm3moe22topkGatingSoftplusSqrtILi12ELi384ELi4ELi4ELi32ELb1Ej6__halfEEvPKT6_PKbPfiPT5_PiiiibdPKfPKS9_SF_,comdat
	.protected	_ZN4vllm3moe22topkGatingSoftplusSqrtILi12ELi384ELi4ELi4ELi32ELb1Ej6__halfEEvPKT6_PKbPfiPT5_PiiiibdPKfPKS9_SF_ ; -- Begin function _ZN4vllm3moe22topkGatingSoftplusSqrtILi12ELi384ELi4ELi4ELi32ELb1Ej6__halfEEvPKT6_PKbPfiPT5_PiiiibdPKfPKS9_SF_
	.globl	_ZN4vllm3moe22topkGatingSoftplusSqrtILi12ELi384ELi4ELi4ELi32ELb1Ej6__halfEEvPKT6_PKbPfiPT5_PiiiibdPKfPKS9_SF_
	.p2align	8
	.type	_ZN4vllm3moe22topkGatingSoftplusSqrtILi12ELi384ELi4ELi4ELi32ELb1Ej6__halfEEvPKT6_PKbPfiPT5_PiiiibdPKfPKS9_SF_,@function
_ZN4vllm3moe22topkGatingSoftplusSqrtILi12ELi384ELi4ELi4ELi32ELb1Ej6__halfEEvPKT6_PKbPfiPT5_PiiiibdPKfPKS9_SF_: ; @_ZN4vllm3moe22topkGatingSoftplusSqrtILi12ELi384ELi4ELi4ELi32ELb1Ej6__halfEEvPKT6_PKbPfiPT5_PiiiibdPKfPKS9_SF_
; %bb.0:
	s_load_dword s3, s[0:1], 0x18
	v_and_b32_e32 v1, 0x3ff, v0
	s_lshl_b32 s2, s2, 2
	v_lshrrev_b32_e32 v2, 5, v1
	v_bfe_u32 v0, v0, 10, 10
	v_add3_u32 v4, s2, v0, v2
	s_waitcnt lgkmcnt(0)
	v_cmp_gt_i32_e32 vcc, s3, v4
	s_and_saveexec_b64 s[2:3], vcc
	s_cbranch_execz .LBB290_60
; %bb.1:
	s_load_dwordx2 s[2:3], s[0:1], 0x0
	s_load_dword s33, s[0:1], 0x30
	s_movk_i32 s4, 0x180
	v_mul_lo_u32 v2, v4, s4
	v_lshlrev_b32_e32 v0, 1, v1
	v_ashrrev_i32_e32 v3, 31, v2
	v_and_b32_e32 v10, 62, v0
	s_waitcnt lgkmcnt(0)
	v_lshl_add_u64 v[2:3], v[2:3], 1, s[2:3]
	v_lshlrev_b32_e32 v0, 1, v10
	v_mov_b32_e32 v1, 0
	v_lshl_add_u64 v[12:13], v[2:3], 0, v[0:1]
	global_load_dword v9, v[12:13], off
	global_load_dword v11, v[12:13], off offset:128
	s_load_dwordx4 s[4:7], s[0:1], 0x50
	v_ashrrev_i32_e32 v5, 31, v4
	s_mov_b32 s15, 0x800000
	v_mov_b32_e32 v7, 0x4f800000
	s_mov_b32 s13, 0x3f317217
	s_waitcnt lgkmcnt(0)
	v_mov_b32_e32 v2, s4
	v_mov_b32_e32 v3, s5
	v_lshl_add_u64 v[2:3], v[4:5], 2, v[2:3]
	global_load_dword v0, v[2:3], off
	global_load_dword v18, v[12:13], off offset:256
	global_load_dword v19, v[12:13], off offset:384
	;; [unrolled: 1-line block ×4, first 2 shown]
	v_mov_b32_e32 v2, s6
	s_mov_b32 s14, 0x7f800000
	v_mov_b32_e32 v6, 0x41b17218
	s_movk_i32 s11, 0x4d00
	s_mov_b32 s12, 0xf800000
	v_mov_b32_e32 v5, 0x260
	s_cmp_gt_i32 s33, 0
	s_mov_b32 s10, 0
	s_waitcnt vmcnt(6)
	v_cvt_f32_f16_e32 v16, v9
	v_cvt_f32_f16_sdwa v17, v9 dst_sel:DWORD dst_unused:UNUSED_PAD src0_sel:WORD_1
	s_waitcnt vmcnt(5)
	v_cvt_f32_f16_e32 v21, v11
	v_cvt_f32_f16_sdwa v22, v11 dst_sel:DWORD dst_unused:UNUSED_PAD src0_sel:WORD_1
	v_mul_f32_e32 v3, 0x3fb8aa3b, v16
	v_mul_f32_e32 v13, 0x3fb8aa3b, v17
	v_exp_f32_e32 v12, v3
	v_exp_f32_e32 v13, v13
	v_mul_f32_e32 v14, 0x3fb8aa3b, v21
	v_mul_f32_e32 v15, 0x3fb8aa3b, v22
	v_exp_f32_e32 v14, v14
	v_pk_add_f32 v[12:13], v[12:13], 1.0 op_sel_hi:[1,0]
	v_exp_f32_e32 v15, v15
	v_cmp_gt_f32_e32 vcc, s15, v13
	v_cmp_gt_f32_e64 s[2:3], s15, v12
	v_mov_b32_e32 v3, s7
	v_cndmask_b32_e32 v23, 1.0, v7, vcc
	v_cndmask_b32_e64 v24, 1.0, v7, s[2:3]
	v_mul_f32_e32 v13, v13, v23
	v_mul_f32_e32 v12, v12, v24
	v_log_f32_e32 v13, v13
	v_pk_add_f32 v[14:15], v[14:15], 1.0 op_sel_hi:[1,0]
	v_log_f32_e32 v12, v12
	v_cmp_gt_f32_e64 s[4:5], s15, v15
	v_cmp_gt_f32_e64 s[6:7], s15, v14
	v_cndmask_b32_e32 v23, 0, v6, vcc
	v_cndmask_b32_e64 v25, 1.0, v7, s[4:5]
	v_cndmask_b32_e64 v26, 1.0, v7, s[6:7]
	v_mul_f32_e32 v15, v15, v25
	v_mul_f32_e32 v25, 0x3f317217, v13
	;; [unrolled: 1-line block ×4, first 2 shown]
	v_fma_f32 v25, v13, s13, -v25
	v_fma_f32 v26, v12, s13, -v26
	v_fmac_f32_e32 v25, 0x3377d1cf, v13
	v_fmac_f32_e32 v26, 0x3377d1cf, v12
	;; [unrolled: 1-line block ×3, first 2 shown]
	v_cmp_lt_f32_e64 vcc, |v13|, s14
	v_fmac_f32_e32 v26, 0x3f317217, v12
	v_cndmask_b32_e64 v24, 0, v6, s[2:3]
	v_cndmask_b32_e32 v13, v13, v25, vcc
	v_cmp_lt_f32_e64 vcc, |v12|, s14
	v_sub_f32_e32 v13, v13, v23
	v_log_f32_e32 v15, v15
	v_cndmask_b32_e32 v12, v12, v26, vcc
	v_sub_f32_e32 v12, v12, v24
	v_cmp_lt_f16_e32 vcc, s11, v9
	v_mul_f32_e32 v27, 0x3f317217, v15
	v_fma_f32 v27, v15, s13, -v27
	v_cndmask_b32_e32 v12, v12, v16, vcc
	v_cmp_gt_f16_sdwa vcc, v9, s11 src0_sel:WORD_1 src1_sel:DWORD
	v_mul_f32_e32 v16, 0x4f800000, v12
	v_cmp_gt_f32_e64 s[2:3], s12, v12
	v_cndmask_b32_e32 v9, v13, v17, vcc
	v_mul_f32_e32 v13, 0x4f800000, v9
	v_cmp_gt_f32_e32 vcc, s12, v9
	v_cndmask_b32_e64 v12, v12, v16, s[2:3]
	v_sqrt_f32_e32 v16, v12
	v_cndmask_b32_e32 v9, v9, v13, vcc
	v_sqrt_f32_e32 v13, v9
	v_fmac_f32_e32 v27, 0x3377d1cf, v15
	v_fmac_f32_e32 v27, 0x3f317217, v15
	v_cmp_lt_f32_e64 s[8:9], |v15|, s14
	v_add_u32_e32 v17, -1, v13
	v_add_u32_e32 v24, -1, v16
	v_fma_f32 v26, -v17, v13, v9
	v_cndmask_b32_e64 v15, v15, v27, s[8:9]
	v_add_u32_e32 v23, 1, v13
	v_fma_f32 v28, -v24, v16, v12
	v_cmp_ge_f32_e64 s[8:9], 0, v26
	v_add_u32_e32 v25, 1, v16
	v_fma_f32 v27, -v23, v13, v9
	v_cndmask_b32_e64 v13, v13, v17, s[8:9]
	v_cmp_ge_f32_e64 s[8:9], 0, v28
	v_fma_f32 v29, -v25, v16, v12
	v_log_f32_e32 v14, v14
	v_cndmask_b32_e64 v16, v16, v24, s[8:9]
	v_cmp_lt_f32_e64 s[8:9], 0, v27
	s_waitcnt vmcnt(4)
	v_mul_lo_u32 v0, v0, s33
	v_lshl_add_u64 v[2:3], v[0:1], 2, v[2:3]
	v_cndmask_b32_e64 v13, v13, v23, s[8:9]
	v_mul_f32_e32 v17, 0x37800000, v13
	v_cndmask_b32_e32 v13, v13, v17, vcc
	v_cmp_class_f32_e32 vcc, v9, v5
	v_cmp_lt_f32_e64 s[8:9], 0, v29
	v_mul_lo_u32 v0, v4, s33
	v_cndmask_b32_e32 v13, v13, v9, vcc
	v_cndmask_b32_e64 v9, 0, v6, s[4:5]
	v_cndmask_b32_e64 v16, v16, v25, s[8:9]
	v_sub_f32_e32 v9, v15, v9
	v_mul_f32_e32 v15, 0x3f317217, v14
	v_mul_f32_e32 v23, 0x37800000, v16
	v_fma_f32 v15, v14, s13, -v15
	v_cndmask_b32_e64 v16, v16, v23, s[2:3]
	v_cmp_class_f32_e32 vcc, v12, v5
	v_fmac_f32_e32 v15, 0x3377d1cf, v14
	v_fmac_f32_e32 v15, 0x3f317217, v14
	v_cndmask_b32_e32 v12, v16, v12, vcc
	v_cmp_lt_f32_e64 vcc, |v14|, s14
	v_cmp_lt_f16_e64 s[2:3], s11, v11
	s_nop 0
	v_cndmask_b32_e32 v14, v14, v15, vcc
	v_cmp_gt_f16_sdwa vcc, v11, s11 src0_sel:WORD_1 src1_sel:DWORD
	v_cndmask_b32_e64 v15, 0, v6, s[6:7]
	v_sub_f32_e32 v14, v14, v15
	v_cndmask_b32_e32 v9, v9, v22, vcc
	v_mul_f32_e32 v16, 0x4f800000, v9
	v_cmp_gt_f32_e32 vcc, s12, v9
	v_cndmask_b32_e64 v11, v14, v21, s[2:3]
	s_waitcnt vmcnt(3)
	v_cvt_f32_f16_e32 v21, v18
	v_cndmask_b32_e32 v9, v9, v16, vcc
	v_sqrt_f32_e32 v16, v9
	v_cvt_f32_f16_sdwa v22, v18 dst_sel:DWORD dst_unused:UNUSED_PAD src0_sel:WORD_1
	v_add_u32_e32 v14, -1, v16
	v_fma_f32 v15, -v14, v16, v9
	v_cmp_ge_f32_e64 s[2:3], 0, v15
	v_add_u32_e32 v15, 1, v16
	v_mul_f32_e32 v17, 0x3fb8aa3b, v22
	v_cndmask_b32_e64 v14, v16, v14, s[2:3]
	v_fma_f32 v16, -v15, v16, v9
	v_cmp_lt_f32_e64 s[2:3], 0, v16
	v_mul_f32_e32 v16, 0x4f800000, v11
	v_exp_f32_e32 v17, v17
	v_cndmask_b32_e64 v14, v14, v15, s[2:3]
	v_cmp_gt_f32_e64 s[2:3], s12, v11
	v_mul_f32_e32 v15, 0x37800000, v14
	v_cndmask_b32_e32 v14, v14, v15, vcc
	v_cndmask_b32_e64 v11, v11, v16, s[2:3]
	v_sqrt_f32_e32 v16, v11
	v_cmp_class_f32_e32 vcc, v9, v5
	s_nop 1
	v_cndmask_b32_e32 v15, v14, v9, vcc
	v_add_u32_e32 v9, -1, v16
	v_fma_f32 v14, -v9, v16, v11
	v_cmp_ge_f32_e32 vcc, 0, v14
	v_add_u32_e32 v14, 1, v16
	v_fma_f32 v23, -v14, v16, v11
	v_cndmask_b32_e32 v9, v16, v9, vcc
	v_mul_f32_e32 v16, 0x3fb8aa3b, v21
	v_exp_f32_e32 v16, v16
	v_cmp_lt_f32_e32 vcc, 0, v23
	v_pk_add_f32 v[16:17], v[16:17], 1.0 op_sel_hi:[1,0]
	s_nop 0
	v_cndmask_b32_e32 v9, v9, v14, vcc
	v_mul_f32_e32 v14, 0x37800000, v9
	v_cmp_gt_f32_e32 vcc, s15, v17
	v_cndmask_b32_e64 v9, v9, v14, s[2:3]
	v_cmp_class_f32_e64 s[2:3], v11, v5
	v_cndmask_b32_e32 v14, 1.0, v7, vcc
	v_mul_f32_e32 v14, v17, v14
	v_log_f32_e32 v17, v14
	v_cndmask_b32_e64 v14, v9, v11, s[2:3]
	v_cmp_gt_f32_e64 s[2:3], s15, v16
	scratch_store_dwordx4 off, v[12:15], off
	v_mul_f32_e32 v9, 0x3f317217, v17
	v_cndmask_b32_e64 v11, 1.0, v7, s[2:3]
	v_mul_f32_e32 v11, v16, v11
	v_fma_f32 v9, v17, s13, -v9
	v_log_f32_e32 v11, v11
	v_fmac_f32_e32 v9, 0x3377d1cf, v17
	v_fmac_f32_e32 v9, 0x3f317217, v17
	v_cmp_lt_f32_e64 s[4:5], |v17|, s14
	v_cndmask_b32_e32 v12, 0, v6, vcc
	v_cmp_lt_f32_e64 vcc, |v11|, s14
	v_cndmask_b32_e64 v9, v17, v9, s[4:5]
	v_sub_f32_e32 v9, v9, v12
	v_mul_f32_e32 v12, 0x3f317217, v11
	v_fma_f32 v12, v11, s13, -v12
	v_fmac_f32_e32 v12, 0x3377d1cf, v11
	v_fmac_f32_e32 v12, 0x3f317217, v11
	v_cndmask_b32_e32 v11, v11, v12, vcc
	v_cmp_gt_f16_sdwa vcc, v18, s11 src0_sel:WORD_1 src1_sel:DWORD
	v_cndmask_b32_e64 v12, 0, v6, s[2:3]
	v_sub_f32_e32 v11, v11, v12
	v_cndmask_b32_e32 v9, v9, v22, vcc
	v_mul_f32_e32 v13, 0x4f800000, v9
	v_cmp_gt_f32_e32 vcc, s12, v9
	v_cmp_lt_f16_e64 s[2:3], s11, v18
	s_waitcnt vmcnt(3)
	v_cvt_f32_f16_e32 v16, v19
	v_cndmask_b32_e32 v9, v9, v13, vcc
	v_sqrt_f32_e32 v13, v9
	v_cndmask_b32_e64 v11, v11, v21, s[2:3]
	v_cvt_f32_f16_sdwa v17, v19 dst_sel:DWORD dst_unused:UNUSED_PAD src0_sel:WORD_1
	v_add_u32_e32 v12, -1, v13
	v_fma_f32 v14, -v12, v13, v9
	v_cmp_ge_f32_e64 s[2:3], 0, v14
	v_add_u32_e32 v14, 1, v13
	v_mul_f32_e32 v15, 0x3fb8aa3b, v17
	v_cndmask_b32_e64 v12, v13, v12, s[2:3]
	v_fma_f32 v13, -v14, v13, v9
	v_cmp_lt_f32_e64 s[2:3], 0, v13
	v_exp_f32_e32 v15, v15
	s_nop 0
	v_cndmask_b32_e64 v12, v12, v14, s[2:3]
	v_mul_f32_e32 v14, 0x4f800000, v11
	v_cmp_gt_f32_e64 s[2:3], s12, v11
	v_mul_f32_e32 v13, 0x37800000, v12
	v_cndmask_b32_e32 v12, v12, v13, vcc
	v_cndmask_b32_e64 v11, v11, v14, s[2:3]
	v_sqrt_f32_e32 v14, v11
	v_cmp_class_f32_e32 vcc, v9, v5
	s_nop 1
	v_cndmask_b32_e32 v13, v12, v9, vcc
	v_add_u32_e32 v9, -1, v14
	v_fma_f32 v12, -v9, v14, v11
	v_cmp_ge_f32_e32 vcc, 0, v12
	v_add_u32_e32 v12, 1, v14
	v_fma_f32 v18, -v12, v14, v11
	v_cndmask_b32_e32 v9, v14, v9, vcc
	v_mul_f32_e32 v14, 0x3fb8aa3b, v16
	v_exp_f32_e32 v14, v14
	v_cmp_lt_f32_e32 vcc, 0, v18
	v_pk_add_f32 v[14:15], v[14:15], 1.0 op_sel_hi:[1,0]
	s_nop 0
	v_cndmask_b32_e32 v9, v9, v12, vcc
	v_cmp_gt_f32_e32 vcc, s15, v15
	v_mul_f32_e32 v12, 0x37800000, v9
	v_cndmask_b32_e64 v9, v9, v12, s[2:3]
	v_cndmask_b32_e32 v18, 1.0, v7, vcc
	v_mul_f32_e32 v15, v15, v18
	v_log_f32_e32 v15, v15
	v_cmp_class_f32_e64 s[2:3], v11, v5
	s_waitcnt vmcnt(2)
	v_cvt_f32_f16_e32 v18, v20
	v_cmp_lt_f32_e64 s[4:5], |v15|, s14
	v_cndmask_b32_e64 v12, v9, v11, s[2:3]
	v_cmp_gt_f32_e64 s[2:3], s15, v14
	v_mul_f32_e32 v9, 0x3f317217, v15
	v_fma_f32 v9, v15, s13, -v9
	v_cndmask_b32_e64 v11, 1.0, v7, s[2:3]
	v_mul_f32_e32 v11, v14, v11
	v_log_f32_e32 v11, v11
	v_fmac_f32_e32 v9, 0x3377d1cf, v15
	v_fmac_f32_e32 v9, 0x3f317217, v15
	v_cndmask_b32_e64 v9, v15, v9, s[4:5]
	v_cndmask_b32_e32 v14, 0, v6, vcc
	v_sub_f32_e32 v9, v9, v14
	v_mul_f32_e32 v14, 0x3f317217, v11
	v_fma_f32 v14, v11, s13, -v14
	v_fmac_f32_e32 v14, 0x3377d1cf, v11
	v_fmac_f32_e32 v14, 0x3f317217, v11
	v_cmp_lt_f32_e64 vcc, |v11|, s14
	s_nop 1
	v_cndmask_b32_e32 v11, v11, v14, vcc
	v_cmp_gt_f16_sdwa vcc, v19, s11 src0_sel:WORD_1 src1_sel:DWORD
	v_cndmask_b32_e64 v14, 0, v6, s[2:3]
	v_sub_f32_e32 v11, v11, v14
	v_cndmask_b32_e32 v9, v9, v17, vcc
	v_mul_f32_e32 v15, 0x4f800000, v9
	v_cmp_gt_f32_e32 vcc, s12, v9
	v_cmp_lt_f16_e64 s[2:3], s11, v19
	v_cvt_f32_f16_sdwa v19, v20 dst_sel:DWORD dst_unused:UNUSED_PAD src0_sel:WORD_1
	v_cndmask_b32_e32 v9, v9, v15, vcc
	v_sqrt_f32_e32 v15, v9
	v_cndmask_b32_e64 v11, v11, v16, s[2:3]
	v_mul_f32_e32 v17, 0x3fb8aa3b, v19
	v_exp_f32_e32 v17, v17
	v_add_u32_e32 v14, -1, v15
	v_fma_f32 v16, -v14, v15, v9
	v_cmp_ge_f32_e64 s[2:3], 0, v16
	v_add_u32_e32 v16, 1, v15
	s_nop 0
	v_cndmask_b32_e64 v14, v15, v14, s[2:3]
	v_fma_f32 v15, -v16, v15, v9
	v_cmp_lt_f32_e64 s[2:3], 0, v15
	s_nop 1
	v_cndmask_b32_e64 v14, v14, v16, s[2:3]
	v_mul_f32_e32 v16, 0x4f800000, v11
	v_cmp_gt_f32_e64 s[2:3], s12, v11
	v_mul_f32_e32 v15, 0x37800000, v14
	v_cndmask_b32_e32 v14, v14, v15, vcc
	v_cndmask_b32_e64 v11, v11, v16, s[2:3]
	v_sqrt_f32_e32 v16, v11
	v_cmp_class_f32_e32 vcc, v9, v5
	s_nop 1
	v_cndmask_b32_e32 v15, v14, v9, vcc
	v_add_u32_e32 v9, -1, v16
	v_fma_f32 v14, -v9, v16, v11
	v_cmp_ge_f32_e32 vcc, 0, v14
	v_add_u32_e32 v14, 1, v16
	v_fma_f32 v21, -v14, v16, v11
	v_cndmask_b32_e32 v9, v16, v9, vcc
	v_mul_f32_e32 v16, 0x3fb8aa3b, v18
	v_exp_f32_e32 v16, v16
	v_cmp_lt_f32_e32 vcc, 0, v21
	v_pk_add_f32 v[16:17], v[16:17], 1.0 op_sel_hi:[1,0]
	s_nop 0
	v_cndmask_b32_e32 v9, v9, v14, vcc
	v_mul_f32_e32 v14, 0x37800000, v9
	v_cmp_gt_f32_e32 vcc, s15, v17
	v_cndmask_b32_e64 v9, v9, v14, s[2:3]
	v_cmp_class_f32_e64 s[2:3], v11, v5
	v_cndmask_b32_e32 v14, 1.0, v7, vcc
	v_mul_f32_e32 v14, v17, v14
	v_log_f32_e32 v17, v14
	v_cndmask_b32_e64 v14, v9, v11, s[2:3]
	v_cmp_gt_f32_e64 s[2:3], s15, v16
	scratch_store_dwordx4 off, v[12:15], off offset:16
	v_mul_f32_e32 v9, 0x3f317217, v17
	v_cndmask_b32_e64 v11, 1.0, v7, s[2:3]
	v_mul_f32_e32 v11, v16, v11
	v_fma_f32 v9, v17, s13, -v9
	v_log_f32_e32 v11, v11
	v_fmac_f32_e32 v9, 0x3377d1cf, v17
	v_fmac_f32_e32 v9, 0x3f317217, v17
	v_cmp_lt_f32_e64 s[4:5], |v17|, s14
	v_cndmask_b32_e32 v12, 0, v6, vcc
	v_cmp_lt_f32_e64 vcc, |v11|, s14
	v_cndmask_b32_e64 v9, v17, v9, s[4:5]
	v_sub_f32_e32 v9, v9, v12
	v_mul_f32_e32 v12, 0x3f317217, v11
	v_fma_f32 v12, v11, s13, -v12
	v_fmac_f32_e32 v12, 0x3377d1cf, v11
	v_fmac_f32_e32 v12, 0x3f317217, v11
	v_cndmask_b32_e32 v11, v11, v12, vcc
	v_cmp_gt_f16_sdwa vcc, v20, s11 src0_sel:WORD_1 src1_sel:DWORD
	v_cndmask_b32_e64 v12, 0, v6, s[2:3]
	v_sub_f32_e32 v11, v11, v12
	v_cndmask_b32_e32 v9, v9, v19, vcc
	v_mul_f32_e32 v13, 0x4f800000, v9
	v_cmp_gt_f32_e32 vcc, s12, v9
	v_cmp_lt_f16_e64 s[2:3], s11, v20
	s_waitcnt vmcnt(2)
	v_cvt_f32_f16_e32 v16, v8
	v_cndmask_b32_e32 v9, v9, v13, vcc
	v_sqrt_f32_e32 v13, v9
	v_cndmask_b32_e64 v11, v11, v18, s[2:3]
	v_cvt_f32_f16_sdwa v17, v8 dst_sel:DWORD dst_unused:UNUSED_PAD src0_sel:WORD_1
	v_add_u32_e32 v12, -1, v13
	v_fma_f32 v14, -v12, v13, v9
	v_cmp_ge_f32_e64 s[2:3], 0, v14
	v_add_u32_e32 v14, 1, v13
	v_mul_f32_e32 v15, 0x3fb8aa3b, v17
	v_cndmask_b32_e64 v12, v13, v12, s[2:3]
	v_fma_f32 v13, -v14, v13, v9
	v_cmp_lt_f32_e64 s[2:3], 0, v13
	v_exp_f32_e32 v15, v15
	s_nop 0
	v_cndmask_b32_e64 v12, v12, v14, s[2:3]
	v_mul_f32_e32 v14, 0x4f800000, v11
	v_cmp_gt_f32_e64 s[2:3], s12, v11
	v_mul_f32_e32 v13, 0x37800000, v12
	v_cndmask_b32_e32 v12, v12, v13, vcc
	v_cndmask_b32_e64 v11, v11, v14, s[2:3]
	v_sqrt_f32_e32 v14, v11
	v_cmp_class_f32_e32 vcc, v9, v5
	s_nop 1
	v_cndmask_b32_e32 v13, v12, v9, vcc
	v_add_u32_e32 v9, -1, v14
	v_fma_f32 v12, -v9, v14, v11
	v_cmp_ge_f32_e32 vcc, 0, v12
	v_add_u32_e32 v12, 1, v14
	v_fma_f32 v18, -v12, v14, v11
	v_cndmask_b32_e32 v9, v14, v9, vcc
	v_mul_f32_e32 v14, 0x3fb8aa3b, v16
	v_exp_f32_e32 v14, v14
	v_cmp_lt_f32_e32 vcc, 0, v18
	v_pk_add_f32 v[14:15], v[14:15], 1.0 op_sel_hi:[1,0]
	s_nop 0
	v_cndmask_b32_e32 v9, v9, v12, vcc
	v_cmp_gt_f32_e32 vcc, s15, v15
	v_mul_f32_e32 v12, 0x37800000, v9
	v_cndmask_b32_e64 v9, v9, v12, s[2:3]
	v_cndmask_b32_e32 v18, 1.0, v7, vcc
	v_mul_f32_e32 v15, v15, v18
	v_log_f32_e32 v15, v15
	v_cmp_class_f32_e64 s[2:3], v11, v5
	v_cmp_lt_f32_e64 s[4:5], |v15|, s14
	s_nop 0
	v_cndmask_b32_e64 v12, v9, v11, s[2:3]
	v_cmp_gt_f32_e64 s[2:3], s15, v14
	v_mul_f32_e32 v9, 0x3f317217, v15
	v_fma_f32 v9, v15, s13, -v9
	v_cndmask_b32_e64 v7, 1.0, v7, s[2:3]
	v_mul_f32_e32 v7, v14, v7
	v_log_f32_e32 v7, v7
	v_fmac_f32_e32 v9, 0x3377d1cf, v15
	v_fmac_f32_e32 v9, 0x3f317217, v15
	v_cndmask_b32_e64 v9, v15, v9, s[4:5]
	v_cndmask_b32_e32 v11, 0, v6, vcc
	v_sub_f32_e32 v9, v9, v11
	v_mul_f32_e32 v11, 0x3f317217, v7
	v_fma_f32 v11, v7, s13, -v11
	v_fmac_f32_e32 v11, 0x3377d1cf, v7
	v_fmac_f32_e32 v11, 0x3f317217, v7
	v_cmp_lt_f32_e64 vcc, |v7|, s14
	v_cndmask_b32_e64 v6, 0, v6, s[2:3]
	v_cmp_lt_f16_e64 s[2:3], s11, v8
	v_cndmask_b32_e32 v7, v7, v11, vcc
	v_cmp_gt_f16_sdwa vcc, v8, s11 src0_sel:WORD_1 src1_sel:DWORD
	v_sub_f32_e32 v6, v7, v6
	v_cndmask_b32_e64 v6, v6, v16, s[2:3]
	v_cndmask_b32_e32 v9, v9, v17, vcc
	v_mul_f32_e32 v11, 0x4f800000, v9
	v_cmp_gt_f32_e32 vcc, s12, v9
	s_cselect_b64 s[4:5], -1, 0
	s_cmp_lt_i32 s33, 1
	v_cndmask_b32_e32 v9, v9, v11, vcc
	v_sqrt_f32_e32 v11, v9
	s_nop 0
	v_add_u32_e32 v7, -1, v11
	v_fma_f32 v8, -v7, v11, v9
	v_cmp_ge_f32_e64 s[2:3], 0, v8
	v_add_u32_e32 v8, 1, v11
	s_nop 0
	v_cndmask_b32_e64 v7, v11, v7, s[2:3]
	v_fma_f32 v11, -v8, v11, v9
	v_cmp_lt_f32_e64 s[2:3], 0, v11
	v_mul_f32_e32 v11, 0x4f800000, v6
	s_nop 0
	v_cndmask_b32_e64 v7, v7, v8, s[2:3]
	v_cmp_gt_f32_e64 s[2:3], s12, v6
	v_mul_f32_e32 v8, 0x37800000, v7
	v_cndmask_b32_e32 v7, v7, v8, vcc
	v_cndmask_b32_e64 v6, v6, v11, s[2:3]
	v_sqrt_f32_e32 v11, v6
	v_cmp_class_f32_e32 vcc, v9, v5
	s_nop 1
	v_cndmask_b32_e32 v15, v7, v9, vcc
	v_add_u32_e32 v7, -1, v11
	v_fma_f32 v8, -v7, v11, v6
	v_cmp_ge_f32_e32 vcc, 0, v8
	v_add_u32_e32 v8, 1, v11
	v_fma_f32 v9, -v8, v11, v6
	v_cndmask_b32_e32 v7, v11, v7, vcc
	v_cmp_lt_f32_e32 vcc, 0, v9
	s_nop 1
	v_cndmask_b32_e32 v7, v7, v8, vcc
	v_mul_f32_e32 v8, 0x37800000, v7
	v_cndmask_b32_e64 v7, v7, v8, s[2:3]
	v_cmp_class_f32_e32 vcc, v6, v5
	s_nop 1
	v_cndmask_b32_e32 v14, v7, v6, vcc
	scratch_store_dwordx4 off, v[12:15], off offset:32
	s_cbranch_scc1 .LBB290_29
; %bb.2:
	s_load_dwordx2 s[6:7], s[0:1], 0x20
	s_cmp_lt_u32 s33, 4
	v_mul_lo_u32 v4, v4, s33
	s_cbranch_scc1 .LBB290_21
; %bb.3:
	s_mov_b32 s9, 0
	s_and_b32 s10, s33, 0x7ffffffc
	v_ashrrev_i32_e32 v5, 31, v4
	v_mov_b32_e32 v1, 0
	s_mov_b32 s8, s9
	s_branch .LBB290_5
.LBB290_4:                              ;   in Loop: Header=BB290_5 Depth=1
	s_or_b64 exec, exec, s[12:13]
	s_add_i32 s8, s8, 4
	s_cmp_eq_u32 s8, s10
	s_cbranch_scc1 .LBB290_22
.LBB290_5:                              ; =>This Loop Header: Depth=1
                                        ;     Child Loop BB290_7 Depth 2
                                        ;     Child Loop BB290_11 Depth 2
	;; [unrolled: 1-line block ×4, first 2 shown]
	v_lshl_add_u64 v[6:7], s[8:9], 2, v[2:3]
	global_load_dword v11, v[6:7], off
	v_add_u32_e32 v8, s8, v4
	v_ashrrev_i32_e32 v9, 31, v8
	s_waitcnt lgkmcnt(0)
	v_lshl_add_u64 v[8:9], v[8:9], 2, s[6:7]
	v_mov_b32_e32 v12, 0
	s_mov_b64 s[12:13], 0
	s_mov_b32 s11, 0
	s_mov_b32 s16, 0
	s_branch .LBB290_7
.LBB290_6:                              ;   in Loop: Header=BB290_7 Depth=2
	s_or_b64 exec, exec, s[14:15]
	s_add_i32 s17, s16, 1
	s_cmp_gt_u32 s16, 10
	s_cselect_b64 s[2:3], -1, 0
	s_xor_b64 s[14:15], vcc, -1
	s_or_b64 s[2:3], s[14:15], s[2:3]
	s_add_i32 s11, s11, 32
	s_and_b64 s[2:3], exec, s[2:3]
	v_add_u32_e32 v12, 4, v12
	s_or_b64 s[12:13], s[2:3], s[12:13]
	s_mov_b32 s16, s17
	s_andn2_b64 exec, exec, s[12:13]
	s_cbranch_execz .LBB290_9
.LBB290_7:                              ;   Parent Loop BB290_5 Depth=1
                                        ; =>  This Inner Loop Header: Depth=2
	s_and_b32 s2, s16, 1
	s_and_b32 s3, s11, 0x1c0
	s_or_b32 s2, s2, s3
	v_or_b32_e32 v13, s2, v10
	s_waitcnt vmcnt(0)
	v_cmp_ne_u32_e32 vcc, v11, v13
	v_cmp_eq_u32_e64 s[2:3], v11, v13
	s_and_saveexec_b64 s[14:15], s[2:3]
	s_cbranch_execz .LBB290_6
; %bb.8:                                ;   in Loop: Header=BB290_7 Depth=2
	scratch_load_dword v13, v12, off
	s_waitcnt vmcnt(0)
	v_add_f32_e32 v1, v1, v13
	global_store_dword v[8:9], v11, off
	s_branch .LBB290_6
.LBB290_9:                              ;   in Loop: Header=BB290_5 Depth=1
	s_or_b64 exec, exec, s[12:13]
	global_load_dword v11, v[6:7], off offset:4
	s_ashr_i32 s3, s8, 31
	s_mov_b32 s2, s8
	v_lshl_add_u64 v[8:9], s[2:3], 0, v[4:5]
	v_lshl_add_u64 v[8:9], v[8:9], 2, s[6:7]
	v_mov_b32_e32 v12, 0
	s_mov_b32 s11, 0
	s_mov_b64 s[12:13], 0
	s_mov_b32 s16, 0
	s_branch .LBB290_11
.LBB290_10:                             ;   in Loop: Header=BB290_11 Depth=2
	s_or_b64 exec, exec, s[14:15]
	s_add_i32 s17, s16, 1
	s_cmp_gt_u32 s16, 10
	s_cselect_b64 s[2:3], -1, 0
	s_xor_b64 s[14:15], vcc, -1
	s_or_b64 s[2:3], s[14:15], s[2:3]
	s_add_i32 s11, s11, 32
	s_and_b64 s[2:3], exec, s[2:3]
	v_add_u32_e32 v12, 4, v12
	s_or_b64 s[12:13], s[2:3], s[12:13]
	s_mov_b32 s16, s17
	s_andn2_b64 exec, exec, s[12:13]
	s_cbranch_execz .LBB290_13
.LBB290_11:                             ;   Parent Loop BB290_5 Depth=1
                                        ; =>  This Inner Loop Header: Depth=2
	s_and_b32 s2, s16, 1
	s_and_b32 s3, s11, 0x1c0
	s_or_b32 s2, s2, s3
	v_or_b32_e32 v13, s2, v10
	s_waitcnt vmcnt(0)
	v_cmp_ne_u32_e32 vcc, v11, v13
	v_cmp_eq_u32_e64 s[2:3], v11, v13
	s_and_saveexec_b64 s[14:15], s[2:3]
	s_cbranch_execz .LBB290_10
; %bb.12:                               ;   in Loop: Header=BB290_11 Depth=2
	scratch_load_dword v13, v12, off
	s_waitcnt vmcnt(0)
	v_add_f32_e32 v1, v1, v13
	global_store_dword v[8:9], v11, off offset:4
	s_branch .LBB290_10
.LBB290_13:                             ;   in Loop: Header=BB290_5 Depth=1
	s_or_b64 exec, exec, s[12:13]
	global_load_dword v11, v[6:7], off offset:8
	v_mov_b32_e32 v12, 0
	s_mov_b32 s11, 0
	s_mov_b64 s[12:13], 0
	s_mov_b32 s16, 0
	s_branch .LBB290_15
.LBB290_14:                             ;   in Loop: Header=BB290_15 Depth=2
	s_or_b64 exec, exec, s[14:15]
	s_add_i32 s17, s16, 1
	s_cmp_gt_u32 s16, 10
	s_cselect_b64 s[2:3], -1, 0
	s_xor_b64 s[14:15], vcc, -1
	s_or_b64 s[2:3], s[14:15], s[2:3]
	s_add_i32 s11, s11, 32
	s_and_b64 s[2:3], exec, s[2:3]
	v_add_u32_e32 v12, 4, v12
	s_or_b64 s[12:13], s[2:3], s[12:13]
	s_mov_b32 s16, s17
	s_andn2_b64 exec, exec, s[12:13]
	s_cbranch_execz .LBB290_17
.LBB290_15:                             ;   Parent Loop BB290_5 Depth=1
                                        ; =>  This Inner Loop Header: Depth=2
	s_and_b32 s2, s16, 1
	s_and_b32 s3, s11, 0x1c0
	s_or_b32 s2, s2, s3
	v_or_b32_e32 v13, s2, v10
	s_waitcnt vmcnt(0)
	v_cmp_ne_u32_e32 vcc, v11, v13
	v_cmp_eq_u32_e64 s[2:3], v11, v13
	s_and_saveexec_b64 s[14:15], s[2:3]
	s_cbranch_execz .LBB290_14
; %bb.16:                               ;   in Loop: Header=BB290_15 Depth=2
	scratch_load_dword v13, v12, off
	s_waitcnt vmcnt(0)
	v_add_f32_e32 v1, v1, v13
	global_store_dword v[8:9], v11, off offset:8
	s_branch .LBB290_14
.LBB290_17:                             ;   in Loop: Header=BB290_5 Depth=1
	s_or_b64 exec, exec, s[12:13]
	global_load_dword v6, v[6:7], off offset:12
	v_mov_b32_e32 v7, 0
	s_mov_b32 s11, 0
	s_mov_b64 s[12:13], 0
	s_mov_b32 s16, 0
	s_branch .LBB290_19
.LBB290_18:                             ;   in Loop: Header=BB290_19 Depth=2
	s_or_b64 exec, exec, s[14:15]
	s_add_i32 s17, s16, 1
	s_cmp_gt_u32 s16, 10
	s_cselect_b64 s[2:3], -1, 0
	s_xor_b64 s[14:15], vcc, -1
	s_or_b64 s[2:3], s[14:15], s[2:3]
	s_add_i32 s11, s11, 32
	s_and_b64 s[2:3], exec, s[2:3]
	v_add_u32_e32 v7, 4, v7
	s_or_b64 s[12:13], s[2:3], s[12:13]
	s_mov_b32 s16, s17
	s_andn2_b64 exec, exec, s[12:13]
	s_cbranch_execz .LBB290_4
.LBB290_19:                             ;   Parent Loop BB290_5 Depth=1
                                        ; =>  This Inner Loop Header: Depth=2
	s_and_b32 s2, s16, 1
	s_and_b32 s3, s11, 0x1c0
	s_or_b32 s2, s2, s3
	v_or_b32_e32 v11, s2, v10
	s_waitcnt vmcnt(0)
	v_cmp_ne_u32_e32 vcc, v6, v11
	v_cmp_eq_u32_e64 s[2:3], v6, v11
	s_and_saveexec_b64 s[14:15], s[2:3]
	s_cbranch_execz .LBB290_18
; %bb.20:                               ;   in Loop: Header=BB290_19 Depth=2
	scratch_load_dword v11, v7, off
	s_waitcnt vmcnt(0)
	v_add_f32_e32 v1, v1, v11
	global_store_dword v[8:9], v6, off offset:12
	s_branch .LBB290_18
.LBB290_21:
	v_mov_b32_e32 v1, 0
.LBB290_22:
	s_and_b32 s14, s33, 3
	s_cmp_eq_u32 s14, 0
	s_mov_b32 s11, 0
	s_cbranch_scc1 .LBB290_29
; %bb.23:
	s_mov_b32 s15, s11
	s_branch .LBB290_25
.LBB290_24:                             ;   in Loop: Header=BB290_25 Depth=1
	s_or_b64 exec, exec, s[8:9]
	s_add_i32 s10, s10, 1
	s_add_i32 s15, s15, 1
	s_cmp_lg_u32 s15, s14
	s_cbranch_scc0 .LBB290_29
.LBB290_25:                             ; =>This Loop Header: Depth=1
                                        ;     Child Loop BB290_27 Depth 2
	v_lshl_add_u64 v[6:7], s[10:11], 2, v[2:3]
	global_load_dword v5, v[6:7], off
	v_add_u32_e32 v6, s10, v4
	v_ashrrev_i32_e32 v7, 31, v6
	s_waitcnt lgkmcnt(0)
	v_lshl_add_u64 v[6:7], v[6:7], 2, s[6:7]
	v_mov_b32_e32 v8, 0
	s_mov_b32 s16, 0
	s_mov_b64 s[8:9], 0
	s_mov_b32 s17, 0
	s_branch .LBB290_27
.LBB290_26:                             ;   in Loop: Header=BB290_27 Depth=2
	s_or_b64 exec, exec, s[12:13]
	s_add_i32 s18, s17, 1
	s_cmp_gt_u32 s17, 10
	s_cselect_b64 s[2:3], -1, 0
	s_xor_b64 s[12:13], vcc, -1
	s_or_b64 s[2:3], s[12:13], s[2:3]
	s_add_i32 s16, s16, 32
	s_and_b64 s[2:3], exec, s[2:3]
	v_add_u32_e32 v8, 4, v8
	s_or_b64 s[8:9], s[2:3], s[8:9]
	s_mov_b32 s17, s18
	s_andn2_b64 exec, exec, s[8:9]
	s_cbranch_execz .LBB290_24
.LBB290_27:                             ;   Parent Loop BB290_25 Depth=1
                                        ; =>  This Inner Loop Header: Depth=2
	s_and_b32 s2, s17, 1
	s_and_b32 s3, s16, 0x1c0
	s_or_b32 s2, s2, s3
	v_or_b32_e32 v9, s2, v10
	s_waitcnt vmcnt(0)
	v_cmp_ne_u32_e32 vcc, v5, v9
	v_cmp_eq_u32_e64 s[2:3], v5, v9
	s_and_saveexec_b64 s[12:13], s[2:3]
	s_cbranch_execz .LBB290_26
; %bb.28:                               ;   in Loop: Header=BB290_27 Depth=2
	scratch_load_dword v9, v8, off
	s_waitcnt vmcnt(0)
	v_add_f32_e32 v1, v1, v9
	global_store_dword v[6:7], v5, off
	s_branch .LBB290_26
.LBB290_29:
	s_waitcnt lgkmcnt(0)
	s_load_dword s6, s[0:1], 0x3c
	s_waitcnt lgkmcnt(0)
	s_bitcmp1_b32 s6, 0
	s_cselect_b64 s[2:3], -1, 0
	s_bitcmp0_b32 s6, 0
	s_cbranch_scc0 .LBB290_32
; %bb.30:
	s_load_dwordx2 s[6:7], s[0:1], 0x40
	s_andn2_b64 vcc, exec, s[2:3]
	s_waitcnt lgkmcnt(0)
	v_cvt_f32_f64_e32 v4, s[6:7]
	s_cbranch_vccz .LBB290_33
.LBB290_31:
	s_andn2_b64 vcc, exec, s[4:5]
	s_cbranch_vccz .LBB290_34
	s_branch .LBB290_60
.LBB290_32:
	v_mbcnt_lo_u32_b32 v4, -1, 0
	v_mbcnt_hi_u32_b32 v4, -1, v4
	v_and_b32_e32 v5, 0x60, v4
	v_add_u32_e32 v5, 32, v5
	v_xor_b32_e32 v6, 16, v4
	v_cmp_lt_i32_e32 vcc, v6, v5
	v_xor_b32_e32 v7, 8, v4
	s_nop 0
	v_cndmask_b32_e32 v6, v4, v6, vcc
	v_lshlrev_b32_e32 v6, 2, v6
	ds_bpermute_b32 v6, v6, v1
	v_cmp_lt_i32_e32 vcc, v7, v5
	s_waitcnt lgkmcnt(0)
	v_add_f32_e32 v1, v1, v6
	v_cndmask_b32_e32 v6, v4, v7, vcc
	v_lshlrev_b32_e32 v6, 2, v6
	ds_bpermute_b32 v6, v6, v1
	v_xor_b32_e32 v7, 4, v4
	v_cmp_lt_i32_e32 vcc, v7, v5
	s_waitcnt lgkmcnt(0)
	v_add_f32_e32 v1, v1, v6
	v_cndmask_b32_e32 v6, v4, v7, vcc
	v_lshlrev_b32_e32 v6, 2, v6
	ds_bpermute_b32 v6, v6, v1
	v_xor_b32_e32 v7, 2, v4
	;; [unrolled: 7-line block ×3, first 2 shown]
	v_cmp_lt_i32_e32 vcc, v7, v5
	s_waitcnt lgkmcnt(0)
	v_add_f32_e32 v1, v1, v6
	v_cndmask_b32_e32 v4, v4, v7, vcc
	v_lshlrev_b32_e32 v4, 2, v4
	ds_bpermute_b32 v4, v4, v1
	s_waitcnt lgkmcnt(0)
	v_add_f32_e32 v1, v1, v4
	s_load_dwordx2 s[6:7], s[0:1], 0x40
	s_andn2_b64 vcc, exec, s[2:3]
	s_waitcnt lgkmcnt(0)
	v_cvt_f32_f64_e32 v4, s[6:7]
	s_cbranch_vccnz .LBB290_31
.LBB290_33:
	v_cmp_lt_f32_e32 vcc, 0, v1
	s_nop 1
	v_cndmask_b32_e32 v1, 1.0, v1, vcc
	v_div_scale_f32 v5, s[2:3], v1, v1, v4
	v_rcp_f32_e32 v6, v5
	s_nop 0
	v_fma_f32 v7, -v5, v6, 1.0
	v_fmac_f32_e32 v6, v7, v6
	v_div_scale_f32 v7, vcc, v4, v1, v4
	v_mul_f32_e32 v8, v7, v6
	v_fma_f32 v9, -v5, v8, v7
	v_fmac_f32_e32 v8, v9, v6
	v_fma_f32 v5, -v5, v8, v7
	v_div_fmas_f32 v5, v5, v6, v8
	v_div_fixup_f32 v4, v5, v1, v4
	s_andn2_b64 vcc, exec, s[4:5]
	s_cbranch_vccnz .LBB290_60
.LBB290_34:
	s_load_dwordx2 s[20:21], s[0:1], 0x10
	v_mov_b32_e32 v1, 0
	v_or_b32_e32 v5, 4, v1
	v_or_b32_e32 v6, 8, v1
	;; [unrolled: 1-line block ×3, first 2 shown]
	v_add_u32_e32 v8, 16, v1
	v_add_u32_e32 v9, 20, v1
	;; [unrolled: 1-line block ×8, first 2 shown]
	v_or_b32_e32 v17, 1, v10
	v_or_b32_e32 v18, 64, v10
	;; [unrolled: 1-line block ×11, first 2 shown]
	s_branch .LBB290_36
.LBB290_35:                             ;   in Loop: Header=BB290_36 Depth=1
	s_or_b64 exec, exec, s[0:1]
	s_add_i32 s33, s33, -1
	v_add_u32_e32 v0, 1, v0
	s_cmp_eq_u32 s33, 0
	v_lshl_add_u64 v[2:3], v[2:3], 0, 4
	s_cbranch_scc1 .LBB290_60
.LBB290_36:                             ; =>This Inner Loop Header: Depth=1
	global_load_dword v28, v[2:3], off
	v_mov_b32_e32 v1, 0
	s_waitcnt vmcnt(0)
	v_cmp_eq_u32_e32 vcc, v28, v10
	v_cmp_ne_u32_e64 s[0:1], v28, v10
	s_and_saveexec_b64 s[22:23], s[0:1]
	s_cbranch_execz .LBB290_58
; %bb.37:                               ;   in Loop: Header=BB290_36 Depth=1
	v_cmp_eq_u32_e64 s[0:1], v28, v17
	v_cmp_ne_u32_e64 s[2:3], v28, v17
	v_mov_b32_e32 v1, v5
	s_and_saveexec_b64 s[24:25], s[2:3]
	s_cbranch_execz .LBB290_57
; %bb.38:                               ;   in Loop: Header=BB290_36 Depth=1
	v_cmp_eq_u32_e64 s[2:3], v28, v18
	v_cmp_ne_u32_e64 s[4:5], v28, v18
	v_mov_b32_e32 v1, v6
	;; [unrolled: 6-line block ×10, first 2 shown]
	s_and_saveexec_b64 s[46:47], s[18:19]
	s_xor_b64 s[46:47], exec, s[46:47]
; %bb.47:                               ;   in Loop: Header=BB290_36 Depth=1
	v_cmp_eq_u32_e64 s[18:19], v28, v27
	s_andn2_b64 s[44:45], s[44:45], exec
	s_and_b64 s[18:19], s[18:19], exec
	s_or_b64 s[44:45], s[44:45], s[18:19]
	v_mov_b32_e32 v1, v16
; %bb.48:                               ;   in Loop: Header=BB290_36 Depth=1
	s_or_b64 exec, exec, s[46:47]
	s_andn2_b64 s[16:17], s[16:17], exec
	s_and_b64 s[18:19], s[44:45], exec
	s_or_b64 s[16:17], s[16:17], s[18:19]
.LBB290_49:                             ;   in Loop: Header=BB290_36 Depth=1
	s_or_b64 exec, exec, s[42:43]
	s_andn2_b64 s[14:15], s[14:15], exec
	s_and_b64 s[16:17], s[16:17], exec
	s_or_b64 s[14:15], s[14:15], s[16:17]
.LBB290_50:                             ;   in Loop: Header=BB290_36 Depth=1
	s_or_b64 exec, exec, s[40:41]
	s_andn2_b64 s[12:13], s[12:13], exec
	s_and_b64 s[14:15], s[14:15], exec
	s_or_b64 s[12:13], s[12:13], s[14:15]
.LBB290_51:                             ;   in Loop: Header=BB290_36 Depth=1
	s_or_b64 exec, exec, s[38:39]
	s_andn2_b64 s[10:11], s[10:11], exec
	s_and_b64 s[12:13], s[12:13], exec
	s_or_b64 s[10:11], s[10:11], s[12:13]
.LBB290_52:                             ;   in Loop: Header=BB290_36 Depth=1
	s_or_b64 exec, exec, s[36:37]
	s_andn2_b64 s[8:9], s[8:9], exec
	s_and_b64 s[10:11], s[10:11], exec
	s_or_b64 s[8:9], s[8:9], s[10:11]
.LBB290_53:                             ;   in Loop: Header=BB290_36 Depth=1
	s_or_b64 exec, exec, s[34:35]
	s_andn2_b64 s[6:7], s[6:7], exec
	s_and_b64 s[8:9], s[8:9], exec
	s_or_b64 s[6:7], s[6:7], s[8:9]
.LBB290_54:                             ;   in Loop: Header=BB290_36 Depth=1
	s_or_b64 exec, exec, s[30:31]
	s_andn2_b64 s[4:5], s[4:5], exec
	s_and_b64 s[6:7], s[6:7], exec
	s_or_b64 s[4:5], s[4:5], s[6:7]
.LBB290_55:                             ;   in Loop: Header=BB290_36 Depth=1
	s_or_b64 exec, exec, s[28:29]
	s_andn2_b64 s[2:3], s[2:3], exec
	s_and_b64 s[4:5], s[4:5], exec
	s_or_b64 s[2:3], s[2:3], s[4:5]
.LBB290_56:                             ;   in Loop: Header=BB290_36 Depth=1
	s_or_b64 exec, exec, s[26:27]
	s_andn2_b64 s[0:1], s[0:1], exec
	s_and_b64 s[2:3], s[2:3], exec
	s_or_b64 s[0:1], s[0:1], s[2:3]
.LBB290_57:                             ;   in Loop: Header=BB290_36 Depth=1
	s_or_b64 exec, exec, s[24:25]
	s_andn2_b64 s[2:3], vcc, exec
	s_and_b64 s[0:1], s[0:1], exec
	s_or_b64 vcc, s[2:3], s[0:1]
.LBB290_58:                             ;   in Loop: Header=BB290_36 Depth=1
	s_or_b64 exec, exec, s[22:23]
	s_and_saveexec_b64 s[0:1], vcc
	s_cbranch_execz .LBB290_35
; %bb.59:                               ;   in Loop: Header=BB290_36 Depth=1
	scratch_load_dword v28, v1, off
	v_ashrrev_i32_e32 v1, 31, v0
	s_waitcnt vmcnt(0)
	v_mul_f32_e32 v30, v4, v28
	s_waitcnt lgkmcnt(0)
	v_lshl_add_u64 v[28:29], v[0:1], 2, s[20:21]
	global_store_dword v[28:29], v30, off
	s_branch .LBB290_35
.LBB290_60:
	s_endpgm
	.section	.rodata,"a",@progbits
	.p2align	6, 0x0
	.amdhsa_kernel _ZN4vllm3moe22topkGatingSoftplusSqrtILi12ELi384ELi4ELi4ELi32ELb1Ej6__halfEEvPKT6_PKbPfiPT5_PiiiibdPKfPKS9_SF_
		.amdhsa_group_segment_fixed_size 0
		.amdhsa_private_segment_fixed_size 64
		.amdhsa_kernarg_size 96
		.amdhsa_user_sgpr_count 2
		.amdhsa_user_sgpr_dispatch_ptr 0
		.amdhsa_user_sgpr_queue_ptr 0
		.amdhsa_user_sgpr_kernarg_segment_ptr 1
		.amdhsa_user_sgpr_dispatch_id 0
		.amdhsa_user_sgpr_kernarg_preload_length 0
		.amdhsa_user_sgpr_kernarg_preload_offset 0
		.amdhsa_user_sgpr_private_segment_size 0
		.amdhsa_uses_dynamic_stack 0
		.amdhsa_enable_private_segment 1
		.amdhsa_system_sgpr_workgroup_id_x 1
		.amdhsa_system_sgpr_workgroup_id_y 0
		.amdhsa_system_sgpr_workgroup_id_z 0
		.amdhsa_system_sgpr_workgroup_info 0
		.amdhsa_system_vgpr_workitem_id 1
		.amdhsa_next_free_vgpr 31
		.amdhsa_next_free_sgpr 48
		.amdhsa_accum_offset 32
		.amdhsa_reserve_vcc 1
		.amdhsa_float_round_mode_32 0
		.amdhsa_float_round_mode_16_64 0
		.amdhsa_float_denorm_mode_32 3
		.amdhsa_float_denorm_mode_16_64 3
		.amdhsa_dx10_clamp 1
		.amdhsa_ieee_mode 1
		.amdhsa_fp16_overflow 0
		.amdhsa_tg_split 0
		.amdhsa_exception_fp_ieee_invalid_op 0
		.amdhsa_exception_fp_denorm_src 0
		.amdhsa_exception_fp_ieee_div_zero 0
		.amdhsa_exception_fp_ieee_overflow 0
		.amdhsa_exception_fp_ieee_underflow 0
		.amdhsa_exception_fp_ieee_inexact 0
		.amdhsa_exception_int_div_zero 0
	.end_amdhsa_kernel
	.section	.text._ZN4vllm3moe22topkGatingSoftplusSqrtILi12ELi384ELi4ELi4ELi32ELb1Ej6__halfEEvPKT6_PKbPfiPT5_PiiiibdPKfPKS9_SF_,"axG",@progbits,_ZN4vllm3moe22topkGatingSoftplusSqrtILi12ELi384ELi4ELi4ELi32ELb1Ej6__halfEEvPKT6_PKbPfiPT5_PiiiibdPKfPKS9_SF_,comdat
.Lfunc_end290:
	.size	_ZN4vllm3moe22topkGatingSoftplusSqrtILi12ELi384ELi4ELi4ELi32ELb1Ej6__halfEEvPKT6_PKbPfiPT5_PiiiibdPKfPKS9_SF_, .Lfunc_end290-_ZN4vllm3moe22topkGatingSoftplusSqrtILi12ELi384ELi4ELi4ELi32ELb1Ej6__halfEEvPKT6_PKbPfiPT5_PiiiibdPKfPKS9_SF_
                                        ; -- End function
	.section	.AMDGPU.csdata,"",@progbits
; Kernel info:
; codeLenInByte = 5056
; NumSgprs: 54
; NumVgprs: 31
; NumAgprs: 0
; TotalNumVgprs: 31
; ScratchSize: 64
; MemoryBound: 0
; FloatMode: 240
; IeeeMode: 1
; LDSByteSize: 0 bytes/workgroup (compile time only)
; SGPRBlocks: 6
; VGPRBlocks: 3
; NumSGPRsForWavesPerEU: 54
; NumVGPRsForWavesPerEU: 31
; AccumOffset: 32
; Occupancy: 8
; WaveLimiterHint : 1
; COMPUTE_PGM_RSRC2:SCRATCH_EN: 1
; COMPUTE_PGM_RSRC2:USER_SGPR: 2
; COMPUTE_PGM_RSRC2:TRAP_HANDLER: 0
; COMPUTE_PGM_RSRC2:TGID_X_EN: 1
; COMPUTE_PGM_RSRC2:TGID_Y_EN: 0
; COMPUTE_PGM_RSRC2:TGID_Z_EN: 0
; COMPUTE_PGM_RSRC2:TIDIG_COMP_CNT: 1
; COMPUTE_PGM_RSRC3_GFX90A:ACCUM_OFFSET: 7
; COMPUTE_PGM_RSRC3_GFX90A:TG_SPLIT: 0
	.section	.text._ZN4vllm3moe22topkGatingSoftplusSqrtILi12ELi384ELi4ELi4ELi32ELb0Ej6__halfEEvPKT6_PKbPfiPT5_PiiiibdPKfPKS9_SF_,"axG",@progbits,_ZN4vllm3moe22topkGatingSoftplusSqrtILi12ELi384ELi4ELi4ELi32ELb0Ej6__halfEEvPKT6_PKbPfiPT5_PiiiibdPKfPKS9_SF_,comdat
	.protected	_ZN4vllm3moe22topkGatingSoftplusSqrtILi12ELi384ELi4ELi4ELi32ELb0Ej6__halfEEvPKT6_PKbPfiPT5_PiiiibdPKfPKS9_SF_ ; -- Begin function _ZN4vllm3moe22topkGatingSoftplusSqrtILi12ELi384ELi4ELi4ELi32ELb0Ej6__halfEEvPKT6_PKbPfiPT5_PiiiibdPKfPKS9_SF_
	.globl	_ZN4vllm3moe22topkGatingSoftplusSqrtILi12ELi384ELi4ELi4ELi32ELb0Ej6__halfEEvPKT6_PKbPfiPT5_PiiiibdPKfPKS9_SF_
	.p2align	8
	.type	_ZN4vllm3moe22topkGatingSoftplusSqrtILi12ELi384ELi4ELi4ELi32ELb0Ej6__halfEEvPKT6_PKbPfiPT5_PiiiibdPKfPKS9_SF_,@function
_ZN4vllm3moe22topkGatingSoftplusSqrtILi12ELi384ELi4ELi4ELi32ELb0Ej6__halfEEvPKT6_PKbPfiPT5_PiiiibdPKfPKS9_SF_: ; @_ZN4vllm3moe22topkGatingSoftplusSqrtILi12ELi384ELi4ELi4ELi32ELb0Ej6__halfEEvPKT6_PKbPfiPT5_PiiiibdPKfPKS9_SF_
; %bb.0:
	s_load_dword s33, s[0:1], 0x18
	v_and_b32_e32 v1, 0x3ff, v0
	s_lshl_b32 s2, s2, 2
	v_lshrrev_b32_e32 v2, 5, v1
	v_bfe_u32 v0, v0, 10, 10
	v_add3_u32 v12, s2, v0, v2
	s_waitcnt lgkmcnt(0)
	v_cmp_gt_i32_e32 vcc, s33, v12
	s_and_saveexec_b64 s[2:3], vcc
	s_cbranch_execz .LBB291_73
; %bb.1:
	s_load_dwordx4 s[4:7], s[0:1], 0x0
	s_load_dwordx2 s[34:35], s[0:1], 0x10
	s_waitcnt lgkmcnt(0)
	s_cmp_eq_u64 s[6:7], 0
	s_cbranch_scc1 .LBB291_3
; %bb.2:
	v_ashrrev_i32_e32 v13, 31, v12
	v_lshl_add_u64 v[2:3], s[6:7], 0, v[12:13]
	global_load_ubyte v0, v[2:3], off
	s_waitcnt vmcnt(0)
	v_and_b32_e32 v0, 1, v0
	v_cmp_eq_u32_e32 vcc, 1, v0
	s_xor_b64 s[2:3], vcc, -1
	s_orn2_b64 s[44:45], s[2:3], exec
	s_branch .LBB291_4
.LBB291_3:
	s_mov_b64 s[44:45], -1
.LBB291_4:
	s_movk_i32 s2, 0x180
	v_mul_lo_u32 v4, v12, s2
	v_mov_b32_e32 v2, s4
	v_mov_b32_e32 v3, s5
	v_ashrrev_i32_e32 v5, 31, v4
	v_and_b32_e32 v13, 31, v1
	v_lshl_add_u64 v[2:3], v[4:5], 1, v[2:3]
	v_mov_b32_e32 v1, 0
	v_lshlrev_b32_e32 v0, 2, v13
	v_lshl_add_u64 v[14:15], v[2:3], 0, v[0:1]
	global_load_dword v1, v[14:15], off
	global_load_dword v3, v[14:15], off offset:128
	global_load_dword v5, v[14:15], off offset:256
	;; [unrolled: 1-line block ×5, first 2 shown]
	s_mov_b32 s12, 0x800000
	v_mov_b32_e32 v4, 0x4f800000
	s_mov_b32 s9, 0x3f317217
	s_mov_b32 s10, 0x7f800000
	v_mov_b32_e32 v6, 0x41b17218
	s_movk_i32 s8, 0x4d00
	s_mov_b32 s11, 0xf800000
	s_load_dwordx4 s[28:31], s[0:1], 0x40
	v_lshlrev_b32_e32 v16, 1, v13
	v_lshlrev_b32_e32 v14, 2, v16
	s_waitcnt lgkmcnt(0)
	s_cmp_lg_u64 s[30:31], 0
	s_cselect_b64 s[6:7], -1, 0
	s_and_b64 s[2:3], exec, s[6:7]
	s_waitcnt vmcnt(5)
	v_cvt_f32_f16_e32 v0, v1
	v_mul_f32_e32 v2, 0x3fb8aa3b, v0
	v_exp_f32_e32 v8, v2
	v_mov_b32_e32 v2, 0x260
	v_add_f32_e32 v8, 1.0, v8
	v_cmp_gt_f32_e32 vcc, s12, v8
	s_nop 1
	v_cndmask_b32_e32 v10, 1.0, v4, vcc
	v_mul_f32_e32 v8, v8, v10
	v_log_f32_e32 v8, v8
	v_cndmask_b32_e32 v10, 0, v6, vcc
	v_mul_f32_e32 v15, 0x3f317217, v8
	v_fma_f32 v15, v8, s9, -v15
	v_fmac_f32_e32 v15, 0x3377d1cf, v8
	v_fmac_f32_e32 v15, 0x3f317217, v8
	v_cmp_lt_f32_e64 vcc, |v8|, s10
	s_nop 1
	v_cndmask_b32_e32 v8, v8, v15, vcc
	v_sub_f32_e32 v8, v8, v10
	v_cmp_lt_f16_e32 vcc, s8, v1
	s_nop 1
	v_cndmask_b32_e32 v0, v8, v0, vcc
	v_mul_f32_e32 v8, 0x4f800000, v0
	v_cmp_gt_f32_e32 vcc, s11, v0
	s_nop 1
	v_cndmask_b32_e32 v0, v0, v8, vcc
	v_sqrt_f32_e32 v8, v0
	s_nop 0
	v_add_u32_e32 v10, -1, v8
	v_add_u32_e32 v15, 1, v8
	v_fma_f32 v17, -v10, v8, v0
	v_fma_f32 v18, -v15, v8, v0
	v_cmp_ge_f32_e64 s[4:5], 0, v17
	s_nop 1
	v_cndmask_b32_e64 v8, v8, v10, s[4:5]
	v_cmp_lt_f32_e64 s[4:5], 0, v18
	s_nop 1
	v_cndmask_b32_e64 v8, v8, v15, s[4:5]
	v_mul_f32_e32 v10, 0x37800000, v8
	v_cndmask_b32_e32 v8, v8, v10, vcc
	v_cmp_class_f32_e32 vcc, v0, v2
	s_nop 1
	v_cndmask_b32_e32 v0, v8, v0, vcc
	s_mov_b64 vcc, s[2:3]
	s_cbranch_vccz .LBB291_6
; %bb.5:
	global_load_dword v8, v14, s[30:31]
	s_waitcnt vmcnt(0)
	v_add_f32_e32 v0, v0, v8
.LBB291_6:
	v_cvt_f32_f16_sdwa v8, v1 dst_sel:DWORD dst_unused:UNUSED_PAD src0_sel:WORD_1
	v_mul_f32_e32 v10, 0x3fb8aa3b, v8
	v_exp_f32_e32 v10, v10
	s_nop 0
	v_add_f32_e32 v10, 1.0, v10
	v_cmp_gt_f32_e32 vcc, s12, v10
	s_nop 1
	v_cndmask_b32_e32 v4, 1.0, v4, vcc
	v_mul_f32_e32 v4, v10, v4
	v_log_f32_e32 v4, v4
	v_cndmask_b32_e32 v6, 0, v6, vcc
	v_mul_f32_e32 v10, 0x3f317217, v4
	v_fma_f32 v10, v4, s9, -v10
	v_fmac_f32_e32 v10, 0x3377d1cf, v4
	v_fmac_f32_e32 v10, 0x3f317217, v4
	v_cmp_lt_f32_e64 vcc, |v4|, s10
	s_nop 1
	v_cndmask_b32_e32 v4, v4, v10, vcc
	v_sub_f32_e32 v4, v4, v6
	v_cmp_gt_f16_sdwa vcc, v1, s8 src0_sel:WORD_1 src1_sel:DWORD
	v_cndmask_b32_e64 v6, 0, 1, s[6:7]
	v_cmp_ne_u32_e64 s[2:3], 1, v6
	v_cndmask_b32_e32 v1, v4, v8, vcc
	v_mul_f32_e32 v4, 0x4f800000, v1
	v_cmp_gt_f32_e64 s[4:5], s11, v1
	s_andn2_b64 vcc, exec, s[6:7]
	s_nop 0
	v_cndmask_b32_e64 v1, v1, v4, s[4:5]
	v_sqrt_f32_e32 v4, v1
	s_nop 0
	v_add_u32_e32 v6, -1, v4
	v_add_u32_e32 v8, 1, v4
	v_fma_f32 v10, -v6, v4, v1
	v_fma_f32 v15, -v8, v4, v1
	v_cmp_ge_f32_e64 s[6:7], 0, v10
	s_nop 1
	v_cndmask_b32_e64 v4, v4, v6, s[6:7]
	v_cmp_lt_f32_e64 s[6:7], 0, v15
	s_nop 1
	v_cndmask_b32_e64 v4, v4, v8, s[6:7]
	v_mul_f32_e32 v6, 0x37800000, v4
	v_cndmask_b32_e64 v4, v4, v6, s[4:5]
	v_cmp_class_f32_e64 s[4:5], v1, v2
	s_nop 1
	v_cndmask_b32_e64 v1, v4, v1, s[4:5]
	s_cbranch_vccnz .LBB291_8
; %bb.7:
	global_load_dword v2, v14, s[30:31] offset:4
	s_waitcnt vmcnt(0)
	v_add_f32_e32 v1, v1, v2
.LBB291_8:
	s_waitcnt vmcnt(4)
	v_cvt_f32_f16_e32 v2, v3
	s_mov_b32 s8, 0x800000
	v_mov_b32_e32 v6, 0x4f800000
	s_mov_b32 s7, 0x3f317217
	v_mul_f32_e32 v4, 0x3fb8aa3b, v2
	v_exp_f32_e32 v4, v4
	s_mov_b32 s9, 0x7f800000
	s_movk_i32 s6, 0x4d00
	s_mov_b32 s10, 0xf800000
	v_add_f32_e32 v4, 1.0, v4
	v_cmp_gt_f32_e32 vcc, s8, v4
	s_nop 1
	v_cndmask_b32_e32 v8, 1.0, v6, vcc
	v_mul_f32_e32 v4, v4, v8
	v_log_f32_e32 v4, v4
	v_mov_b32_e32 v8, 0x41b17218
	v_cndmask_b32_e32 v10, 0, v8, vcc
	v_mul_f32_e32 v15, 0x3f317217, v4
	v_fma_f32 v15, v4, s7, -v15
	v_fmac_f32_e32 v15, 0x3377d1cf, v4
	v_fmac_f32_e32 v15, 0x3f317217, v4
	v_cmp_lt_f32_e64 vcc, |v4|, s9
	s_nop 1
	v_cndmask_b32_e32 v4, v4, v15, vcc
	v_sub_f32_e32 v4, v4, v10
	v_cmp_lt_f16_e32 vcc, s6, v3
	s_nop 1
	v_cndmask_b32_e32 v2, v4, v2, vcc
	v_mul_f32_e32 v4, 0x4f800000, v2
	v_cmp_gt_f32_e32 vcc, s10, v2
	s_nop 1
	v_cndmask_b32_e32 v2, v2, v4, vcc
	v_sqrt_f32_e32 v4, v2
	s_nop 0
	v_add_u32_e32 v10, -1, v4
	v_fma_f32 v15, -v10, v4, v2
	v_cmp_ge_f32_e64 s[4:5], 0, v15
	v_add_u32_e32 v15, 1, v4
	s_nop 0
	v_cndmask_b32_e64 v10, v4, v10, s[4:5]
	v_fma_f32 v4, -v15, v4, v2
	v_cmp_lt_f32_e64 s[4:5], 0, v4
	s_nop 1
	v_cndmask_b32_e64 v4, v10, v15, s[4:5]
	v_mul_f32_e32 v10, 0x37800000, v4
	v_cndmask_b32_e32 v10, v4, v10, vcc
	v_mov_b32_e32 v4, 0x260
	v_cmp_class_f32_e64 s[4:5], v2, v4
	s_and_b64 vcc, exec, s[2:3]
	s_nop 0
	v_cndmask_b32_e64 v2, v10, v2, s[4:5]
	s_cbranch_vccnz .LBB291_10
; %bb.9:
	global_load_dword v10, v14, s[30:31] offset:256
	s_waitcnt vmcnt(0)
	v_add_f32_e32 v2, v2, v10
.LBB291_10:
	v_cvt_f32_f16_sdwa v10, v3 dst_sel:DWORD dst_unused:UNUSED_PAD src0_sel:WORD_1
	v_mul_f32_e32 v15, 0x3fb8aa3b, v10
	v_exp_f32_e32 v15, v15
	s_nop 0
	v_add_f32_e32 v15, 1.0, v15
	v_cmp_gt_f32_e32 vcc, s8, v15
	s_nop 1
	v_cndmask_b32_e32 v6, 1.0, v6, vcc
	v_mul_f32_e32 v6, v15, v6
	v_log_f32_e32 v6, v6
	v_cndmask_b32_e32 v8, 0, v8, vcc
	v_mul_f32_e32 v15, 0x3f317217, v6
	v_fma_f32 v15, v6, s7, -v15
	v_fmac_f32_e32 v15, 0x3377d1cf, v6
	v_fmac_f32_e32 v15, 0x3f317217, v6
	v_cmp_lt_f32_e64 vcc, |v6|, s9
	s_nop 1
	v_cndmask_b32_e32 v6, v6, v15, vcc
	v_sub_f32_e32 v6, v6, v8
	v_cmp_gt_f16_sdwa vcc, v3, s6 src0_sel:WORD_1 src1_sel:DWORD
	s_nop 1
	v_cndmask_b32_e32 v3, v6, v10, vcc
	v_mul_f32_e32 v6, 0x4f800000, v3
	v_cmp_gt_f32_e64 s[4:5], s10, v3
	s_and_b64 vcc, exec, s[2:3]
	s_nop 0
	v_cndmask_b32_e64 v3, v3, v6, s[4:5]
	v_sqrt_f32_e32 v6, v3
	s_nop 0
	v_add_u32_e32 v8, -1, v6
	v_add_u32_e32 v10, 1, v6
	v_fma_f32 v15, -v8, v6, v3
	v_fma_f32 v17, -v10, v6, v3
	v_cmp_ge_f32_e64 s[6:7], 0, v15
	s_nop 1
	v_cndmask_b32_e64 v6, v6, v8, s[6:7]
	v_cmp_lt_f32_e64 s[6:7], 0, v17
	s_nop 1
	v_cndmask_b32_e64 v6, v6, v10, s[6:7]
	v_mul_f32_e32 v8, 0x37800000, v6
	v_cndmask_b32_e64 v6, v6, v8, s[4:5]
	v_cmp_class_f32_e64 s[4:5], v3, v4
	s_nop 1
	v_cndmask_b32_e64 v3, v6, v3, s[4:5]
	s_cbranch_vccnz .LBB291_12
; %bb.11:
	global_load_dword v4, v14, s[30:31] offset:260
	s_waitcnt vmcnt(0)
	v_add_f32_e32 v3, v3, v4
.LBB291_12:
	s_waitcnt vmcnt(3)
	v_cvt_f32_f16_e32 v4, v5
	v_mov_b32_e32 v8, 0x4f800000
	s_mov_b32 s7, 0x3f317217
	s_movk_i32 s6, 0x4d00
	v_mul_f32_e32 v6, 0x3fb8aa3b, v4
	v_exp_f32_e32 v6, v6
	s_nop 0
	v_add_f32_e32 v6, 1.0, v6
	v_cmp_gt_f32_e32 vcc, s8, v6
	s_nop 1
	v_cndmask_b32_e32 v10, 1.0, v8, vcc
	v_mul_f32_e32 v6, v6, v10
	v_log_f32_e32 v6, v6
	v_mov_b32_e32 v10, 0x41b17218
	v_cndmask_b32_e32 v15, 0, v10, vcc
	v_mul_f32_e32 v17, 0x3f317217, v6
	v_fma_f32 v17, v6, s7, -v17
	v_fmac_f32_e32 v17, 0x3377d1cf, v6
	v_fmac_f32_e32 v17, 0x3f317217, v6
	v_cmp_lt_f32_e64 vcc, |v6|, s9
	s_nop 1
	v_cndmask_b32_e32 v6, v6, v17, vcc
	v_sub_f32_e32 v6, v6, v15
	v_cmp_lt_f16_e32 vcc, s6, v5
	s_nop 1
	v_cndmask_b32_e32 v4, v6, v4, vcc
	v_mul_f32_e32 v6, 0x4f800000, v4
	v_cmp_gt_f32_e32 vcc, s10, v4
	s_nop 1
	v_cndmask_b32_e32 v4, v4, v6, vcc
	v_sqrt_f32_e32 v6, v4
	s_nop 0
	v_add_u32_e32 v15, -1, v6
	v_fma_f32 v17, -v15, v6, v4
	v_cmp_ge_f32_e64 s[4:5], 0, v17
	v_add_u32_e32 v17, 1, v6
	s_nop 0
	v_cndmask_b32_e64 v15, v6, v15, s[4:5]
	v_fma_f32 v6, -v17, v6, v4
	v_cmp_lt_f32_e64 s[4:5], 0, v6
	s_nop 1
	v_cndmask_b32_e64 v6, v15, v17, s[4:5]
	v_mul_f32_e32 v15, 0x37800000, v6
	v_cndmask_b32_e32 v15, v6, v15, vcc
	v_mov_b32_e32 v6, 0x260
	v_cmp_class_f32_e64 s[4:5], v4, v6
	s_and_b64 vcc, exec, s[2:3]
	s_nop 0
	v_cndmask_b32_e64 v4, v15, v4, s[4:5]
	s_cbranch_vccnz .LBB291_14
; %bb.13:
	global_load_dword v15, v14, s[30:31] offset:512
	s_waitcnt vmcnt(0)
	v_add_f32_e32 v4, v4, v15
.LBB291_14:
	v_cvt_f32_f16_sdwa v15, v5 dst_sel:DWORD dst_unused:UNUSED_PAD src0_sel:WORD_1
	v_mul_f32_e32 v17, 0x3fb8aa3b, v15
	v_exp_f32_e32 v17, v17
	s_nop 0
	v_add_f32_e32 v17, 1.0, v17
	v_cmp_gt_f32_e32 vcc, s8, v17
	s_nop 1
	v_cndmask_b32_e32 v8, 1.0, v8, vcc
	v_mul_f32_e32 v8, v17, v8
	v_log_f32_e32 v8, v8
	v_cndmask_b32_e32 v10, 0, v10, vcc
	v_mul_f32_e32 v17, 0x3f317217, v8
	v_fma_f32 v17, v8, s7, -v17
	v_fmac_f32_e32 v17, 0x3377d1cf, v8
	v_fmac_f32_e32 v17, 0x3f317217, v8
	v_cmp_lt_f32_e64 vcc, |v8|, s9
	s_nop 1
	v_cndmask_b32_e32 v8, v8, v17, vcc
	v_sub_f32_e32 v8, v8, v10
	v_cmp_gt_f16_sdwa vcc, v5, s6 src0_sel:WORD_1 src1_sel:DWORD
	s_nop 1
	v_cndmask_b32_e32 v5, v8, v15, vcc
	v_mul_f32_e32 v8, 0x4f800000, v5
	v_cmp_gt_f32_e64 s[4:5], s10, v5
	s_and_b64 vcc, exec, s[2:3]
	s_nop 0
	v_cndmask_b32_e64 v5, v5, v8, s[4:5]
	v_sqrt_f32_e32 v8, v5
	s_nop 0
	v_add_u32_e32 v10, -1, v8
	v_add_u32_e32 v15, 1, v8
	v_fma_f32 v17, -v10, v8, v5
	v_fma_f32 v18, -v15, v8, v5
	v_cmp_ge_f32_e64 s[6:7], 0, v17
	s_nop 1
	v_cndmask_b32_e64 v8, v8, v10, s[6:7]
	v_cmp_lt_f32_e64 s[6:7], 0, v18
	s_nop 1
	v_cndmask_b32_e64 v8, v8, v15, s[6:7]
	v_mul_f32_e32 v10, 0x37800000, v8
	v_cndmask_b32_e64 v8, v8, v10, s[4:5]
	v_cmp_class_f32_e64 s[4:5], v5, v6
	s_nop 1
	v_cndmask_b32_e64 v5, v8, v5, s[4:5]
	s_cbranch_vccnz .LBB291_16
; %bb.15:
	global_load_dword v6, v14, s[30:31] offset:516
	s_waitcnt vmcnt(0)
	v_add_f32_e32 v5, v5, v6
.LBB291_16:
	s_waitcnt vmcnt(2)
	v_cvt_f32_f16_e32 v6, v7
	v_mov_b32_e32 v10, 0x4f800000
	s_mov_b32 s7, 0x3f317217
	s_movk_i32 s6, 0x4d00
	v_mul_f32_e32 v8, 0x3fb8aa3b, v6
	v_exp_f32_e32 v8, v8
	s_nop 0
	v_add_f32_e32 v8, 1.0, v8
	v_cmp_gt_f32_e32 vcc, s8, v8
	s_nop 1
	v_cndmask_b32_e32 v15, 1.0, v10, vcc
	v_mul_f32_e32 v8, v8, v15
	v_log_f32_e32 v8, v8
	v_mov_b32_e32 v15, 0x41b17218
	v_cndmask_b32_e32 v17, 0, v15, vcc
	v_mul_f32_e32 v18, 0x3f317217, v8
	v_fma_f32 v18, v8, s7, -v18
	v_fmac_f32_e32 v18, 0x3377d1cf, v8
	v_fmac_f32_e32 v18, 0x3f317217, v8
	v_cmp_lt_f32_e64 vcc, |v8|, s9
	s_nop 1
	v_cndmask_b32_e32 v8, v8, v18, vcc
	v_sub_f32_e32 v8, v8, v17
	v_cmp_lt_f16_e32 vcc, s6, v7
	s_nop 1
	v_cndmask_b32_e32 v6, v8, v6, vcc
	v_mul_f32_e32 v8, 0x4f800000, v6
	v_cmp_gt_f32_e32 vcc, s10, v6
	s_nop 1
	v_cndmask_b32_e32 v6, v6, v8, vcc
	v_sqrt_f32_e32 v8, v6
	s_nop 0
	v_add_u32_e32 v17, -1, v8
	v_fma_f32 v18, -v17, v8, v6
	v_cmp_ge_f32_e64 s[4:5], 0, v18
	v_add_u32_e32 v18, 1, v8
	s_nop 0
	v_cndmask_b32_e64 v17, v8, v17, s[4:5]
	v_fma_f32 v8, -v18, v8, v6
	v_cmp_lt_f32_e64 s[4:5], 0, v8
	s_nop 1
	v_cndmask_b32_e64 v8, v17, v18, s[4:5]
	v_mul_f32_e32 v17, 0x37800000, v8
	v_cndmask_b32_e32 v17, v8, v17, vcc
	v_mov_b32_e32 v8, 0x260
	v_cmp_class_f32_e64 s[4:5], v6, v8
	s_and_b64 vcc, exec, s[2:3]
	s_nop 0
	v_cndmask_b32_e64 v6, v17, v6, s[4:5]
	s_cbranch_vccnz .LBB291_18
; %bb.17:
	global_load_dword v17, v14, s[30:31] offset:768
	s_waitcnt vmcnt(0)
	v_add_f32_e32 v6, v6, v17
.LBB291_18:
	v_cvt_f32_f16_sdwa v17, v7 dst_sel:DWORD dst_unused:UNUSED_PAD src0_sel:WORD_1
	v_mul_f32_e32 v18, 0x3fb8aa3b, v17
	v_exp_f32_e32 v18, v18
	s_nop 0
	v_add_f32_e32 v18, 1.0, v18
	v_cmp_gt_f32_e32 vcc, s8, v18
	s_nop 1
	v_cndmask_b32_e32 v10, 1.0, v10, vcc
	v_mul_f32_e32 v10, v18, v10
	v_log_f32_e32 v10, v10
	v_cndmask_b32_e32 v15, 0, v15, vcc
	v_mul_f32_e32 v18, 0x3f317217, v10
	v_fma_f32 v18, v10, s7, -v18
	v_fmac_f32_e32 v18, 0x3377d1cf, v10
	v_fmac_f32_e32 v18, 0x3f317217, v10
	v_cmp_lt_f32_e64 vcc, |v10|, s9
	s_nop 1
	v_cndmask_b32_e32 v10, v10, v18, vcc
	v_sub_f32_e32 v10, v10, v15
	v_cmp_gt_f16_sdwa vcc, v7, s6 src0_sel:WORD_1 src1_sel:DWORD
	s_nop 1
	v_cndmask_b32_e32 v7, v10, v17, vcc
	v_mul_f32_e32 v10, 0x4f800000, v7
	v_cmp_gt_f32_e64 s[4:5], s10, v7
	s_and_b64 vcc, exec, s[2:3]
	s_nop 0
	v_cndmask_b32_e64 v7, v7, v10, s[4:5]
	v_sqrt_f32_e32 v10, v7
	s_nop 0
	v_add_u32_e32 v15, -1, v10
	v_add_u32_e32 v17, 1, v10
	v_fma_f32 v18, -v15, v10, v7
	v_fma_f32 v19, -v17, v10, v7
	v_cmp_ge_f32_e64 s[6:7], 0, v18
	s_nop 1
	v_cndmask_b32_e64 v10, v10, v15, s[6:7]
	v_cmp_lt_f32_e64 s[6:7], 0, v19
	s_nop 1
	v_cndmask_b32_e64 v10, v10, v17, s[6:7]
	v_mul_f32_e32 v15, 0x37800000, v10
	v_cndmask_b32_e64 v10, v10, v15, s[4:5]
	v_cmp_class_f32_e64 s[4:5], v7, v8
	s_nop 1
	v_cndmask_b32_e64 v7, v10, v7, s[4:5]
	s_cbranch_vccnz .LBB291_20
; %bb.19:
	global_load_dword v8, v14, s[30:31] offset:772
	s_waitcnt vmcnt(0)
	v_add_f32_e32 v7, v7, v8
.LBB291_20:
	s_waitcnt vmcnt(1)
	v_cvt_f32_f16_e32 v8, v9
	v_mov_b32_e32 v15, 0x4f800000
	s_mov_b32 s7, 0x3f317217
	s_movk_i32 s6, 0x4d00
	v_mul_f32_e32 v10, 0x3fb8aa3b, v8
	v_exp_f32_e32 v10, v10
	s_nop 0
	v_add_f32_e32 v10, 1.0, v10
	v_cmp_gt_f32_e32 vcc, s8, v10
	s_nop 1
	v_cndmask_b32_e32 v17, 1.0, v15, vcc
	v_mul_f32_e32 v10, v10, v17
	v_log_f32_e32 v10, v10
	v_mov_b32_e32 v17, 0x41b17218
	v_cndmask_b32_e32 v18, 0, v17, vcc
	v_mul_f32_e32 v19, 0x3f317217, v10
	v_fma_f32 v19, v10, s7, -v19
	v_fmac_f32_e32 v19, 0x3377d1cf, v10
	v_fmac_f32_e32 v19, 0x3f317217, v10
	v_cmp_lt_f32_e64 vcc, |v10|, s9
	s_nop 1
	v_cndmask_b32_e32 v10, v10, v19, vcc
	v_sub_f32_e32 v10, v10, v18
	v_cmp_lt_f16_e32 vcc, s6, v9
	s_nop 1
	v_cndmask_b32_e32 v8, v10, v8, vcc
	v_mul_f32_e32 v10, 0x4f800000, v8
	v_cmp_gt_f32_e32 vcc, s10, v8
	s_nop 1
	v_cndmask_b32_e32 v8, v8, v10, vcc
	v_sqrt_f32_e32 v10, v8
	s_nop 0
	v_add_u32_e32 v18, -1, v10
	v_fma_f32 v19, -v18, v10, v8
	v_cmp_ge_f32_e64 s[4:5], 0, v19
	v_add_u32_e32 v19, 1, v10
	s_nop 0
	v_cndmask_b32_e64 v18, v10, v18, s[4:5]
	v_fma_f32 v10, -v19, v10, v8
	v_cmp_lt_f32_e64 s[4:5], 0, v10
	s_nop 1
	v_cndmask_b32_e64 v10, v18, v19, s[4:5]
	v_mul_f32_e32 v18, 0x37800000, v10
	v_cndmask_b32_e32 v18, v10, v18, vcc
	v_mov_b32_e32 v10, 0x260
	v_cmp_class_f32_e64 s[4:5], v8, v10
	s_and_b64 vcc, exec, s[2:3]
	s_nop 0
	v_cndmask_b32_e64 v8, v18, v8, s[4:5]
	s_cbranch_vccnz .LBB291_22
; %bb.21:
	global_load_dword v18, v14, s[30:31] offset:1024
	s_waitcnt vmcnt(0)
	v_add_f32_e32 v8, v8, v18
.LBB291_22:
	v_cvt_f32_f16_sdwa v18, v9 dst_sel:DWORD dst_unused:UNUSED_PAD src0_sel:WORD_1
	v_mul_f32_e32 v19, 0x3fb8aa3b, v18
	v_exp_f32_e32 v19, v19
	s_nop 0
	v_add_f32_e32 v19, 1.0, v19
	v_cmp_gt_f32_e32 vcc, s8, v19
	s_nop 1
	v_cndmask_b32_e32 v15, 1.0, v15, vcc
	v_mul_f32_e32 v15, v19, v15
	v_log_f32_e32 v15, v15
	v_cndmask_b32_e32 v17, 0, v17, vcc
	v_mul_f32_e32 v19, 0x3f317217, v15
	v_fma_f32 v19, v15, s7, -v19
	v_fmac_f32_e32 v19, 0x3377d1cf, v15
	v_fmac_f32_e32 v19, 0x3f317217, v15
	v_cmp_lt_f32_e64 vcc, |v15|, s9
	s_nop 1
	v_cndmask_b32_e32 v15, v15, v19, vcc
	v_sub_f32_e32 v15, v15, v17
	v_cmp_gt_f16_sdwa vcc, v9, s6 src0_sel:WORD_1 src1_sel:DWORD
	s_nop 1
	v_cndmask_b32_e32 v9, v15, v18, vcc
	v_mul_f32_e32 v15, 0x4f800000, v9
	v_cmp_gt_f32_e64 s[4:5], s10, v9
	s_and_b64 vcc, exec, s[2:3]
	s_nop 0
	v_cndmask_b32_e64 v9, v9, v15, s[4:5]
	v_sqrt_f32_e32 v15, v9
	s_nop 0
	v_add_u32_e32 v17, -1, v15
	v_add_u32_e32 v18, 1, v15
	v_fma_f32 v19, -v17, v15, v9
	v_fma_f32 v20, -v18, v15, v9
	v_cmp_ge_f32_e64 s[6:7], 0, v19
	s_nop 1
	v_cndmask_b32_e64 v15, v15, v17, s[6:7]
	v_cmp_lt_f32_e64 s[6:7], 0, v20
	s_nop 1
	v_cndmask_b32_e64 v15, v15, v18, s[6:7]
	v_mul_f32_e32 v17, 0x37800000, v15
	v_cndmask_b32_e64 v15, v15, v17, s[4:5]
	v_cmp_class_f32_e64 s[4:5], v9, v10
	s_nop 1
	v_cndmask_b32_e64 v9, v15, v9, s[4:5]
	s_cbranch_vccnz .LBB291_24
; %bb.23:
	global_load_dword v10, v14, s[30:31] offset:1028
	s_waitcnt vmcnt(0)
	v_add_f32_e32 v9, v9, v10
.LBB291_24:
	s_waitcnt vmcnt(0)
	v_cvt_f32_f16_e32 v10, v11
	v_mov_b32_e32 v17, 0x4f800000
	s_mov_b32 s7, 0x3f317217
	s_movk_i32 s6, 0x4d00
	v_mul_f32_e32 v15, 0x3fb8aa3b, v10
	v_exp_f32_e32 v15, v15
	s_nop 0
	v_add_f32_e32 v15, 1.0, v15
	v_cmp_gt_f32_e32 vcc, s8, v15
	s_nop 1
	v_cndmask_b32_e32 v18, 1.0, v17, vcc
	v_mul_f32_e32 v15, v15, v18
	v_log_f32_e32 v15, v15
	v_mov_b32_e32 v18, 0x41b17218
	v_cndmask_b32_e32 v19, 0, v18, vcc
	v_mul_f32_e32 v20, 0x3f317217, v15
	v_fma_f32 v20, v15, s7, -v20
	v_fmac_f32_e32 v20, 0x3377d1cf, v15
	v_fmac_f32_e32 v20, 0x3f317217, v15
	v_cmp_lt_f32_e64 vcc, |v15|, s9
	s_nop 1
	v_cndmask_b32_e32 v15, v15, v20, vcc
	v_sub_f32_e32 v15, v15, v19
	v_cmp_lt_f16_e32 vcc, s6, v11
	s_nop 1
	v_cndmask_b32_e32 v10, v15, v10, vcc
	v_mul_f32_e32 v15, 0x4f800000, v10
	v_cmp_gt_f32_e32 vcc, s10, v10
	s_nop 1
	v_cndmask_b32_e32 v10, v10, v15, vcc
	v_sqrt_f32_e32 v15, v10
	s_nop 0
	v_add_u32_e32 v19, -1, v15
	v_fma_f32 v20, -v19, v15, v10
	v_cmp_ge_f32_e64 s[4:5], 0, v20
	v_add_u32_e32 v20, 1, v15
	s_nop 0
	v_cndmask_b32_e64 v19, v15, v19, s[4:5]
	v_fma_f32 v15, -v20, v15, v10
	v_cmp_lt_f32_e64 s[4:5], 0, v15
	s_nop 1
	v_cndmask_b32_e64 v15, v19, v20, s[4:5]
	v_mul_f32_e32 v19, 0x37800000, v15
	v_cndmask_b32_e32 v19, v15, v19, vcc
	v_mov_b32_e32 v15, 0x260
	v_cmp_class_f32_e64 s[4:5], v10, v15
	s_and_b64 vcc, exec, s[2:3]
	s_nop 0
	v_cndmask_b32_e64 v10, v19, v10, s[4:5]
	s_cbranch_vccnz .LBB291_26
; %bb.25:
	global_load_dword v19, v14, s[30:31] offset:1280
	s_waitcnt vmcnt(0)
	v_add_f32_e32 v10, v10, v19
.LBB291_26:
	v_cvt_f32_f16_sdwa v19, v11 dst_sel:DWORD dst_unused:UNUSED_PAD src0_sel:WORD_1
	v_mul_f32_e32 v20, 0x3fb8aa3b, v19
	v_exp_f32_e32 v20, v20
	s_nop 0
	v_add_f32_e32 v20, 1.0, v20
	v_cmp_gt_f32_e32 vcc, s8, v20
	s_nop 1
	v_cndmask_b32_e32 v17, 1.0, v17, vcc
	v_mul_f32_e32 v17, v20, v17
	v_log_f32_e32 v17, v17
	v_cndmask_b32_e32 v18, 0, v18, vcc
	v_mul_f32_e32 v20, 0x3f317217, v17
	v_fma_f32 v20, v17, s7, -v20
	v_fmac_f32_e32 v20, 0x3377d1cf, v17
	v_fmac_f32_e32 v20, 0x3f317217, v17
	v_cmp_lt_f32_e64 vcc, |v17|, s9
	s_nop 1
	v_cndmask_b32_e32 v17, v17, v20, vcc
	v_sub_f32_e32 v17, v17, v18
	v_cmp_gt_f16_sdwa vcc, v11, s6 src0_sel:WORD_1 src1_sel:DWORD
	s_nop 1
	v_cndmask_b32_e32 v11, v17, v19, vcc
	v_mul_f32_e32 v17, 0x4f800000, v11
	v_cmp_gt_f32_e64 s[4:5], s10, v11
	s_and_b64 vcc, exec, s[2:3]
	s_nop 0
	v_cndmask_b32_e64 v11, v11, v17, s[4:5]
	v_sqrt_f32_e32 v17, v11
	s_nop 0
	v_add_u32_e32 v18, -1, v17
	v_add_u32_e32 v19, 1, v17
	v_fma_f32 v20, -v18, v17, v11
	v_fma_f32 v21, -v19, v17, v11
	v_cmp_ge_f32_e64 s[6:7], 0, v20
	s_nop 1
	v_cndmask_b32_e64 v17, v17, v18, s[6:7]
	v_cmp_lt_f32_e64 s[6:7], 0, v21
	s_nop 1
	v_cndmask_b32_e64 v17, v17, v19, s[6:7]
	v_mul_f32_e32 v18, 0x37800000, v17
	v_cndmask_b32_e64 v17, v17, v18, s[4:5]
	v_cmp_class_f32_e64 s[4:5], v11, v15
	s_nop 1
	v_cndmask_b32_e64 v11, v17, v11, s[4:5]
	s_cbranch_vccnz .LBB291_28
; %bb.27:
	global_load_dword v14, v14, s[30:31] offset:1284
	s_waitcnt vmcnt(0)
	v_add_f32_e32 v11, v11, v14
.LBB291_28:
	s_load_dwordx4 s[36:39], s[0:1], 0x30
	s_mov_b32 s50, 0
	v_cmp_eq_u32_e64 s[6:7], 0, v13
	s_waitcnt lgkmcnt(0)
	s_bitcmp1_b32 s39, 0
	s_cselect_b64 s[4:5], -1, 0
	s_cmp_gt_i32 s36, 0
	s_cselect_b64 s[46:47], -1, 0
	s_and_b64 vcc, exec, s[46:47]
	s_cbranch_vccz .LBB291_59
; %bb.29:
	v_mbcnt_lo_u32_b32 v14, -1, 0
	v_mbcnt_hi_u32_b32 v14, -1, v14
	v_and_b32_e32 v15, 0x60, v14
	v_add_u32_e32 v15, 32, v15
	v_xor_b32_e32 v17, 16, v14
	v_cmp_lt_i32_e32 vcc, v17, v15
	s_load_dwordx4 s[40:43], s[0:1], 0x20
	v_mul_lo_u32 v18, v12, s36
	v_cndmask_b32_e32 v17, v14, v17, vcc
	v_lshlrev_b32_e32 v19, 2, v17
	v_xor_b32_e32 v17, 8, v14
	v_cmp_lt_i32_e32 vcc, v17, v15
	v_mov_b32_e32 v24, 0x41
	v_mov_b32_e32 v25, 0x80
	v_cndmask_b32_e32 v17, v14, v17, vcc
	v_lshlrev_b32_e32 v20, 2, v17
	v_xor_b32_e32 v17, 4, v14
	v_cmp_lt_i32_e32 vcc, v17, v15
	v_mov_b32_e32 v26, 0x81
	v_mov_b32_e32 v27, 0xc0
	;; [unrolled: 6-line block ×4, first 2 shown]
	v_cndmask_b32_e32 v14, v14, v17, vcc
	v_lshlrev_b32_e32 v23, 2, v14
	v_mov_b32_e32 v17, 0
	v_mov_b32_e32 v32, 0x141
	;; [unrolled: 1-line block ×5, first 2 shown]
	s_branch .LBB291_32
.LBB291_30:                             ;   in Loop: Header=BB291_32 Depth=1
	s_or_b64 exec, exec, s[48:49]
.LBB291_31:                             ;   in Loop: Header=BB291_32 Depth=1
	s_cmp_eq_u32 s36, s50
	v_add_u32_e32 v35, s33, v35
	s_cbranch_scc1 .LBB291_60
.LBB291_32:                             ; =>This Inner Loop Header: Depth=1
	v_cmp_gt_f32_e32 vcc, v1, v0
	s_nop 1
	v_cndmask_b32_e32 v15, v0, v1, vcc
	v_cndmask_b32_e64 v14, 0, 1, vcc
	v_cmp_gt_f32_e32 vcc, v2, v15
	s_nop 1
	v_cndmask_b32_e32 v15, v15, v2, vcc
	v_cndmask_b32_e64 v14, v14, 64, vcc
	v_cmp_gt_f32_e32 vcc, v3, v15
	s_nop 1
	v_cndmask_b32_e32 v15, v15, v3, vcc
	v_cndmask_b32_e32 v14, v14, v24, vcc
	v_cmp_gt_f32_e32 vcc, v4, v15
	s_nop 1
	v_cndmask_b32_e32 v15, v15, v4, vcc
	v_cndmask_b32_e32 v14, v14, v25, vcc
	v_cmp_gt_f32_e32 vcc, v5, v15
	s_nop 1
	v_cndmask_b32_e32 v15, v15, v5, vcc
	v_cndmask_b32_e32 v14, v14, v26, vcc
	v_cmp_gt_f32_e32 vcc, v6, v15
	s_nop 1
	v_cndmask_b32_e32 v15, v15, v6, vcc
	v_cndmask_b32_e32 v14, v14, v27, vcc
	v_cmp_gt_f32_e32 vcc, v7, v15
	s_nop 1
	v_cndmask_b32_e32 v15, v15, v7, vcc
	v_cndmask_b32_e32 v14, v14, v28, vcc
	v_cmp_gt_f32_e32 vcc, v8, v15
	s_nop 1
	v_cndmask_b32_e32 v15, v15, v8, vcc
	v_cndmask_b32_e32 v14, v14, v29, vcc
	v_cmp_gt_f32_e32 vcc, v9, v15
	s_nop 1
	v_cndmask_b32_e32 v15, v15, v9, vcc
	v_cndmask_b32_e32 v14, v14, v30, vcc
	v_cmp_gt_f32_e32 vcc, v10, v15
	s_nop 1
	v_cndmask_b32_e32 v15, v15, v10, vcc
	v_cndmask_b32_e32 v14, v14, v31, vcc
	v_cmp_gt_f32_e32 vcc, v11, v15
	s_nop 1
	v_cndmask_b32_e32 v14, v14, v32, vcc
	v_cndmask_b32_e32 v36, v15, v11, vcc
	ds_bpermute_b32 v15, v19, v36
	v_or_b32_e32 v14, v16, v14
	s_waitcnt lgkmcnt(0)
	ds_bpermute_b32 v37, v19, v14
	s_waitcnt lgkmcnt(0)
	v_cmp_lt_f32_e64 s[8:9], v36, v15
	v_cmp_nlt_f32_e32 vcc, v36, v15
	s_and_saveexec_b64 s[10:11], vcc
; %bb.33:                               ;   in Loop: Header=BB291_32 Depth=1
	v_cmp_eq_f32_e32 vcc, v36, v15
	v_cmp_lt_i32_e64 s[0:1], v37, v14
	s_and_b64 s[0:1], vcc, s[0:1]
	s_andn2_b64 s[8:9], s[8:9], exec
	s_and_b64 s[0:1], s[0:1], exec
	s_or_b64 s[8:9], s[8:9], s[0:1]
; %bb.34:                               ;   in Loop: Header=BB291_32 Depth=1
	s_or_b64 exec, exec, s[10:11]
	s_and_saveexec_b64 s[0:1], s[8:9]
; %bb.35:                               ;   in Loop: Header=BB291_32 Depth=1
	v_mov_b32_e32 v36, v15
	v_mov_b32_e32 v14, v37
; %bb.36:                               ;   in Loop: Header=BB291_32 Depth=1
	s_or_b64 exec, exec, s[0:1]
	ds_bpermute_b32 v15, v20, v36
	ds_bpermute_b32 v37, v20, v14
	s_waitcnt lgkmcnt(1)
	v_cmp_lt_f32_e64 s[8:9], v36, v15
	v_cmp_nlt_f32_e32 vcc, v36, v15
	s_and_saveexec_b64 s[10:11], vcc
	s_cbranch_execz .LBB291_38
; %bb.37:                               ;   in Loop: Header=BB291_32 Depth=1
	v_cmp_eq_f32_e32 vcc, v36, v15
	s_waitcnt lgkmcnt(0)
	v_cmp_lt_i32_e64 s[0:1], v37, v14
	s_and_b64 s[0:1], vcc, s[0:1]
	s_andn2_b64 s[8:9], s[8:9], exec
	s_and_b64 s[0:1], s[0:1], exec
	s_or_b64 s[8:9], s[8:9], s[0:1]
.LBB291_38:                             ;   in Loop: Header=BB291_32 Depth=1
	s_or_b64 exec, exec, s[10:11]
	s_and_saveexec_b64 s[0:1], s[8:9]
	s_cbranch_execz .LBB291_40
; %bb.39:                               ;   in Loop: Header=BB291_32 Depth=1
	v_mov_b32_e32 v36, v15
	s_waitcnt lgkmcnt(0)
	v_mov_b32_e32 v14, v37
.LBB291_40:                             ;   in Loop: Header=BB291_32 Depth=1
	s_or_b64 exec, exec, s[0:1]
	ds_bpermute_b32 v15, v21, v36
	s_waitcnt lgkmcnt(1)
	ds_bpermute_b32 v37, v21, v14
	s_waitcnt lgkmcnt(1)
	v_cmp_lt_f32_e64 s[8:9], v36, v15
	v_cmp_nlt_f32_e32 vcc, v36, v15
	s_and_saveexec_b64 s[10:11], vcc
	s_cbranch_execz .LBB291_42
; %bb.41:                               ;   in Loop: Header=BB291_32 Depth=1
	v_cmp_eq_f32_e32 vcc, v36, v15
	s_waitcnt lgkmcnt(0)
	v_cmp_lt_i32_e64 s[0:1], v37, v14
	s_and_b64 s[0:1], vcc, s[0:1]
	s_andn2_b64 s[8:9], s[8:9], exec
	s_and_b64 s[0:1], s[0:1], exec
	s_or_b64 s[8:9], s[8:9], s[0:1]
.LBB291_42:                             ;   in Loop: Header=BB291_32 Depth=1
	s_or_b64 exec, exec, s[10:11]
	s_and_saveexec_b64 s[0:1], s[8:9]
	s_cbranch_execz .LBB291_44
; %bb.43:                               ;   in Loop: Header=BB291_32 Depth=1
	v_mov_b32_e32 v36, v15
	s_waitcnt lgkmcnt(0)
	v_mov_b32_e32 v14, v37
.LBB291_44:                             ;   in Loop: Header=BB291_32 Depth=1
	s_or_b64 exec, exec, s[0:1]
	ds_bpermute_b32 v15, v22, v36
	s_waitcnt lgkmcnt(1)
	ds_bpermute_b32 v37, v22, v14
	s_waitcnt lgkmcnt(1)
	v_cmp_lt_f32_e64 s[8:9], v36, v15
	v_cmp_nlt_f32_e32 vcc, v36, v15
	s_and_saveexec_b64 s[10:11], vcc
	s_cbranch_execz .LBB291_46
; %bb.45:                               ;   in Loop: Header=BB291_32 Depth=1
	v_cmp_eq_f32_e32 vcc, v36, v15
	s_waitcnt lgkmcnt(0)
	v_cmp_lt_i32_e64 s[0:1], v37, v14
	s_and_b64 s[0:1], vcc, s[0:1]
	s_andn2_b64 s[8:9], s[8:9], exec
	s_and_b64 s[0:1], s[0:1], exec
	s_or_b64 s[8:9], s[8:9], s[0:1]
.LBB291_46:                             ;   in Loop: Header=BB291_32 Depth=1
	s_or_b64 exec, exec, s[10:11]
	s_and_saveexec_b64 s[0:1], s[8:9]
	s_cbranch_execz .LBB291_48
; %bb.47:                               ;   in Loop: Header=BB291_32 Depth=1
	v_mov_b32_e32 v36, v15
	s_waitcnt lgkmcnt(0)
	v_mov_b32_e32 v14, v37
.LBB291_48:                             ;   in Loop: Header=BB291_32 Depth=1
	s_or_b64 exec, exec, s[0:1]
	ds_bpermute_b32 v15, v23, v36
	s_waitcnt lgkmcnt(1)
	ds_bpermute_b32 v37, v23, v14
	s_waitcnt lgkmcnt(1)
	v_cmp_lt_f32_e64 s[8:9], v36, v15
	v_cmp_nlt_f32_e32 vcc, v36, v15
	s_and_saveexec_b64 s[10:11], vcc
	s_cbranch_execnz .LBB291_52
; %bb.49:                               ;   in Loop: Header=BB291_32 Depth=1
	s_or_b64 exec, exec, s[10:11]
	s_and_saveexec_b64 s[0:1], s[8:9]
	s_cbranch_execnz .LBB291_53
.LBB291_50:                             ;   in Loop: Header=BB291_32 Depth=1
	s_or_b64 exec, exec, s[0:1]
	s_and_saveexec_b64 s[8:9], s[6:7]
	s_cbranch_execnz .LBB291_54
.LBB291_51:                             ;   in Loop: Header=BB291_32 Depth=1
	s_or_b64 exec, exec, s[8:9]
	s_add_i32 s50, s50, 1
	s_cmp_ge_i32 s50, s36
	s_cbranch_scc1 .LBB291_31
	s_branch .LBB291_57
.LBB291_52:                             ;   in Loop: Header=BB291_32 Depth=1
	v_cmp_eq_f32_e32 vcc, v36, v15
	s_waitcnt lgkmcnt(0)
	v_cmp_lt_i32_e64 s[0:1], v37, v14
	s_and_b64 s[0:1], vcc, s[0:1]
	s_andn2_b64 s[8:9], s[8:9], exec
	s_and_b64 s[0:1], s[0:1], exec
	s_or_b64 s[8:9], s[8:9], s[0:1]
	s_or_b64 exec, exec, s[10:11]
	s_and_saveexec_b64 s[0:1], s[8:9]
	s_cbranch_execz .LBB291_50
.LBB291_53:                             ;   in Loop: Header=BB291_32 Depth=1
	s_waitcnt lgkmcnt(0)
	v_mov_b32_e32 v14, v37
	v_mov_b32_e32 v36, v15
	s_or_b64 exec, exec, s[0:1]
	s_and_saveexec_b64 s[8:9], s[6:7]
	s_cbranch_execz .LBB291_51
.LBB291_54:                             ;   in Loop: Header=BB291_32 Depth=1
	s_and_b64 vcc, exec, s[2:3]
	s_cbranch_vccnz .LBB291_56
; %bb.55:                               ;   in Loop: Header=BB291_32 Depth=1
	v_ashrrev_i32_e32 v15, 31, v14
	v_lshl_add_u64 v[38:39], v[14:15], 2, s[30:31]
	global_load_dword v15, v[38:39], off
	s_waitcnt vmcnt(0)
	v_sub_f32_e32 v36, v36, v15
.LBB291_56:                             ;   in Loop: Header=BB291_32 Depth=1
	v_add_u32_e32 v38, s50, v18
	v_cmp_le_i32_e32 vcc, s37, v14
	v_cmp_gt_i32_e64 s[0:1], s38, v14
	v_ashrrev_i32_e32 v39, 31, v38
	s_and_b64 s[0:1], vcc, s[0:1]
	v_lshlrev_b64 v[38:39], 2, v[38:39]
	v_lshl_add_u64 v[40:41], s[34:35], 0, v[38:39]
	v_subrev_u32_e32 v15, s37, v14
	s_and_b64 vcc, s[44:45], s[0:1]
	global_store_dword v[40:41], v36, off
	v_cndmask_b32_e32 v15, v33, v15, vcc
	v_lshl_add_u64 v[40:41], s[40:41], 0, v[38:39]
	global_store_dword v[40:41], v15, off
	v_add_f32_e32 v15, v17, v36
	v_lshl_add_u64 v[38:39], s[42:43], 0, v[38:39]
	v_cndmask_b32_e64 v17, v17, v15, s[4:5]
	global_store_dword v[38:39], v35, off
	s_or_b64 exec, exec, s[8:9]
	s_add_i32 s50, s50, 1
	s_cmp_ge_i32 s50, s36
	s_cbranch_scc1 .LBB291_31
.LBB291_57:                             ;   in Loop: Header=BB291_32 Depth=1
	v_lshrrev_b32_e32 v15, 31, v14
	v_add_u32_e32 v36, v14, v15
	v_ashrrev_i32_e32 v15, 1, v36
	v_ashrrev_i32_e32 v36, 31, v36
	v_lshrrev_b32_e32 v36, 27, v36
	v_add_u32_e32 v36, v15, v36
	v_and_b32_e32 v36, 0xffffffe0, v36
	v_sub_u32_e32 v36, v15, v36
	v_cmp_eq_u32_e32 vcc, v13, v36
	s_and_saveexec_b64 s[48:49], vcc
	s_cbranch_execz .LBB291_30
; %bb.58:                               ;   in Loop: Header=BB291_32 Depth=1
	v_ashrrev_i32_e32 v36, 31, v14
	v_lshrrev_b32_e32 v36, 26, v36
	v_add_u32_e32 v36, v14, v36
	v_lshlrev_b32_e32 v15, 1, v15
	v_sub_u32_e32 v14, v14, v15
	v_ashrrev_i32_e32 v15, 6, v36
	v_lshl_add_u32 v14, v15, 1, v14
	v_cmp_ne_u32_e32 vcc, 10, v14
	v_cmp_ne_u32_e64 s[0:1], 9, v14
	v_cmp_ne_u32_e64 s[8:9], 8, v14
	;; [unrolled: 1-line block ×11, first 2 shown]
	v_cndmask_b32_e32 v10, v34, v10, vcc
	v_cndmask_b32_e64 v9, v34, v9, s[0:1]
	v_cndmask_b32_e64 v11, v34, v11, s[26:27]
	;; [unrolled: 1-line block ×11, first 2 shown]
	s_branch .LBB291_30
.LBB291_59:
	v_mov_b32_e32 v17, 0
.LBB291_60:
	v_cmp_eq_u32_e32 vcc, 0, v13
	s_and_b64 exec, exec, vcc
	s_cbranch_execz .LBB291_73
; %bb.61:
	s_andn2_b64 vcc, exec, s[4:5]
	v_cvt_f32_f64_e32 v0, s[28:29]
	s_cbranch_vccnz .LBB291_63
; %bb.62:
	v_cmp_lt_f32_e32 vcc, 0, v17
	s_nop 1
	v_cndmask_b32_e32 v1, 1.0, v17, vcc
	v_div_scale_f32 v2, s[0:1], v1, v1, v0
	v_rcp_f32_e32 v3, v2
	s_nop 0
	v_fma_f32 v4, -v2, v3, 1.0
	v_fmac_f32_e32 v3, v4, v3
	v_div_scale_f32 v4, vcc, v0, v1, v0
	v_mul_f32_e32 v5, v4, v3
	v_fma_f32 v6, -v2, v5, v4
	v_fmac_f32_e32 v5, v6, v3
	v_fma_f32 v2, -v2, v5, v4
	v_div_fmas_f32 v2, v2, v3, v5
	v_div_fixup_f32 v0, v2, v1, v0
.LBB291_63:
	s_andn2_b64 vcc, exec, s[46:47]
	s_cbranch_vccnz .LBB291_73
; %bb.64:
	v_mul_lo_u32 v2, v12, s36
	s_cmp_gt_u32 s36, 3
	v_ashrrev_i32_e32 v3, 31, v2
	s_cbranch_scc0 .LBB291_68
; %bb.65:
	s_and_b32 s0, s36, 0x7ffffffc
	v_lshl_add_u64 v[4:5], v[2:3], 2, s[34:35]
	v_mov_b32_e32 v1, v0
	v_lshl_add_u64 v[4:5], v[4:5], 0, 8
	s_mov_b32 s1, s0
.LBB291_66:                             ; =>This Inner Loop Header: Depth=1
	global_load_dwordx4 v[6:9], v[4:5], off offset:-8
	s_add_i32 s1, s1, -4
	s_cmp_lg_u32 s1, 0
	s_waitcnt vmcnt(0)
	v_pk_mul_f32 v[6:7], v[0:1], v[6:7]
	v_pk_mul_f32 v[8:9], v[0:1], v[8:9]
	global_store_dwordx4 v[4:5], v[6:9], off offset:-8
	v_lshl_add_u64 v[4:5], v[4:5], 0, 16
	s_cbranch_scc1 .LBB291_66
; %bb.67:
	s_cmp_lg_u32 s0, s36
	s_cselect_b64 s[2:3], -1, 0
	s_branch .LBB291_70
.LBB291_68:
	s_mov_b64 s[2:3], 0
                                        ; implicit-def: $sgpr0
	s_cbranch_execz .LBB291_70
; %bb.69:
	s_mov_b64 s[2:3], -1
	s_mov_b32 s0, 0
.LBB291_70:
	s_andn2_b64 vcc, exec, s[2:3]
	s_cbranch_vccnz .LBB291_73
; %bb.71:
	s_mov_b32 s1, 0
	v_lshl_add_u64 v[2:3], v[2:3], 0, s[0:1]
	s_sub_i32 s2, s36, s0
	v_lshl_add_u64 v[2:3], v[2:3], 2, s[34:35]
.LBB291_72:                             ; =>This Inner Loop Header: Depth=1
	global_load_dword v1, v[2:3], off
	s_add_i32 s2, s2, -1
	s_cmp_lg_u32 s2, 0
	s_waitcnt vmcnt(0)
	v_mul_f32_e32 v1, v0, v1
	global_store_dword v[2:3], v1, off
	v_lshl_add_u64 v[2:3], v[2:3], 0, 4
	s_cbranch_scc1 .LBB291_72
.LBB291_73:
	s_endpgm
	.section	.rodata,"a",@progbits
	.p2align	6, 0x0
	.amdhsa_kernel _ZN4vllm3moe22topkGatingSoftplusSqrtILi12ELi384ELi4ELi4ELi32ELb0Ej6__halfEEvPKT6_PKbPfiPT5_PiiiibdPKfPKS9_SF_
		.amdhsa_group_segment_fixed_size 0
		.amdhsa_private_segment_fixed_size 0
		.amdhsa_kernarg_size 96
		.amdhsa_user_sgpr_count 2
		.amdhsa_user_sgpr_dispatch_ptr 0
		.amdhsa_user_sgpr_queue_ptr 0
		.amdhsa_user_sgpr_kernarg_segment_ptr 1
		.amdhsa_user_sgpr_dispatch_id 0
		.amdhsa_user_sgpr_kernarg_preload_length 0
		.amdhsa_user_sgpr_kernarg_preload_offset 0
		.amdhsa_user_sgpr_private_segment_size 0
		.amdhsa_uses_dynamic_stack 0
		.amdhsa_enable_private_segment 0
		.amdhsa_system_sgpr_workgroup_id_x 1
		.amdhsa_system_sgpr_workgroup_id_y 0
		.amdhsa_system_sgpr_workgroup_id_z 0
		.amdhsa_system_sgpr_workgroup_info 0
		.amdhsa_system_vgpr_workitem_id 1
		.amdhsa_next_free_vgpr 42
		.amdhsa_next_free_sgpr 51
		.amdhsa_accum_offset 44
		.amdhsa_reserve_vcc 1
		.amdhsa_float_round_mode_32 0
		.amdhsa_float_round_mode_16_64 0
		.amdhsa_float_denorm_mode_32 3
		.amdhsa_float_denorm_mode_16_64 3
		.amdhsa_dx10_clamp 1
		.amdhsa_ieee_mode 1
		.amdhsa_fp16_overflow 0
		.amdhsa_tg_split 0
		.amdhsa_exception_fp_ieee_invalid_op 0
		.amdhsa_exception_fp_denorm_src 0
		.amdhsa_exception_fp_ieee_div_zero 0
		.amdhsa_exception_fp_ieee_overflow 0
		.amdhsa_exception_fp_ieee_underflow 0
		.amdhsa_exception_fp_ieee_inexact 0
		.amdhsa_exception_int_div_zero 0
	.end_amdhsa_kernel
	.section	.text._ZN4vllm3moe22topkGatingSoftplusSqrtILi12ELi384ELi4ELi4ELi32ELb0Ej6__halfEEvPKT6_PKbPfiPT5_PiiiibdPKfPKS9_SF_,"axG",@progbits,_ZN4vllm3moe22topkGatingSoftplusSqrtILi12ELi384ELi4ELi4ELi32ELb0Ej6__halfEEvPKT6_PKbPfiPT5_PiiiibdPKfPKS9_SF_,comdat
.Lfunc_end291:
	.size	_ZN4vllm3moe22topkGatingSoftplusSqrtILi12ELi384ELi4ELi4ELi32ELb0Ej6__halfEEvPKT6_PKbPfiPT5_PiiiibdPKfPKS9_SF_, .Lfunc_end291-_ZN4vllm3moe22topkGatingSoftplusSqrtILi12ELi384ELi4ELi4ELi32ELb0Ej6__halfEEvPKT6_PKbPfiPT5_PiiiibdPKfPKS9_SF_
                                        ; -- End function
	.section	.AMDGPU.csdata,"",@progbits
; Kernel info:
; codeLenInByte = 5580
; NumSgprs: 57
; NumVgprs: 42
; NumAgprs: 0
; TotalNumVgprs: 42
; ScratchSize: 0
; MemoryBound: 0
; FloatMode: 240
; IeeeMode: 1
; LDSByteSize: 0 bytes/workgroup (compile time only)
; SGPRBlocks: 7
; VGPRBlocks: 5
; NumSGPRsForWavesPerEU: 57
; NumVGPRsForWavesPerEU: 42
; AccumOffset: 44
; Occupancy: 8
; WaveLimiterHint : 1
; COMPUTE_PGM_RSRC2:SCRATCH_EN: 0
; COMPUTE_PGM_RSRC2:USER_SGPR: 2
; COMPUTE_PGM_RSRC2:TRAP_HANDLER: 0
; COMPUTE_PGM_RSRC2:TGID_X_EN: 1
; COMPUTE_PGM_RSRC2:TGID_Y_EN: 0
; COMPUTE_PGM_RSRC2:TGID_Z_EN: 0
; COMPUTE_PGM_RSRC2:TIDIG_COMP_CNT: 1
; COMPUTE_PGM_RSRC3_GFX90A:ACCUM_OFFSET: 10
; COMPUTE_PGM_RSRC3_GFX90A:TG_SPLIT: 0
	.section	.text._ZN4vllm3moe22topkGatingSoftplusSqrtILi7ELi448ELi4ELi2ELi64ELb1Ej6__halfEEvPKT6_PKbPfiPT5_PiiiibdPKfPKS9_SF_,"axG",@progbits,_ZN4vllm3moe22topkGatingSoftplusSqrtILi7ELi448ELi4ELi2ELi64ELb1Ej6__halfEEvPKT6_PKbPfiPT5_PiiiibdPKfPKS9_SF_,comdat
	.protected	_ZN4vllm3moe22topkGatingSoftplusSqrtILi7ELi448ELi4ELi2ELi64ELb1Ej6__halfEEvPKT6_PKbPfiPT5_PiiiibdPKfPKS9_SF_ ; -- Begin function _ZN4vllm3moe22topkGatingSoftplusSqrtILi7ELi448ELi4ELi2ELi64ELb1Ej6__halfEEvPKT6_PKbPfiPT5_PiiiibdPKfPKS9_SF_
	.globl	_ZN4vllm3moe22topkGatingSoftplusSqrtILi7ELi448ELi4ELi2ELi64ELb1Ej6__halfEEvPKT6_PKbPfiPT5_PiiiibdPKfPKS9_SF_
	.p2align	8
	.type	_ZN4vllm3moe22topkGatingSoftplusSqrtILi7ELi448ELi4ELi2ELi64ELb1Ej6__halfEEvPKT6_PKbPfiPT5_PiiiibdPKfPKS9_SF_,@function
_ZN4vllm3moe22topkGatingSoftplusSqrtILi7ELi448ELi4ELi2ELi64ELb1Ej6__halfEEvPKT6_PKbPfiPT5_PiiiibdPKfPKS9_SF_: ; @_ZN4vllm3moe22topkGatingSoftplusSqrtILi7ELi448ELi4ELi2ELi64ELb1Ej6__halfEEvPKT6_PKbPfiPT5_PiiiibdPKfPKS9_SF_
; %bb.0:
	s_load_dword s3, s[0:1], 0x18
	v_and_b32_e32 v1, 0x3ff, v0
	s_lshl_b32 s2, s2, 2
	v_lshrrev_b32_e32 v2, 6, v1
	v_bfe_u32 v0, v0, 10, 10
	v_add3_u32 v0, s2, v0, v2
	s_waitcnt lgkmcnt(0)
	v_cmp_gt_i32_e32 vcc, s3, v0
	s_and_saveexec_b64 s[2:3], vcc
	s_cbranch_execz .LBB292_32
; %bb.1:
	s_load_dwordx2 s[2:3], s[0:1], 0x0
	s_load_dword s28, s[0:1], 0x30
	s_load_dwordx4 s[8:11], s[0:1], 0x50
	s_movk_i32 s4, 0x1c0
	v_mul_lo_u32 v2, v0, s4
	v_ashrrev_i32_e32 v3, 31, v2
	v_and_b32_e32 v10, 63, v1
	s_waitcnt lgkmcnt(0)
	v_lshl_add_u64 v[2:3], v[2:3], 1, s[2:3]
	v_lshlrev_b32_e32 v4, 1, v10
	v_mov_b32_e32 v5, 0
	v_lshl_add_u64 v[2:3], v[2:3], 0, v[4:5]
	global_load_ushort v6, v[2:3], off
	global_load_ushort v7, v[2:3], off offset:128
	global_load_ushort v8, v[2:3], off offset:256
	;; [unrolled: 1-line block ×6, first 2 shown]
	v_mov_b32_e32 v2, s8
	v_mov_b32_e32 v3, s9
	v_ashrrev_i32_e32 v1, 31, v0
	v_lshl_add_u64 v[2:3], v[0:1], 2, v[2:3]
	global_load_dword v1, v[2:3], off
	s_mov_b32 s14, 0x800000
	v_mov_b32_e32 v2, 0x4f800000
	s_mov_b32 s12, 0x3f317217
	s_mov_b32 s15, 0x7f800000
	v_mov_b32_e32 v3, 0x41b17218
	s_movk_i32 s9, 0x4d00
	s_mov_b32 s13, 0xf800000
	v_mov_b32_e32 v17, 0x260
	s_cmp_gt_i32 s28, 0
	s_mov_b32 s8, 0
	v_mul_lo_u32 v0, v0, s28
	s_waitcnt vmcnt(7)
	v_cvt_f32_f16_e32 v11, v6
	s_waitcnt vmcnt(6)
	v_cvt_f32_f16_e32 v12, v7
	;; [unrolled: 2-line block ×4, first 2 shown]
	v_mul_f32_e32 v4, 0x3fb8aa3b, v11
	v_mul_f32_e32 v22, 0x3fb8aa3b, v12
	v_exp_f32_e32 v24, v4
	v_mul_f32_e32 v23, 0x3fb8aa3b, v13
	v_exp_f32_e32 v22, v22
	v_exp_f32_e32 v23, v23
	s_waitcnt vmcnt(3)
	v_cvt_f32_f16_e32 v19, v14
	s_waitcnt vmcnt(0)
	v_mul_lo_u32 v4, v1, s28
	v_add_f32_e32 v1, 1.0, v24
	v_add_f32_e32 v22, 1.0, v22
	v_cmp_gt_f32_e32 vcc, s14, v1
	v_add_f32_e32 v23, 1.0, v23
	v_cmp_gt_f32_e64 s[2:3], s14, v22
	v_cndmask_b32_e32 v24, 1.0, v2, vcc
	v_cmp_gt_f32_e64 s[4:5], s14, v23
	v_cndmask_b32_e64 v25, 1.0, v2, s[2:3]
	v_mul_f32_e32 v1, v1, v24
	v_cndmask_b32_e64 v26, 1.0, v2, s[4:5]
	v_mul_f32_e32 v22, v22, v25
	v_log_f32_e32 v1, v1
	v_mul_f32_e32 v23, v23, v26
	v_log_f32_e32 v22, v22
	v_log_f32_e32 v23, v23
	v_mul_f32_e32 v27, 0x3f317217, v1
	v_fma_f32 v27, v1, s12, -v27
	v_mul_f32_e32 v28, 0x3f317217, v22
	v_mul_f32_e32 v29, 0x3f317217, v23
	v_fma_f32 v28, v22, s12, -v28
	v_fmac_f32_e32 v27, 0x3377d1cf, v1
	v_cndmask_b32_e32 v24, 0, v3, vcc
	v_fma_f32 v29, v23, s12, -v29
	v_fmac_f32_e32 v28, 0x3377d1cf, v22
	v_fmac_f32_e32 v27, 0x3f317217, v1
	v_cmp_lt_f32_e64 vcc, |v1|, s15
	v_fmac_f32_e32 v29, 0x3377d1cf, v23
	v_fmac_f32_e32 v28, 0x3f317217, v22
	v_cndmask_b32_e32 v1, v1, v27, vcc
	v_cmp_lt_f32_e64 vcc, |v22|, s15
	v_fmac_f32_e32 v29, 0x3f317217, v23
	v_cndmask_b32_e64 v25, 0, v3, s[2:3]
	v_cndmask_b32_e32 v22, v22, v28, vcc
	v_cmp_lt_f32_e64 vcc, |v23|, s15
	v_sub_f32_e32 v1, v1, v24
	v_cndmask_b32_e64 v26, 0, v3, s[4:5]
	v_cndmask_b32_e32 v23, v23, v29, vcc
	v_cmp_lt_f16_e32 vcc, s9, v6
	v_sub_f32_e32 v22, v22, v25
	v_sub_f32_e32 v23, v23, v26
	v_cndmask_b32_e32 v1, v1, v11, vcc
	v_cmp_lt_f16_e32 vcc, s9, v7
	v_cvt_f32_f16_e32 v20, v15
	v_cvt_f32_f16_e32 v21, v16
	v_cndmask_b32_e32 v6, v22, v12, vcc
	v_cmp_lt_f16_e32 vcc, s9, v8
	v_mul_f32_e32 v8, 0x4f800000, v1
	v_mul_f32_e32 v11, 0x4f800000, v6
	v_cndmask_b32_e32 v7, v23, v13, vcc
	v_cmp_gt_f32_e32 vcc, s13, v1
	v_cmp_gt_f32_e64 s[2:3], s13, v6
	v_mul_f32_e32 v12, 0x4f800000, v7
	v_cndmask_b32_e32 v1, v1, v8, vcc
	v_cndmask_b32_e64 v6, v6, v11, s[2:3]
	v_sqrt_f32_e32 v8, v1
	v_sqrt_f32_e32 v11, v6
	v_cmp_gt_f32_e64 s[4:5], s13, v7
	v_add_u32_e32 v13, 1, v8
	s_nop 0
	v_cndmask_b32_e64 v7, v7, v12, s[4:5]
	v_add_u32_e32 v12, -1, v8
	v_add_u32_e32 v22, -1, v11
	v_fma_f32 v24, -v12, v8, v1
	v_fma_f32 v26, -v22, v11, v6
	v_cmp_ge_f32_e64 s[6:7], 0, v24
	v_add_u32_e32 v23, 1, v11
	v_fma_f32 v25, -v13, v8, v1
	v_cndmask_b32_e64 v8, v8, v12, s[6:7]
	v_cmp_ge_f32_e64 s[6:7], 0, v26
	v_fma_f32 v27, -v23, v11, v6
	s_nop 0
	v_cndmask_b32_e64 v11, v11, v22, s[6:7]
	v_cmp_lt_f32_e64 s[6:7], 0, v25
	s_nop 1
	v_cndmask_b32_e64 v8, v8, v13, s[6:7]
	v_cmp_lt_f32_e64 s[6:7], 0, v27
	s_nop 1
	v_cndmask_b32_e64 v12, v11, v23, s[6:7]
	v_mul_f32_e32 v11, 0x37800000, v8
	v_cndmask_b32_e32 v8, v8, v11, vcc
	v_cmp_class_f32_e32 vcc, v1, v17
	v_mul_f32_e32 v13, 0x37800000, v12
	s_nop 0
	v_cndmask_b32_e32 v11, v8, v1, vcc
	v_sqrt_f32_e32 v1, v7
	v_cndmask_b32_e64 v8, v12, v13, s[2:3]
	v_mul_f32_e32 v13, 0x3fb8aa3b, v18
	v_exp_f32_e32 v13, v13
	v_cmp_class_f32_e32 vcc, v6, v17
	v_add_f32_e32 v13, 1.0, v13
	s_nop 0
	v_cndmask_b32_e32 v12, v8, v6, vcc
	v_add_u32_e32 v6, -1, v1
	v_fma_f32 v8, -v6, v1, v7
	v_cmp_ge_f32_e32 vcc, 0, v8
	v_add_u32_e32 v8, 1, v1
	s_nop 0
	v_cndmask_b32_e32 v6, v1, v6, vcc
	v_cmp_gt_f32_e32 vcc, s14, v13
	v_fma_f32 v1, -v8, v1, v7
	v_cmp_lt_f32_e64 s[2:3], 0, v1
	v_cndmask_b32_e32 v22, 1.0, v2, vcc
	v_mul_f32_e32 v13, v13, v22
	v_log_f32_e32 v13, v13
	v_cndmask_b32_e64 v1, v6, v8, s[2:3]
	v_mul_f32_e32 v6, 0x37800000, v1
	v_cndmask_b32_e64 v1, v1, v6, s[4:5]
	v_mul_f32_e32 v8, 0x3f317217, v13
	v_fma_f32 v8, v13, s12, -v8
	v_fmac_f32_e32 v8, 0x3377d1cf, v13
	v_fmac_f32_e32 v8, 0x3f317217, v13
	v_cmp_lt_f32_e64 s[2:3], |v13|, s15
	s_nop 1
	v_cndmask_b32_e64 v8, v13, v8, s[2:3]
	v_cndmask_b32_e32 v13, 0, v3, vcc
	v_sub_f32_e32 v8, v8, v13
	v_cmp_lt_f16_e32 vcc, s9, v9
	v_cmp_class_f32_e64 s[2:3], v7, v17
	s_nop 0
	v_cndmask_b32_e32 v8, v8, v18, vcc
	v_mul_f32_e32 v9, 0x4f800000, v8
	v_cmp_gt_f32_e32 vcc, s13, v8
	v_cndmask_b32_e64 v13, v1, v7, s[2:3]
	v_mul_f32_e32 v7, 0x3fb8aa3b, v19
	v_cndmask_b32_e32 v8, v8, v9, vcc
	v_sqrt_f32_e32 v9, v8
	v_exp_f32_e32 v7, v7
	v_add_u32_e32 v1, -1, v9
	v_fma_f32 v6, -v1, v9, v8
	v_cmp_ge_f32_e64 s[2:3], 0, v6
	v_add_f32_e32 v7, 1.0, v7
	v_add_u32_e32 v6, 1, v9
	v_cndmask_b32_e64 v1, v9, v1, s[2:3]
	v_cmp_gt_f32_e64 s[2:3], s14, v7
	v_fma_f32 v9, -v6, v9, v8
	v_cmp_lt_f32_e64 s[4:5], 0, v9
	v_cndmask_b32_e64 v18, 1.0, v2, s[2:3]
	v_mul_f32_e32 v7, v7, v18
	v_log_f32_e32 v7, v7
	v_cndmask_b32_e64 v1, v1, v6, s[4:5]
	v_mul_f32_e32 v6, 0x37800000, v1
	v_cndmask_b32_e32 v1, v1, v6, vcc
	v_mul_f32_e32 v9, 0x3f317217, v7
	v_fma_f32 v9, v7, s12, -v9
	v_fmac_f32_e32 v9, 0x3377d1cf, v7
	v_fmac_f32_e32 v9, 0x3f317217, v7
	v_cmp_lt_f32_e64 s[4:5], |v7|, s15
	v_cmp_class_f32_e32 vcc, v8, v17
	s_nop 0
	v_cndmask_b32_e64 v7, v7, v9, s[4:5]
	v_cndmask_b32_e64 v9, 0, v3, s[2:3]
	v_sub_f32_e32 v7, v7, v9
	v_cmp_lt_f16_e64 s[2:3], s9, v14
	v_cndmask_b32_e32 v14, v1, v8, vcc
	v_mul_f32_e32 v8, 0x3fb8aa3b, v20
	v_cndmask_b32_e64 v7, v7, v19, s[2:3]
	v_mul_f32_e32 v9, 0x4f800000, v7
	v_cmp_gt_f32_e64 s[2:3], s13, v7
	v_exp_f32_e32 v8, v8
	s_nop 0
	v_cndmask_b32_e64 v7, v7, v9, s[2:3]
	v_sqrt_f32_e32 v9, v7
	v_add_f32_e32 v8, 1.0, v8
	v_add_u32_e32 v1, -1, v9
	v_fma_f32 v6, -v1, v9, v7
	v_cmp_ge_f32_e32 vcc, 0, v6
	v_add_u32_e32 v6, 1, v9
	s_nop 0
	v_cndmask_b32_e32 v1, v9, v1, vcc
	v_cmp_gt_f32_e32 vcc, s14, v8
	v_fma_f32 v9, -v6, v9, v7
	v_cmp_lt_f32_e64 s[4:5], 0, v9
	v_cndmask_b32_e32 v18, 1.0, v2, vcc
	v_mul_f32_e32 v8, v8, v18
	v_log_f32_e32 v8, v8
	v_cndmask_b32_e64 v1, v1, v6, s[4:5]
	v_mul_f32_e32 v6, 0x37800000, v1
	v_cndmask_b32_e64 v1, v1, v6, s[2:3]
	v_mul_f32_e32 v9, 0x3f317217, v8
	v_fma_f32 v9, v8, s12, -v9
	v_fmac_f32_e32 v9, 0x3377d1cf, v8
	v_fmac_f32_e32 v9, 0x3f317217, v8
	v_cmp_lt_f32_e64 s[4:5], |v8|, s15
	v_cmp_class_f32_e64 s[2:3], v7, v17
	s_nop 0
	v_cndmask_b32_e64 v8, v8, v9, s[4:5]
	v_cndmask_b32_e32 v9, 0, v3, vcc
	v_sub_f32_e32 v8, v8, v9
	v_cmp_lt_f16_e32 vcc, s9, v15
	v_cndmask_b32_e64 v15, v1, v7, s[2:3]
	v_mul_f32_e32 v7, 0x3fb8aa3b, v21
	v_cndmask_b32_e32 v8, v8, v20, vcc
	v_mul_f32_e32 v9, 0x4f800000, v8
	v_cmp_gt_f32_e32 vcc, s13, v8
	v_exp_f32_e32 v7, v7
	s_nop 0
	v_cndmask_b32_e32 v8, v8, v9, vcc
	v_sqrt_f32_e32 v9, v8
	v_add_f32_e32 v7, 1.0, v7
	v_add_u32_e32 v1, -1, v9
	v_fma_f32 v6, -v1, v9, v8
	v_cmp_ge_f32_e64 s[2:3], 0, v6
	v_add_u32_e32 v6, 1, v9
	s_nop 0
	v_cndmask_b32_e64 v1, v9, v1, s[2:3]
	v_cmp_gt_f32_e64 s[2:3], s14, v7
	v_fma_f32 v9, -v6, v9, v8
	v_cmp_lt_f32_e64 s[4:5], 0, v9
	v_cndmask_b32_e64 v2, 1.0, v2, s[2:3]
	v_mul_f32_e32 v2, v7, v2
	v_log_f32_e32 v2, v2
	v_cndmask_b32_e64 v1, v1, v6, s[4:5]
	v_cndmask_b32_e64 v3, 0, v3, s[2:3]
	v_cmp_lt_f16_e64 s[2:3], s9, v16
	v_mul_f32_e32 v7, 0x3f317217, v2
	v_fma_f32 v7, v2, s12, -v7
	v_fmac_f32_e32 v7, 0x3377d1cf, v2
	v_fmac_f32_e32 v7, 0x3f317217, v2
	v_cmp_lt_f32_e64 s[4:5], |v2|, s15
	v_mul_f32_e32 v6, 0x37800000, v1
	v_cndmask_b32_e32 v1, v1, v6, vcc
	v_cndmask_b32_e64 v2, v2, v7, s[4:5]
	v_sub_f32_e32 v2, v2, v3
	v_cndmask_b32_e64 v2, v2, v21, s[2:3]
	v_mul_f32_e32 v3, 0x4f800000, v2
	v_cmp_gt_f32_e64 s[2:3], s13, v2
	v_cmp_class_f32_e32 vcc, v8, v17
	s_cselect_b64 s[4:5], -1, 0
	v_cndmask_b32_e64 v2, v2, v3, s[2:3]
	v_sqrt_f32_e32 v3, v2
	v_cndmask_b32_e32 v16, v1, v8, vcc
	s_cmp_lt_i32 s28, 1
	v_add_u32_e32 v1, -1, v3
	v_fma_f32 v6, -v1, v3, v2
	v_cmp_ge_f32_e32 vcc, 0, v6
	v_add_u32_e32 v6, 1, v3
	s_nop 0
	v_cndmask_b32_e32 v1, v3, v1, vcc
	v_fma_f32 v3, -v6, v3, v2
	v_cmp_lt_f32_e32 vcc, 0, v3
	s_nop 1
	v_cndmask_b32_e32 v1, v1, v6, vcc
	v_mul_f32_e32 v3, 0x37800000, v1
	v_cndmask_b32_e64 v1, v1, v3, s[2:3]
	v_cmp_class_f32_e32 vcc, v2, v17
	s_nop 1
	v_cndmask_b32_e32 v17, v1, v2, vcc
	v_lshl_add_u64 v[2:3], v[4:5], 2, s[10:11]
	s_cbranch_scc1 .LBB292_29
; %bb.2:
	s_load_dwordx2 s[6:7], s[0:1], 0x20
	s_cmp_lt_u32 s28, 4
	s_cbranch_scc1 .LBB292_21
; %bb.3:
	s_mov_b32 s11, 0
	s_and_b32 s8, s28, 0x7ffffffc
	v_ashrrev_i32_e32 v1, 31, v0
	v_mov_b32_e32 v5, 0
	s_mov_b32 s10, s11
	s_branch .LBB292_5
.LBB292_4:                              ;   in Loop: Header=BB292_5 Depth=1
	s_or_b64 exec, exec, s[12:13]
	s_add_i32 s10, s10, 4
	s_cmp_eq_u32 s10, s8
	s_cbranch_scc1 .LBB292_22
.LBB292_5:                              ; =>This Loop Header: Depth=1
                                        ;     Child Loop BB292_7 Depth 2
                                        ;     Child Loop BB292_11 Depth 2
	;; [unrolled: 1-line block ×4, first 2 shown]
	v_lshl_add_u64 v[6:7], s[10:11], 2, v[2:3]
	global_load_dword v4, v[6:7], off
	v_add_u32_e32 v8, s10, v0
	v_ashrrev_i32_e32 v9, 31, v8
	s_waitcnt lgkmcnt(0)
	v_lshl_add_u64 v[8:9], v[8:9], 2, s[6:7]
	s_mov_b64 s[12:13], 0
	v_mov_b32_e32 v18, v10
	s_mov_b64 s[14:15], 0
	s_waitcnt vmcnt(0)
	s_branch .LBB292_7
.LBB292_6:                              ;   in Loop: Header=BB292_7 Depth=2
	s_or_b64 exec, exec, s[16:17]
	s_cmp_gt_u32 s14, 5
	s_cselect_b64 s[2:3], -1, 0
	s_xor_b64 s[16:17], vcc, -1
	s_or_b64 s[2:3], s[16:17], s[2:3]
	s_add_u32 s14, s14, 1
	s_addc_u32 s15, s15, 0
	s_and_b64 s[2:3], exec, s[2:3]
	s_or_b64 s[12:13], s[2:3], s[12:13]
	v_add_u32_e32 v18, 64, v18
	s_andn2_b64 exec, exec, s[12:13]
	s_cbranch_execz .LBB292_9
.LBB292_7:                              ;   Parent Loop BB292_5 Depth=1
                                        ; =>  This Inner Loop Header: Depth=2
	v_cmp_ne_u32_e32 vcc, v4, v18
	v_cmp_eq_u32_e64 s[2:3], v4, v18
	s_and_saveexec_b64 s[16:17], s[2:3]
	s_cbranch_execz .LBB292_6
; %bb.8:                                ;   in Loop: Header=BB292_7 Depth=2
	s_cmp_eq_u32 s14, 1
	s_cselect_b64 s[2:3], -1, 0
	s_cmp_eq_u32 s14, 2
	v_cndmask_b32_e64 v19, v11, v12, s[2:3]
	s_cselect_b64 s[2:3], -1, 0
	s_cmp_eq_u32 s14, 3
	v_cndmask_b32_e64 v19, v19, v13, s[2:3]
	;; [unrolled: 3-line block ×5, first 2 shown]
	s_cselect_b64 s[2:3], -1, 0
	v_cndmask_b32_e64 v19, v19, v17, s[2:3]
	v_add_f32_e32 v5, v5, v19
	global_store_dword v[8:9], v4, off
	s_branch .LBB292_6
.LBB292_9:                              ;   in Loop: Header=BB292_5 Depth=1
	s_or_b64 exec, exec, s[12:13]
	global_load_dword v4, v[6:7], off offset:4
	s_ashr_i32 s3, s10, 31
	s_mov_b32 s2, s10
	v_lshl_add_u64 v[8:9], s[2:3], 0, v[0:1]
	v_lshl_add_u64 v[8:9], v[8:9], 2, s[6:7]
	s_mov_b64 s[12:13], 0
	v_mov_b32_e32 v18, v10
	s_mov_b64 s[14:15], 0
	s_waitcnt vmcnt(0)
	s_branch .LBB292_11
.LBB292_10:                             ;   in Loop: Header=BB292_11 Depth=2
	s_or_b64 exec, exec, s[16:17]
	s_cmp_gt_u32 s14, 5
	s_cselect_b64 s[2:3], -1, 0
	s_xor_b64 s[16:17], vcc, -1
	s_or_b64 s[2:3], s[16:17], s[2:3]
	s_add_u32 s14, s14, 1
	s_addc_u32 s15, s15, 0
	s_and_b64 s[2:3], exec, s[2:3]
	s_or_b64 s[12:13], s[2:3], s[12:13]
	v_add_u32_e32 v18, 64, v18
	s_andn2_b64 exec, exec, s[12:13]
	s_cbranch_execz .LBB292_13
.LBB292_11:                             ;   Parent Loop BB292_5 Depth=1
                                        ; =>  This Inner Loop Header: Depth=2
	v_cmp_ne_u32_e32 vcc, v4, v18
	v_cmp_eq_u32_e64 s[2:3], v4, v18
	s_and_saveexec_b64 s[16:17], s[2:3]
	s_cbranch_execz .LBB292_10
; %bb.12:                               ;   in Loop: Header=BB292_11 Depth=2
	s_cmp_eq_u32 s14, 1
	s_cselect_b64 s[2:3], -1, 0
	s_cmp_eq_u32 s14, 2
	v_cndmask_b32_e64 v19, v11, v12, s[2:3]
	s_cselect_b64 s[2:3], -1, 0
	s_cmp_eq_u32 s14, 3
	v_cndmask_b32_e64 v19, v19, v13, s[2:3]
	s_cselect_b64 s[2:3], -1, 0
	s_cmp_eq_u32 s14, 4
	v_cndmask_b32_e64 v19, v19, v14, s[2:3]
	s_cselect_b64 s[2:3], -1, 0
	s_cmp_eq_u32 s14, 5
	v_cndmask_b32_e64 v19, v19, v15, s[2:3]
	s_cselect_b64 s[2:3], -1, 0
	s_cmp_eq_u32 s14, 6
	v_cndmask_b32_e64 v19, v19, v16, s[2:3]
	s_cselect_b64 s[2:3], -1, 0
	v_cndmask_b32_e64 v19, v19, v17, s[2:3]
	v_add_f32_e32 v5, v5, v19
	global_store_dword v[8:9], v4, off offset:4
	s_branch .LBB292_10
.LBB292_13:                             ;   in Loop: Header=BB292_5 Depth=1
	s_or_b64 exec, exec, s[12:13]
	global_load_dword v4, v[6:7], off offset:8
	s_mov_b64 s[12:13], 0
	v_mov_b32_e32 v18, v10
	s_mov_b64 s[14:15], 0
	s_waitcnt vmcnt(0)
	s_branch .LBB292_15
.LBB292_14:                             ;   in Loop: Header=BB292_15 Depth=2
	s_or_b64 exec, exec, s[16:17]
	s_cmp_gt_u32 s14, 5
	s_cselect_b64 s[2:3], -1, 0
	s_xor_b64 s[16:17], vcc, -1
	s_or_b64 s[2:3], s[16:17], s[2:3]
	s_add_u32 s14, s14, 1
	s_addc_u32 s15, s15, 0
	s_and_b64 s[2:3], exec, s[2:3]
	s_or_b64 s[12:13], s[2:3], s[12:13]
	v_add_u32_e32 v18, 64, v18
	s_andn2_b64 exec, exec, s[12:13]
	s_cbranch_execz .LBB292_17
.LBB292_15:                             ;   Parent Loop BB292_5 Depth=1
                                        ; =>  This Inner Loop Header: Depth=2
	v_cmp_ne_u32_e32 vcc, v4, v18
	v_cmp_eq_u32_e64 s[2:3], v4, v18
	s_and_saveexec_b64 s[16:17], s[2:3]
	s_cbranch_execz .LBB292_14
; %bb.16:                               ;   in Loop: Header=BB292_15 Depth=2
	s_cmp_eq_u32 s14, 1
	s_cselect_b64 s[2:3], -1, 0
	s_cmp_eq_u32 s14, 2
	v_cndmask_b32_e64 v19, v11, v12, s[2:3]
	s_cselect_b64 s[2:3], -1, 0
	s_cmp_eq_u32 s14, 3
	v_cndmask_b32_e64 v19, v19, v13, s[2:3]
	;; [unrolled: 3-line block ×5, first 2 shown]
	s_cselect_b64 s[2:3], -1, 0
	v_cndmask_b32_e64 v19, v19, v17, s[2:3]
	v_add_f32_e32 v5, v5, v19
	global_store_dword v[8:9], v4, off offset:8
	s_branch .LBB292_14
.LBB292_17:                             ;   in Loop: Header=BB292_5 Depth=1
	s_or_b64 exec, exec, s[12:13]
	global_load_dword v4, v[6:7], off offset:12
	s_mov_b64 s[12:13], 0
	v_mov_b32_e32 v6, v10
	s_mov_b64 s[14:15], 0
	s_waitcnt vmcnt(0)
	s_branch .LBB292_19
.LBB292_18:                             ;   in Loop: Header=BB292_19 Depth=2
	s_or_b64 exec, exec, s[16:17]
	s_cmp_gt_u32 s14, 5
	s_cselect_b64 s[2:3], -1, 0
	s_xor_b64 s[16:17], vcc, -1
	s_or_b64 s[2:3], s[16:17], s[2:3]
	s_add_u32 s14, s14, 1
	s_addc_u32 s15, s15, 0
	s_and_b64 s[2:3], exec, s[2:3]
	s_or_b64 s[12:13], s[2:3], s[12:13]
	v_add_u32_e32 v6, 64, v6
	s_andn2_b64 exec, exec, s[12:13]
	s_cbranch_execz .LBB292_4
.LBB292_19:                             ;   Parent Loop BB292_5 Depth=1
                                        ; =>  This Inner Loop Header: Depth=2
	v_cmp_ne_u32_e32 vcc, v4, v6
	v_cmp_eq_u32_e64 s[2:3], v4, v6
	s_and_saveexec_b64 s[16:17], s[2:3]
	s_cbranch_execz .LBB292_18
; %bb.20:                               ;   in Loop: Header=BB292_19 Depth=2
	s_cmp_eq_u32 s14, 1
	s_cselect_b64 s[2:3], -1, 0
	s_cmp_eq_u32 s14, 2
	v_cndmask_b32_e64 v7, v11, v12, s[2:3]
	s_cselect_b64 s[2:3], -1, 0
	s_cmp_eq_u32 s14, 3
	v_cndmask_b32_e64 v7, v7, v13, s[2:3]
	;; [unrolled: 3-line block ×5, first 2 shown]
	s_cselect_b64 s[2:3], -1, 0
	v_cndmask_b32_e64 v7, v7, v17, s[2:3]
	v_add_f32_e32 v5, v5, v7
	global_store_dword v[8:9], v4, off offset:12
	s_branch .LBB292_18
.LBB292_21:
	v_mov_b32_e32 v5, 0
.LBB292_22:
	s_and_b32 s16, s28, 3
	s_cmp_eq_u32 s16, 0
	s_mov_b32 s9, 0
	s_cbranch_scc1 .LBB292_29
; %bb.23:
	s_mov_b32 s17, s9
	s_branch .LBB292_25
.LBB292_24:                             ;   in Loop: Header=BB292_25 Depth=1
	s_or_b64 exec, exec, s[10:11]
	s_add_i32 s8, s8, 1
	s_add_i32 s17, s17, 1
	s_cmp_lg_u32 s17, s16
	s_cbranch_scc0 .LBB292_29
.LBB292_25:                             ; =>This Loop Header: Depth=1
                                        ;     Child Loop BB292_27 Depth 2
	v_lshl_add_u64 v[6:7], s[8:9], 2, v[2:3]
	global_load_dword v1, v[6:7], off
	v_add_u32_e32 v6, s8, v0
	v_ashrrev_i32_e32 v7, 31, v6
	s_waitcnt lgkmcnt(0)
	v_lshl_add_u64 v[6:7], v[6:7], 2, s[6:7]
	s_mov_b64 s[10:11], 0
	v_mov_b32_e32 v4, v10
	s_mov_b64 s[12:13], 0
	s_waitcnt vmcnt(0)
	s_branch .LBB292_27
.LBB292_26:                             ;   in Loop: Header=BB292_27 Depth=2
	s_or_b64 exec, exec, s[14:15]
	s_cmp_gt_u32 s12, 5
	s_cselect_b64 s[2:3], -1, 0
	s_xor_b64 s[14:15], vcc, -1
	s_or_b64 s[2:3], s[14:15], s[2:3]
	s_add_u32 s12, s12, 1
	s_addc_u32 s13, s13, 0
	s_and_b64 s[2:3], exec, s[2:3]
	s_or_b64 s[10:11], s[2:3], s[10:11]
	v_add_u32_e32 v4, 64, v4
	s_andn2_b64 exec, exec, s[10:11]
	s_cbranch_execz .LBB292_24
.LBB292_27:                             ;   Parent Loop BB292_25 Depth=1
                                        ; =>  This Inner Loop Header: Depth=2
	v_cmp_ne_u32_e32 vcc, v1, v4
	v_cmp_eq_u32_e64 s[2:3], v1, v4
	s_and_saveexec_b64 s[14:15], s[2:3]
	s_cbranch_execz .LBB292_26
; %bb.28:                               ;   in Loop: Header=BB292_27 Depth=2
	s_cmp_eq_u32 s12, 1
	s_cselect_b64 s[2:3], -1, 0
	s_cmp_eq_u32 s12, 2
	v_cndmask_b32_e64 v8, v11, v12, s[2:3]
	s_cselect_b64 s[2:3], -1, 0
	s_cmp_eq_u32 s12, 3
	v_cndmask_b32_e64 v8, v8, v13, s[2:3]
	;; [unrolled: 3-line block ×5, first 2 shown]
	s_cselect_b64 s[2:3], -1, 0
	v_cndmask_b32_e64 v8, v8, v17, s[2:3]
	v_add_f32_e32 v5, v5, v8
	global_store_dword v[6:7], v1, off
	s_branch .LBB292_26
.LBB292_29:
	s_waitcnt lgkmcnt(0)
	s_load_dword s6, s[0:1], 0x3c
	s_waitcnt lgkmcnt(0)
	s_bitcmp1_b32 s6, 0
	s_cselect_b64 s[2:3], -1, 0
	s_bitcmp0_b32 s6, 0
	s_cbranch_scc0 .LBB292_33
; %bb.30:
	s_load_dwordx2 s[6:7], s[0:1], 0x40
	s_andn2_b64 vcc, exec, s[2:3]
	s_waitcnt lgkmcnt(0)
	v_cvt_f32_f64_e32 v18, s[6:7]
	s_cbranch_vccz .LBB292_34
.LBB292_31:
	s_andn2_b64 vcc, exec, s[4:5]
	s_cbranch_vccz .LBB292_35
.LBB292_32:
	s_endpgm
.LBB292_33:
	v_mbcnt_lo_u32_b32 v1, -1, 0
	v_mbcnt_hi_u32_b32 v1, -1, v1
	v_and_b32_e32 v4, 64, v1
	v_add_u32_e32 v4, 64, v4
	v_xor_b32_e32 v6, 32, v1
	v_cmp_lt_i32_e32 vcc, v6, v4
	v_xor_b32_e32 v7, 16, v1
	s_nop 0
	v_cndmask_b32_e32 v6, v1, v6, vcc
	v_lshlrev_b32_e32 v6, 2, v6
	ds_bpermute_b32 v6, v6, v5
	v_cmp_lt_i32_e32 vcc, v7, v4
	s_waitcnt lgkmcnt(0)
	v_add_f32_e32 v5, v5, v6
	v_cndmask_b32_e32 v6, v1, v7, vcc
	v_lshlrev_b32_e32 v6, 2, v6
	ds_bpermute_b32 v6, v6, v5
	v_xor_b32_e32 v7, 8, v1
	v_cmp_lt_i32_e32 vcc, v7, v4
	s_waitcnt lgkmcnt(0)
	v_add_f32_e32 v5, v5, v6
	v_cndmask_b32_e32 v6, v1, v7, vcc
	v_lshlrev_b32_e32 v6, 2, v6
	ds_bpermute_b32 v6, v6, v5
	v_xor_b32_e32 v7, 4, v1
	;; [unrolled: 7-line block ×4, first 2 shown]
	v_cmp_lt_i32_e32 vcc, v7, v4
	s_waitcnt lgkmcnt(0)
	v_add_f32_e32 v5, v5, v6
	v_cndmask_b32_e32 v1, v1, v7, vcc
	v_lshlrev_b32_e32 v1, 2, v1
	ds_bpermute_b32 v1, v1, v5
	s_waitcnt lgkmcnt(0)
	v_add_f32_e32 v5, v5, v1
	s_load_dwordx2 s[6:7], s[0:1], 0x40
	s_andn2_b64 vcc, exec, s[2:3]
	s_waitcnt lgkmcnt(0)
	v_cvt_f32_f64_e32 v18, s[6:7]
	s_cbranch_vccnz .LBB292_31
.LBB292_34:
	v_cmp_lt_f32_e32 vcc, 0, v5
	s_nop 1
	v_cndmask_b32_e32 v1, 1.0, v5, vcc
	v_div_scale_f32 v4, s[2:3], v1, v1, v18
	v_rcp_f32_e32 v5, v4
	s_nop 0
	v_fma_f32 v6, -v4, v5, 1.0
	v_fmac_f32_e32 v5, v6, v5
	v_div_scale_f32 v6, vcc, v18, v1, v18
	v_mul_f32_e32 v7, v6, v5
	v_fma_f32 v8, -v4, v7, v6
	v_fmac_f32_e32 v7, v8, v5
	v_fma_f32 v4, -v4, v7, v6
	v_div_fmas_f32 v4, v4, v5, v7
	v_div_fixup_f32 v18, v4, v1, v18
	s_andn2_b64 vcc, exec, s[4:5]
	s_cbranch_vccnz .LBB292_32
.LBB292_35:
	s_load_dwordx2 s[10:11], s[0:1], 0x10
	v_or_b32_e32 v24, 64, v10
	v_or_b32_e32 v23, 0x80, v10
	;; [unrolled: 1-line block ×6, first 2 shown]
	s_cmp_eq_u32 s28, 1
	s_mov_b32 s12, 0
	s_cbranch_scc1 .LBB292_66
; %bb.36:
	v_ashrrev_i32_e32 v1, 31, v0
	s_waitcnt lgkmcnt(0)
	v_lshl_add_u64 v[4:5], v[0:1], 2, s[10:11]
	s_and_b32 s12, s28, 0x7ffffffe
	v_lshl_add_u64 v[4:5], v[4:5], 0, 4
	v_lshl_add_u64 v[6:7], v[2:3], 0, 4
	s_mov_b32 s13, 0
	s_branch .LBB292_38
.LBB292_37:                             ;   in Loop: Header=BB292_38 Depth=1
	s_or_b64 exec, exec, s[0:1]
	s_add_i32 s13, s13, 2
	v_lshl_add_u64 v[4:5], v[4:5], 0, 8
	s_cmp_lg_u32 s12, s13
	v_lshl_add_u64 v[6:7], v[6:7], 0, 8
	s_cbranch_scc0 .LBB292_66
.LBB292_38:                             ; =>This Inner Loop Header: Depth=1
	global_load_dword v1, v[6:7], off offset:-4
	v_mov_b64_e32 v[8:9], 0
	s_waitcnt vmcnt(0)
	v_cmp_eq_u32_e32 vcc, v1, v10
	v_cmp_ne_u32_e64 s[0:1], v1, v10
	s_and_saveexec_b64 s[14:15], s[0:1]
	s_cbranch_execz .LBB292_50
; %bb.39:                               ;   in Loop: Header=BB292_38 Depth=1
	v_cmp_eq_u32_e64 s[0:1], v1, v24
	v_cmp_ne_u32_e64 s[2:3], v1, v24
	v_mov_b64_e32 v[8:9], 1
	s_and_saveexec_b64 s[16:17], s[2:3]
	s_cbranch_execz .LBB292_49
; %bb.40:                               ;   in Loop: Header=BB292_38 Depth=1
	v_cmp_eq_u32_e64 s[2:3], v1, v23
	v_cmp_ne_u32_e64 s[4:5], v1, v23
	v_mov_b64_e32 v[8:9], 2
	;; [unrolled: 6-line block ×5, first 2 shown]
	s_and_saveexec_b64 s[26:27], s[8:9]
	s_xor_b64 s[26:27], exec, s[26:27]
; %bb.44:                               ;   in Loop: Header=BB292_38 Depth=1
	v_cmp_eq_u32_e64 s[8:9], v1, v19
	s_andn2_b64 s[24:25], s[24:25], exec
	s_and_b64 s[8:9], s[8:9], exec
	v_mov_b64_e32 v[8:9], 6
	s_or_b64 s[24:25], s[24:25], s[8:9]
; %bb.45:                               ;   in Loop: Header=BB292_38 Depth=1
	s_or_b64 exec, exec, s[26:27]
	s_andn2_b64 s[6:7], s[6:7], exec
	s_and_b64 s[8:9], s[24:25], exec
	s_or_b64 s[6:7], s[6:7], s[8:9]
.LBB292_46:                             ;   in Loop: Header=BB292_38 Depth=1
	s_or_b64 exec, exec, s[22:23]
	s_andn2_b64 s[4:5], s[4:5], exec
	s_and_b64 s[6:7], s[6:7], exec
	s_or_b64 s[4:5], s[4:5], s[6:7]
.LBB292_47:                             ;   in Loop: Header=BB292_38 Depth=1
	s_or_b64 exec, exec, s[20:21]
	s_andn2_b64 s[2:3], s[2:3], exec
	s_and_b64 s[4:5], s[4:5], exec
	s_or_b64 s[2:3], s[2:3], s[4:5]
.LBB292_48:                             ;   in Loop: Header=BB292_38 Depth=1
	s_or_b64 exec, exec, s[18:19]
	s_andn2_b64 s[0:1], s[0:1], exec
	s_and_b64 s[2:3], s[2:3], exec
	s_or_b64 s[0:1], s[0:1], s[2:3]
.LBB292_49:                             ;   in Loop: Header=BB292_38 Depth=1
	s_or_b64 exec, exec, s[16:17]
	s_andn2_b64 s[2:3], vcc, exec
	s_and_b64 s[0:1], s[0:1], exec
	s_or_b64 vcc, s[2:3], s[0:1]
.LBB292_50:                             ;   in Loop: Header=BB292_38 Depth=1
	s_or_b64 exec, exec, s[14:15]
	s_and_saveexec_b64 s[0:1], vcc
	s_cbranch_execz .LBB292_52
; %bb.51:                               ;   in Loop: Header=BB292_38 Depth=1
	v_cmp_eq_u32_e32 vcc, 1, v8
	v_add_u32_e32 v26, s13, v0
	v_ashrrev_i32_e32 v27, 31, v26
	v_cndmask_b32_e32 v1, v11, v12, vcc
	v_cmp_eq_u32_e32 vcc, 2, v8
	s_nop 1
	v_cndmask_b32_e32 v1, v1, v13, vcc
	v_cmp_eq_u32_e32 vcc, 3, v8
	s_nop 1
	;; [unrolled: 3-line block ×4, first 2 shown]
	v_cndmask_b32_e32 v1, v1, v16, vcc
	v_cmp_eq_u32_e32 vcc, 6, v8
	v_lshl_add_u64 v[8:9], v[26:27], 2, s[10:11]
	s_nop 0
	v_cndmask_b32_e32 v1, v1, v17, vcc
	v_mul_f32_e32 v1, v18, v1
	global_store_dword v[8:9], v1, off
.LBB292_52:                             ;   in Loop: Header=BB292_38 Depth=1
	s_or_b64 exec, exec, s[0:1]
	global_load_dword v1, v[6:7], off
	v_mov_b64_e32 v[8:9], 0
	s_waitcnt vmcnt(0)
	v_cmp_eq_u32_e64 s[6:7], v1, v10
	v_cmp_ne_u32_e32 vcc, v1, v10
	s_and_saveexec_b64 s[8:9], vcc
	s_cbranch_execz .LBB292_64
; %bb.53:                               ;   in Loop: Header=BB292_38 Depth=1
	v_cmp_eq_u32_e32 vcc, v1, v24
	v_cmp_ne_u32_e64 s[0:1], v1, v24
	v_mov_b64_e32 v[8:9], 1
	s_and_saveexec_b64 s[14:15], s[0:1]
	s_cbranch_execz .LBB292_63
; %bb.54:                               ;   in Loop: Header=BB292_38 Depth=1
	v_cmp_eq_u32_e64 s[0:1], v1, v23
	v_cmp_ne_u32_e64 s[2:3], v1, v23
	v_mov_b64_e32 v[8:9], 2
	s_and_saveexec_b64 s[16:17], s[2:3]
	s_cbranch_execz .LBB292_62
; %bb.55:                               ;   in Loop: Header=BB292_38 Depth=1
	v_cmp_eq_u32_e64 s[2:3], v1, v22
	;; [unrolled: 6-line block ×4, first 2 shown]
	v_cmp_ne_u32_e64 s[4:5], v1, v20
	v_mov_b64_e32 v[8:9], 5
	s_and_saveexec_b64 s[26:27], s[4:5]
; %bb.58:                               ;   in Loop: Header=BB292_38 Depth=1
	v_cmp_eq_u32_e64 s[4:5], v1, v19
	s_andn2_b64 s[24:25], s[24:25], exec
	s_and_b64 s[4:5], s[4:5], exec
	v_mov_b64_e32 v[8:9], 6
	s_or_b64 s[24:25], s[24:25], s[4:5]
; %bb.59:                               ;   in Loop: Header=BB292_38 Depth=1
	s_or_b64 exec, exec, s[26:27]
	s_andn2_b64 s[4:5], s[20:21], exec
	s_and_b64 s[20:21], s[24:25], exec
	s_or_b64 s[20:21], s[4:5], s[20:21]
.LBB292_60:                             ;   in Loop: Header=BB292_38 Depth=1
	s_or_b64 exec, exec, s[22:23]
	s_andn2_b64 s[2:3], s[2:3], exec
	s_and_b64 s[4:5], s[20:21], exec
	s_or_b64 s[2:3], s[2:3], s[4:5]
.LBB292_61:                             ;   in Loop: Header=BB292_38 Depth=1
	s_or_b64 exec, exec, s[18:19]
	s_andn2_b64 s[0:1], s[0:1], exec
	s_and_b64 s[2:3], s[2:3], exec
	s_or_b64 s[0:1], s[0:1], s[2:3]
.LBB292_62:                             ;   in Loop: Header=BB292_38 Depth=1
	s_or_b64 exec, exec, s[16:17]
	s_andn2_b64 s[2:3], vcc, exec
	s_and_b64 s[0:1], s[0:1], exec
	s_or_b64 vcc, s[2:3], s[0:1]
.LBB292_63:                             ;   in Loop: Header=BB292_38 Depth=1
	s_or_b64 exec, exec, s[14:15]
	s_andn2_b64 s[0:1], s[6:7], exec
	s_and_b64 s[2:3], vcc, exec
	s_or_b64 s[6:7], s[0:1], s[2:3]
.LBB292_64:                             ;   in Loop: Header=BB292_38 Depth=1
	s_or_b64 exec, exec, s[8:9]
	s_and_saveexec_b64 s[0:1], s[6:7]
	s_cbranch_execz .LBB292_37
; %bb.65:                               ;   in Loop: Header=BB292_38 Depth=1
	v_cmp_eq_u32_e32 vcc, 1, v8
	s_nop 1
	v_cndmask_b32_e32 v1, v11, v12, vcc
	v_cmp_eq_u32_e32 vcc, 2, v8
	s_nop 1
	v_cndmask_b32_e32 v1, v1, v13, vcc
	;; [unrolled: 3-line block ×6, first 2 shown]
	v_mul_f32_e32 v1, v18, v1
	global_store_dword v[4:5], v1, off
	s_branch .LBB292_37
.LBB292_66:
	s_bitcmp0_b32 s28, 0
	s_mov_b32 s13, 0
	s_cbranch_scc1 .LBB292_32
; %bb.67:
	v_lshl_add_u64 v[2:3], s[12:13], 2, v[2:3]
	global_load_dword v1, v[2:3], off
	v_mov_b64_e32 v[2:3], 0
	s_waitcnt vmcnt(0)
	v_cmp_eq_u32_e64 s[6:7], v1, v10
	v_cmp_ne_u32_e32 vcc, v1, v10
	s_and_saveexec_b64 s[8:9], vcc
	s_cbranch_execz .LBB292_79
; %bb.68:
	v_cmp_eq_u32_e32 vcc, v1, v24
	v_cmp_ne_u32_e64 s[0:1], v1, v24
	v_mov_b64_e32 v[2:3], 1
	s_and_saveexec_b64 s[14:15], s[0:1]
	s_cbranch_execz .LBB292_78
; %bb.69:
	v_cmp_eq_u32_e64 s[0:1], v1, v23
	v_cmp_ne_u32_e64 s[2:3], v1, v23
	v_mov_b64_e32 v[2:3], 2
	s_and_saveexec_b64 s[16:17], s[2:3]
	s_cbranch_execz .LBB292_77
; %bb.70:
	v_cmp_eq_u32_e64 s[2:3], v1, v22
	v_cmp_ne_u32_e64 s[4:5], v1, v22
	v_mov_b64_e32 v[2:3], 3
	s_and_saveexec_b64 s[18:19], s[4:5]
	s_cbranch_execz .LBB292_76
; %bb.71:
	v_cmp_eq_u32_e64 s[20:21], v1, v21
	v_cmp_ne_u32_e64 s[4:5], v1, v21
	v_mov_b64_e32 v[2:3], 4
	s_and_saveexec_b64 s[22:23], s[4:5]
	s_cbranch_execz .LBB292_75
; %bb.72:
	v_cmp_eq_u32_e64 s[24:25], v1, v20
	v_cmp_ne_u32_e64 s[4:5], v1, v20
	v_mov_b64_e32 v[2:3], 5
	s_and_saveexec_b64 s[26:27], s[4:5]
; %bb.73:
	v_cmp_eq_u32_e64 s[4:5], v1, v19
	s_andn2_b64 s[24:25], s[24:25], exec
	s_and_b64 s[4:5], s[4:5], exec
	v_mov_b64_e32 v[2:3], 6
	s_or_b64 s[24:25], s[24:25], s[4:5]
; %bb.74:
	s_or_b64 exec, exec, s[26:27]
	s_andn2_b64 s[4:5], s[20:21], exec
	s_and_b64 s[20:21], s[24:25], exec
	s_or_b64 s[20:21], s[4:5], s[20:21]
.LBB292_75:
	s_or_b64 exec, exec, s[22:23]
	s_andn2_b64 s[2:3], s[2:3], exec
	s_and_b64 s[4:5], s[20:21], exec
	s_or_b64 s[2:3], s[2:3], s[4:5]
.LBB292_76:
	s_or_b64 exec, exec, s[18:19]
	s_andn2_b64 s[0:1], s[0:1], exec
	s_and_b64 s[2:3], s[2:3], exec
	s_or_b64 s[0:1], s[0:1], s[2:3]
.LBB292_77:
	s_or_b64 exec, exec, s[16:17]
	s_andn2_b64 s[2:3], vcc, exec
	s_and_b64 s[0:1], s[0:1], exec
	s_or_b64 vcc, s[2:3], s[0:1]
.LBB292_78:
	s_or_b64 exec, exec, s[14:15]
	s_andn2_b64 s[0:1], s[6:7], exec
	s_and_b64 s[2:3], vcc, exec
	s_or_b64 s[6:7], s[0:1], s[2:3]
.LBB292_79:
	s_or_b64 exec, exec, s[8:9]
	s_and_b64 exec, exec, s[6:7]
	s_cbranch_execz .LBB292_32
; %bb.80:
	v_cmp_eq_u32_e32 vcc, 1, v2
	v_add_u32_e32 v0, s12, v0
	s_nop 0
	v_cndmask_b32_e32 v1, v11, v12, vcc
	v_cmp_eq_u32_e32 vcc, 2, v2
	s_nop 1
	v_cndmask_b32_e32 v1, v1, v13, vcc
	v_cmp_eq_u32_e32 vcc, 3, v2
	;; [unrolled: 3-line block ×5, first 2 shown]
	s_nop 1
	v_cndmask_b32_e32 v1, v1, v17, vcc
	v_mul_f32_e32 v2, v18, v1
	v_ashrrev_i32_e32 v1, 31, v0
	s_waitcnt lgkmcnt(0)
	v_lshl_add_u64 v[0:1], v[0:1], 2, s[10:11]
	global_store_dword v[0:1], v2, off
	s_endpgm
	.section	.rodata,"a",@progbits
	.p2align	6, 0x0
	.amdhsa_kernel _ZN4vllm3moe22topkGatingSoftplusSqrtILi7ELi448ELi4ELi2ELi64ELb1Ej6__halfEEvPKT6_PKbPfiPT5_PiiiibdPKfPKS9_SF_
		.amdhsa_group_segment_fixed_size 0
		.amdhsa_private_segment_fixed_size 0
		.amdhsa_kernarg_size 96
		.amdhsa_user_sgpr_count 2
		.amdhsa_user_sgpr_dispatch_ptr 0
		.amdhsa_user_sgpr_queue_ptr 0
		.amdhsa_user_sgpr_kernarg_segment_ptr 1
		.amdhsa_user_sgpr_dispatch_id 0
		.amdhsa_user_sgpr_kernarg_preload_length 0
		.amdhsa_user_sgpr_kernarg_preload_offset 0
		.amdhsa_user_sgpr_private_segment_size 0
		.amdhsa_uses_dynamic_stack 0
		.amdhsa_enable_private_segment 0
		.amdhsa_system_sgpr_workgroup_id_x 1
		.amdhsa_system_sgpr_workgroup_id_y 0
		.amdhsa_system_sgpr_workgroup_id_z 0
		.amdhsa_system_sgpr_workgroup_info 0
		.amdhsa_system_vgpr_workitem_id 1
		.amdhsa_next_free_vgpr 30
		.amdhsa_next_free_sgpr 29
		.amdhsa_accum_offset 32
		.amdhsa_reserve_vcc 1
		.amdhsa_float_round_mode_32 0
		.amdhsa_float_round_mode_16_64 0
		.amdhsa_float_denorm_mode_32 3
		.amdhsa_float_denorm_mode_16_64 3
		.amdhsa_dx10_clamp 1
		.amdhsa_ieee_mode 1
		.amdhsa_fp16_overflow 0
		.amdhsa_tg_split 0
		.amdhsa_exception_fp_ieee_invalid_op 0
		.amdhsa_exception_fp_denorm_src 0
		.amdhsa_exception_fp_ieee_div_zero 0
		.amdhsa_exception_fp_ieee_overflow 0
		.amdhsa_exception_fp_ieee_underflow 0
		.amdhsa_exception_fp_ieee_inexact 0
		.amdhsa_exception_int_div_zero 0
	.end_amdhsa_kernel
	.section	.text._ZN4vllm3moe22topkGatingSoftplusSqrtILi7ELi448ELi4ELi2ELi64ELb1Ej6__halfEEvPKT6_PKbPfiPT5_PiiiibdPKfPKS9_SF_,"axG",@progbits,_ZN4vllm3moe22topkGatingSoftplusSqrtILi7ELi448ELi4ELi2ELi64ELb1Ej6__halfEEvPKT6_PKbPfiPT5_PiiiibdPKfPKS9_SF_,comdat
.Lfunc_end292:
	.size	_ZN4vllm3moe22topkGatingSoftplusSqrtILi7ELi448ELi4ELi2ELi64ELb1Ej6__halfEEvPKT6_PKbPfiPT5_PiiiibdPKfPKS9_SF_, .Lfunc_end292-_ZN4vllm3moe22topkGatingSoftplusSqrtILi7ELi448ELi4ELi2ELi64ELb1Ej6__halfEEvPKT6_PKbPfiPT5_PiiiibdPKfPKS9_SF_
                                        ; -- End function
	.section	.AMDGPU.csdata,"",@progbits
; Kernel info:
; codeLenInByte = 4836
; NumSgprs: 35
; NumVgprs: 30
; NumAgprs: 0
; TotalNumVgprs: 30
; ScratchSize: 0
; MemoryBound: 0
; FloatMode: 240
; IeeeMode: 1
; LDSByteSize: 0 bytes/workgroup (compile time only)
; SGPRBlocks: 4
; VGPRBlocks: 3
; NumSGPRsForWavesPerEU: 35
; NumVGPRsForWavesPerEU: 30
; AccumOffset: 32
; Occupancy: 8
; WaveLimiterHint : 1
; COMPUTE_PGM_RSRC2:SCRATCH_EN: 0
; COMPUTE_PGM_RSRC2:USER_SGPR: 2
; COMPUTE_PGM_RSRC2:TRAP_HANDLER: 0
; COMPUTE_PGM_RSRC2:TGID_X_EN: 1
; COMPUTE_PGM_RSRC2:TGID_Y_EN: 0
; COMPUTE_PGM_RSRC2:TGID_Z_EN: 0
; COMPUTE_PGM_RSRC2:TIDIG_COMP_CNT: 1
; COMPUTE_PGM_RSRC3_GFX90A:ACCUM_OFFSET: 7
; COMPUTE_PGM_RSRC3_GFX90A:TG_SPLIT: 0
	.section	.text._ZN4vllm3moe22topkGatingSoftplusSqrtILi7ELi448ELi4ELi2ELi64ELb0Ej6__halfEEvPKT6_PKbPfiPT5_PiiiibdPKfPKS9_SF_,"axG",@progbits,_ZN4vllm3moe22topkGatingSoftplusSqrtILi7ELi448ELi4ELi2ELi64ELb0Ej6__halfEEvPKT6_PKbPfiPT5_PiiiibdPKfPKS9_SF_,comdat
	.protected	_ZN4vllm3moe22topkGatingSoftplusSqrtILi7ELi448ELi4ELi2ELi64ELb0Ej6__halfEEvPKT6_PKbPfiPT5_PiiiibdPKfPKS9_SF_ ; -- Begin function _ZN4vllm3moe22topkGatingSoftplusSqrtILi7ELi448ELi4ELi2ELi64ELb0Ej6__halfEEvPKT6_PKbPfiPT5_PiiiibdPKfPKS9_SF_
	.globl	_ZN4vllm3moe22topkGatingSoftplusSqrtILi7ELi448ELi4ELi2ELi64ELb0Ej6__halfEEvPKT6_PKbPfiPT5_PiiiibdPKfPKS9_SF_
	.p2align	8
	.type	_ZN4vllm3moe22topkGatingSoftplusSqrtILi7ELi448ELi4ELi2ELi64ELb0Ej6__halfEEvPKT6_PKbPfiPT5_PiiiibdPKfPKS9_SF_,@function
_ZN4vllm3moe22topkGatingSoftplusSqrtILi7ELi448ELi4ELi2ELi64ELb0Ej6__halfEEvPKT6_PKbPfiPT5_PiiiibdPKfPKS9_SF_: ; @_ZN4vllm3moe22topkGatingSoftplusSqrtILi7ELi448ELi4ELi2ELi64ELb0Ej6__halfEEvPKT6_PKbPfiPT5_PiiiibdPKfPKS9_SF_
; %bb.0:
	s_load_dword s30, s[0:1], 0x18
	v_and_b32_e32 v1, 0x3ff, v0
	s_lshl_b32 s2, s2, 2
	v_lshrrev_b32_e32 v2, 6, v1
	v_bfe_u32 v0, v0, 10, 10
	v_add3_u32 v8, s2, v0, v2
	s_waitcnt lgkmcnt(0)
	v_cmp_gt_i32_e32 vcc, s30, v8
	s_and_saveexec_b64 s[2:3], vcc
	s_cbranch_execz .LBB293_63
; %bb.1:
	s_load_dwordx4 s[4:7], s[0:1], 0x0
	s_load_dwordx2 s[20:21], s[0:1], 0x10
	s_waitcnt lgkmcnt(0)
	s_cmp_eq_u64 s[6:7], 0
	s_cbranch_scc1 .LBB293_3
; %bb.2:
	v_ashrrev_i32_e32 v9, 31, v8
	v_lshl_add_u64 v[2:3], s[6:7], 0, v[8:9]
	global_load_ubyte v0, v[2:3], off
	s_waitcnt vmcnt(0)
	v_and_b32_e32 v0, 1, v0
	v_cmp_eq_u32_e32 vcc, 1, v0
	s_xor_b64 s[2:3], vcc, -1
	s_orn2_b64 s[22:23], s[2:3], exec
	s_branch .LBB293_4
.LBB293_3:
	s_mov_b64 s[22:23], -1
.LBB293_4:
	s_movk_i32 s2, 0x1c0
	v_mul_lo_u32 v4, v8, s2
	v_mov_b32_e32 v2, s4
	v_mov_b32_e32 v3, s5
	v_ashrrev_i32_e32 v5, 31, v4
	v_and_b32_e32 v10, 63, v1
	v_lshl_add_u64 v[2:3], v[4:5], 1, v[2:3]
	v_mov_b32_e32 v1, 0
	v_lshlrev_b32_e32 v0, 1, v10
	v_lshl_add_u64 v[12:13], v[2:3], 0, v[0:1]
	global_load_ushort v0, v[12:13], off
	global_load_ushort v1, v[12:13], off offset:128
	global_load_ushort v2, v[12:13], off offset:256
	;; [unrolled: 1-line block ×6, first 2 shown]
	s_mov_b32 s16, 0x800000
	v_mov_b32_e32 v11, 0x4f800000
	s_mov_b32 s13, 0x3f317217
	s_mov_b32 s14, 0x7f800000
	v_mov_b32_e32 v12, 0x41b17218
	s_movk_i32 s12, 0x4d00
	s_mov_b32 s15, 0xf800000
	s_load_dwordx4 s[8:11], s[0:1], 0x40
	s_waitcnt lgkmcnt(0)
	s_cmp_lg_u64 s[10:11], 0
	s_cselect_b64 s[6:7], -1, 0
	s_and_b64 s[2:3], exec, s[6:7]
	s_waitcnt vmcnt(6)
	v_cvt_f32_f16_e32 v13, v0
	v_mul_f32_e32 v7, 0x3fb8aa3b, v13
	v_exp_f32_e32 v7, v7
	s_nop 0
	v_add_f32_e32 v7, 1.0, v7
	v_cmp_gt_f32_e32 vcc, s16, v7
	s_nop 1
	v_cndmask_b32_e32 v9, 1.0, v11, vcc
	v_mul_f32_e32 v7, v7, v9
	v_log_f32_e32 v14, v7
	v_cndmask_b32_e32 v15, 0, v12, vcc
	v_mov_b32_e32 v9, 0x260
	v_lshlrev_b32_e32 v7, 2, v10
	v_mul_f32_e32 v16, 0x3f317217, v14
	v_fma_f32 v16, v14, s13, -v16
	v_fmac_f32_e32 v16, 0x3377d1cf, v14
	v_fmac_f32_e32 v16, 0x3f317217, v14
	v_cmp_lt_f32_e64 vcc, |v14|, s14
	s_nop 1
	v_cndmask_b32_e32 v14, v14, v16, vcc
	v_sub_f32_e32 v14, v14, v15
	v_cmp_lt_f16_e32 vcc, s12, v0
	s_nop 1
	v_cndmask_b32_e32 v0, v14, v13, vcc
	v_mul_f32_e32 v13, 0x4f800000, v0
	v_cmp_gt_f32_e32 vcc, s15, v0
	s_nop 1
	v_cndmask_b32_e32 v0, v0, v13, vcc
	v_sqrt_f32_e32 v13, v0
	s_nop 0
	v_add_u32_e32 v14, -1, v13
	v_add_u32_e32 v15, 1, v13
	v_fma_f32 v16, -v14, v13, v0
	v_fma_f32 v17, -v15, v13, v0
	v_cmp_ge_f32_e64 s[4:5], 0, v16
	s_nop 1
	v_cndmask_b32_e64 v13, v13, v14, s[4:5]
	v_cmp_lt_f32_e64 s[4:5], 0, v17
	s_nop 1
	v_cndmask_b32_e64 v13, v13, v15, s[4:5]
	v_mul_f32_e32 v14, 0x37800000, v13
	v_cndmask_b32_e32 v13, v13, v14, vcc
	v_cmp_class_f32_e32 vcc, v0, v9
	s_nop 1
	v_cndmask_b32_e32 v0, v13, v0, vcc
	s_mov_b64 vcc, s[2:3]
	s_cbranch_vccz .LBB293_6
; %bb.5:
	global_load_dword v13, v7, s[10:11]
	s_waitcnt vmcnt(0)
	v_add_f32_e32 v0, v0, v13
.LBB293_6:
	s_waitcnt vmcnt(5)
	v_cvt_f32_f16_e32 v13, v1
	v_mul_f32_e32 v14, 0x3fb8aa3b, v13
	v_exp_f32_e32 v14, v14
	s_nop 0
	v_add_f32_e32 v14, 1.0, v14
	v_cmp_gt_f32_e32 vcc, s16, v14
	s_nop 1
	v_cndmask_b32_e32 v11, 1.0, v11, vcc
	v_mul_f32_e32 v11, v14, v11
	v_log_f32_e32 v11, v11
	v_cndmask_b32_e32 v12, 0, v12, vcc
	v_mul_f32_e32 v14, 0x3f317217, v11
	v_fma_f32 v14, v11, s13, -v14
	v_fmac_f32_e32 v14, 0x3377d1cf, v11
	v_fmac_f32_e32 v14, 0x3f317217, v11
	v_cmp_lt_f32_e64 vcc, |v11|, s14
	s_nop 1
	v_cndmask_b32_e32 v11, v11, v14, vcc
	v_sub_f32_e32 v11, v11, v12
	v_cmp_lt_f16_e32 vcc, s12, v1
	v_cndmask_b32_e64 v12, 0, 1, s[6:7]
	v_cmp_ne_u32_e64 s[2:3], 1, v12
	v_cndmask_b32_e32 v1, v11, v13, vcc
	v_mul_f32_e32 v11, 0x4f800000, v1
	v_cmp_gt_f32_e64 s[4:5], s15, v1
	s_andn2_b64 vcc, exec, s[6:7]
	s_nop 0
	v_cndmask_b32_e64 v1, v1, v11, s[4:5]
	v_sqrt_f32_e32 v11, v1
	s_nop 0
	v_add_u32_e32 v12, -1, v11
	v_add_u32_e32 v13, 1, v11
	v_fma_f32 v14, -v12, v11, v1
	v_fma_f32 v15, -v13, v11, v1
	v_cmp_ge_f32_e64 s[6:7], 0, v14
	s_nop 1
	v_cndmask_b32_e64 v11, v11, v12, s[6:7]
	v_cmp_lt_f32_e64 s[6:7], 0, v15
	s_nop 1
	v_cndmask_b32_e64 v11, v11, v13, s[6:7]
	v_mul_f32_e32 v12, 0x37800000, v11
	v_cndmask_b32_e64 v11, v11, v12, s[4:5]
	v_cmp_class_f32_e64 s[4:5], v1, v9
	s_nop 1
	v_cndmask_b32_e64 v1, v11, v1, s[4:5]
	s_cbranch_vccnz .LBB293_8
; %bb.7:
	global_load_dword v9, v7, s[10:11] offset:256
	s_waitcnt vmcnt(0)
	v_add_f32_e32 v1, v1, v9
.LBB293_8:
	s_waitcnt vmcnt(4)
	v_cvt_f32_f16_e32 v9, v2
	s_mov_b32 s12, 0x800000
	s_mov_b32 s7, 0x3f317217
	;; [unrolled: 1-line block ×3, first 2 shown]
	v_mul_f32_e32 v11, 0x3fb8aa3b, v9
	v_exp_f32_e32 v12, v11
	v_mov_b32_e32 v11, 0x4f800000
	s_movk_i32 s6, 0x4d00
	s_mov_b32 s14, 0xf800000
	v_add_f32_e32 v12, 1.0, v12
	v_cmp_gt_f32_e32 vcc, s12, v12
	s_nop 1
	v_cndmask_b32_e32 v13, 1.0, v11, vcc
	v_mul_f32_e32 v12, v12, v13
	v_log_f32_e32 v13, v12
	v_mov_b32_e32 v12, 0x41b17218
	v_cndmask_b32_e32 v14, 0, v12, vcc
	v_mul_f32_e32 v15, 0x3f317217, v13
	v_fma_f32 v15, v13, s7, -v15
	v_fmac_f32_e32 v15, 0x3377d1cf, v13
	v_fmac_f32_e32 v15, 0x3f317217, v13
	v_cmp_lt_f32_e64 vcc, |v13|, s13
	s_nop 1
	v_cndmask_b32_e32 v13, v13, v15, vcc
	v_sub_f32_e32 v13, v13, v14
	v_cmp_lt_f16_e32 vcc, s6, v2
	s_nop 1
	v_cndmask_b32_e32 v2, v13, v9, vcc
	v_mul_f32_e32 v9, 0x4f800000, v2
	v_cmp_gt_f32_e32 vcc, s14, v2
	s_nop 1
	v_cndmask_b32_e32 v2, v2, v9, vcc
	v_sqrt_f32_e32 v9, v2
	s_nop 0
	v_add_u32_e32 v13, -1, v9
	v_fma_f32 v14, -v13, v9, v2
	v_cmp_ge_f32_e64 s[4:5], 0, v14
	v_add_u32_e32 v14, 1, v9
	s_nop 0
	v_cndmask_b32_e64 v13, v9, v13, s[4:5]
	v_fma_f32 v9, -v14, v9, v2
	v_cmp_lt_f32_e64 s[4:5], 0, v9
	s_nop 1
	v_cndmask_b32_e64 v9, v13, v14, s[4:5]
	v_mul_f32_e32 v13, 0x37800000, v9
	v_cndmask_b32_e32 v13, v9, v13, vcc
	v_mov_b32_e32 v9, 0x260
	v_cmp_class_f32_e64 s[4:5], v2, v9
	s_and_b64 vcc, exec, s[2:3]
	s_nop 0
	v_cndmask_b32_e64 v2, v13, v2, s[4:5]
	s_cbranch_vccnz .LBB293_10
; %bb.9:
	global_load_dword v13, v7, s[10:11] offset:512
	s_waitcnt vmcnt(0)
	v_add_f32_e32 v2, v2, v13
.LBB293_10:
	s_waitcnt vmcnt(3)
	v_cvt_f32_f16_e32 v13, v3
	v_mul_f32_e32 v14, 0x3fb8aa3b, v13
	v_exp_f32_e32 v14, v14
	s_nop 0
	v_add_f32_e32 v14, 1.0, v14
	v_cmp_gt_f32_e32 vcc, s12, v14
	s_nop 1
	v_cndmask_b32_e32 v11, 1.0, v11, vcc
	v_mul_f32_e32 v11, v14, v11
	v_log_f32_e32 v11, v11
	v_cndmask_b32_e32 v12, 0, v12, vcc
	v_mul_f32_e32 v14, 0x3f317217, v11
	v_fma_f32 v14, v11, s7, -v14
	v_fmac_f32_e32 v14, 0x3377d1cf, v11
	v_fmac_f32_e32 v14, 0x3f317217, v11
	v_cmp_lt_f32_e64 vcc, |v11|, s13
	s_nop 1
	v_cndmask_b32_e32 v11, v11, v14, vcc
	v_sub_f32_e32 v11, v11, v12
	v_cmp_lt_f16_e32 vcc, s6, v3
	s_nop 1
	v_cndmask_b32_e32 v3, v11, v13, vcc
	v_mul_f32_e32 v11, 0x4f800000, v3
	v_cmp_gt_f32_e64 s[4:5], s14, v3
	s_and_b64 vcc, exec, s[2:3]
	s_nop 0
	v_cndmask_b32_e64 v3, v3, v11, s[4:5]
	v_sqrt_f32_e32 v11, v3
	s_nop 0
	v_add_u32_e32 v12, -1, v11
	v_add_u32_e32 v13, 1, v11
	v_fma_f32 v14, -v12, v11, v3
	v_fma_f32 v15, -v13, v11, v3
	v_cmp_ge_f32_e64 s[6:7], 0, v14
	s_nop 1
	v_cndmask_b32_e64 v11, v11, v12, s[6:7]
	v_cmp_lt_f32_e64 s[6:7], 0, v15
	s_nop 1
	v_cndmask_b32_e64 v11, v11, v13, s[6:7]
	v_mul_f32_e32 v12, 0x37800000, v11
	v_cndmask_b32_e64 v11, v11, v12, s[4:5]
	v_cmp_class_f32_e64 s[4:5], v3, v9
	s_nop 1
	v_cndmask_b32_e64 v3, v11, v3, s[4:5]
	s_cbranch_vccnz .LBB293_12
; %bb.11:
	global_load_dword v9, v7, s[10:11] offset:768
	s_waitcnt vmcnt(0)
	v_add_f32_e32 v3, v3, v9
.LBB293_12:
	s_waitcnt vmcnt(2)
	v_cvt_f32_f16_e32 v9, v4
	s_mov_b32 s7, 0x3f317217
	s_movk_i32 s6, 0x4d00
	v_mul_f32_e32 v11, 0x3fb8aa3b, v9
	v_exp_f32_e32 v12, v11
	v_mov_b32_e32 v11, 0x4f800000
	v_add_f32_e32 v12, 1.0, v12
	v_cmp_gt_f32_e32 vcc, s12, v12
	s_nop 1
	v_cndmask_b32_e32 v13, 1.0, v11, vcc
	v_mul_f32_e32 v12, v12, v13
	v_log_f32_e32 v13, v12
	v_mov_b32_e32 v12, 0x41b17218
	v_cndmask_b32_e32 v14, 0, v12, vcc
	v_mul_f32_e32 v15, 0x3f317217, v13
	v_fma_f32 v15, v13, s7, -v15
	v_fmac_f32_e32 v15, 0x3377d1cf, v13
	v_fmac_f32_e32 v15, 0x3f317217, v13
	v_cmp_lt_f32_e64 vcc, |v13|, s13
	s_nop 1
	v_cndmask_b32_e32 v13, v13, v15, vcc
	v_sub_f32_e32 v13, v13, v14
	v_cmp_lt_f16_e32 vcc, s6, v4
	s_nop 1
	v_cndmask_b32_e32 v4, v13, v9, vcc
	v_mul_f32_e32 v9, 0x4f800000, v4
	v_cmp_gt_f32_e32 vcc, s14, v4
	s_nop 1
	v_cndmask_b32_e32 v4, v4, v9, vcc
	v_sqrt_f32_e32 v9, v4
	s_nop 0
	v_add_u32_e32 v13, -1, v9
	v_fma_f32 v14, -v13, v9, v4
	v_cmp_ge_f32_e64 s[4:5], 0, v14
	v_add_u32_e32 v14, 1, v9
	s_nop 0
	v_cndmask_b32_e64 v13, v9, v13, s[4:5]
	v_fma_f32 v9, -v14, v9, v4
	v_cmp_lt_f32_e64 s[4:5], 0, v9
	s_nop 1
	v_cndmask_b32_e64 v9, v13, v14, s[4:5]
	v_mul_f32_e32 v13, 0x37800000, v9
	v_cndmask_b32_e32 v13, v9, v13, vcc
	v_mov_b32_e32 v9, 0x260
	v_cmp_class_f32_e64 s[4:5], v4, v9
	s_and_b64 vcc, exec, s[2:3]
	s_nop 0
	v_cndmask_b32_e64 v4, v13, v4, s[4:5]
	s_cbranch_vccnz .LBB293_14
; %bb.13:
	global_load_dword v13, v7, s[10:11] offset:1024
	s_waitcnt vmcnt(0)
	v_add_f32_e32 v4, v4, v13
.LBB293_14:
	s_waitcnt vmcnt(1)
	v_cvt_f32_f16_e32 v13, v5
	v_mul_f32_e32 v14, 0x3fb8aa3b, v13
	v_exp_f32_e32 v14, v14
	s_nop 0
	v_add_f32_e32 v14, 1.0, v14
	v_cmp_gt_f32_e32 vcc, s12, v14
	s_nop 1
	v_cndmask_b32_e32 v11, 1.0, v11, vcc
	v_mul_f32_e32 v11, v14, v11
	v_log_f32_e32 v11, v11
	v_cndmask_b32_e32 v12, 0, v12, vcc
	v_mul_f32_e32 v14, 0x3f317217, v11
	v_fma_f32 v14, v11, s7, -v14
	v_fmac_f32_e32 v14, 0x3377d1cf, v11
	v_fmac_f32_e32 v14, 0x3f317217, v11
	v_cmp_lt_f32_e64 vcc, |v11|, s13
	s_nop 1
	v_cndmask_b32_e32 v11, v11, v14, vcc
	v_sub_f32_e32 v11, v11, v12
	v_cmp_lt_f16_e32 vcc, s6, v5
	s_nop 1
	v_cndmask_b32_e32 v5, v11, v13, vcc
	v_mul_f32_e32 v11, 0x4f800000, v5
	v_cmp_gt_f32_e64 s[4:5], s14, v5
	s_and_b64 vcc, exec, s[2:3]
	s_nop 0
	v_cndmask_b32_e64 v5, v5, v11, s[4:5]
	v_sqrt_f32_e32 v11, v5
	s_nop 0
	v_add_u32_e32 v12, -1, v11
	v_add_u32_e32 v13, 1, v11
	v_fma_f32 v14, -v12, v11, v5
	v_fma_f32 v15, -v13, v11, v5
	v_cmp_ge_f32_e64 s[6:7], 0, v14
	s_nop 1
	v_cndmask_b32_e64 v11, v11, v12, s[6:7]
	v_cmp_lt_f32_e64 s[6:7], 0, v15
	s_nop 1
	v_cndmask_b32_e64 v11, v11, v13, s[6:7]
	v_mul_f32_e32 v12, 0x37800000, v11
	v_cndmask_b32_e64 v11, v11, v12, s[4:5]
	v_cmp_class_f32_e64 s[4:5], v5, v9
	s_nop 1
	v_cndmask_b32_e64 v5, v11, v5, s[4:5]
	s_cbranch_vccnz .LBB293_16
; %bb.15:
	global_load_dword v9, v7, s[10:11] offset:1280
	s_waitcnt vmcnt(0)
	v_add_f32_e32 v5, v5, v9
.LBB293_16:
	s_waitcnt vmcnt(0)
	v_cvt_f32_f16_e32 v9, v6
	s_mov_b32 s5, 0x800000
	v_mov_b32_e32 v12, 0x4f800000
	s_mov_b32 s6, 0x3f317217
	v_mul_f32_e32 v11, 0x3fb8aa3b, v9
	v_exp_f32_e32 v11, v11
	s_movk_i32 s4, 0x4d00
	v_add_f32_e32 v11, 1.0, v11
	v_cmp_gt_f32_e32 vcc, s5, v11
	s_mov_b32 s5, 0x7f800000
	s_nop 0
	v_cndmask_b32_e32 v12, 1.0, v12, vcc
	v_mul_f32_e32 v11, v11, v12
	v_log_f32_e32 v11, v11
	v_mov_b32_e32 v12, 0x41b17218
	v_cndmask_b32_e32 v12, 0, v12, vcc
	v_mul_f32_e32 v13, 0x3f317217, v11
	v_fma_f32 v13, v11, s6, -v13
	v_fmamk_f32 v13, v11, 0x3377d1cf, v13
	v_fmac_f32_e32 v13, 0x3f317217, v11
	v_cmp_lt_f32_e64 vcc, |v11|, s5
	s_nop 1
	v_cndmask_b32_e32 v11, v11, v13, vcc
	v_sub_f32_e32 v11, v11, v12
	v_cmp_lt_f16_e32 vcc, s4, v6
	s_mov_b32 s4, 0xf800000
	s_nop 0
	v_cndmask_b32_e32 v6, v11, v9, vcc
	v_mul_f32_e32 v9, 0x4f800000, v6
	v_cmp_gt_f32_e32 vcc, s4, v6
	s_nop 1
	v_cndmask_b32_e32 v6, v6, v9, vcc
	v_sqrt_f32_e32 v9, v6
	s_nop 0
	v_add_u32_e32 v11, -1, v9
	v_fma_f32 v12, -v11, v9, v6
	v_cmp_ge_f32_e64 s[4:5], 0, v12
	v_add_u32_e32 v12, 1, v9
	s_nop 0
	v_cndmask_b32_e64 v11, v9, v11, s[4:5]
	v_fma_f32 v9, -v12, v9, v6
	v_cmp_lt_f32_e64 s[4:5], 0, v9
	s_nop 1
	v_cndmask_b32_e64 v9, v11, v12, s[4:5]
	v_mul_f32_e32 v11, 0x37800000, v9
	v_cndmask_b32_e32 v9, v9, v11, vcc
	v_mov_b32_e32 v11, 0x260
	v_cmp_class_f32_e64 s[4:5], v6, v11
	s_and_b64 vcc, exec, s[2:3]
	s_nop 0
	v_cndmask_b32_e64 v6, v9, v6, s[4:5]
	s_cbranch_vccnz .LBB293_18
; %bb.17:
	global_load_dword v7, v7, s[10:11] offset:1536
	s_waitcnt vmcnt(0)
	v_add_f32_e32 v6, v6, v7
.LBB293_18:
	s_load_dwordx4 s[12:15], s[0:1], 0x30
	v_cmp_eq_u32_e64 s[6:7], 0, v10
	s_waitcnt lgkmcnt(0)
	s_bitcmp1_b32 s15, 0
	s_cselect_b64 s[4:5], -1, 0
	s_cmp_gt_i32 s12, 0
	s_cselect_b64 s[24:25], -1, 0
	s_and_b64 vcc, exec, s[24:25]
	s_cbranch_vccz .LBB293_49
; %bb.19:
	v_mbcnt_lo_u32_b32 v7, -1, 0
	v_mbcnt_hi_u32_b32 v12, -1, v7
	v_and_b32_e32 v7, 64, v12
	v_add_u32_e32 v13, 64, v7
	v_xor_b32_e32 v14, 32, v12
	v_cmp_lt_i32_e32 vcc, v14, v13
	s_load_dwordx4 s[16:19], s[0:1], 0x20
	s_mov_b32 s15, 0
	v_cndmask_b32_e32 v14, v12, v14, vcc
	v_lshlrev_b32_e32 v19, 2, v14
	v_xor_b32_e32 v14, 16, v12
	v_cmp_lt_i32_e32 vcc, v14, v13
	v_mul_lo_u32 v7, v8, s12
	v_or_b32_e32 v9, 64, v10
	v_cndmask_b32_e32 v14, v12, v14, vcc
	v_lshlrev_b32_e32 v20, 2, v14
	v_xor_b32_e32 v14, 8, v12
	v_cmp_lt_i32_e32 vcc, v14, v13
	v_or_b32_e32 v11, 0x80, v10
	v_or_b32_e32 v15, 0xc0, v10
	v_cndmask_b32_e32 v14, v12, v14, vcc
	v_lshlrev_b32_e32 v21, 2, v14
	v_xor_b32_e32 v14, 4, v12
	v_cmp_lt_i32_e32 vcc, v14, v13
	v_or_b32_e32 v16, 0x100, v10
	;; [unrolled: 6-line block ×3, first 2 shown]
	v_mov_b32_e32 v25, 0x1c0
	v_cndmask_b32_e32 v14, v12, v14, vcc
	v_lshlrev_b32_e32 v23, 2, v14
	v_xor_b32_e32 v14, 1, v12
	v_cmp_lt_i32_e32 vcc, v14, v13
	v_mov_b32_e32 v26, 0xc61c4000
	v_mov_b32_e32 v27, v8
	v_cndmask_b32_e32 v12, v12, v14, vcc
	v_lshlrev_b32_e32 v24, 2, v12
	v_mov_b32_e32 v14, 0
	s_branch .LBB293_22
.LBB293_20:                             ;   in Loop: Header=BB293_22 Depth=1
	v_add_u32_e32 v30, s15, v7
	v_cmp_le_i32_e32 vcc, s13, v12
	v_cmp_gt_i32_e64 s[0:1], s14, v12
	v_ashrrev_i32_e32 v31, 31, v30
	s_and_b64 s[0:1], vcc, s[0:1]
	v_lshlrev_b64 v[30:31], 2, v[30:31]
	v_lshl_add_u64 v[32:33], s[20:21], 0, v[30:31]
	v_subrev_u32_e32 v13, s13, v12
	s_and_b64 vcc, s[22:23], s[0:1]
	global_store_dword v[32:33], v28, off
	v_cndmask_b32_e32 v13, v25, v13, vcc
	v_lshl_add_u64 v[32:33], s[16:17], 0, v[30:31]
	global_store_dword v[32:33], v13, off
	v_add_f32_e32 v13, v14, v28
	v_lshl_add_u64 v[30:31], s[18:19], 0, v[30:31]
	v_cndmask_b32_e64 v14, v14, v13, s[4:5]
	global_store_dword v[30:31], v27, off
.LBB293_21:                             ;   in Loop: Header=BB293_22 Depth=1
	s_or_b64 exec, exec, s[26:27]
	v_ashrrev_i32_e32 v13, 31, v12
	v_lshrrev_b32_e32 v13, 26, v13
	v_add_u32_e32 v13, v12, v13
	v_ashrrev_i32_e32 v28, 6, v13
	v_and_b32_e32 v13, 0xffffffc0, v13
	v_sub_u32_e32 v12, v12, v13
	v_cmp_ne_u32_e64 s[0:1], 0, v28
	v_cmp_eq_u32_e32 vcc, v10, v12
	s_add_i32 s15, s15, 1
	v_cndmask_b32_e64 v12, v26, v0, s[0:1]
	v_cmp_ne_u32_e64 s[0:1], 1, v28
	s_cmp_lt_i32 s15, s12
	s_cselect_b64 s[26:27], -1, 0
	v_cndmask_b32_e64 v13, v26, v1, s[0:1]
	v_cmp_ne_u32_e64 s[0:1], 2, v28
	s_and_b64 vcc, s[26:27], vcc
	v_cndmask_b32_e32 v1, v1, v13, vcc
	s_waitcnt lgkmcnt(0)
	v_cndmask_b32_e64 v29, v26, v2, s[0:1]
	v_cmp_ne_u32_e64 s[0:1], 3, v28
	v_cndmask_b32_e32 v2, v2, v29, vcc
	v_cndmask_b32_e32 v0, v0, v12, vcc
	v_cndmask_b32_e64 v30, v26, v3, s[0:1]
	v_cmp_ne_u32_e64 s[0:1], 4, v28
	v_cndmask_b32_e32 v3, v3, v30, vcc
	s_cmp_eq_u32 s12, s15
	v_cndmask_b32_e64 v31, v26, v4, s[0:1]
	v_cmp_ne_u32_e64 s[0:1], 5, v28
	v_cndmask_b32_e32 v4, v4, v31, vcc
	v_add_u32_e32 v27, s30, v27
	v_cndmask_b32_e64 v32, v26, v5, s[0:1]
	v_cmp_ne_u32_e64 s[0:1], 6, v28
	v_cndmask_b32_e32 v5, v5, v32, vcc
	s_nop 0
	v_cndmask_b32_e64 v28, v26, v6, s[0:1]
	v_cndmask_b32_e32 v6, v6, v28, vcc
	s_cbranch_scc1 .LBB293_50
.LBB293_22:                             ; =>This Inner Loop Header: Depth=1
	v_cmp_gt_f32_e32 vcc, v1, v0
	s_nop 1
	v_cndmask_b32_e32 v13, v0, v1, vcc
	v_cndmask_b32_e32 v12, v10, v9, vcc
	v_cmp_gt_f32_e32 vcc, v2, v13
	s_nop 1
	v_cndmask_b32_e32 v13, v13, v2, vcc
	v_cndmask_b32_e32 v12, v12, v11, vcc
	;; [unrolled: 4-line block ×6, first 2 shown]
	ds_bpermute_b32 v13, v19, v28
	ds_bpermute_b32 v29, v19, v12
	s_waitcnt lgkmcnt(0)
	v_cmp_lt_f32_e64 s[26:27], v28, v13
	v_cmp_nlt_f32_e32 vcc, v28, v13
	s_and_saveexec_b64 s[28:29], vcc
; %bb.23:                               ;   in Loop: Header=BB293_22 Depth=1
	v_cmp_eq_f32_e32 vcc, v28, v13
	v_cmp_lt_i32_e64 s[0:1], v29, v12
	s_and_b64 s[0:1], vcc, s[0:1]
	s_andn2_b64 s[26:27], s[26:27], exec
	s_and_b64 s[0:1], s[0:1], exec
	s_or_b64 s[26:27], s[26:27], s[0:1]
; %bb.24:                               ;   in Loop: Header=BB293_22 Depth=1
	s_or_b64 exec, exec, s[28:29]
	s_and_saveexec_b64 s[0:1], s[26:27]
; %bb.25:                               ;   in Loop: Header=BB293_22 Depth=1
	v_mov_b32_e32 v28, v13
	v_mov_b32_e32 v12, v29
; %bb.26:                               ;   in Loop: Header=BB293_22 Depth=1
	s_or_b64 exec, exec, s[0:1]
	ds_bpermute_b32 v13, v20, v28
	ds_bpermute_b32 v29, v20, v12
	s_waitcnt lgkmcnt(1)
	v_cmp_lt_f32_e64 s[26:27], v28, v13
	v_cmp_nlt_f32_e32 vcc, v28, v13
	s_and_saveexec_b64 s[28:29], vcc
	s_cbranch_execz .LBB293_28
; %bb.27:                               ;   in Loop: Header=BB293_22 Depth=1
	v_cmp_eq_f32_e32 vcc, v28, v13
	s_waitcnt lgkmcnt(0)
	v_cmp_lt_i32_e64 s[0:1], v29, v12
	s_and_b64 s[0:1], vcc, s[0:1]
	s_andn2_b64 s[26:27], s[26:27], exec
	s_and_b64 s[0:1], s[0:1], exec
	s_or_b64 s[26:27], s[26:27], s[0:1]
.LBB293_28:                             ;   in Loop: Header=BB293_22 Depth=1
	s_or_b64 exec, exec, s[28:29]
	s_and_saveexec_b64 s[0:1], s[26:27]
	s_cbranch_execz .LBB293_30
; %bb.29:                               ;   in Loop: Header=BB293_22 Depth=1
	v_mov_b32_e32 v28, v13
	s_waitcnt lgkmcnt(0)
	v_mov_b32_e32 v12, v29
.LBB293_30:                             ;   in Loop: Header=BB293_22 Depth=1
	s_or_b64 exec, exec, s[0:1]
	ds_bpermute_b32 v13, v21, v28
	s_waitcnt lgkmcnt(1)
	ds_bpermute_b32 v29, v21, v12
	s_waitcnt lgkmcnt(1)
	v_cmp_lt_f32_e64 s[26:27], v28, v13
	v_cmp_nlt_f32_e32 vcc, v28, v13
	s_and_saveexec_b64 s[28:29], vcc
	s_cbranch_execz .LBB293_32
; %bb.31:                               ;   in Loop: Header=BB293_22 Depth=1
	v_cmp_eq_f32_e32 vcc, v28, v13
	s_waitcnt lgkmcnt(0)
	v_cmp_lt_i32_e64 s[0:1], v29, v12
	s_and_b64 s[0:1], vcc, s[0:1]
	s_andn2_b64 s[26:27], s[26:27], exec
	s_and_b64 s[0:1], s[0:1], exec
	s_or_b64 s[26:27], s[26:27], s[0:1]
.LBB293_32:                             ;   in Loop: Header=BB293_22 Depth=1
	s_or_b64 exec, exec, s[28:29]
	s_and_saveexec_b64 s[0:1], s[26:27]
	s_cbranch_execz .LBB293_34
; %bb.33:                               ;   in Loop: Header=BB293_22 Depth=1
	v_mov_b32_e32 v28, v13
	s_waitcnt lgkmcnt(0)
	v_mov_b32_e32 v12, v29
.LBB293_34:                             ;   in Loop: Header=BB293_22 Depth=1
	s_or_b64 exec, exec, s[0:1]
	ds_bpermute_b32 v13, v22, v28
	s_waitcnt lgkmcnt(1)
	;; [unrolled: 26-line block ×4, first 2 shown]
	ds_bpermute_b32 v29, v24, v12
	s_waitcnt lgkmcnt(1)
	v_cmp_lt_f32_e64 s[26:27], v28, v13
	v_cmp_nlt_f32_e32 vcc, v28, v13
	s_and_saveexec_b64 s[28:29], vcc
	s_cbranch_execnz .LBB293_45
; %bb.43:                               ;   in Loop: Header=BB293_22 Depth=1
	s_or_b64 exec, exec, s[28:29]
	s_and_saveexec_b64 s[0:1], s[26:27]
	s_cbranch_execnz .LBB293_46
.LBB293_44:                             ;   in Loop: Header=BB293_22 Depth=1
	s_or_b64 exec, exec, s[0:1]
	s_and_saveexec_b64 s[26:27], s[6:7]
	s_cbranch_execz .LBB293_21
	s_branch .LBB293_47
.LBB293_45:                             ;   in Loop: Header=BB293_22 Depth=1
	v_cmp_eq_f32_e32 vcc, v28, v13
	s_waitcnt lgkmcnt(0)
	v_cmp_lt_i32_e64 s[0:1], v29, v12
	s_and_b64 s[0:1], vcc, s[0:1]
	s_andn2_b64 s[26:27], s[26:27], exec
	s_and_b64 s[0:1], s[0:1], exec
	s_or_b64 s[26:27], s[26:27], s[0:1]
	s_or_b64 exec, exec, s[28:29]
	s_and_saveexec_b64 s[0:1], s[26:27]
	s_cbranch_execz .LBB293_44
.LBB293_46:                             ;   in Loop: Header=BB293_22 Depth=1
	s_waitcnt lgkmcnt(0)
	v_mov_b32_e32 v12, v29
	v_mov_b32_e32 v28, v13
	s_or_b64 exec, exec, s[0:1]
	s_and_saveexec_b64 s[26:27], s[6:7]
	s_cbranch_execz .LBB293_21
.LBB293_47:                             ;   in Loop: Header=BB293_22 Depth=1
	s_and_b64 vcc, exec, s[2:3]
	s_cbranch_vccnz .LBB293_20
; %bb.48:                               ;   in Loop: Header=BB293_22 Depth=1
	v_ashrrev_i32_e32 v13, 31, v12
	v_lshl_add_u64 v[30:31], v[12:13], 2, s[10:11]
	global_load_dword v13, v[30:31], off
	s_waitcnt vmcnt(0)
	v_sub_f32_e32 v28, v28, v13
	s_branch .LBB293_20
.LBB293_49:
	v_mov_b32_e32 v14, 0
.LBB293_50:
	v_cmp_eq_u32_e32 vcc, 0, v10
	s_and_b64 exec, exec, vcc
	s_cbranch_execz .LBB293_63
; %bb.51:
	s_andn2_b64 vcc, exec, s[4:5]
	v_cvt_f32_f64_e32 v0, s[8:9]
	s_cbranch_vccnz .LBB293_53
; %bb.52:
	v_cmp_lt_f32_e32 vcc, 0, v14
	s_nop 1
	v_cndmask_b32_e32 v1, 1.0, v14, vcc
	v_div_scale_f32 v2, s[0:1], v1, v1, v0
	v_rcp_f32_e32 v3, v2
	s_nop 0
	v_fma_f32 v4, -v2, v3, 1.0
	v_fmac_f32_e32 v3, v4, v3
	v_div_scale_f32 v4, vcc, v0, v1, v0
	v_mul_f32_e32 v5, v4, v3
	v_fma_f32 v6, -v2, v5, v4
	v_fmac_f32_e32 v5, v6, v3
	v_fma_f32 v2, -v2, v5, v4
	v_div_fmas_f32 v2, v2, v3, v5
	v_div_fixup_f32 v0, v2, v1, v0
.LBB293_53:
	s_andn2_b64 vcc, exec, s[24:25]
	s_cbranch_vccnz .LBB293_63
; %bb.54:
	v_mul_lo_u32 v2, v8, s12
	s_cmp_gt_u32 s12, 3
	v_ashrrev_i32_e32 v3, 31, v2
	s_cbranch_scc0 .LBB293_58
; %bb.55:
	s_and_b32 s0, s12, 0x7ffffffc
	v_lshl_add_u64 v[4:5], v[2:3], 2, s[20:21]
	v_mov_b32_e32 v1, v0
	v_lshl_add_u64 v[4:5], v[4:5], 0, 8
	s_mov_b32 s1, s0
.LBB293_56:                             ; =>This Inner Loop Header: Depth=1
	global_load_dwordx4 v[6:9], v[4:5], off offset:-8
	s_add_i32 s1, s1, -4
	s_cmp_lg_u32 s1, 0
	s_waitcnt vmcnt(0)
	v_pk_mul_f32 v[6:7], v[0:1], v[6:7]
	v_pk_mul_f32 v[8:9], v[0:1], v[8:9]
	global_store_dwordx4 v[4:5], v[6:9], off offset:-8
	v_lshl_add_u64 v[4:5], v[4:5], 0, 16
	s_cbranch_scc1 .LBB293_56
; %bb.57:
	s_cmp_lg_u32 s0, s12
	s_cselect_b64 s[2:3], -1, 0
	s_branch .LBB293_60
.LBB293_58:
	s_mov_b64 s[2:3], 0
                                        ; implicit-def: $sgpr0
	s_cbranch_execz .LBB293_60
; %bb.59:
	s_mov_b64 s[2:3], -1
	s_mov_b32 s0, 0
.LBB293_60:
	s_andn2_b64 vcc, exec, s[2:3]
	s_cbranch_vccnz .LBB293_63
; %bb.61:
	s_mov_b32 s1, 0
	v_lshl_add_u64 v[2:3], v[2:3], 0, s[0:1]
	s_sub_i32 s2, s12, s0
	v_lshl_add_u64 v[2:3], v[2:3], 2, s[20:21]
.LBB293_62:                             ; =>This Inner Loop Header: Depth=1
	global_load_dword v1, v[2:3], off
	s_add_i32 s2, s2, -1
	s_cmp_lg_u32 s2, 0
	s_waitcnt vmcnt(0)
	v_mul_f32_e32 v1, v0, v1
	global_store_dword v[2:3], v1, off
	v_lshl_add_u64 v[2:3], v[2:3], 0, 4
	s_cbranch_scc1 .LBB293_62
.LBB293_63:
	s_endpgm
	.section	.rodata,"a",@progbits
	.p2align	6, 0x0
	.amdhsa_kernel _ZN4vllm3moe22topkGatingSoftplusSqrtILi7ELi448ELi4ELi2ELi64ELb0Ej6__halfEEvPKT6_PKbPfiPT5_PiiiibdPKfPKS9_SF_
		.amdhsa_group_segment_fixed_size 0
		.amdhsa_private_segment_fixed_size 0
		.amdhsa_kernarg_size 96
		.amdhsa_user_sgpr_count 2
		.amdhsa_user_sgpr_dispatch_ptr 0
		.amdhsa_user_sgpr_queue_ptr 0
		.amdhsa_user_sgpr_kernarg_segment_ptr 1
		.amdhsa_user_sgpr_dispatch_id 0
		.amdhsa_user_sgpr_kernarg_preload_length 0
		.amdhsa_user_sgpr_kernarg_preload_offset 0
		.amdhsa_user_sgpr_private_segment_size 0
		.amdhsa_uses_dynamic_stack 0
		.amdhsa_enable_private_segment 0
		.amdhsa_system_sgpr_workgroup_id_x 1
		.amdhsa_system_sgpr_workgroup_id_y 0
		.amdhsa_system_sgpr_workgroup_id_z 0
		.amdhsa_system_sgpr_workgroup_info 0
		.amdhsa_system_vgpr_workitem_id 1
		.amdhsa_next_free_vgpr 34
		.amdhsa_next_free_sgpr 31
		.amdhsa_accum_offset 36
		.amdhsa_reserve_vcc 1
		.amdhsa_float_round_mode_32 0
		.amdhsa_float_round_mode_16_64 0
		.amdhsa_float_denorm_mode_32 3
		.amdhsa_float_denorm_mode_16_64 3
		.amdhsa_dx10_clamp 1
		.amdhsa_ieee_mode 1
		.amdhsa_fp16_overflow 0
		.amdhsa_tg_split 0
		.amdhsa_exception_fp_ieee_invalid_op 0
		.amdhsa_exception_fp_denorm_src 0
		.amdhsa_exception_fp_ieee_div_zero 0
		.amdhsa_exception_fp_ieee_overflow 0
		.amdhsa_exception_fp_ieee_underflow 0
		.amdhsa_exception_fp_ieee_inexact 0
		.amdhsa_exception_int_div_zero 0
	.end_amdhsa_kernel
	.section	.text._ZN4vllm3moe22topkGatingSoftplusSqrtILi7ELi448ELi4ELi2ELi64ELb0Ej6__halfEEvPKT6_PKbPfiPT5_PiiiibdPKfPKS9_SF_,"axG",@progbits,_ZN4vllm3moe22topkGatingSoftplusSqrtILi7ELi448ELi4ELi2ELi64ELb0Ej6__halfEEvPKT6_PKbPfiPT5_PiiiibdPKfPKS9_SF_,comdat
.Lfunc_end293:
	.size	_ZN4vllm3moe22topkGatingSoftplusSqrtILi7ELi448ELi4ELi2ELi64ELb0Ej6__halfEEvPKT6_PKbPfiPT5_PiiiibdPKfPKS9_SF_, .Lfunc_end293-_ZN4vllm3moe22topkGatingSoftplusSqrtILi7ELi448ELi4ELi2ELi64ELb0Ej6__halfEEvPKT6_PKbPfiPT5_PiiiibdPKfPKS9_SF_
                                        ; -- End function
	.section	.AMDGPU.csdata,"",@progbits
; Kernel info:
; codeLenInByte = 4044
; NumSgprs: 37
; NumVgprs: 34
; NumAgprs: 0
; TotalNumVgprs: 34
; ScratchSize: 0
; MemoryBound: 0
; FloatMode: 240
; IeeeMode: 1
; LDSByteSize: 0 bytes/workgroup (compile time only)
; SGPRBlocks: 4
; VGPRBlocks: 4
; NumSGPRsForWavesPerEU: 37
; NumVGPRsForWavesPerEU: 34
; AccumOffset: 36
; Occupancy: 8
; WaveLimiterHint : 1
; COMPUTE_PGM_RSRC2:SCRATCH_EN: 0
; COMPUTE_PGM_RSRC2:USER_SGPR: 2
; COMPUTE_PGM_RSRC2:TRAP_HANDLER: 0
; COMPUTE_PGM_RSRC2:TGID_X_EN: 1
; COMPUTE_PGM_RSRC2:TGID_Y_EN: 0
; COMPUTE_PGM_RSRC2:TGID_Z_EN: 0
; COMPUTE_PGM_RSRC2:TIDIG_COMP_CNT: 1
; COMPUTE_PGM_RSRC3_GFX90A:ACCUM_OFFSET: 8
; COMPUTE_PGM_RSRC3_GFX90A:TG_SPLIT: 0
	.section	.text._ZN4vllm3moe22topkGatingSoftplusSqrtILi14ELi448ELi4ELi2ELi32ELb1Ej6__halfEEvPKT6_PKbPfiPT5_PiiiibdPKfPKS9_SF_,"axG",@progbits,_ZN4vllm3moe22topkGatingSoftplusSqrtILi14ELi448ELi4ELi2ELi32ELb1Ej6__halfEEvPKT6_PKbPfiPT5_PiiiibdPKfPKS9_SF_,comdat
	.protected	_ZN4vllm3moe22topkGatingSoftplusSqrtILi14ELi448ELi4ELi2ELi32ELb1Ej6__halfEEvPKT6_PKbPfiPT5_PiiiibdPKfPKS9_SF_ ; -- Begin function _ZN4vllm3moe22topkGatingSoftplusSqrtILi14ELi448ELi4ELi2ELi32ELb1Ej6__halfEEvPKT6_PKbPfiPT5_PiiiibdPKfPKS9_SF_
	.globl	_ZN4vllm3moe22topkGatingSoftplusSqrtILi14ELi448ELi4ELi2ELi32ELb1Ej6__halfEEvPKT6_PKbPfiPT5_PiiiibdPKfPKS9_SF_
	.p2align	8
	.type	_ZN4vllm3moe22topkGatingSoftplusSqrtILi14ELi448ELi4ELi2ELi32ELb1Ej6__halfEEvPKT6_PKbPfiPT5_PiiiibdPKfPKS9_SF_,@function
_ZN4vllm3moe22topkGatingSoftplusSqrtILi14ELi448ELi4ELi2ELi32ELb1Ej6__halfEEvPKT6_PKbPfiPT5_PiiiibdPKfPKS9_SF_: ; @_ZN4vllm3moe22topkGatingSoftplusSqrtILi14ELi448ELi4ELi2ELi32ELb1Ej6__halfEEvPKT6_PKbPfiPT5_PiiiibdPKfPKS9_SF_
; %bb.0:
	s_load_dword s3, s[0:1], 0x18
	v_and_b32_e32 v1, 0x3ff, v0
	s_lshl_b32 s2, s2, 2
	v_lshrrev_b32_e32 v2, 5, v1
	v_bfe_u32 v0, v0, 10, 10
	v_add3_u32 v16, s2, v0, v2
	s_waitcnt lgkmcnt(0)
	v_cmp_gt_i32_e32 vcc, s3, v16
	s_and_saveexec_b64 s[2:3], vcc
	s_cbranch_execz .LBB294_64
; %bb.1:
	s_load_dwordx2 s[2:3], s[0:1], 0x0
	s_load_dword s33, s[0:1], 0x30
	s_load_dwordx4 s[4:7], s[0:1], 0x50
	s_movk_i32 s8, 0x1c0
	v_mul_lo_u32 v2, v16, s8
	v_ashrrev_i32_e32 v3, 31, v2
	v_and_b32_e32 v24, 31, v1
	s_waitcnt lgkmcnt(0)
	v_lshl_add_u64 v[2:3], v[2:3], 1, s[2:3]
	v_lshlrev_b32_e32 v14, 1, v24
	v_mov_b32_e32 v15, 0
	v_lshl_add_u64 v[0:1], v[2:3], 0, v[14:15]
	global_load_ushort v2, v[0:1], off
	global_load_ushort v3, v[0:1], off offset:64
	global_load_ushort v4, v[0:1], off offset:128
	;; [unrolled: 1-line block ×13, first 2 shown]
	v_mov_b32_e32 v0, s4
	v_mov_b32_e32 v1, s5
	v_ashrrev_i32_e32 v17, 31, v16
	v_lshl_add_u64 v[0:1], v[16:17], 2, v[0:1]
	global_load_dword v0, v[0:1], off
	s_mov_b32 s12, 0x800000
	v_mov_b32_e32 v17, 0x4f800000
	s_mov_b32 s10, 0x3f317217
	s_mov_b32 s13, 0x7f800000
	v_mov_b32_e32 v20, 0x41b17218
	s_movk_i32 s9, 0x4d00
	s_mov_b32 s11, 0xf800000
	v_mov_b32_e32 v18, s6
	v_mov_b32_e32 v19, s7
	;; [unrolled: 1-line block ×3, first 2 shown]
	s_cmp_gt_i32 s33, 0
	s_mov_b32 s8, 0
	s_waitcnt vmcnt(14)
	v_cvt_f32_f16_e32 v1, v2
	s_waitcnt vmcnt(13)
	v_cvt_f32_f16_e32 v28, v3
	;; [unrolled: 2-line block ×4, first 2 shown]
	v_mul_f32_e32 v14, 0x3fb8aa3b, v1
	v_mul_f32_e32 v38, 0x3fb8aa3b, v28
	v_exp_f32_e32 v40, v14
	v_exp_f32_e32 v38, v38
	v_mul_f32_e32 v39, 0x3fb8aa3b, v29
	v_exp_f32_e32 v39, v39
	s_waitcnt vmcnt(10)
	v_cvt_f32_f16_e32 v31, v6
	v_add_f32_e32 v38, 1.0, v38
	v_cmp_gt_f32_e64 s[2:3], s12, v38
	v_add_f32_e32 v39, 1.0, v39
	v_cmp_gt_f32_e64 s[4:5], s12, v39
	v_cndmask_b32_e64 v41, 1.0, v17, s[2:3]
	v_mul_f32_e32 v38, v38, v41
	v_log_f32_e32 v38, v38
	s_waitcnt vmcnt(0)
	v_mul_lo_u32 v14, v0, s33
	v_add_f32_e32 v0, 1.0, v40
	v_cmp_gt_f32_e32 vcc, s12, v0
	v_cndmask_b32_e64 v42, 1.0, v17, s[4:5]
	v_mul_f32_e32 v39, v39, v42
	v_cndmask_b32_e32 v40, 1.0, v17, vcc
	v_mul_f32_e32 v0, v0, v40
	v_log_f32_e32 v0, v0
	v_mul_f32_e32 v43, 0x3f317217, v38
	v_fma_f32 v43, v38, s10, -v43
	v_cndmask_b32_e32 v40, 0, v20, vcc
	v_mul_f32_e32 v42, 0x3f317217, v0
	v_fma_f32 v42, v0, s10, -v42
	v_fmac_f32_e32 v42, 0x3377d1cf, v0
	v_fmac_f32_e32 v43, 0x3377d1cf, v38
	;; [unrolled: 1-line block ×3, first 2 shown]
	v_cmp_lt_f32_e64 vcc, |v0|, s13
	v_fmac_f32_e32 v43, 0x3f317217, v38
	v_cndmask_b32_e64 v41, 0, v20, s[2:3]
	v_cndmask_b32_e32 v0, v0, v42, vcc
	v_cmp_lt_f32_e64 vcc, |v38|, s13
	v_sub_f32_e32 v0, v0, v40
	v_cvt_f32_f16_e32 v32, v7
	v_cndmask_b32_e32 v38, v38, v43, vcc
	v_cmp_lt_f16_e32 vcc, s9, v2
	v_sub_f32_e32 v38, v38, v41
	v_cvt_f32_f16_e32 v33, v25
	v_cndmask_b32_e32 v0, v0, v1, vcc
	v_cmp_lt_f16_e32 vcc, s9, v3
	v_mul_f32_e32 v2, 0x4f800000, v0
	v_cvt_f32_f16_e32 v34, v26
	v_cndmask_b32_e32 v1, v38, v28, vcc
	v_cmp_gt_f32_e32 vcc, s11, v0
	v_mul_f32_e32 v3, 0x4f800000, v1
	v_cmp_gt_f32_e64 s[2:3], s11, v1
	v_cndmask_b32_e32 v0, v0, v2, vcc
	v_sqrt_f32_e32 v2, v0
	v_cndmask_b32_e64 v1, v1, v3, s[2:3]
	v_sqrt_f32_e32 v3, v1
	v_log_f32_e32 v28, v39
	v_add_u32_e32 v38, -1, v2
	v_fma_f32 v42, -v38, v2, v0
	v_add_u32_e32 v40, -1, v3
	v_add_u32_e32 v39, 1, v2
	v_fma_f32 v44, -v40, v3, v1
	v_cmp_ge_f32_e64 s[6:7], 0, v42
	v_add_u32_e32 v41, 1, v3
	v_fma_f32 v43, -v39, v2, v0
	v_cndmask_b32_e64 v2, v2, v38, s[6:7]
	v_cmp_ge_f32_e64 s[6:7], 0, v44
	v_fma_f32 v45, -v41, v3, v1
	v_cvt_f32_f16_e32 v35, v27
	v_cndmask_b32_e64 v3, v3, v40, s[6:7]
	v_cmp_lt_f32_e64 s[6:7], 0, v43
	v_cvt_f32_f16_e32 v36, v8
	v_cvt_f32_f16_e32 v37, v9
	v_cndmask_b32_e64 v2, v2, v39, s[6:7]
	v_mul_f32_e32 v38, 0x37800000, v2
	v_cndmask_b32_e32 v2, v2, v38, vcc
	v_mul_f32_e32 v38, 0x3f317217, v28
	v_cmp_class_f32_e32 vcc, v0, v13
	v_fma_f32 v38, v28, s10, -v38
	v_fmac_f32_e32 v38, 0x3377d1cf, v28
	v_cndmask_b32_e32 v0, v2, v0, vcc
	v_cmp_lt_f32_e32 vcc, 0, v45
	v_fmac_f32_e32 v38, 0x3f317217, v28
	v_cvt_f32_f16_e32 v23, v10
	v_cndmask_b32_e32 v2, v3, v41, vcc
	v_cmp_lt_f32_e64 vcc, |v28|, s13
	v_mul_f32_e32 v3, 0x37800000, v2
	v_cndmask_b32_e64 v2, v2, v3, s[2:3]
	v_cndmask_b32_e32 v28, v28, v38, vcc
	v_cndmask_b32_e64 v38, 0, v20, s[4:5]
	v_sub_f32_e32 v28, v28, v38
	v_cmp_lt_f16_e32 vcc, s9, v4
	v_cmp_class_f32_e64 s[2:3], v1, v13
	v_cvt_f32_f16_e32 v22, v11
	v_cndmask_b32_e32 v4, v28, v29, vcc
	v_mul_f32_e32 v28, 0x4f800000, v4
	v_cmp_gt_f32_e32 vcc, s11, v4
	v_mul_f32_e32 v29, 0x3fb8aa3b, v30
	v_exp_f32_e32 v29, v29
	v_cndmask_b32_e32 v4, v4, v28, vcc
	v_sqrt_f32_e32 v28, v4
	v_cndmask_b32_e64 v1, v2, v1, s[2:3]
	v_add_f32_e32 v29, 1.0, v29
	v_cvt_f32_f16_e32 v21, v12
	v_add_u32_e32 v2, -1, v28
	v_fma_f32 v3, -v2, v28, v4
	v_cmp_ge_f32_e64 s[2:3], 0, v3
	v_add_u32_e32 v3, 1, v28
	v_lshl_add_u64 v[18:19], v[14:15], 2, v[18:19]
	v_cndmask_b32_e64 v2, v28, v2, s[2:3]
	v_cmp_gt_f32_e64 s[2:3], s12, v29
	v_fma_f32 v28, -v3, v28, v4
	v_cmp_lt_f32_e64 s[4:5], 0, v28
	v_cndmask_b32_e64 v38, 1.0, v17, s[2:3]
	v_mul_f32_e32 v29, v29, v38
	v_log_f32_e32 v29, v29
	v_cndmask_b32_e64 v2, v2, v3, s[4:5]
	v_mul_f32_e32 v3, 0x37800000, v2
	v_cndmask_b32_e32 v2, v2, v3, vcc
	v_mul_f32_e32 v28, 0x3f317217, v29
	v_fma_f32 v28, v29, s10, -v28
	v_fmac_f32_e32 v28, 0x3377d1cf, v29
	v_fmac_f32_e32 v28, 0x3f317217, v29
	v_cmp_lt_f32_e64 s[4:5], |v29|, s13
	v_cmp_class_f32_e32 vcc, v4, v13
	v_mul_lo_u32 v14, v16, s33
	v_cndmask_b32_e64 v28, v29, v28, s[4:5]
	v_cndmask_b32_e64 v29, 0, v20, s[2:3]
	v_sub_f32_e32 v28, v28, v29
	v_cmp_lt_f16_e64 s[2:3], s9, v5
	v_mul_f32_e32 v29, 0x3fb8aa3b, v31
	v_exp_f32_e32 v29, v29
	v_cndmask_b32_e64 v5, v28, v30, s[2:3]
	v_mul_f32_e32 v28, 0x4f800000, v5
	v_cmp_gt_f32_e64 s[2:3], s11, v5
	v_cndmask_b32_e32 v2, v2, v4, vcc
	v_add_f32_e32 v29, 1.0, v29
	v_cndmask_b32_e64 v5, v5, v28, s[2:3]
	v_sqrt_f32_e32 v28, v5
	s_nop 0
	v_add_u32_e32 v3, -1, v28
	v_fma_f32 v4, -v3, v28, v5
	v_cmp_ge_f32_e32 vcc, 0, v4
	v_add_u32_e32 v4, 1, v28
	s_nop 0
	v_cndmask_b32_e32 v3, v28, v3, vcc
	v_cmp_gt_f32_e32 vcc, s12, v29
	v_fma_f32 v28, -v4, v28, v5
	v_cmp_lt_f32_e64 s[4:5], 0, v28
	v_cndmask_b32_e32 v30, 1.0, v17, vcc
	v_mul_f32_e32 v29, v29, v30
	v_log_f32_e32 v29, v29
	v_cndmask_b32_e64 v3, v3, v4, s[4:5]
	v_mul_f32_e32 v4, 0x37800000, v3
	v_cndmask_b32_e64 v3, v3, v4, s[2:3]
	v_mul_f32_e32 v28, 0x3f317217, v29
	v_fma_f32 v28, v29, s10, -v28
	v_fmac_f32_e32 v28, 0x3377d1cf, v29
	v_fmac_f32_e32 v28, 0x3f317217, v29
	v_cmp_lt_f32_e64 s[4:5], |v29|, s13
	v_cmp_class_f32_e64 s[2:3], v5, v13
	s_nop 0
	v_cndmask_b32_e64 v28, v29, v28, s[4:5]
	v_cndmask_b32_e32 v29, 0, v20, vcc
	v_sub_f32_e32 v28, v28, v29
	v_cmp_lt_f16_e32 vcc, s9, v6
	v_mul_f32_e32 v29, 0x3fb8aa3b, v32
	v_exp_f32_e32 v29, v29
	v_cndmask_b32_e32 v6, v28, v31, vcc
	v_mul_f32_e32 v28, 0x4f800000, v6
	v_cmp_gt_f32_e32 vcc, s11, v6
	v_cndmask_b32_e64 v3, v3, v5, s[2:3]
	v_add_f32_e32 v29, 1.0, v29
	v_cndmask_b32_e32 v6, v6, v28, vcc
	v_sqrt_f32_e32 v28, v6
	s_nop 0
	v_add_u32_e32 v4, -1, v28
	v_fma_f32 v5, -v4, v28, v6
	v_cmp_ge_f32_e64 s[2:3], 0, v5
	v_add_u32_e32 v5, 1, v28
	s_nop 0
	v_cndmask_b32_e64 v4, v28, v4, s[2:3]
	v_cmp_gt_f32_e64 s[2:3], s12, v29
	v_fma_f32 v28, -v5, v28, v6
	v_cmp_lt_f32_e64 s[4:5], 0, v28
	v_cndmask_b32_e64 v30, 1.0, v17, s[2:3]
	v_mul_f32_e32 v29, v29, v30
	v_log_f32_e32 v29, v29
	v_cndmask_b32_e64 v4, v4, v5, s[4:5]
	v_mul_f32_e32 v5, 0x37800000, v4
	v_cndmask_b32_e32 v4, v4, v5, vcc
	v_mul_f32_e32 v28, 0x3f317217, v29
	v_fma_f32 v28, v29, s10, -v28
	v_fmac_f32_e32 v28, 0x3377d1cf, v29
	v_fmac_f32_e32 v28, 0x3f317217, v29
	v_cmp_lt_f32_e64 s[4:5], |v29|, s13
	v_cmp_class_f32_e32 vcc, v6, v13
	s_nop 0
	v_cndmask_b32_e64 v28, v29, v28, s[4:5]
	v_cndmask_b32_e64 v29, 0, v20, s[2:3]
	v_sub_f32_e32 v28, v28, v29
	v_cmp_lt_f16_e64 s[2:3], s9, v7
	v_mul_f32_e32 v29, 0x3fb8aa3b, v33
	v_exp_f32_e32 v29, v29
	v_cndmask_b32_e64 v7, v28, v32, s[2:3]
	v_mul_f32_e32 v28, 0x4f800000, v7
	v_cmp_gt_f32_e64 s[2:3], s11, v7
	v_cndmask_b32_e32 v4, v4, v6, vcc
	v_add_f32_e32 v29, 1.0, v29
	v_cndmask_b32_e64 v7, v7, v28, s[2:3]
	v_sqrt_f32_e32 v28, v7
	s_nop 0
	v_add_u32_e32 v5, -1, v28
	v_fma_f32 v6, -v5, v28, v7
	v_cmp_ge_f32_e32 vcc, 0, v6
	v_add_u32_e32 v6, 1, v28
	s_nop 0
	v_cndmask_b32_e32 v5, v28, v5, vcc
	v_cmp_gt_f32_e32 vcc, s12, v29
	v_fma_f32 v28, -v6, v28, v7
	v_cmp_lt_f32_e64 s[4:5], 0, v28
	v_cndmask_b32_e32 v30, 1.0, v17, vcc
	v_mul_f32_e32 v29, v29, v30
	v_log_f32_e32 v29, v29
	v_cndmask_b32_e64 v5, v5, v6, s[4:5]
	v_mul_f32_e32 v6, 0x37800000, v5
	v_cndmask_b32_e64 v5, v5, v6, s[2:3]
	v_mul_f32_e32 v28, 0x3f317217, v29
	v_fma_f32 v28, v29, s10, -v28
	v_fmac_f32_e32 v28, 0x3377d1cf, v29
	v_fmac_f32_e32 v28, 0x3f317217, v29
	v_cmp_lt_f32_e64 s[4:5], |v29|, s13
	v_cmp_class_f32_e64 s[2:3], v7, v13
	s_nop 0
	v_cndmask_b32_e64 v28, v29, v28, s[4:5]
	v_cndmask_b32_e32 v29, 0, v20, vcc
	v_sub_f32_e32 v28, v28, v29
	v_cmp_lt_f16_e32 vcc, s9, v25
	v_mul_f32_e32 v29, 0x3fb8aa3b, v34
	v_exp_f32_e32 v29, v29
	v_cndmask_b32_e32 v25, v28, v33, vcc
	v_mul_f32_e32 v28, 0x4f800000, v25
	v_cmp_gt_f32_e32 vcc, s11, v25
	v_cndmask_b32_e64 v5, v5, v7, s[2:3]
	v_add_f32_e32 v29, 1.0, v29
	v_cndmask_b32_e32 v25, v25, v28, vcc
	v_sqrt_f32_e32 v28, v25
	s_nop 0
	v_add_u32_e32 v6, -1, v28
	v_fma_f32 v7, -v6, v28, v25
	v_cmp_ge_f32_e64 s[2:3], 0, v7
	v_add_u32_e32 v7, 1, v28
	s_nop 0
	v_cndmask_b32_e64 v6, v28, v6, s[2:3]
	v_cmp_gt_f32_e64 s[2:3], s12, v29
	v_fma_f32 v28, -v7, v28, v25
	v_cmp_lt_f32_e64 s[4:5], 0, v28
	v_cndmask_b32_e64 v30, 1.0, v17, s[2:3]
	v_mul_f32_e32 v29, v29, v30
	v_log_f32_e32 v29, v29
	v_cndmask_b32_e64 v6, v6, v7, s[4:5]
	v_mul_f32_e32 v7, 0x37800000, v6
	v_cndmask_b32_e32 v6, v6, v7, vcc
	v_mul_f32_e32 v28, 0x3f317217, v29
	v_fma_f32 v28, v29, s10, -v28
	v_fmac_f32_e32 v28, 0x3377d1cf, v29
	v_fmac_f32_e32 v28, 0x3f317217, v29
	v_cmp_lt_f32_e64 s[4:5], |v29|, s13
	v_cmp_class_f32_e32 vcc, v25, v13
	s_nop 0
	v_cndmask_b32_e64 v28, v29, v28, s[4:5]
	v_cndmask_b32_e64 v29, 0, v20, s[2:3]
	v_sub_f32_e32 v28, v28, v29
	v_cmp_lt_f16_e64 s[2:3], s9, v26
	v_mul_f32_e32 v29, 0x3fb8aa3b, v35
	v_exp_f32_e32 v29, v29
	v_cndmask_b32_e64 v26, v28, v34, s[2:3]
	v_mul_f32_e32 v28, 0x4f800000, v26
	v_cmp_gt_f32_e64 s[2:3], s11, v26
	v_cndmask_b32_e32 v6, v6, v25, vcc
	v_add_f32_e32 v29, 1.0, v29
	v_cndmask_b32_e64 v26, v26, v28, s[2:3]
	v_sqrt_f32_e32 v28, v26
	s_nop 0
	v_add_u32_e32 v7, -1, v28
	v_fma_f32 v25, -v7, v28, v26
	v_cmp_ge_f32_e32 vcc, 0, v25
	v_add_u32_e32 v25, 1, v28
	s_nop 0
	v_cndmask_b32_e32 v7, v28, v7, vcc
	v_cmp_gt_f32_e32 vcc, s12, v29
	v_fma_f32 v28, -v25, v28, v26
	v_cmp_lt_f32_e64 s[4:5], 0, v28
	v_cndmask_b32_e32 v30, 1.0, v17, vcc
	v_mul_f32_e32 v29, v29, v30
	v_log_f32_e32 v29, v29
	v_cndmask_b32_e64 v7, v7, v25, s[4:5]
	v_mul_f32_e32 v25, 0x37800000, v7
	v_cndmask_b32_e64 v7, v7, v25, s[2:3]
	v_mul_f32_e32 v28, 0x3f317217, v29
	v_fma_f32 v28, v29, s10, -v28
	v_fmac_f32_e32 v28, 0x3377d1cf, v29
	v_fmac_f32_e32 v28, 0x3f317217, v29
	v_cmp_lt_f32_e64 s[4:5], |v29|, s13
	v_cmp_class_f32_e64 s[2:3], v26, v13
	s_nop 0
	v_cndmask_b32_e64 v28, v29, v28, s[4:5]
	v_cndmask_b32_e32 v29, 0, v20, vcc
	v_sub_f32_e32 v28, v28, v29
	v_cmp_lt_f16_e32 vcc, s9, v27
	v_mul_f32_e32 v29, 0x3fb8aa3b, v36
	v_exp_f32_e32 v29, v29
	v_cndmask_b32_e32 v27, v28, v35, vcc
	v_mul_f32_e32 v28, 0x4f800000, v27
	v_cmp_gt_f32_e32 vcc, s11, v27
	v_cndmask_b32_e64 v7, v7, v26, s[2:3]
	v_add_f32_e32 v29, 1.0, v29
	v_cndmask_b32_e32 v27, v27, v28, vcc
	v_sqrt_f32_e32 v28, v27
	s_nop 0
	v_add_u32_e32 v25, -1, v28
	v_fma_f32 v26, -v25, v28, v27
	v_cmp_ge_f32_e64 s[2:3], 0, v26
	v_add_u32_e32 v26, 1, v28
	s_nop 0
	v_cndmask_b32_e64 v25, v28, v25, s[2:3]
	v_cmp_gt_f32_e64 s[2:3], s12, v29
	v_fma_f32 v28, -v26, v28, v27
	v_cmp_lt_f32_e64 s[4:5], 0, v28
	v_cndmask_b32_e64 v30, 1.0, v17, s[2:3]
	v_mul_f32_e32 v29, v29, v30
	v_log_f32_e32 v29, v29
	v_cndmask_b32_e64 v25, v25, v26, s[4:5]
	v_mul_f32_e32 v26, 0x37800000, v25
	v_mul_f32_e32 v28, 0x3f317217, v29
	v_fma_f32 v28, v29, s10, -v28
	v_fmac_f32_e32 v28, 0x3377d1cf, v29
	v_fmac_f32_e32 v28, 0x3f317217, v29
	v_cmp_lt_f32_e64 s[4:5], |v29|, s13
	s_nop 1
	v_cndmask_b32_e64 v28, v29, v28, s[4:5]
	v_cndmask_b32_e64 v29, 0, v20, s[2:3]
	v_sub_f32_e32 v28, v28, v29
	v_cmp_lt_f16_e64 s[2:3], s9, v8
	s_nop 1
	v_cndmask_b32_e64 v8, v28, v36, s[2:3]
	v_mul_f32_e32 v28, 0x4f800000, v8
	v_cmp_gt_f32_e64 s[2:3], s11, v8
	s_nop 1
	v_cndmask_b32_e64 v28, v8, v28, s[2:3]
	v_sqrt_f32_e32 v29, v28
	v_cndmask_b32_e32 v8, v25, v26, vcc
	v_cmp_class_f32_e32 vcc, v27, v13
	v_add_u32_e32 v25, -1, v29
	s_nop 0
	v_cndmask_b32_e32 v8, v8, v27, vcc
	v_mul_f32_e32 v27, 0x3fb8aa3b, v37
	v_exp_f32_e32 v27, v27
	v_fma_f32 v26, -v25, v29, v28
	v_cmp_ge_f32_e32 vcc, 0, v26
	v_add_u32_e32 v26, 1, v29
	v_add_f32_e32 v27, 1.0, v27
	v_cndmask_b32_e32 v25, v29, v25, vcc
	v_cmp_gt_f32_e32 vcc, s12, v27
	v_fma_f32 v29, -v26, v29, v28
	v_cmp_lt_f32_e64 s[4:5], 0, v29
	v_cndmask_b32_e32 v30, 1.0, v17, vcc
	v_mul_f32_e32 v27, v27, v30
	v_log_f32_e32 v27, v27
	v_cndmask_b32_e64 v25, v25, v26, s[4:5]
	v_mul_f32_e32 v26, 0x37800000, v25
	v_mul_f32_e32 v29, 0x3f317217, v27
	v_fma_f32 v29, v27, s10, -v29
	v_fmac_f32_e32 v29, 0x3377d1cf, v27
	v_fmac_f32_e32 v29, 0x3f317217, v27
	v_cmp_lt_f32_e64 s[4:5], |v27|, s13
	s_nop 1
	v_cndmask_b32_e64 v27, v27, v29, s[4:5]
	v_cndmask_b32_e32 v29, 0, v20, vcc
	v_sub_f32_e32 v27, v27, v29
	v_cmp_lt_f16_e32 vcc, s9, v9
	s_nop 1
	v_cndmask_b32_e32 v9, v27, v37, vcc
	v_mul_f32_e32 v27, 0x4f800000, v9
	v_cmp_gt_f32_e32 vcc, s11, v9
	s_nop 1
	v_cndmask_b32_e32 v27, v9, v27, vcc
	v_sqrt_f32_e32 v29, v27
	v_cndmask_b32_e64 v9, v25, v26, s[2:3]
	v_cmp_class_f32_e64 s[2:3], v28, v13
	v_add_u32_e32 v25, -1, v29
	s_nop 0
	v_cndmask_b32_e64 v9, v9, v28, s[2:3]
	v_mul_f32_e32 v28, 0x3fb8aa3b, v23
	v_exp_f32_e32 v28, v28
	v_fma_f32 v26, -v25, v29, v27
	v_cmp_ge_f32_e64 s[2:3], 0, v26
	v_add_u32_e32 v26, 1, v29
	v_add_f32_e32 v28, 1.0, v28
	v_cndmask_b32_e64 v25, v29, v25, s[2:3]
	v_cmp_gt_f32_e64 s[2:3], s12, v28
	v_fma_f32 v29, -v26, v29, v27
	v_cmp_lt_f32_e64 s[4:5], 0, v29
	v_cndmask_b32_e64 v30, 1.0, v17, s[2:3]
	v_mul_f32_e32 v28, v28, v30
	v_log_f32_e32 v28, v28
	v_cndmask_b32_e64 v25, v25, v26, s[4:5]
	v_mul_f32_e32 v26, 0x37800000, v25
	v_mul_f32_e32 v29, 0x3f317217, v28
	v_fma_f32 v29, v28, s10, -v29
	v_fmac_f32_e32 v29, 0x3377d1cf, v28
	v_fmac_f32_e32 v29, 0x3f317217, v28
	v_cmp_lt_f32_e64 s[4:5], |v28|, s13
	s_nop 1
	v_cndmask_b32_e64 v28, v28, v29, s[4:5]
	v_cndmask_b32_e64 v29, 0, v20, s[2:3]
	v_sub_f32_e32 v28, v28, v29
	v_cmp_lt_f16_e64 s[2:3], s9, v10
	s_nop 1
	v_cndmask_b32_e64 v10, v28, v23, s[2:3]
	v_mul_f32_e32 v23, 0x4f800000, v10
	v_cmp_gt_f32_e64 s[2:3], s11, v10
	s_nop 1
	v_cndmask_b32_e64 v23, v10, v23, s[2:3]
	v_sqrt_f32_e32 v28, v23
	v_cndmask_b32_e32 v10, v25, v26, vcc
	v_cmp_class_f32_e32 vcc, v27, v13
	v_add_u32_e32 v25, -1, v28
	s_nop 0
	v_cndmask_b32_e32 v10, v10, v27, vcc
	v_mul_f32_e32 v27, 0x3fb8aa3b, v22
	v_exp_f32_e32 v27, v27
	v_fma_f32 v26, -v25, v28, v23
	v_cmp_ge_f32_e32 vcc, 0, v26
	v_add_u32_e32 v26, 1, v28
	v_add_f32_e32 v27, 1.0, v27
	v_cndmask_b32_e32 v25, v28, v25, vcc
	v_cmp_gt_f32_e32 vcc, s12, v27
	v_fma_f32 v28, -v26, v28, v23
	v_cmp_lt_f32_e64 s[4:5], 0, v28
	v_cndmask_b32_e32 v29, 1.0, v17, vcc
	v_mul_f32_e32 v27, v27, v29
	v_log_f32_e32 v27, v27
	v_cndmask_b32_e64 v25, v25, v26, s[4:5]
	v_mul_f32_e32 v26, 0x37800000, v25
	v_mul_f32_e32 v28, 0x3f317217, v27
	v_fma_f32 v28, v27, s10, -v28
	v_fmac_f32_e32 v28, 0x3377d1cf, v27
	v_fmac_f32_e32 v28, 0x3f317217, v27
	v_cmp_lt_f32_e64 s[4:5], |v27|, s13
	s_nop 1
	v_cndmask_b32_e64 v27, v27, v28, s[4:5]
	v_cndmask_b32_e32 v28, 0, v20, vcc
	v_sub_f32_e32 v27, v27, v28
	v_cmp_lt_f16_e32 vcc, s9, v11
	s_nop 1
	v_cndmask_b32_e32 v11, v27, v22, vcc
	v_mul_f32_e32 v22, 0x4f800000, v11
	v_cmp_gt_f32_e32 vcc, s11, v11
	s_nop 1
	v_cndmask_b32_e32 v22, v11, v22, vcc
	v_sqrt_f32_e32 v27, v22
	v_cndmask_b32_e64 v11, v25, v26, s[2:3]
	v_mul_f32_e32 v26, 0x3fb8aa3b, v21
	v_exp_f32_e32 v26, v26
	v_cmp_class_f32_e64 s[2:3], v23, v13
	v_add_f32_e32 v26, 1.0, v26
	s_nop 0
	v_cndmask_b32_e64 v11, v11, v23, s[2:3]
	v_add_u32_e32 v23, -1, v27
	v_fma_f32 v25, -v23, v27, v22
	v_cmp_ge_f32_e64 s[2:3], 0, v25
	v_add_u32_e32 v25, 1, v27
	s_nop 0
	v_cndmask_b32_e64 v23, v27, v23, s[2:3]
	v_cmp_gt_f32_e64 s[2:3], s12, v26
	v_fma_f32 v27, -v25, v27, v22
	v_cmp_lt_f32_e64 s[4:5], 0, v27
	v_cndmask_b32_e64 v17, 1.0, v17, s[2:3]
	v_mul_f32_e32 v17, v26, v17
	v_log_f32_e32 v17, v17
	v_cndmask_b32_e64 v23, v23, v25, s[4:5]
	v_cndmask_b32_e64 v20, 0, v20, s[2:3]
	v_cmp_lt_f16_e64 s[2:3], s9, v12
	v_mul_f32_e32 v26, 0x3f317217, v17
	v_fma_f32 v26, v17, s10, -v26
	v_fmac_f32_e32 v26, 0x3377d1cf, v17
	v_fmac_f32_e32 v26, 0x3f317217, v17
	v_cmp_lt_f32_e64 s[4:5], |v17|, s13
	v_mul_f32_e32 v25, 0x37800000, v23
	s_nop 0
	v_cndmask_b32_e64 v17, v17, v26, s[4:5]
	v_sub_f32_e32 v17, v17, v20
	v_cndmask_b32_e64 v12, v17, v21, s[2:3]
	v_mul_f32_e32 v17, 0x4f800000, v12
	v_cmp_gt_f32_e64 s[2:3], s11, v12
	s_cselect_b64 s[4:5], -1, 0
	s_cmp_lt_i32 s33, 1
	v_cndmask_b32_e64 v17, v12, v17, s[2:3]
	v_sqrt_f32_e32 v20, v17
	v_cndmask_b32_e32 v12, v23, v25, vcc
	v_cmp_class_f32_e32 vcc, v22, v13
	v_add_u32_e32 v21, -1, v20
	s_nop 0
	v_cndmask_b32_e32 v12, v12, v22, vcc
	v_fma_f32 v22, -v21, v20, v17
	v_cmp_ge_f32_e32 vcc, 0, v22
	v_add_u32_e32 v22, 1, v20
	s_nop 0
	v_cndmask_b32_e32 v21, v20, v21, vcc
	v_fma_f32 v20, -v22, v20, v17
	v_cmp_lt_f32_e32 vcc, 0, v20
	s_nop 1
	v_cndmask_b32_e32 v20, v21, v22, vcc
	v_mul_f32_e32 v21, 0x37800000, v20
	v_cndmask_b32_e64 v20, v20, v21, s[2:3]
	v_cmp_class_f32_e32 vcc, v17, v13
	s_nop 1
	v_cndmask_b32_e32 v13, v20, v17, vcc
	s_cbranch_scc1 .LBB294_29
; %bb.2:
	s_load_dwordx2 s[6:7], s[0:1], 0x20
	s_cmp_lt_u32 s33, 4
	v_mul_lo_u32 v16, v16, s33
	s_cbranch_scc1 .LBB294_21
; %bb.3:
	s_mov_b32 s11, 0
	s_and_b32 s8, s33, 0x7ffffffc
	v_ashrrev_i32_e32 v17, 31, v16
	v_mov_b32_e32 v15, 0
	s_mov_b32 s10, s11
	s_branch .LBB294_5
.LBB294_4:                              ;   in Loop: Header=BB294_5 Depth=1
	s_or_b64 exec, exec, s[12:13]
	s_add_i32 s10, s10, 4
	s_cmp_eq_u32 s10, s8
	s_cbranch_scc1 .LBB294_22
.LBB294_5:                              ; =>This Loop Header: Depth=1
                                        ;     Child Loop BB294_7 Depth 2
                                        ;     Child Loop BB294_11 Depth 2
	;; [unrolled: 1-line block ×4, first 2 shown]
	v_lshl_add_u64 v[20:21], s[10:11], 2, v[18:19]
	global_load_dword v25, v[20:21], off
	v_add_u32_e32 v22, s10, v16
	v_ashrrev_i32_e32 v23, 31, v22
	s_waitcnt lgkmcnt(0)
	v_lshl_add_u64 v[22:23], v[22:23], 2, s[6:7]
	s_mov_b64 s[12:13], 0
	v_mov_b32_e32 v26, v24
	s_mov_b64 s[14:15], 0
	s_waitcnt vmcnt(0)
	s_branch .LBB294_7
.LBB294_6:                              ;   in Loop: Header=BB294_7 Depth=2
	s_or_b64 exec, exec, s[16:17]
	s_cmp_gt_u32 s14, 12
	s_cselect_b64 s[2:3], -1, 0
	s_xor_b64 s[16:17], vcc, -1
	s_or_b64 s[2:3], s[16:17], s[2:3]
	s_add_u32 s14, s14, 1
	s_addc_u32 s15, s15, 0
	s_and_b64 s[2:3], exec, s[2:3]
	s_or_b64 s[12:13], s[2:3], s[12:13]
	v_add_u32_e32 v26, 32, v26
	s_andn2_b64 exec, exec, s[12:13]
	s_cbranch_execz .LBB294_9
.LBB294_7:                              ;   Parent Loop BB294_5 Depth=1
                                        ; =>  This Inner Loop Header: Depth=2
	v_cmp_ne_u32_e32 vcc, v25, v26
	v_cmp_eq_u32_e64 s[2:3], v25, v26
	s_and_saveexec_b64 s[16:17], s[2:3]
	s_cbranch_execz .LBB294_6
; %bb.8:                                ;   in Loop: Header=BB294_7 Depth=2
	s_set_gpr_idx_on s14, gpr_idx(SRC0)
	v_mov_b32_e32 v27, v0
	s_set_gpr_idx_off
	v_add_f32_e32 v15, v15, v27
	global_store_dword v[22:23], v25, off
	s_branch .LBB294_6
.LBB294_9:                              ;   in Loop: Header=BB294_5 Depth=1
	s_or_b64 exec, exec, s[12:13]
	global_load_dword v25, v[20:21], off offset:4
	s_ashr_i32 s3, s10, 31
	s_mov_b32 s2, s10
	v_lshl_add_u64 v[22:23], s[2:3], 0, v[16:17]
	v_lshl_add_u64 v[22:23], v[22:23], 2, s[6:7]
	s_mov_b64 s[12:13], 0
	v_mov_b32_e32 v26, v24
	s_mov_b64 s[14:15], 0
	s_waitcnt vmcnt(0)
	s_branch .LBB294_11
.LBB294_10:                             ;   in Loop: Header=BB294_11 Depth=2
	s_or_b64 exec, exec, s[16:17]
	s_cmp_gt_u32 s14, 12
	s_cselect_b64 s[2:3], -1, 0
	s_xor_b64 s[16:17], vcc, -1
	s_or_b64 s[2:3], s[16:17], s[2:3]
	s_add_u32 s14, s14, 1
	s_addc_u32 s15, s15, 0
	s_and_b64 s[2:3], exec, s[2:3]
	s_or_b64 s[12:13], s[2:3], s[12:13]
	v_add_u32_e32 v26, 32, v26
	s_andn2_b64 exec, exec, s[12:13]
	s_cbranch_execz .LBB294_13
.LBB294_11:                             ;   Parent Loop BB294_5 Depth=1
                                        ; =>  This Inner Loop Header: Depth=2
	v_cmp_ne_u32_e32 vcc, v25, v26
	v_cmp_eq_u32_e64 s[2:3], v25, v26
	s_and_saveexec_b64 s[16:17], s[2:3]
	s_cbranch_execz .LBB294_10
; %bb.12:                               ;   in Loop: Header=BB294_11 Depth=2
	s_set_gpr_idx_on s14, gpr_idx(SRC0)
	v_mov_b32_e32 v27, v0
	s_set_gpr_idx_off
	v_add_f32_e32 v15, v15, v27
	global_store_dword v[22:23], v25, off offset:4
	s_branch .LBB294_10
.LBB294_13:                             ;   in Loop: Header=BB294_5 Depth=1
	s_or_b64 exec, exec, s[12:13]
	global_load_dword v25, v[20:21], off offset:8
	s_mov_b64 s[12:13], 0
	v_mov_b32_e32 v26, v24
	s_mov_b64 s[14:15], 0
	s_waitcnt vmcnt(0)
	s_branch .LBB294_15
.LBB294_14:                             ;   in Loop: Header=BB294_15 Depth=2
	s_or_b64 exec, exec, s[16:17]
	s_cmp_gt_u32 s14, 12
	s_cselect_b64 s[2:3], -1, 0
	s_xor_b64 s[16:17], vcc, -1
	s_or_b64 s[2:3], s[16:17], s[2:3]
	s_add_u32 s14, s14, 1
	s_addc_u32 s15, s15, 0
	s_and_b64 s[2:3], exec, s[2:3]
	s_or_b64 s[12:13], s[2:3], s[12:13]
	v_add_u32_e32 v26, 32, v26
	s_andn2_b64 exec, exec, s[12:13]
	s_cbranch_execz .LBB294_17
.LBB294_15:                             ;   Parent Loop BB294_5 Depth=1
                                        ; =>  This Inner Loop Header: Depth=2
	v_cmp_ne_u32_e32 vcc, v25, v26
	v_cmp_eq_u32_e64 s[2:3], v25, v26
	s_and_saveexec_b64 s[16:17], s[2:3]
	s_cbranch_execz .LBB294_14
; %bb.16:                               ;   in Loop: Header=BB294_15 Depth=2
	s_set_gpr_idx_on s14, gpr_idx(SRC0)
	v_mov_b32_e32 v27, v0
	s_set_gpr_idx_off
	v_add_f32_e32 v15, v15, v27
	global_store_dword v[22:23], v25, off offset:8
	s_branch .LBB294_14
.LBB294_17:                             ;   in Loop: Header=BB294_5 Depth=1
	s_or_b64 exec, exec, s[12:13]
	global_load_dword v20, v[20:21], off offset:12
	s_mov_b64 s[12:13], 0
	v_mov_b32_e32 v21, v24
	s_mov_b64 s[14:15], 0
	s_waitcnt vmcnt(0)
	s_branch .LBB294_19
.LBB294_18:                             ;   in Loop: Header=BB294_19 Depth=2
	s_or_b64 exec, exec, s[16:17]
	s_cmp_gt_u32 s14, 12
	s_cselect_b64 s[2:3], -1, 0
	s_xor_b64 s[16:17], vcc, -1
	s_or_b64 s[2:3], s[16:17], s[2:3]
	s_add_u32 s14, s14, 1
	s_addc_u32 s15, s15, 0
	s_and_b64 s[2:3], exec, s[2:3]
	s_or_b64 s[12:13], s[2:3], s[12:13]
	v_add_u32_e32 v21, 32, v21
	s_andn2_b64 exec, exec, s[12:13]
	s_cbranch_execz .LBB294_4
.LBB294_19:                             ;   Parent Loop BB294_5 Depth=1
                                        ; =>  This Inner Loop Header: Depth=2
	v_cmp_ne_u32_e32 vcc, v20, v21
	v_cmp_eq_u32_e64 s[2:3], v20, v21
	s_and_saveexec_b64 s[16:17], s[2:3]
	s_cbranch_execz .LBB294_18
; %bb.20:                               ;   in Loop: Header=BB294_19 Depth=2
	s_set_gpr_idx_on s14, gpr_idx(SRC0)
	v_mov_b32_e32 v25, v0
	s_set_gpr_idx_off
	v_add_f32_e32 v15, v15, v25
	global_store_dword v[22:23], v20, off offset:12
	s_branch .LBB294_18
.LBB294_21:
	v_mov_b32_e32 v15, 0
.LBB294_22:
	s_and_b32 s16, s33, 3
	s_cmp_eq_u32 s16, 0
	s_mov_b32 s9, 0
	s_cbranch_scc1 .LBB294_29
; %bb.23:
	s_mov_b32 s17, s9
	s_branch .LBB294_25
.LBB294_24:                             ;   in Loop: Header=BB294_25 Depth=1
	s_or_b64 exec, exec, s[10:11]
	s_add_i32 s8, s8, 1
	s_add_i32 s17, s17, 1
	s_cmp_lg_u32 s17, s16
	s_cbranch_scc0 .LBB294_29
.LBB294_25:                             ; =>This Loop Header: Depth=1
                                        ;     Child Loop BB294_27 Depth 2
	v_lshl_add_u64 v[20:21], s[8:9], 2, v[18:19]
	global_load_dword v17, v[20:21], off
	v_add_u32_e32 v20, s8, v16
	v_ashrrev_i32_e32 v21, 31, v20
	s_waitcnt lgkmcnt(0)
	v_lshl_add_u64 v[20:21], v[20:21], 2, s[6:7]
	s_mov_b64 s[10:11], 0
	v_mov_b32_e32 v22, v24
	s_mov_b64 s[12:13], 0
	s_waitcnt vmcnt(0)
	s_branch .LBB294_27
.LBB294_26:                             ;   in Loop: Header=BB294_27 Depth=2
	s_or_b64 exec, exec, s[14:15]
	s_cmp_gt_u32 s12, 12
	s_cselect_b64 s[2:3], -1, 0
	s_xor_b64 s[14:15], vcc, -1
	s_or_b64 s[2:3], s[14:15], s[2:3]
	s_add_u32 s12, s12, 1
	s_addc_u32 s13, s13, 0
	s_and_b64 s[2:3], exec, s[2:3]
	s_or_b64 s[10:11], s[2:3], s[10:11]
	v_add_u32_e32 v22, 32, v22
	s_andn2_b64 exec, exec, s[10:11]
	s_cbranch_execz .LBB294_24
.LBB294_27:                             ;   Parent Loop BB294_25 Depth=1
                                        ; =>  This Inner Loop Header: Depth=2
	v_cmp_ne_u32_e32 vcc, v17, v22
	v_cmp_eq_u32_e64 s[2:3], v17, v22
	s_and_saveexec_b64 s[14:15], s[2:3]
	s_cbranch_execz .LBB294_26
; %bb.28:                               ;   in Loop: Header=BB294_27 Depth=2
	s_set_gpr_idx_on s12, gpr_idx(SRC0)
	v_mov_b32_e32 v23, v0
	s_set_gpr_idx_off
	v_add_f32_e32 v15, v15, v23
	global_store_dword v[20:21], v17, off
	s_branch .LBB294_26
.LBB294_29:
	s_waitcnt lgkmcnt(0)
	s_load_dword s6, s[0:1], 0x3c
	s_waitcnt lgkmcnt(0)
	s_bitcmp1_b32 s6, 0
	s_cselect_b64 s[2:3], -1, 0
	s_bitcmp0_b32 s6, 0
	s_cbranch_scc0 .LBB294_32
; %bb.30:
	s_load_dwordx2 s[6:7], s[0:1], 0x40
	s_andn2_b64 vcc, exec, s[2:3]
	s_waitcnt lgkmcnt(0)
	v_cvt_f32_f64_e32 v20, s[6:7]
	s_cbranch_vccz .LBB294_33
.LBB294_31:
	s_andn2_b64 vcc, exec, s[4:5]
	s_cbranch_vccz .LBB294_34
	s_branch .LBB294_64
.LBB294_32:
	v_mbcnt_lo_u32_b32 v16, -1, 0
	v_mbcnt_hi_u32_b32 v16, -1, v16
	v_and_b32_e32 v17, 0x60, v16
	v_add_u32_e32 v17, 32, v17
	v_xor_b32_e32 v20, 16, v16
	v_cmp_lt_i32_e32 vcc, v20, v17
	v_xor_b32_e32 v21, 8, v16
	s_nop 0
	v_cndmask_b32_e32 v20, v16, v20, vcc
	v_lshlrev_b32_e32 v20, 2, v20
	ds_bpermute_b32 v20, v20, v15
	v_cmp_lt_i32_e32 vcc, v21, v17
	s_waitcnt lgkmcnt(0)
	v_add_f32_e32 v15, v15, v20
	v_cndmask_b32_e32 v20, v16, v21, vcc
	v_lshlrev_b32_e32 v20, 2, v20
	ds_bpermute_b32 v20, v20, v15
	v_xor_b32_e32 v21, 4, v16
	v_cmp_lt_i32_e32 vcc, v21, v17
	s_waitcnt lgkmcnt(0)
	v_add_f32_e32 v15, v15, v20
	v_cndmask_b32_e32 v20, v16, v21, vcc
	v_lshlrev_b32_e32 v20, 2, v20
	ds_bpermute_b32 v20, v20, v15
	v_xor_b32_e32 v21, 2, v16
	;; [unrolled: 7-line block ×3, first 2 shown]
	v_cmp_lt_i32_e32 vcc, v21, v17
	s_waitcnt lgkmcnt(0)
	v_add_f32_e32 v15, v15, v20
	v_cndmask_b32_e32 v16, v16, v21, vcc
	v_lshlrev_b32_e32 v16, 2, v16
	ds_bpermute_b32 v16, v16, v15
	s_waitcnt lgkmcnt(0)
	v_add_f32_e32 v15, v15, v16
	s_load_dwordx2 s[6:7], s[0:1], 0x40
	s_andn2_b64 vcc, exec, s[2:3]
	s_waitcnt lgkmcnt(0)
	v_cvt_f32_f64_e32 v20, s[6:7]
	s_cbranch_vccnz .LBB294_31
.LBB294_33:
	v_cmp_lt_f32_e32 vcc, 0, v15
	s_nop 1
	v_cndmask_b32_e32 v15, 1.0, v15, vcc
	v_div_scale_f32 v16, s[2:3], v15, v15, v20
	v_rcp_f32_e32 v17, v16
	s_nop 0
	v_fma_f32 v21, -v16, v17, 1.0
	v_fmac_f32_e32 v17, v21, v17
	v_div_scale_f32 v21, vcc, v20, v15, v20
	v_mul_f32_e32 v22, v21, v17
	v_fma_f32 v23, -v16, v22, v21
	v_fmac_f32_e32 v22, v23, v17
	v_fma_f32 v16, -v16, v22, v21
	v_div_fmas_f32 v16, v16, v17, v22
	v_div_fixup_f32 v20, v16, v15, v20
	s_andn2_b64 vcc, exec, s[4:5]
	s_cbranch_vccnz .LBB294_64
.LBB294_34:
	s_load_dwordx2 s[24:25], s[0:1], 0x10
	v_or_b32_e32 v21, 32, v24
	v_or_b32_e32 v22, 64, v24
	;; [unrolled: 1-line block ×13, first 2 shown]
	s_branch .LBB294_36
.LBB294_35:                             ;   in Loop: Header=BB294_36 Depth=1
	s_or_b64 exec, exec, s[0:1]
	s_add_i32 s33, s33, -1
	v_add_u32_e32 v14, 1, v14
	s_cmp_lg_u32 s33, 0
	v_lshl_add_u64 v[18:19], v[18:19], 0, 4
	s_cbranch_scc0 .LBB294_64
.LBB294_36:                             ; =>This Inner Loop Header: Depth=1
	global_load_dword v15, v[18:19], off
	v_mov_b64_e32 v[16:17], 0
	s_waitcnt vmcnt(0)
	v_cmp_eq_u32_e32 vcc, v15, v24
	v_cmp_ne_u32_e64 s[0:1], v15, v24
	s_and_saveexec_b64 s[26:27], s[0:1]
	s_cbranch_execz .LBB294_62
; %bb.37:                               ;   in Loop: Header=BB294_36 Depth=1
	v_cmp_eq_u32_e64 s[0:1], v15, v21
	v_cmp_ne_u32_e64 s[2:3], v15, v21
	v_mov_b64_e32 v[16:17], 1
	s_and_saveexec_b64 s[28:29], s[2:3]
	s_cbranch_execz .LBB294_61
; %bb.38:                               ;   in Loop: Header=BB294_36 Depth=1
	v_cmp_eq_u32_e64 s[2:3], v15, v22
	v_cmp_ne_u32_e64 s[4:5], v15, v22
	v_mov_b64_e32 v[16:17], 2
	;; [unrolled: 6-line block ×12, first 2 shown]
	s_and_saveexec_b64 s[54:55], s[22:23]
	s_xor_b64 s[54:55], exec, s[54:55]
; %bb.49:                               ;   in Loop: Header=BB294_36 Depth=1
	v_cmp_eq_u32_e64 s[22:23], v15, v34
	s_andn2_b64 s[52:53], s[52:53], exec
	s_and_b64 s[22:23], s[22:23], exec
	v_mov_b64_e32 v[16:17], 13
	s_or_b64 s[52:53], s[52:53], s[22:23]
; %bb.50:                               ;   in Loop: Header=BB294_36 Depth=1
	s_or_b64 exec, exec, s[54:55]
	s_andn2_b64 s[20:21], s[20:21], exec
	s_and_b64 s[22:23], s[52:53], exec
	s_or_b64 s[20:21], s[20:21], s[22:23]
.LBB294_51:                             ;   in Loop: Header=BB294_36 Depth=1
	s_or_b64 exec, exec, s[50:51]
	s_andn2_b64 s[18:19], s[18:19], exec
	s_and_b64 s[20:21], s[20:21], exec
	s_or_b64 s[18:19], s[18:19], s[20:21]
.LBB294_52:                             ;   in Loop: Header=BB294_36 Depth=1
	s_or_b64 exec, exec, s[48:49]
	s_andn2_b64 s[16:17], s[16:17], exec
	s_and_b64 s[18:19], s[18:19], exec
	s_or_b64 s[16:17], s[16:17], s[18:19]
.LBB294_53:                             ;   in Loop: Header=BB294_36 Depth=1
	s_or_b64 exec, exec, s[46:47]
	s_andn2_b64 s[14:15], s[14:15], exec
	s_and_b64 s[16:17], s[16:17], exec
	s_or_b64 s[14:15], s[14:15], s[16:17]
.LBB294_54:                             ;   in Loop: Header=BB294_36 Depth=1
	s_or_b64 exec, exec, s[44:45]
	s_andn2_b64 s[12:13], s[12:13], exec
	s_and_b64 s[14:15], s[14:15], exec
	s_or_b64 s[12:13], s[12:13], s[14:15]
.LBB294_55:                             ;   in Loop: Header=BB294_36 Depth=1
	s_or_b64 exec, exec, s[42:43]
	s_andn2_b64 s[10:11], s[10:11], exec
	s_and_b64 s[12:13], s[12:13], exec
	s_or_b64 s[10:11], s[10:11], s[12:13]
.LBB294_56:                             ;   in Loop: Header=BB294_36 Depth=1
	s_or_b64 exec, exec, s[40:41]
	s_andn2_b64 s[8:9], s[8:9], exec
	s_and_b64 s[10:11], s[10:11], exec
	s_or_b64 s[8:9], s[8:9], s[10:11]
.LBB294_57:                             ;   in Loop: Header=BB294_36 Depth=1
	s_or_b64 exec, exec, s[38:39]
	s_andn2_b64 s[6:7], s[6:7], exec
	s_and_b64 s[8:9], s[8:9], exec
	s_or_b64 s[6:7], s[6:7], s[8:9]
.LBB294_58:                             ;   in Loop: Header=BB294_36 Depth=1
	s_or_b64 exec, exec, s[36:37]
	s_andn2_b64 s[4:5], s[4:5], exec
	s_and_b64 s[6:7], s[6:7], exec
	s_or_b64 s[4:5], s[4:5], s[6:7]
.LBB294_59:                             ;   in Loop: Header=BB294_36 Depth=1
	s_or_b64 exec, exec, s[34:35]
	s_andn2_b64 s[2:3], s[2:3], exec
	s_and_b64 s[4:5], s[4:5], exec
	s_or_b64 s[2:3], s[2:3], s[4:5]
.LBB294_60:                             ;   in Loop: Header=BB294_36 Depth=1
	s_or_b64 exec, exec, s[30:31]
	s_andn2_b64 s[0:1], s[0:1], exec
	s_and_b64 s[2:3], s[2:3], exec
	s_or_b64 s[0:1], s[0:1], s[2:3]
.LBB294_61:                             ;   in Loop: Header=BB294_36 Depth=1
	s_or_b64 exec, exec, s[28:29]
	s_andn2_b64 s[2:3], vcc, exec
	s_and_b64 s[0:1], s[0:1], exec
	s_or_b64 vcc, s[2:3], s[0:1]
.LBB294_62:                             ;   in Loop: Header=BB294_36 Depth=1
	s_or_b64 exec, exec, s[26:27]
	s_and_saveexec_b64 s[0:1], vcc
	s_cbranch_execz .LBB294_35
; %bb.63:                               ;   in Loop: Header=BB294_36 Depth=1
	v_cmp_eq_u32_e32 vcc, 1, v16
	s_nop 1
	v_cndmask_b32_e32 v15, v0, v1, vcc
	v_cmp_eq_u32_e32 vcc, 2, v16
	s_nop 1
	v_cndmask_b32_e32 v15, v15, v2, vcc
	;; [unrolled: 3-line block ×13, first 2 shown]
	v_mul_f32_e32 v35, v20, v15
	v_ashrrev_i32_e32 v15, 31, v14
	s_waitcnt lgkmcnt(0)
	v_lshl_add_u64 v[16:17], v[14:15], 2, s[24:25]
	global_store_dword v[16:17], v35, off
	s_branch .LBB294_35
.LBB294_64:
	s_endpgm
	.section	.rodata,"a",@progbits
	.p2align	6, 0x0
	.amdhsa_kernel _ZN4vllm3moe22topkGatingSoftplusSqrtILi14ELi448ELi4ELi2ELi32ELb1Ej6__halfEEvPKT6_PKbPfiPT5_PiiiibdPKfPKS9_SF_
		.amdhsa_group_segment_fixed_size 0
		.amdhsa_private_segment_fixed_size 0
		.amdhsa_kernarg_size 96
		.amdhsa_user_sgpr_count 2
		.amdhsa_user_sgpr_dispatch_ptr 0
		.amdhsa_user_sgpr_queue_ptr 0
		.amdhsa_user_sgpr_kernarg_segment_ptr 1
		.amdhsa_user_sgpr_dispatch_id 0
		.amdhsa_user_sgpr_kernarg_preload_length 0
		.amdhsa_user_sgpr_kernarg_preload_offset 0
		.amdhsa_user_sgpr_private_segment_size 0
		.amdhsa_uses_dynamic_stack 0
		.amdhsa_enable_private_segment 0
		.amdhsa_system_sgpr_workgroup_id_x 1
		.amdhsa_system_sgpr_workgroup_id_y 0
		.amdhsa_system_sgpr_workgroup_id_z 0
		.amdhsa_system_sgpr_workgroup_info 0
		.amdhsa_system_vgpr_workitem_id 1
		.amdhsa_next_free_vgpr 46
		.amdhsa_next_free_sgpr 56
		.amdhsa_accum_offset 48
		.amdhsa_reserve_vcc 1
		.amdhsa_float_round_mode_32 0
		.amdhsa_float_round_mode_16_64 0
		.amdhsa_float_denorm_mode_32 3
		.amdhsa_float_denorm_mode_16_64 3
		.amdhsa_dx10_clamp 1
		.amdhsa_ieee_mode 1
		.amdhsa_fp16_overflow 0
		.amdhsa_tg_split 0
		.amdhsa_exception_fp_ieee_invalid_op 0
		.amdhsa_exception_fp_denorm_src 0
		.amdhsa_exception_fp_ieee_div_zero 0
		.amdhsa_exception_fp_ieee_overflow 0
		.amdhsa_exception_fp_ieee_underflow 0
		.amdhsa_exception_fp_ieee_inexact 0
		.amdhsa_exception_int_div_zero 0
	.end_amdhsa_kernel
	.section	.text._ZN4vllm3moe22topkGatingSoftplusSqrtILi14ELi448ELi4ELi2ELi32ELb1Ej6__halfEEvPKT6_PKbPfiPT5_PiiiibdPKfPKS9_SF_,"axG",@progbits,_ZN4vllm3moe22topkGatingSoftplusSqrtILi14ELi448ELi4ELi2ELi32ELb1Ej6__halfEEvPKT6_PKbPfiPT5_PiiiibdPKfPKS9_SF_,comdat
.Lfunc_end294:
	.size	_ZN4vllm3moe22topkGatingSoftplusSqrtILi14ELi448ELi4ELi2ELi32ELb1Ej6__halfEEvPKT6_PKbPfiPT5_PiiiibdPKfPKS9_SF_, .Lfunc_end294-_ZN4vllm3moe22topkGatingSoftplusSqrtILi14ELi448ELi4ELi2ELi32ELb1Ej6__halfEEvPKT6_PKbPfiPT5_PiiiibdPKfPKS9_SF_
                                        ; -- End function
	.section	.AMDGPU.csdata,"",@progbits
; Kernel info:
; codeLenInByte = 5640
; NumSgprs: 62
; NumVgprs: 46
; NumAgprs: 0
; TotalNumVgprs: 46
; ScratchSize: 0
; MemoryBound: 0
; FloatMode: 240
; IeeeMode: 1
; LDSByteSize: 0 bytes/workgroup (compile time only)
; SGPRBlocks: 7
; VGPRBlocks: 5
; NumSGPRsForWavesPerEU: 62
; NumVGPRsForWavesPerEU: 46
; AccumOffset: 48
; Occupancy: 8
; WaveLimiterHint : 1
; COMPUTE_PGM_RSRC2:SCRATCH_EN: 0
; COMPUTE_PGM_RSRC2:USER_SGPR: 2
; COMPUTE_PGM_RSRC2:TRAP_HANDLER: 0
; COMPUTE_PGM_RSRC2:TGID_X_EN: 1
; COMPUTE_PGM_RSRC2:TGID_Y_EN: 0
; COMPUTE_PGM_RSRC2:TGID_Z_EN: 0
; COMPUTE_PGM_RSRC2:TIDIG_COMP_CNT: 1
; COMPUTE_PGM_RSRC3_GFX90A:ACCUM_OFFSET: 11
; COMPUTE_PGM_RSRC3_GFX90A:TG_SPLIT: 0
	.section	.text._ZN4vllm3moe22topkGatingSoftplusSqrtILi14ELi448ELi4ELi2ELi32ELb0Ej6__halfEEvPKT6_PKbPfiPT5_PiiiibdPKfPKS9_SF_,"axG",@progbits,_ZN4vllm3moe22topkGatingSoftplusSqrtILi14ELi448ELi4ELi2ELi32ELb0Ej6__halfEEvPKT6_PKbPfiPT5_PiiiibdPKfPKS9_SF_,comdat
	.protected	_ZN4vllm3moe22topkGatingSoftplusSqrtILi14ELi448ELi4ELi2ELi32ELb0Ej6__halfEEvPKT6_PKbPfiPT5_PiiiibdPKfPKS9_SF_ ; -- Begin function _ZN4vllm3moe22topkGatingSoftplusSqrtILi14ELi448ELi4ELi2ELi32ELb0Ej6__halfEEvPKT6_PKbPfiPT5_PiiiibdPKfPKS9_SF_
	.globl	_ZN4vllm3moe22topkGatingSoftplusSqrtILi14ELi448ELi4ELi2ELi32ELb0Ej6__halfEEvPKT6_PKbPfiPT5_PiiiibdPKfPKS9_SF_
	.p2align	8
	.type	_ZN4vllm3moe22topkGatingSoftplusSqrtILi14ELi448ELi4ELi2ELi32ELb0Ej6__halfEEvPKT6_PKbPfiPT5_PiiiibdPKfPKS9_SF_,@function
_ZN4vllm3moe22topkGatingSoftplusSqrtILi14ELi448ELi4ELi2ELi32ELb0Ej6__halfEEvPKT6_PKbPfiPT5_PiiiibdPKfPKS9_SF_: ; @_ZN4vllm3moe22topkGatingSoftplusSqrtILi14ELi448ELi4ELi2ELi32ELb0Ej6__halfEEvPKT6_PKbPfiPT5_PiiiibdPKfPKS9_SF_
; %bb.0:
	s_load_dword s30, s[0:1], 0x18
	v_and_b32_e32 v1, 0x3ff, v0
	s_lshl_b32 s2, s2, 2
	v_lshrrev_b32_e32 v2, 5, v1
	v_bfe_u32 v0, v0, 10, 10
	v_add3_u32 v14, s2, v0, v2
	s_waitcnt lgkmcnt(0)
	v_cmp_gt_i32_e32 vcc, s30, v14
	s_and_saveexec_b64 s[2:3], vcc
	s_cbranch_execz .LBB295_73
; %bb.1:
	s_load_dwordx4 s[4:7], s[0:1], 0x0
	s_load_dwordx2 s[20:21], s[0:1], 0x10
	s_waitcnt lgkmcnt(0)
	s_cmp_eq_u64 s[6:7], 0
	s_cbranch_scc1 .LBB295_3
; %bb.2:
	v_ashrrev_i32_e32 v15, 31, v14
	v_lshl_add_u64 v[2:3], s[6:7], 0, v[14:15]
	global_load_ubyte v0, v[2:3], off
	s_waitcnt vmcnt(0)
	v_and_b32_e32 v0, 1, v0
	v_cmp_eq_u32_e32 vcc, 1, v0
	s_xor_b64 s[2:3], vcc, -1
	s_orn2_b64 s[22:23], s[2:3], exec
	s_branch .LBB295_4
.LBB295_3:
	s_mov_b64 s[22:23], -1
.LBB295_4:
	s_movk_i32 s2, 0x1c0
	v_mul_lo_u32 v4, v14, s2
	v_mov_b32_e32 v2, s4
	v_mov_b32_e32 v3, s5
	v_ashrrev_i32_e32 v5, 31, v4
	v_and_b32_e32 v16, 31, v1
	v_lshl_add_u64 v[2:3], v[4:5], 1, v[2:3]
	v_mov_b32_e32 v1, 0
	v_lshlrev_b32_e32 v0, 1, v16
	v_lshl_add_u64 v[18:19], v[2:3], 0, v[0:1]
	global_load_ushort v0, v[18:19], off
	global_load_ushort v1, v[18:19], off offset:64
	global_load_ushort v2, v[18:19], off offset:128
	;; [unrolled: 1-line block ×13, first 2 shown]
	s_mov_b32 s16, 0x800000
	v_mov_b32_e32 v18, 0x4f800000
	s_mov_b32 s13, 0x3f317217
	s_mov_b32 s14, 0x7f800000
	v_mov_b32_e32 v19, 0x41b17218
	s_movk_i32 s12, 0x4d00
	s_mov_b32 s15, 0xf800000
	s_load_dwordx4 s[8:11], s[0:1], 0x40
	s_waitcnt lgkmcnt(0)
	s_cmp_lg_u64 s[10:11], 0
	s_cselect_b64 s[6:7], -1, 0
	s_and_b64 s[2:3], exec, s[6:7]
	s_waitcnt vmcnt(13)
	v_cvt_f32_f16_e32 v20, v0
	v_mul_f32_e32 v15, 0x3fb8aa3b, v20
	v_exp_f32_e32 v15, v15
	s_nop 0
	v_add_f32_e32 v15, 1.0, v15
	v_cmp_gt_f32_e32 vcc, s16, v15
	s_nop 1
	v_cndmask_b32_e32 v17, 1.0, v18, vcc
	v_mul_f32_e32 v15, v15, v17
	v_log_f32_e32 v21, v15
	v_cndmask_b32_e32 v22, 0, v19, vcc
	v_mov_b32_e32 v17, 0x260
	v_lshlrev_b32_e32 v15, 2, v16
	v_mul_f32_e32 v23, 0x3f317217, v21
	v_fma_f32 v23, v21, s13, -v23
	v_fmac_f32_e32 v23, 0x3377d1cf, v21
	v_fmac_f32_e32 v23, 0x3f317217, v21
	v_cmp_lt_f32_e64 vcc, |v21|, s14
	s_nop 1
	v_cndmask_b32_e32 v21, v21, v23, vcc
	v_sub_f32_e32 v21, v21, v22
	v_cmp_lt_f16_e32 vcc, s12, v0
	s_nop 1
	v_cndmask_b32_e32 v0, v21, v20, vcc
	v_mul_f32_e32 v20, 0x4f800000, v0
	v_cmp_gt_f32_e32 vcc, s15, v0
	s_nop 1
	v_cndmask_b32_e32 v0, v0, v20, vcc
	v_sqrt_f32_e32 v20, v0
	s_nop 0
	v_add_u32_e32 v21, -1, v20
	v_add_u32_e32 v22, 1, v20
	v_fma_f32 v23, -v21, v20, v0
	v_fma_f32 v24, -v22, v20, v0
	v_cmp_ge_f32_e64 s[4:5], 0, v23
	s_nop 1
	v_cndmask_b32_e64 v20, v20, v21, s[4:5]
	v_cmp_lt_f32_e64 s[4:5], 0, v24
	s_nop 1
	v_cndmask_b32_e64 v20, v20, v22, s[4:5]
	v_mul_f32_e32 v21, 0x37800000, v20
	v_cndmask_b32_e32 v20, v20, v21, vcc
	v_cmp_class_f32_e32 vcc, v0, v17
	s_nop 1
	v_cndmask_b32_e32 v0, v20, v0, vcc
	s_mov_b64 vcc, s[2:3]
	s_cbranch_vccz .LBB295_6
; %bb.5:
	global_load_dword v20, v15, s[10:11]
	s_waitcnt vmcnt(0)
	v_add_f32_e32 v0, v0, v20
.LBB295_6:
	s_waitcnt vmcnt(12)
	v_cvt_f32_f16_e32 v20, v1
	v_mul_f32_e32 v21, 0x3fb8aa3b, v20
	v_exp_f32_e32 v21, v21
	s_nop 0
	v_add_f32_e32 v21, 1.0, v21
	v_cmp_gt_f32_e32 vcc, s16, v21
	s_nop 1
	v_cndmask_b32_e32 v18, 1.0, v18, vcc
	v_mul_f32_e32 v18, v21, v18
	v_log_f32_e32 v18, v18
	v_cndmask_b32_e32 v19, 0, v19, vcc
	v_mul_f32_e32 v21, 0x3f317217, v18
	v_fma_f32 v21, v18, s13, -v21
	v_fmac_f32_e32 v21, 0x3377d1cf, v18
	v_fmac_f32_e32 v21, 0x3f317217, v18
	v_cmp_lt_f32_e64 vcc, |v18|, s14
	s_nop 1
	v_cndmask_b32_e32 v18, v18, v21, vcc
	v_sub_f32_e32 v18, v18, v19
	v_cmp_lt_f16_e32 vcc, s12, v1
	v_cndmask_b32_e64 v19, 0, 1, s[6:7]
	v_cmp_ne_u32_e64 s[2:3], 1, v19
	v_cndmask_b32_e32 v1, v18, v20, vcc
	v_mul_f32_e32 v18, 0x4f800000, v1
	v_cmp_gt_f32_e64 s[4:5], s15, v1
	s_andn2_b64 vcc, exec, s[6:7]
	s_nop 0
	v_cndmask_b32_e64 v1, v1, v18, s[4:5]
	v_sqrt_f32_e32 v18, v1
	s_nop 0
	v_add_u32_e32 v19, -1, v18
	v_add_u32_e32 v20, 1, v18
	v_fma_f32 v21, -v19, v18, v1
	v_fma_f32 v22, -v20, v18, v1
	v_cmp_ge_f32_e64 s[6:7], 0, v21
	s_nop 1
	v_cndmask_b32_e64 v18, v18, v19, s[6:7]
	v_cmp_lt_f32_e64 s[6:7], 0, v22
	s_nop 1
	v_cndmask_b32_e64 v18, v18, v20, s[6:7]
	v_mul_f32_e32 v19, 0x37800000, v18
	v_cndmask_b32_e64 v18, v18, v19, s[4:5]
	v_cmp_class_f32_e64 s[4:5], v1, v17
	s_nop 1
	v_cndmask_b32_e64 v1, v18, v1, s[4:5]
	s_cbranch_vccnz .LBB295_8
; %bb.7:
	global_load_dword v17, v15, s[10:11] offset:128
	s_waitcnt vmcnt(0)
	v_add_f32_e32 v1, v1, v17
.LBB295_8:
	s_waitcnt vmcnt(11)
	v_cvt_f32_f16_e32 v17, v2
	s_mov_b32 s12, 0x800000
	s_mov_b32 s7, 0x3f317217
	;; [unrolled: 1-line block ×3, first 2 shown]
	v_mul_f32_e32 v18, 0x3fb8aa3b, v17
	v_exp_f32_e32 v19, v18
	v_mov_b32_e32 v18, 0x4f800000
	s_movk_i32 s6, 0x4d00
	s_mov_b32 s14, 0xf800000
	v_add_f32_e32 v19, 1.0, v19
	v_cmp_gt_f32_e32 vcc, s12, v19
	s_nop 1
	v_cndmask_b32_e32 v20, 1.0, v18, vcc
	v_mul_f32_e32 v19, v19, v20
	v_log_f32_e32 v20, v19
	v_mov_b32_e32 v19, 0x41b17218
	v_cndmask_b32_e32 v21, 0, v19, vcc
	v_mul_f32_e32 v22, 0x3f317217, v20
	v_fma_f32 v22, v20, s7, -v22
	v_fmac_f32_e32 v22, 0x3377d1cf, v20
	v_fmac_f32_e32 v22, 0x3f317217, v20
	v_cmp_lt_f32_e64 vcc, |v20|, s13
	s_nop 1
	v_cndmask_b32_e32 v20, v20, v22, vcc
	v_sub_f32_e32 v20, v20, v21
	v_cmp_lt_f16_e32 vcc, s6, v2
	s_nop 1
	v_cndmask_b32_e32 v2, v20, v17, vcc
	v_mul_f32_e32 v17, 0x4f800000, v2
	v_cmp_gt_f32_e32 vcc, s14, v2
	s_nop 1
	v_cndmask_b32_e32 v2, v2, v17, vcc
	v_sqrt_f32_e32 v17, v2
	s_nop 0
	v_add_u32_e32 v20, -1, v17
	v_fma_f32 v21, -v20, v17, v2
	v_cmp_ge_f32_e64 s[4:5], 0, v21
	v_add_u32_e32 v21, 1, v17
	s_nop 0
	v_cndmask_b32_e64 v20, v17, v20, s[4:5]
	v_fma_f32 v17, -v21, v17, v2
	v_cmp_lt_f32_e64 s[4:5], 0, v17
	s_nop 1
	v_cndmask_b32_e64 v17, v20, v21, s[4:5]
	v_mul_f32_e32 v20, 0x37800000, v17
	v_cndmask_b32_e32 v20, v17, v20, vcc
	v_mov_b32_e32 v17, 0x260
	v_cmp_class_f32_e64 s[4:5], v2, v17
	s_and_b64 vcc, exec, s[2:3]
	s_nop 0
	v_cndmask_b32_e64 v2, v20, v2, s[4:5]
	s_cbranch_vccnz .LBB295_10
; %bb.9:
	global_load_dword v20, v15, s[10:11] offset:256
	s_waitcnt vmcnt(0)
	v_add_f32_e32 v2, v2, v20
.LBB295_10:
	s_waitcnt vmcnt(10)
	v_cvt_f32_f16_e32 v20, v3
	v_mul_f32_e32 v21, 0x3fb8aa3b, v20
	v_exp_f32_e32 v21, v21
	s_nop 0
	v_add_f32_e32 v21, 1.0, v21
	v_cmp_gt_f32_e32 vcc, s12, v21
	s_nop 1
	v_cndmask_b32_e32 v18, 1.0, v18, vcc
	v_mul_f32_e32 v18, v21, v18
	v_log_f32_e32 v18, v18
	v_cndmask_b32_e32 v19, 0, v19, vcc
	v_mul_f32_e32 v21, 0x3f317217, v18
	v_fma_f32 v21, v18, s7, -v21
	v_fmac_f32_e32 v21, 0x3377d1cf, v18
	v_fmac_f32_e32 v21, 0x3f317217, v18
	v_cmp_lt_f32_e64 vcc, |v18|, s13
	s_nop 1
	v_cndmask_b32_e32 v18, v18, v21, vcc
	v_sub_f32_e32 v18, v18, v19
	v_cmp_lt_f16_e32 vcc, s6, v3
	s_nop 1
	v_cndmask_b32_e32 v3, v18, v20, vcc
	v_mul_f32_e32 v18, 0x4f800000, v3
	v_cmp_gt_f32_e64 s[4:5], s14, v3
	s_and_b64 vcc, exec, s[2:3]
	s_nop 0
	v_cndmask_b32_e64 v3, v3, v18, s[4:5]
	v_sqrt_f32_e32 v18, v3
	s_nop 0
	v_add_u32_e32 v19, -1, v18
	v_add_u32_e32 v20, 1, v18
	v_fma_f32 v21, -v19, v18, v3
	v_fma_f32 v22, -v20, v18, v3
	v_cmp_ge_f32_e64 s[6:7], 0, v21
	s_nop 1
	v_cndmask_b32_e64 v18, v18, v19, s[6:7]
	v_cmp_lt_f32_e64 s[6:7], 0, v22
	s_nop 1
	v_cndmask_b32_e64 v18, v18, v20, s[6:7]
	v_mul_f32_e32 v19, 0x37800000, v18
	v_cndmask_b32_e64 v18, v18, v19, s[4:5]
	v_cmp_class_f32_e64 s[4:5], v3, v17
	s_nop 1
	v_cndmask_b32_e64 v3, v18, v3, s[4:5]
	s_cbranch_vccnz .LBB295_12
; %bb.11:
	global_load_dword v17, v15, s[10:11] offset:384
	s_waitcnt vmcnt(0)
	v_add_f32_e32 v3, v3, v17
.LBB295_12:
	s_waitcnt vmcnt(9)
	v_cvt_f32_f16_e32 v17, v4
	s_mov_b32 s7, 0x3f317217
	s_movk_i32 s6, 0x4d00
	v_mul_f32_e32 v18, 0x3fb8aa3b, v17
	v_exp_f32_e32 v19, v18
	v_mov_b32_e32 v18, 0x4f800000
	v_add_f32_e32 v19, 1.0, v19
	v_cmp_gt_f32_e32 vcc, s12, v19
	s_nop 1
	v_cndmask_b32_e32 v20, 1.0, v18, vcc
	v_mul_f32_e32 v19, v19, v20
	v_log_f32_e32 v20, v19
	v_mov_b32_e32 v19, 0x41b17218
	v_cndmask_b32_e32 v21, 0, v19, vcc
	v_mul_f32_e32 v22, 0x3f317217, v20
	v_fma_f32 v22, v20, s7, -v22
	v_fmac_f32_e32 v22, 0x3377d1cf, v20
	v_fmac_f32_e32 v22, 0x3f317217, v20
	v_cmp_lt_f32_e64 vcc, |v20|, s13
	s_nop 1
	v_cndmask_b32_e32 v20, v20, v22, vcc
	v_sub_f32_e32 v20, v20, v21
	v_cmp_lt_f16_e32 vcc, s6, v4
	s_nop 1
	v_cndmask_b32_e32 v4, v20, v17, vcc
	v_mul_f32_e32 v17, 0x4f800000, v4
	v_cmp_gt_f32_e32 vcc, s14, v4
	s_nop 1
	v_cndmask_b32_e32 v4, v4, v17, vcc
	v_sqrt_f32_e32 v17, v4
	s_nop 0
	v_add_u32_e32 v20, -1, v17
	v_fma_f32 v21, -v20, v17, v4
	v_cmp_ge_f32_e64 s[4:5], 0, v21
	v_add_u32_e32 v21, 1, v17
	s_nop 0
	v_cndmask_b32_e64 v20, v17, v20, s[4:5]
	v_fma_f32 v17, -v21, v17, v4
	v_cmp_lt_f32_e64 s[4:5], 0, v17
	s_nop 1
	v_cndmask_b32_e64 v17, v20, v21, s[4:5]
	v_mul_f32_e32 v20, 0x37800000, v17
	v_cndmask_b32_e32 v20, v17, v20, vcc
	v_mov_b32_e32 v17, 0x260
	v_cmp_class_f32_e64 s[4:5], v4, v17
	s_and_b64 vcc, exec, s[2:3]
	s_nop 0
	v_cndmask_b32_e64 v4, v20, v4, s[4:5]
	s_cbranch_vccnz .LBB295_14
; %bb.13:
	global_load_dword v20, v15, s[10:11] offset:512
	s_waitcnt vmcnt(0)
	v_add_f32_e32 v4, v4, v20
.LBB295_14:
	s_waitcnt vmcnt(8)
	v_cvt_f32_f16_e32 v20, v5
	v_mul_f32_e32 v21, 0x3fb8aa3b, v20
	v_exp_f32_e32 v21, v21
	s_nop 0
	v_add_f32_e32 v21, 1.0, v21
	v_cmp_gt_f32_e32 vcc, s12, v21
	s_nop 1
	v_cndmask_b32_e32 v18, 1.0, v18, vcc
	v_mul_f32_e32 v18, v21, v18
	v_log_f32_e32 v18, v18
	v_cndmask_b32_e32 v19, 0, v19, vcc
	v_mul_f32_e32 v21, 0x3f317217, v18
	v_fma_f32 v21, v18, s7, -v21
	v_fmac_f32_e32 v21, 0x3377d1cf, v18
	v_fmac_f32_e32 v21, 0x3f317217, v18
	v_cmp_lt_f32_e64 vcc, |v18|, s13
	s_nop 1
	v_cndmask_b32_e32 v18, v18, v21, vcc
	v_sub_f32_e32 v18, v18, v19
	v_cmp_lt_f16_e32 vcc, s6, v5
	s_nop 1
	v_cndmask_b32_e32 v5, v18, v20, vcc
	v_mul_f32_e32 v18, 0x4f800000, v5
	v_cmp_gt_f32_e64 s[4:5], s14, v5
	s_and_b64 vcc, exec, s[2:3]
	s_nop 0
	v_cndmask_b32_e64 v5, v5, v18, s[4:5]
	v_sqrt_f32_e32 v18, v5
	s_nop 0
	v_add_u32_e32 v19, -1, v18
	v_add_u32_e32 v20, 1, v18
	v_fma_f32 v21, -v19, v18, v5
	v_fma_f32 v22, -v20, v18, v5
	v_cmp_ge_f32_e64 s[6:7], 0, v21
	s_nop 1
	v_cndmask_b32_e64 v18, v18, v19, s[6:7]
	v_cmp_lt_f32_e64 s[6:7], 0, v22
	s_nop 1
	v_cndmask_b32_e64 v18, v18, v20, s[6:7]
	v_mul_f32_e32 v19, 0x37800000, v18
	v_cndmask_b32_e64 v18, v18, v19, s[4:5]
	v_cmp_class_f32_e64 s[4:5], v5, v17
	s_nop 1
	v_cndmask_b32_e64 v5, v18, v5, s[4:5]
	s_cbranch_vccnz .LBB295_16
; %bb.15:
	global_load_dword v17, v15, s[10:11] offset:640
	s_waitcnt vmcnt(0)
	v_add_f32_e32 v5, v5, v17
.LBB295_16:
	s_waitcnt vmcnt(7)
	v_cvt_f32_f16_e32 v17, v6
	s_mov_b32 s7, 0x3f317217
	s_movk_i32 s6, 0x4d00
	v_mul_f32_e32 v18, 0x3fb8aa3b, v17
	v_exp_f32_e32 v19, v18
	v_mov_b32_e32 v18, 0x4f800000
	v_add_f32_e32 v19, 1.0, v19
	v_cmp_gt_f32_e32 vcc, s12, v19
	s_nop 1
	v_cndmask_b32_e32 v20, 1.0, v18, vcc
	v_mul_f32_e32 v19, v19, v20
	v_log_f32_e32 v20, v19
	v_mov_b32_e32 v19, 0x41b17218
	v_cndmask_b32_e32 v21, 0, v19, vcc
	v_mul_f32_e32 v22, 0x3f317217, v20
	v_fma_f32 v22, v20, s7, -v22
	v_fmac_f32_e32 v22, 0x3377d1cf, v20
	v_fmac_f32_e32 v22, 0x3f317217, v20
	v_cmp_lt_f32_e64 vcc, |v20|, s13
	s_nop 1
	v_cndmask_b32_e32 v20, v20, v22, vcc
	v_sub_f32_e32 v20, v20, v21
	v_cmp_lt_f16_e32 vcc, s6, v6
	s_nop 1
	v_cndmask_b32_e32 v6, v20, v17, vcc
	v_mul_f32_e32 v17, 0x4f800000, v6
	v_cmp_gt_f32_e32 vcc, s14, v6
	s_nop 1
	v_cndmask_b32_e32 v6, v6, v17, vcc
	v_sqrt_f32_e32 v17, v6
	s_nop 0
	v_add_u32_e32 v20, -1, v17
	v_fma_f32 v21, -v20, v17, v6
	v_cmp_ge_f32_e64 s[4:5], 0, v21
	v_add_u32_e32 v21, 1, v17
	s_nop 0
	v_cndmask_b32_e64 v20, v17, v20, s[4:5]
	v_fma_f32 v17, -v21, v17, v6
	v_cmp_lt_f32_e64 s[4:5], 0, v17
	s_nop 1
	v_cndmask_b32_e64 v17, v20, v21, s[4:5]
	v_mul_f32_e32 v20, 0x37800000, v17
	v_cndmask_b32_e32 v20, v17, v20, vcc
	v_mov_b32_e32 v17, 0x260
	v_cmp_class_f32_e64 s[4:5], v6, v17
	s_and_b64 vcc, exec, s[2:3]
	s_nop 0
	v_cndmask_b32_e64 v6, v20, v6, s[4:5]
	s_cbranch_vccnz .LBB295_18
; %bb.17:
	global_load_dword v20, v15, s[10:11] offset:768
	s_waitcnt vmcnt(0)
	v_add_f32_e32 v6, v6, v20
.LBB295_18:
	s_waitcnt vmcnt(6)
	v_cvt_f32_f16_e32 v20, v7
	v_mul_f32_e32 v21, 0x3fb8aa3b, v20
	v_exp_f32_e32 v21, v21
	s_nop 0
	v_add_f32_e32 v21, 1.0, v21
	v_cmp_gt_f32_e32 vcc, s12, v21
	s_nop 1
	v_cndmask_b32_e32 v18, 1.0, v18, vcc
	v_mul_f32_e32 v18, v21, v18
	v_log_f32_e32 v18, v18
	v_cndmask_b32_e32 v19, 0, v19, vcc
	v_mul_f32_e32 v21, 0x3f317217, v18
	v_fma_f32 v21, v18, s7, -v21
	v_fmac_f32_e32 v21, 0x3377d1cf, v18
	v_fmac_f32_e32 v21, 0x3f317217, v18
	v_cmp_lt_f32_e64 vcc, |v18|, s13
	s_nop 1
	v_cndmask_b32_e32 v18, v18, v21, vcc
	v_sub_f32_e32 v18, v18, v19
	v_cmp_lt_f16_e32 vcc, s6, v7
	s_nop 1
	v_cndmask_b32_e32 v7, v18, v20, vcc
	v_mul_f32_e32 v18, 0x4f800000, v7
	v_cmp_gt_f32_e64 s[4:5], s14, v7
	s_and_b64 vcc, exec, s[2:3]
	s_nop 0
	v_cndmask_b32_e64 v7, v7, v18, s[4:5]
	v_sqrt_f32_e32 v18, v7
	s_nop 0
	v_add_u32_e32 v19, -1, v18
	v_add_u32_e32 v20, 1, v18
	v_fma_f32 v21, -v19, v18, v7
	v_fma_f32 v22, -v20, v18, v7
	v_cmp_ge_f32_e64 s[6:7], 0, v21
	s_nop 1
	v_cndmask_b32_e64 v18, v18, v19, s[6:7]
	v_cmp_lt_f32_e64 s[6:7], 0, v22
	s_nop 1
	v_cndmask_b32_e64 v18, v18, v20, s[6:7]
	v_mul_f32_e32 v19, 0x37800000, v18
	v_cndmask_b32_e64 v18, v18, v19, s[4:5]
	v_cmp_class_f32_e64 s[4:5], v7, v17
	s_nop 1
	v_cndmask_b32_e64 v7, v18, v7, s[4:5]
	s_cbranch_vccnz .LBB295_20
; %bb.19:
	global_load_dword v17, v15, s[10:11] offset:896
	s_waitcnt vmcnt(0)
	v_add_f32_e32 v7, v7, v17
.LBB295_20:
	s_waitcnt vmcnt(5)
	v_cvt_f32_f16_e32 v17, v8
	s_mov_b32 s7, 0x3f317217
	s_movk_i32 s6, 0x4d00
	v_mul_f32_e32 v18, 0x3fb8aa3b, v17
	v_exp_f32_e32 v19, v18
	v_mov_b32_e32 v18, 0x4f800000
	v_add_f32_e32 v19, 1.0, v19
	v_cmp_gt_f32_e32 vcc, s12, v19
	s_nop 1
	v_cndmask_b32_e32 v20, 1.0, v18, vcc
	v_mul_f32_e32 v19, v19, v20
	v_log_f32_e32 v20, v19
	v_mov_b32_e32 v19, 0x41b17218
	v_cndmask_b32_e32 v21, 0, v19, vcc
	v_mul_f32_e32 v22, 0x3f317217, v20
	v_fma_f32 v22, v20, s7, -v22
	v_fmac_f32_e32 v22, 0x3377d1cf, v20
	v_fmac_f32_e32 v22, 0x3f317217, v20
	v_cmp_lt_f32_e64 vcc, |v20|, s13
	s_nop 1
	v_cndmask_b32_e32 v20, v20, v22, vcc
	v_sub_f32_e32 v20, v20, v21
	v_cmp_lt_f16_e32 vcc, s6, v8
	s_nop 1
	v_cndmask_b32_e32 v8, v20, v17, vcc
	v_mul_f32_e32 v17, 0x4f800000, v8
	v_cmp_gt_f32_e32 vcc, s14, v8
	s_nop 1
	v_cndmask_b32_e32 v8, v8, v17, vcc
	v_sqrt_f32_e32 v17, v8
	s_nop 0
	v_add_u32_e32 v20, -1, v17
	v_fma_f32 v21, -v20, v17, v8
	v_cmp_ge_f32_e64 s[4:5], 0, v21
	v_add_u32_e32 v21, 1, v17
	s_nop 0
	v_cndmask_b32_e64 v20, v17, v20, s[4:5]
	v_fma_f32 v17, -v21, v17, v8
	v_cmp_lt_f32_e64 s[4:5], 0, v17
	s_nop 1
	v_cndmask_b32_e64 v17, v20, v21, s[4:5]
	v_mul_f32_e32 v20, 0x37800000, v17
	v_cndmask_b32_e32 v20, v17, v20, vcc
	v_mov_b32_e32 v17, 0x260
	v_cmp_class_f32_e64 s[4:5], v8, v17
	s_and_b64 vcc, exec, s[2:3]
	s_nop 0
	v_cndmask_b32_e64 v8, v20, v8, s[4:5]
	s_cbranch_vccnz .LBB295_22
; %bb.21:
	global_load_dword v20, v15, s[10:11] offset:1024
	s_waitcnt vmcnt(0)
	v_add_f32_e32 v8, v8, v20
.LBB295_22:
	s_waitcnt vmcnt(4)
	v_cvt_f32_f16_e32 v20, v9
	v_mul_f32_e32 v21, 0x3fb8aa3b, v20
	v_exp_f32_e32 v21, v21
	s_nop 0
	v_add_f32_e32 v21, 1.0, v21
	v_cmp_gt_f32_e32 vcc, s12, v21
	s_nop 1
	v_cndmask_b32_e32 v18, 1.0, v18, vcc
	v_mul_f32_e32 v18, v21, v18
	v_log_f32_e32 v18, v18
	v_cndmask_b32_e32 v19, 0, v19, vcc
	v_mul_f32_e32 v21, 0x3f317217, v18
	v_fma_f32 v21, v18, s7, -v21
	v_fmac_f32_e32 v21, 0x3377d1cf, v18
	v_fmac_f32_e32 v21, 0x3f317217, v18
	v_cmp_lt_f32_e64 vcc, |v18|, s13
	s_nop 1
	v_cndmask_b32_e32 v18, v18, v21, vcc
	v_sub_f32_e32 v18, v18, v19
	v_cmp_lt_f16_e32 vcc, s6, v9
	s_nop 1
	v_cndmask_b32_e32 v9, v18, v20, vcc
	v_mul_f32_e32 v18, 0x4f800000, v9
	v_cmp_gt_f32_e64 s[4:5], s14, v9
	s_and_b64 vcc, exec, s[2:3]
	s_nop 0
	v_cndmask_b32_e64 v9, v9, v18, s[4:5]
	v_sqrt_f32_e32 v18, v9
	s_nop 0
	v_add_u32_e32 v19, -1, v18
	v_add_u32_e32 v20, 1, v18
	v_fma_f32 v21, -v19, v18, v9
	v_fma_f32 v22, -v20, v18, v9
	v_cmp_ge_f32_e64 s[6:7], 0, v21
	s_nop 1
	v_cndmask_b32_e64 v18, v18, v19, s[6:7]
	v_cmp_lt_f32_e64 s[6:7], 0, v22
	s_nop 1
	v_cndmask_b32_e64 v18, v18, v20, s[6:7]
	v_mul_f32_e32 v19, 0x37800000, v18
	v_cndmask_b32_e64 v18, v18, v19, s[4:5]
	v_cmp_class_f32_e64 s[4:5], v9, v17
	s_nop 1
	v_cndmask_b32_e64 v9, v18, v9, s[4:5]
	s_cbranch_vccnz .LBB295_24
; %bb.23:
	global_load_dword v17, v15, s[10:11] offset:1152
	s_waitcnt vmcnt(0)
	v_add_f32_e32 v9, v9, v17
.LBB295_24:
	s_waitcnt vmcnt(3)
	v_cvt_f32_f16_e32 v17, v10
	s_mov_b32 s7, 0x3f317217
	s_movk_i32 s6, 0x4d00
	v_mul_f32_e32 v18, 0x3fb8aa3b, v17
	v_exp_f32_e32 v19, v18
	v_mov_b32_e32 v18, 0x4f800000
	v_add_f32_e32 v19, 1.0, v19
	v_cmp_gt_f32_e32 vcc, s12, v19
	s_nop 1
	v_cndmask_b32_e32 v20, 1.0, v18, vcc
	v_mul_f32_e32 v19, v19, v20
	v_log_f32_e32 v20, v19
	v_mov_b32_e32 v19, 0x41b17218
	v_cndmask_b32_e32 v21, 0, v19, vcc
	v_mul_f32_e32 v22, 0x3f317217, v20
	v_fma_f32 v22, v20, s7, -v22
	v_fmac_f32_e32 v22, 0x3377d1cf, v20
	v_fmac_f32_e32 v22, 0x3f317217, v20
	v_cmp_lt_f32_e64 vcc, |v20|, s13
	s_nop 1
	v_cndmask_b32_e32 v20, v20, v22, vcc
	v_sub_f32_e32 v20, v20, v21
	v_cmp_lt_f16_e32 vcc, s6, v10
	s_nop 1
	v_cndmask_b32_e32 v10, v20, v17, vcc
	v_mul_f32_e32 v17, 0x4f800000, v10
	v_cmp_gt_f32_e32 vcc, s14, v10
	s_nop 1
	v_cndmask_b32_e32 v10, v10, v17, vcc
	v_sqrt_f32_e32 v17, v10
	s_nop 0
	v_add_u32_e32 v20, -1, v17
	v_fma_f32 v21, -v20, v17, v10
	v_cmp_ge_f32_e64 s[4:5], 0, v21
	v_add_u32_e32 v21, 1, v17
	s_nop 0
	v_cndmask_b32_e64 v20, v17, v20, s[4:5]
	v_fma_f32 v17, -v21, v17, v10
	v_cmp_lt_f32_e64 s[4:5], 0, v17
	s_nop 1
	v_cndmask_b32_e64 v17, v20, v21, s[4:5]
	v_mul_f32_e32 v20, 0x37800000, v17
	v_cndmask_b32_e32 v20, v17, v20, vcc
	v_mov_b32_e32 v17, 0x260
	v_cmp_class_f32_e64 s[4:5], v10, v17
	s_and_b64 vcc, exec, s[2:3]
	s_nop 0
	v_cndmask_b32_e64 v10, v20, v10, s[4:5]
	s_cbranch_vccnz .LBB295_26
; %bb.25:
	global_load_dword v20, v15, s[10:11] offset:1280
	s_waitcnt vmcnt(0)
	v_add_f32_e32 v10, v10, v20
.LBB295_26:
	s_waitcnt vmcnt(2)
	v_cvt_f32_f16_e32 v20, v11
	v_mul_f32_e32 v21, 0x3fb8aa3b, v20
	v_exp_f32_e32 v21, v21
	s_nop 0
	v_add_f32_e32 v21, 1.0, v21
	v_cmp_gt_f32_e32 vcc, s12, v21
	s_nop 1
	v_cndmask_b32_e32 v18, 1.0, v18, vcc
	v_mul_f32_e32 v18, v21, v18
	v_log_f32_e32 v18, v18
	v_cndmask_b32_e32 v19, 0, v19, vcc
	v_mul_f32_e32 v21, 0x3f317217, v18
	v_fma_f32 v21, v18, s7, -v21
	v_fmac_f32_e32 v21, 0x3377d1cf, v18
	v_fmac_f32_e32 v21, 0x3f317217, v18
	v_cmp_lt_f32_e64 vcc, |v18|, s13
	s_nop 1
	v_cndmask_b32_e32 v18, v18, v21, vcc
	v_sub_f32_e32 v18, v18, v19
	v_cmp_lt_f16_e32 vcc, s6, v11
	s_nop 1
	v_cndmask_b32_e32 v11, v18, v20, vcc
	v_mul_f32_e32 v18, 0x4f800000, v11
	v_cmp_gt_f32_e64 s[4:5], s14, v11
	s_and_b64 vcc, exec, s[2:3]
	s_nop 0
	v_cndmask_b32_e64 v11, v11, v18, s[4:5]
	v_sqrt_f32_e32 v18, v11
	s_nop 0
	v_add_u32_e32 v19, -1, v18
	v_add_u32_e32 v20, 1, v18
	v_fma_f32 v21, -v19, v18, v11
	v_fma_f32 v22, -v20, v18, v11
	v_cmp_ge_f32_e64 s[6:7], 0, v21
	s_nop 1
	v_cndmask_b32_e64 v18, v18, v19, s[6:7]
	v_cmp_lt_f32_e64 s[6:7], 0, v22
	s_nop 1
	v_cndmask_b32_e64 v18, v18, v20, s[6:7]
	v_mul_f32_e32 v19, 0x37800000, v18
	v_cndmask_b32_e64 v18, v18, v19, s[4:5]
	v_cmp_class_f32_e64 s[4:5], v11, v17
	s_nop 1
	v_cndmask_b32_e64 v11, v18, v11, s[4:5]
	s_cbranch_vccnz .LBB295_28
; %bb.27:
	global_load_dword v17, v15, s[10:11] offset:1408
	s_waitcnt vmcnt(0)
	v_add_f32_e32 v11, v11, v17
.LBB295_28:
	s_waitcnt vmcnt(1)
	v_cvt_f32_f16_e32 v17, v12
	s_mov_b32 s7, 0x3f317217
	s_movk_i32 s6, 0x4d00
	v_mul_f32_e32 v18, 0x3fb8aa3b, v17
	v_exp_f32_e32 v19, v18
	v_mov_b32_e32 v18, 0x4f800000
	v_add_f32_e32 v19, 1.0, v19
	v_cmp_gt_f32_e32 vcc, s12, v19
	s_nop 1
	v_cndmask_b32_e32 v20, 1.0, v18, vcc
	v_mul_f32_e32 v19, v19, v20
	v_log_f32_e32 v20, v19
	v_mov_b32_e32 v19, 0x41b17218
	v_cndmask_b32_e32 v21, 0, v19, vcc
	v_mul_f32_e32 v22, 0x3f317217, v20
	v_fma_f32 v22, v20, s7, -v22
	v_fmac_f32_e32 v22, 0x3377d1cf, v20
	v_fmac_f32_e32 v22, 0x3f317217, v20
	v_cmp_lt_f32_e64 vcc, |v20|, s13
	s_nop 1
	v_cndmask_b32_e32 v20, v20, v22, vcc
	v_sub_f32_e32 v20, v20, v21
	v_cmp_lt_f16_e32 vcc, s6, v12
	s_nop 1
	v_cndmask_b32_e32 v12, v20, v17, vcc
	v_mul_f32_e32 v17, 0x4f800000, v12
	v_cmp_gt_f32_e32 vcc, s14, v12
	s_nop 1
	v_cndmask_b32_e32 v12, v12, v17, vcc
	v_sqrt_f32_e32 v17, v12
	s_nop 0
	v_add_u32_e32 v20, -1, v17
	v_fma_f32 v21, -v20, v17, v12
	v_cmp_ge_f32_e64 s[4:5], 0, v21
	v_add_u32_e32 v21, 1, v17
	s_nop 0
	v_cndmask_b32_e64 v20, v17, v20, s[4:5]
	v_fma_f32 v17, -v21, v17, v12
	v_cmp_lt_f32_e64 s[4:5], 0, v17
	s_nop 1
	v_cndmask_b32_e64 v17, v20, v21, s[4:5]
	v_mul_f32_e32 v20, 0x37800000, v17
	v_cndmask_b32_e32 v20, v17, v20, vcc
	v_mov_b32_e32 v17, 0x260
	v_cmp_class_f32_e64 s[4:5], v12, v17
	s_and_b64 vcc, exec, s[2:3]
	s_nop 0
	v_cndmask_b32_e64 v12, v20, v12, s[4:5]
	s_cbranch_vccnz .LBB295_30
; %bb.29:
	global_load_dword v20, v15, s[10:11] offset:1536
	s_waitcnt vmcnt(0)
	v_add_f32_e32 v12, v12, v20
.LBB295_30:
	s_waitcnt vmcnt(0)
	v_cvt_f32_f16_e32 v20, v13
	v_mul_f32_e32 v21, 0x3fb8aa3b, v20
	v_exp_f32_e32 v21, v21
	s_nop 0
	v_add_f32_e32 v21, 1.0, v21
	v_cmp_gt_f32_e32 vcc, s12, v21
	s_nop 1
	v_cndmask_b32_e32 v18, 1.0, v18, vcc
	v_mul_f32_e32 v18, v21, v18
	v_log_f32_e32 v18, v18
	v_cndmask_b32_e32 v19, 0, v19, vcc
	v_mul_f32_e32 v21, 0x3f317217, v18
	v_fma_f32 v21, v18, s7, -v21
	v_fmac_f32_e32 v21, 0x3377d1cf, v18
	v_fmac_f32_e32 v21, 0x3f317217, v18
	v_cmp_lt_f32_e64 vcc, |v18|, s13
	s_nop 1
	v_cndmask_b32_e32 v18, v18, v21, vcc
	v_sub_f32_e32 v18, v18, v19
	v_cmp_lt_f16_e32 vcc, s6, v13
	s_nop 1
	v_cndmask_b32_e32 v13, v18, v20, vcc
	v_mul_f32_e32 v18, 0x4f800000, v13
	v_cmp_gt_f32_e64 s[4:5], s14, v13
	s_and_b64 vcc, exec, s[2:3]
	s_nop 0
	v_cndmask_b32_e64 v13, v13, v18, s[4:5]
	v_sqrt_f32_e32 v18, v13
	s_nop 0
	v_add_u32_e32 v19, -1, v18
	v_add_u32_e32 v20, 1, v18
	v_fma_f32 v21, -v19, v18, v13
	v_fma_f32 v22, -v20, v18, v13
	v_cmp_ge_f32_e64 s[6:7], 0, v21
	s_nop 1
	v_cndmask_b32_e64 v18, v18, v19, s[6:7]
	v_cmp_lt_f32_e64 s[6:7], 0, v22
	s_nop 1
	v_cndmask_b32_e64 v18, v18, v20, s[6:7]
	v_mul_f32_e32 v19, 0x37800000, v18
	v_cndmask_b32_e64 v18, v18, v19, s[4:5]
	v_cmp_class_f32_e64 s[4:5], v13, v17
	s_nop 1
	v_cndmask_b32_e64 v13, v18, v13, s[4:5]
	s_cbranch_vccnz .LBB295_32
; %bb.31:
	global_load_dword v15, v15, s[10:11] offset:1664
	s_waitcnt vmcnt(0)
	v_add_f32_e32 v13, v13, v15
.LBB295_32:
	s_load_dwordx4 s[12:15], s[0:1], 0x30
	s_mov_b32 s31, 0
	v_cmp_eq_u32_e64 s[6:7], 0, v16
	s_waitcnt lgkmcnt(0)
	s_bitcmp1_b32 s15, 0
	s_cselect_b64 s[4:5], -1, 0
	s_cmp_gt_i32 s12, 0
	s_cselect_b64 s[24:25], -1, 0
	s_and_b64 vcc, exec, s[24:25]
	s_cbranch_vccz .LBB295_59
; %bb.33:
	v_mbcnt_lo_u32_b32 v15, -1, 0
	v_mbcnt_hi_u32_b32 v18, -1, v15
	v_and_b32_e32 v15, 0x60, v18
	v_add_u32_e32 v19, 32, v15
	v_xor_b32_e32 v24, 16, v18
	v_cmp_lt_i32_e32 vcc, v24, v19
	s_load_dwordx4 s[16:19], s[0:1], 0x20
	v_mul_lo_u32 v15, v14, s12
	v_cndmask_b32_e32 v24, v18, v24, vcc
	v_lshlrev_b32_e32 v33, 2, v24
	v_xor_b32_e32 v24, 8, v18
	v_cmp_lt_i32_e32 vcc, v24, v19
	v_or_b32_e32 v17, 32, v16
	v_or_b32_e32 v20, 64, v16
	v_cndmask_b32_e32 v24, v18, v24, vcc
	v_lshlrev_b32_e32 v34, 2, v24
	v_xor_b32_e32 v24, 4, v18
	v_cmp_lt_i32_e32 vcc, v24, v19
	v_or_b32_e32 v21, 0x60, v16
	v_or_b32_e32 v22, 0x80, v16
	;; [unrolled: 6-line block ×4, first 2 shown]
	v_cndmask_b32_e32 v18, v18, v24, vcc
	v_or_b32_e32 v28, 0x120, v16
	v_or_b32_e32 v29, 0x140, v16
	;; [unrolled: 1-line block ×5, first 2 shown]
	v_lshlrev_b32_e32 v37, 2, v18
	v_mov_b32_e32 v24, 0
	v_mov_b32_e32 v38, 0x1c0
	;; [unrolled: 1-line block ×4, first 2 shown]
	s_branch .LBB295_36
.LBB295_34:                             ;   in Loop: Header=BB295_36 Depth=1
	s_waitcnt lgkmcnt(0)
	v_add_u32_e32 v42, s31, v15
	v_cmp_le_i32_e32 vcc, s13, v18
	v_cmp_gt_i32_e64 s[0:1], s14, v18
	v_ashrrev_i32_e32 v43, 31, v42
	s_and_b64 s[0:1], vcc, s[0:1]
	v_lshlrev_b64 v[42:43], 2, v[42:43]
	v_lshl_add_u64 v[44:45], s[20:21], 0, v[42:43]
	v_subrev_u32_e32 v19, s13, v18
	s_and_b64 vcc, s[22:23], s[0:1]
	global_store_dword v[44:45], v41, off
	v_cndmask_b32_e32 v19, v38, v19, vcc
	v_lshl_add_u64 v[44:45], s[16:17], 0, v[42:43]
	global_store_dword v[44:45], v19, off
	v_add_f32_e32 v19, v24, v41
	v_lshl_add_u64 v[42:43], s[18:19], 0, v[42:43]
	v_cndmask_b32_e64 v24, v24, v19, s[4:5]
	global_store_dword v[42:43], v40, off
.LBB295_35:                             ;   in Loop: Header=BB295_36 Depth=1
	s_or_b64 exec, exec, s[26:27]
	v_ashrrev_i32_e32 v19, 31, v18
	v_lshrrev_b32_e32 v19, 27, v19
	v_add_u32_e32 v19, v18, v19
	v_and_b32_e32 v41, 0xffffffe0, v19
	v_sub_u32_e32 v18, v18, v41
	s_add_i32 s31, s31, 1
	v_cmp_eq_u32_e32 vcc, v16, v18
	s_cmp_lt_i32 s31, s12
	v_ashrrev_i32_e32 v18, 5, v19
	s_cselect_b64 s[26:27], -1, 0
	v_cmp_ne_u32_e64 s[0:1], 13, v18
	s_and_b64 vcc, s[26:27], vcc
	s_cmp_eq_u32 s12, s31
	v_cndmask_b32_e64 v19, v39, v13, s[0:1]
	v_cmp_ne_u32_e64 s[0:1], 12, v18
	v_cndmask_b32_e32 v13, v13, v19, vcc
	v_add_u32_e32 v40, s30, v40
	v_cndmask_b32_e64 v19, v39, v12, s[0:1]
	v_cmp_ne_u32_e64 s[0:1], 11, v18
	v_cndmask_b32_e32 v12, v12, v19, vcc
	s_nop 0
	v_cndmask_b32_e64 v19, v39, v11, s[0:1]
	v_cmp_ne_u32_e64 s[0:1], 10, v18
	v_cndmask_b32_e32 v11, v11, v19, vcc
	s_nop 0
	;; [unrolled: 4-line block ×12, first 2 shown]
	v_cndmask_b32_e64 v18, v39, v0, s[0:1]
	v_cndmask_b32_e32 v0, v0, v18, vcc
	s_cbranch_scc1 .LBB295_60
.LBB295_36:                             ; =>This Inner Loop Header: Depth=1
	v_cmp_gt_f32_e32 vcc, v1, v0
	s_nop 1
	v_cndmask_b32_e32 v19, v0, v1, vcc
	v_cndmask_b32_e32 v18, v16, v17, vcc
	v_cmp_gt_f32_e32 vcc, v2, v19
	s_nop 1
	v_cndmask_b32_e32 v19, v19, v2, vcc
	v_cndmask_b32_e32 v18, v18, v20, vcc
	;; [unrolled: 4-line block ×13, first 2 shown]
	ds_bpermute_b32 v19, v33, v41
	s_waitcnt lgkmcnt(0)
	ds_bpermute_b32 v42, v33, v18
	s_waitcnt lgkmcnt(0)
	v_cmp_lt_f32_e64 s[26:27], v41, v19
	v_cmp_nlt_f32_e32 vcc, v41, v19
	s_and_saveexec_b64 s[28:29], vcc
; %bb.37:                               ;   in Loop: Header=BB295_36 Depth=1
	v_cmp_eq_f32_e32 vcc, v41, v19
	v_cmp_lt_i32_e64 s[0:1], v42, v18
	s_and_b64 s[0:1], vcc, s[0:1]
	s_andn2_b64 s[26:27], s[26:27], exec
	s_and_b64 s[0:1], s[0:1], exec
	s_or_b64 s[26:27], s[26:27], s[0:1]
; %bb.38:                               ;   in Loop: Header=BB295_36 Depth=1
	s_or_b64 exec, exec, s[28:29]
	s_and_saveexec_b64 s[0:1], s[26:27]
; %bb.39:                               ;   in Loop: Header=BB295_36 Depth=1
	v_mov_b32_e32 v41, v19
	v_mov_b32_e32 v18, v42
; %bb.40:                               ;   in Loop: Header=BB295_36 Depth=1
	s_or_b64 exec, exec, s[0:1]
	ds_bpermute_b32 v19, v34, v41
	ds_bpermute_b32 v42, v34, v18
	s_waitcnt lgkmcnt(1)
	v_cmp_lt_f32_e64 s[26:27], v41, v19
	v_cmp_nlt_f32_e32 vcc, v41, v19
	s_and_saveexec_b64 s[28:29], vcc
	s_cbranch_execz .LBB295_42
; %bb.41:                               ;   in Loop: Header=BB295_36 Depth=1
	v_cmp_eq_f32_e32 vcc, v41, v19
	s_waitcnt lgkmcnt(0)
	v_cmp_lt_i32_e64 s[0:1], v42, v18
	s_and_b64 s[0:1], vcc, s[0:1]
	s_andn2_b64 s[26:27], s[26:27], exec
	s_and_b64 s[0:1], s[0:1], exec
	s_or_b64 s[26:27], s[26:27], s[0:1]
.LBB295_42:                             ;   in Loop: Header=BB295_36 Depth=1
	s_or_b64 exec, exec, s[28:29]
	s_and_saveexec_b64 s[0:1], s[26:27]
	s_cbranch_execz .LBB295_44
; %bb.43:                               ;   in Loop: Header=BB295_36 Depth=1
	v_mov_b32_e32 v41, v19
	s_waitcnt lgkmcnt(0)
	v_mov_b32_e32 v18, v42
.LBB295_44:                             ;   in Loop: Header=BB295_36 Depth=1
	s_or_b64 exec, exec, s[0:1]
	ds_bpermute_b32 v19, v35, v41
	s_waitcnt lgkmcnt(1)
	ds_bpermute_b32 v42, v35, v18
	s_waitcnt lgkmcnt(1)
	v_cmp_lt_f32_e64 s[26:27], v41, v19
	v_cmp_nlt_f32_e32 vcc, v41, v19
	s_and_saveexec_b64 s[28:29], vcc
	s_cbranch_execz .LBB295_46
; %bb.45:                               ;   in Loop: Header=BB295_36 Depth=1
	v_cmp_eq_f32_e32 vcc, v41, v19
	s_waitcnt lgkmcnt(0)
	v_cmp_lt_i32_e64 s[0:1], v42, v18
	s_and_b64 s[0:1], vcc, s[0:1]
	s_andn2_b64 s[26:27], s[26:27], exec
	s_and_b64 s[0:1], s[0:1], exec
	s_or_b64 s[26:27], s[26:27], s[0:1]
.LBB295_46:                             ;   in Loop: Header=BB295_36 Depth=1
	s_or_b64 exec, exec, s[28:29]
	s_and_saveexec_b64 s[0:1], s[26:27]
	s_cbranch_execz .LBB295_48
; %bb.47:                               ;   in Loop: Header=BB295_36 Depth=1
	v_mov_b32_e32 v41, v19
	s_waitcnt lgkmcnt(0)
	v_mov_b32_e32 v18, v42
.LBB295_48:                             ;   in Loop: Header=BB295_36 Depth=1
	s_or_b64 exec, exec, s[0:1]
	ds_bpermute_b32 v19, v36, v41
	s_waitcnt lgkmcnt(1)
	;; [unrolled: 26-line block ×3, first 2 shown]
	ds_bpermute_b32 v42, v37, v18
	s_waitcnt lgkmcnt(1)
	v_cmp_lt_f32_e64 s[26:27], v41, v19
	v_cmp_nlt_f32_e32 vcc, v41, v19
	s_and_saveexec_b64 s[28:29], vcc
	s_cbranch_execnz .LBB295_55
; %bb.53:                               ;   in Loop: Header=BB295_36 Depth=1
	s_or_b64 exec, exec, s[28:29]
	s_and_saveexec_b64 s[0:1], s[26:27]
	s_cbranch_execnz .LBB295_56
.LBB295_54:                             ;   in Loop: Header=BB295_36 Depth=1
	s_or_b64 exec, exec, s[0:1]
	s_and_saveexec_b64 s[26:27], s[6:7]
	s_cbranch_execz .LBB295_35
	s_branch .LBB295_57
.LBB295_55:                             ;   in Loop: Header=BB295_36 Depth=1
	v_cmp_eq_f32_e32 vcc, v41, v19
	s_waitcnt lgkmcnt(0)
	v_cmp_lt_i32_e64 s[0:1], v42, v18
	s_and_b64 s[0:1], vcc, s[0:1]
	s_andn2_b64 s[26:27], s[26:27], exec
	s_and_b64 s[0:1], s[0:1], exec
	s_or_b64 s[26:27], s[26:27], s[0:1]
	s_or_b64 exec, exec, s[28:29]
	s_and_saveexec_b64 s[0:1], s[26:27]
	s_cbranch_execz .LBB295_54
.LBB295_56:                             ;   in Loop: Header=BB295_36 Depth=1
	s_waitcnt lgkmcnt(0)
	v_mov_b32_e32 v18, v42
	v_mov_b32_e32 v41, v19
	s_or_b64 exec, exec, s[0:1]
	s_and_saveexec_b64 s[26:27], s[6:7]
	s_cbranch_execz .LBB295_35
.LBB295_57:                             ;   in Loop: Header=BB295_36 Depth=1
	s_and_b64 vcc, exec, s[2:3]
	s_cbranch_vccnz .LBB295_34
; %bb.58:                               ;   in Loop: Header=BB295_36 Depth=1
	v_ashrrev_i32_e32 v19, 31, v18
	s_waitcnt lgkmcnt(0)
	v_lshl_add_u64 v[42:43], v[18:19], 2, s[10:11]
	global_load_dword v19, v[42:43], off
	s_waitcnt vmcnt(0)
	v_sub_f32_e32 v41, v41, v19
	s_branch .LBB295_34
.LBB295_59:
	v_mov_b32_e32 v24, 0
.LBB295_60:
	v_cmp_eq_u32_e32 vcc, 0, v16
	s_and_b64 exec, exec, vcc
	s_cbranch_execz .LBB295_73
; %bb.61:
	s_andn2_b64 vcc, exec, s[4:5]
	v_cvt_f32_f64_e32 v0, s[8:9]
	s_cbranch_vccnz .LBB295_63
; %bb.62:
	v_cmp_lt_f32_e32 vcc, 0, v24
	s_nop 1
	v_cndmask_b32_e32 v1, 1.0, v24, vcc
	v_div_scale_f32 v2, s[0:1], v1, v1, v0
	v_rcp_f32_e32 v3, v2
	s_nop 0
	v_fma_f32 v4, -v2, v3, 1.0
	v_fmac_f32_e32 v3, v4, v3
	v_div_scale_f32 v4, vcc, v0, v1, v0
	v_mul_f32_e32 v5, v4, v3
	v_fma_f32 v6, -v2, v5, v4
	v_fmac_f32_e32 v5, v6, v3
	v_fma_f32 v2, -v2, v5, v4
	v_div_fmas_f32 v2, v2, v3, v5
	v_div_fixup_f32 v0, v2, v1, v0
.LBB295_63:
	s_andn2_b64 vcc, exec, s[24:25]
	s_cbranch_vccnz .LBB295_73
; %bb.64:
	v_mul_lo_u32 v2, v14, s12
	s_cmp_gt_u32 s12, 3
	v_ashrrev_i32_e32 v3, 31, v2
	s_cbranch_scc0 .LBB295_68
; %bb.65:
	s_and_b32 s0, s12, 0x7ffffffc
	v_lshl_add_u64 v[4:5], v[2:3], 2, s[20:21]
	v_mov_b32_e32 v1, v0
	v_lshl_add_u64 v[4:5], v[4:5], 0, 8
	s_mov_b32 s1, s0
.LBB295_66:                             ; =>This Inner Loop Header: Depth=1
	global_load_dwordx4 v[6:9], v[4:5], off offset:-8
	s_add_i32 s1, s1, -4
	s_cmp_lg_u32 s1, 0
	s_waitcnt vmcnt(0)
	v_pk_mul_f32 v[6:7], v[0:1], v[6:7]
	v_pk_mul_f32 v[8:9], v[0:1], v[8:9]
	global_store_dwordx4 v[4:5], v[6:9], off offset:-8
	v_lshl_add_u64 v[4:5], v[4:5], 0, 16
	s_cbranch_scc1 .LBB295_66
; %bb.67:
	s_cmp_lg_u32 s0, s12
	s_cselect_b64 s[2:3], -1, 0
	s_branch .LBB295_70
.LBB295_68:
	s_mov_b64 s[2:3], 0
                                        ; implicit-def: $sgpr0
	s_cbranch_execz .LBB295_70
; %bb.69:
	s_mov_b64 s[2:3], -1
	s_mov_b32 s0, 0
.LBB295_70:
	s_andn2_b64 vcc, exec, s[2:3]
	s_cbranch_vccnz .LBB295_73
; %bb.71:
	s_mov_b32 s1, 0
	v_lshl_add_u64 v[2:3], v[2:3], 0, s[0:1]
	s_sub_i32 s2, s12, s0
	v_lshl_add_u64 v[2:3], v[2:3], 2, s[20:21]
.LBB295_72:                             ; =>This Inner Loop Header: Depth=1
	global_load_dword v1, v[2:3], off
	s_add_i32 s2, s2, -1
	s_cmp_lg_u32 s2, 0
	s_waitcnt vmcnt(0)
	v_mul_f32_e32 v1, v0, v1
	global_store_dword v[2:3], v1, off
	v_lshl_add_u64 v[2:3], v[2:3], 0, 4
	s_cbranch_scc1 .LBB295_72
.LBB295_73:
	s_endpgm
	.section	.rodata,"a",@progbits
	.p2align	6, 0x0
	.amdhsa_kernel _ZN4vllm3moe22topkGatingSoftplusSqrtILi14ELi448ELi4ELi2ELi32ELb0Ej6__halfEEvPKT6_PKbPfiPT5_PiiiibdPKfPKS9_SF_
		.amdhsa_group_segment_fixed_size 0
		.amdhsa_private_segment_fixed_size 0
		.amdhsa_kernarg_size 96
		.amdhsa_user_sgpr_count 2
		.amdhsa_user_sgpr_dispatch_ptr 0
		.amdhsa_user_sgpr_queue_ptr 0
		.amdhsa_user_sgpr_kernarg_segment_ptr 1
		.amdhsa_user_sgpr_dispatch_id 0
		.amdhsa_user_sgpr_kernarg_preload_length 0
		.amdhsa_user_sgpr_kernarg_preload_offset 0
		.amdhsa_user_sgpr_private_segment_size 0
		.amdhsa_uses_dynamic_stack 0
		.amdhsa_enable_private_segment 0
		.amdhsa_system_sgpr_workgroup_id_x 1
		.amdhsa_system_sgpr_workgroup_id_y 0
		.amdhsa_system_sgpr_workgroup_id_z 0
		.amdhsa_system_sgpr_workgroup_info 0
		.amdhsa_system_vgpr_workitem_id 1
		.amdhsa_next_free_vgpr 46
		.amdhsa_next_free_sgpr 32
		.amdhsa_accum_offset 48
		.amdhsa_reserve_vcc 1
		.amdhsa_float_round_mode_32 0
		.amdhsa_float_round_mode_16_64 0
		.amdhsa_float_denorm_mode_32 3
		.amdhsa_float_denorm_mode_16_64 3
		.amdhsa_dx10_clamp 1
		.amdhsa_ieee_mode 1
		.amdhsa_fp16_overflow 0
		.amdhsa_tg_split 0
		.amdhsa_exception_fp_ieee_invalid_op 0
		.amdhsa_exception_fp_denorm_src 0
		.amdhsa_exception_fp_ieee_div_zero 0
		.amdhsa_exception_fp_ieee_overflow 0
		.amdhsa_exception_fp_ieee_underflow 0
		.amdhsa_exception_fp_ieee_inexact 0
		.amdhsa_exception_int_div_zero 0
	.end_amdhsa_kernel
	.section	.text._ZN4vllm3moe22topkGatingSoftplusSqrtILi14ELi448ELi4ELi2ELi32ELb0Ej6__halfEEvPKT6_PKbPfiPT5_PiiiibdPKfPKS9_SF_,"axG",@progbits,_ZN4vllm3moe22topkGatingSoftplusSqrtILi14ELi448ELi4ELi2ELi32ELb0Ej6__halfEEvPKT6_PKbPfiPT5_PiiiibdPKfPKS9_SF_,comdat
.Lfunc_end295:
	.size	_ZN4vllm3moe22topkGatingSoftplusSqrtILi14ELi448ELi4ELi2ELi32ELb0Ej6__halfEEvPKT6_PKbPfiPT5_PiiiibdPKfPKS9_SF_, .Lfunc_end295-_ZN4vllm3moe22topkGatingSoftplusSqrtILi14ELi448ELi4ELi2ELi32ELb0Ej6__halfEEvPKT6_PKbPfiPT5_PiiiibdPKfPKS9_SF_
                                        ; -- End function
	.section	.AMDGPU.csdata,"",@progbits
; Kernel info:
; codeLenInByte = 6308
; NumSgprs: 38
; NumVgprs: 46
; NumAgprs: 0
; TotalNumVgprs: 46
; ScratchSize: 0
; MemoryBound: 0
; FloatMode: 240
; IeeeMode: 1
; LDSByteSize: 0 bytes/workgroup (compile time only)
; SGPRBlocks: 4
; VGPRBlocks: 5
; NumSGPRsForWavesPerEU: 38
; NumVGPRsForWavesPerEU: 46
; AccumOffset: 48
; Occupancy: 8
; WaveLimiterHint : 0
; COMPUTE_PGM_RSRC2:SCRATCH_EN: 0
; COMPUTE_PGM_RSRC2:USER_SGPR: 2
; COMPUTE_PGM_RSRC2:TRAP_HANDLER: 0
; COMPUTE_PGM_RSRC2:TGID_X_EN: 1
; COMPUTE_PGM_RSRC2:TGID_Y_EN: 0
; COMPUTE_PGM_RSRC2:TGID_Z_EN: 0
; COMPUTE_PGM_RSRC2:TIDIG_COMP_CNT: 1
; COMPUTE_PGM_RSRC3_GFX90A:ACCUM_OFFSET: 11
; COMPUTE_PGM_RSRC3_GFX90A:TG_SPLIT: 0
	.section	.text._ZN4vllm3moe22topkGatingSoftplusSqrtILi9ELi576ELi4ELi2ELi64ELb1Ej6__halfEEvPKT6_PKbPfiPT5_PiiiibdPKfPKS9_SF_,"axG",@progbits,_ZN4vllm3moe22topkGatingSoftplusSqrtILi9ELi576ELi4ELi2ELi64ELb1Ej6__halfEEvPKT6_PKbPfiPT5_PiiiibdPKfPKS9_SF_,comdat
	.protected	_ZN4vllm3moe22topkGatingSoftplusSqrtILi9ELi576ELi4ELi2ELi64ELb1Ej6__halfEEvPKT6_PKbPfiPT5_PiiiibdPKfPKS9_SF_ ; -- Begin function _ZN4vllm3moe22topkGatingSoftplusSqrtILi9ELi576ELi4ELi2ELi64ELb1Ej6__halfEEvPKT6_PKbPfiPT5_PiiiibdPKfPKS9_SF_
	.globl	_ZN4vllm3moe22topkGatingSoftplusSqrtILi9ELi576ELi4ELi2ELi64ELb1Ej6__halfEEvPKT6_PKbPfiPT5_PiiiibdPKfPKS9_SF_
	.p2align	8
	.type	_ZN4vllm3moe22topkGatingSoftplusSqrtILi9ELi576ELi4ELi2ELi64ELb1Ej6__halfEEvPKT6_PKbPfiPT5_PiiiibdPKfPKS9_SF_,@function
_ZN4vllm3moe22topkGatingSoftplusSqrtILi9ELi576ELi4ELi2ELi64ELb1Ej6__halfEEvPKT6_PKbPfiPT5_PiiiibdPKfPKS9_SF_: ; @_ZN4vllm3moe22topkGatingSoftplusSqrtILi9ELi576ELi4ELi2ELi64ELb1Ej6__halfEEvPKT6_PKbPfiPT5_PiiiibdPKfPKS9_SF_
; %bb.0:
	s_load_dword s3, s[0:1], 0x18
	v_and_b32_e32 v1, 0x3ff, v0
	s_lshl_b32 s2, s2, 2
	v_lshrrev_b32_e32 v2, 6, v1
	v_bfe_u32 v0, v0, 10, 10
	v_add3_u32 v10, s2, v0, v2
	s_waitcnt lgkmcnt(0)
	v_cmp_gt_i32_e32 vcc, s3, v10
	s_and_saveexec_b64 s[2:3], vcc
	s_cbranch_execz .LBB296_32
; %bb.1:
	s_load_dwordx2 s[2:3], s[0:1], 0x0
	s_load_dword s33, s[0:1], 0x30
	s_load_dwordx4 s[4:7], s[0:1], 0x50
	s_movk_i32 s8, 0x240
	v_mul_lo_u32 v2, v10, s8
	v_ashrrev_i32_e32 v3, 31, v2
	v_and_b32_e32 v9, 63, v1
	s_waitcnt lgkmcnt(0)
	v_lshl_add_u64 v[2:3], v[2:3], 1, s[2:3]
	v_lshlrev_b32_e32 v14, 1, v9
	v_mov_b32_e32 v15, 0
	v_lshl_add_u64 v[0:1], v[2:3], 0, v[14:15]
	global_load_ushort v2, v[0:1], off
	global_load_ushort v3, v[0:1], off offset:128
	global_load_ushort v4, v[0:1], off offset:256
	;; [unrolled: 1-line block ×8, first 2 shown]
	v_mov_b32_e32 v0, s4
	v_mov_b32_e32 v1, s5
	v_ashrrev_i32_e32 v11, 31, v10
	v_lshl_add_u64 v[0:1], v[10:11], 2, v[0:1]
	global_load_dword v0, v[0:1], off
	s_mov_b32 s12, 0x800000
	v_mov_b32_e32 v11, 0x4f800000
	s_mov_b32 s10, 0x3f317217
	s_mov_b32 s13, 0x7f800000
	v_mov_b32_e32 v16, 0x41b17218
	s_movk_i32 s9, 0x4d00
	s_mov_b32 s11, 0xf800000
	v_mov_b32_e32 v17, 0x260
	s_cmp_gt_i32 s33, 0
	s_mov_b32 s8, 0
	v_mul_lo_u32 v10, v10, s33
	s_waitcnt vmcnt(9)
	v_cvt_f32_f16_e32 v1, v2
	s_waitcnt vmcnt(8)
	v_cvt_f32_f16_e32 v18, v3
	s_waitcnt vmcnt(7)
	v_cvt_f32_f16_e32 v19, v4
	s_waitcnt vmcnt(6)
	v_cvt_f32_f16_e32 v20, v5
	v_mul_f32_e32 v14, 0x3fb8aa3b, v1
	v_mul_f32_e32 v26, 0x3fb8aa3b, v18
	v_exp_f32_e32 v28, v14
	v_mul_f32_e32 v27, 0x3fb8aa3b, v19
	v_exp_f32_e32 v26, v26
	v_exp_f32_e32 v27, v27
	s_waitcnt vmcnt(5)
	v_cvt_f32_f16_e32 v21, v6
	s_waitcnt vmcnt(4)
	v_cvt_f32_f16_e32 v22, v7
	v_add_f32_e32 v26, 1.0, v26
	s_waitcnt vmcnt(0)
	v_mul_lo_u32 v14, v0, s33
	v_add_f32_e32 v0, 1.0, v28
	v_cmp_gt_f32_e32 vcc, s12, v0
	v_add_f32_e32 v27, 1.0, v27
	v_cmp_gt_f32_e64 s[2:3], s12, v26
	v_cndmask_b32_e32 v28, 1.0, v11, vcc
	v_cmp_gt_f32_e64 s[4:5], s12, v27
	v_cndmask_b32_e64 v29, 1.0, v11, s[2:3]
	v_mul_f32_e32 v0, v0, v28
	v_cndmask_b32_e64 v30, 1.0, v11, s[4:5]
	v_mul_f32_e32 v26, v26, v29
	v_log_f32_e32 v0, v0
	v_mul_f32_e32 v27, v27, v30
	v_log_f32_e32 v26, v26
	v_log_f32_e32 v27, v27
	v_mul_f32_e32 v31, 0x3f317217, v0
	v_fma_f32 v31, v0, s10, -v31
	v_mul_f32_e32 v32, 0x3f317217, v26
	v_mul_f32_e32 v33, 0x3f317217, v27
	v_fma_f32 v32, v26, s10, -v32
	v_fmac_f32_e32 v31, 0x3377d1cf, v0
	v_cndmask_b32_e32 v28, 0, v16, vcc
	v_fma_f32 v33, v27, s10, -v33
	v_fmac_f32_e32 v32, 0x3377d1cf, v26
	v_fmac_f32_e32 v31, 0x3f317217, v0
	v_cmp_lt_f32_e64 vcc, |v0|, s13
	v_fmac_f32_e32 v33, 0x3377d1cf, v27
	v_fmac_f32_e32 v32, 0x3f317217, v26
	v_cndmask_b32_e32 v0, v0, v31, vcc
	v_cmp_lt_f32_e64 vcc, |v26|, s13
	v_fmac_f32_e32 v33, 0x3f317217, v27
	v_cndmask_b32_e64 v29, 0, v16, s[2:3]
	v_cndmask_b32_e32 v26, v26, v32, vcc
	v_cmp_lt_f32_e64 vcc, |v27|, s13
	v_sub_f32_e32 v0, v0, v28
	v_sub_f32_e32 v26, v26, v29
	v_cndmask_b32_e32 v27, v27, v33, vcc
	v_cmp_lt_f16_e32 vcc, s9, v2
	v_cndmask_b32_e64 v30, 0, v16, s[4:5]
	v_cvt_f32_f16_e32 v23, v8
	v_cndmask_b32_e32 v0, v0, v1, vcc
	v_cmp_lt_f16_e32 vcc, s9, v3
	v_mul_f32_e32 v2, 0x4f800000, v0
	v_cvt_f32_f16_e32 v24, v12
	v_cndmask_b32_e32 v1, v26, v18, vcc
	v_cmp_gt_f32_e32 vcc, s11, v0
	v_mul_f32_e32 v3, 0x4f800000, v1
	v_cmp_gt_f32_e64 s[2:3], s11, v1
	v_cndmask_b32_e32 v0, v0, v2, vcc
	v_sqrt_f32_e32 v2, v0
	v_cndmask_b32_e64 v1, v1, v3, s[2:3]
	v_sqrt_f32_e32 v3, v1
	v_sub_f32_e32 v18, v27, v30
	v_add_u32_e32 v26, -1, v2
	v_fma_f32 v30, -v26, v2, v0
	v_add_u32_e32 v28, -1, v3
	v_add_u32_e32 v27, 1, v2
	v_fma_f32 v32, -v28, v3, v1
	v_cmp_ge_f32_e64 s[4:5], 0, v30
	v_add_u32_e32 v29, 1, v3
	v_fma_f32 v31, -v27, v2, v0
	v_cndmask_b32_e64 v2, v2, v26, s[4:5]
	v_cmp_ge_f32_e64 s[4:5], 0, v32
	v_fma_f32 v33, -v29, v3, v1
	v_cvt_f32_f16_e32 v25, v13
	v_cndmask_b32_e64 v3, v3, v28, s[4:5]
	v_cmp_lt_f32_e64 s[4:5], 0, v31
	s_nop 1
	v_cndmask_b32_e64 v2, v2, v27, s[4:5]
	v_mul_f32_e32 v26, 0x37800000, v2
	v_cndmask_b32_e32 v2, v2, v26, vcc
	v_cmp_class_f32_e32 vcc, v0, v17
	v_cmp_lt_f32_e64 s[4:5], 0, v33
	s_nop 0
	v_cndmask_b32_e32 v0, v2, v0, vcc
	v_cmp_lt_f16_e32 vcc, s9, v4
	v_cndmask_b32_e64 v3, v3, v29, s[4:5]
	v_mul_f32_e32 v27, 0x37800000, v3
	v_cndmask_b32_e32 v2, v18, v19, vcc
	v_mul_f32_e32 v4, 0x4f800000, v2
	v_cmp_gt_f32_e32 vcc, s11, v2
	v_mul_f32_e32 v19, 0x3fb8aa3b, v20
	v_exp_f32_e32 v19, v19
	v_cndmask_b32_e32 v2, v2, v4, vcc
	v_sqrt_f32_e32 v4, v2
	v_cndmask_b32_e64 v3, v3, v27, s[2:3]
	v_cmp_class_f32_e64 s[2:3], v1, v17
	v_add_f32_e32 v19, 1.0, v19
	s_nop 0
	v_cndmask_b32_e64 v1, v3, v1, s[2:3]
	v_add_u32_e32 v3, -1, v4
	v_fma_f32 v18, -v3, v4, v2
	v_cmp_ge_f32_e64 s[2:3], 0, v18
	v_add_u32_e32 v18, 1, v4
	s_nop 0
	v_cndmask_b32_e64 v3, v4, v3, s[2:3]
	v_cmp_gt_f32_e64 s[2:3], s12, v19
	v_fma_f32 v4, -v18, v4, v2
	v_cmp_lt_f32_e64 s[4:5], 0, v4
	v_cndmask_b32_e64 v26, 1.0, v11, s[2:3]
	v_mul_f32_e32 v19, v19, v26
	v_log_f32_e32 v19, v19
	v_cndmask_b32_e64 v3, v3, v18, s[4:5]
	v_mul_f32_e32 v4, 0x37800000, v3
	v_cndmask_b32_e32 v3, v3, v4, vcc
	v_mul_f32_e32 v18, 0x3f317217, v19
	v_fma_f32 v18, v19, s10, -v18
	v_fmac_f32_e32 v18, 0x3377d1cf, v19
	v_fmac_f32_e32 v18, 0x3f317217, v19
	v_cmp_lt_f32_e64 s[4:5], |v19|, s13
	v_cmp_class_f32_e32 vcc, v2, v17
	s_nop 0
	v_cndmask_b32_e64 v18, v19, v18, s[4:5]
	v_cndmask_b32_e64 v19, 0, v16, s[2:3]
	v_sub_f32_e32 v18, v18, v19
	v_cmp_lt_f16_e64 s[2:3], s9, v5
	v_mul_f32_e32 v19, 0x3fb8aa3b, v21
	v_exp_f32_e32 v19, v19
	v_cndmask_b32_e64 v5, v18, v20, s[2:3]
	v_mul_f32_e32 v18, 0x4f800000, v5
	v_cmp_gt_f32_e64 s[2:3], s11, v5
	v_cndmask_b32_e32 v2, v3, v2, vcc
	v_add_f32_e32 v19, 1.0, v19
	v_cndmask_b32_e64 v5, v5, v18, s[2:3]
	v_sqrt_f32_e32 v18, v5
	s_nop 0
	v_add_u32_e32 v3, -1, v18
	v_fma_f32 v4, -v3, v18, v5
	v_cmp_ge_f32_e32 vcc, 0, v4
	v_add_u32_e32 v4, 1, v18
	s_nop 0
	v_cndmask_b32_e32 v3, v18, v3, vcc
	v_cmp_gt_f32_e32 vcc, s12, v19
	v_fma_f32 v18, -v4, v18, v5
	v_cmp_lt_f32_e64 s[4:5], 0, v18
	v_cndmask_b32_e32 v20, 1.0, v11, vcc
	v_mul_f32_e32 v19, v19, v20
	v_log_f32_e32 v19, v19
	v_cndmask_b32_e64 v3, v3, v4, s[4:5]
	v_mul_f32_e32 v4, 0x37800000, v3
	v_cndmask_b32_e64 v3, v3, v4, s[2:3]
	v_mul_f32_e32 v18, 0x3f317217, v19
	v_fma_f32 v18, v19, s10, -v18
	v_fmac_f32_e32 v18, 0x3377d1cf, v19
	v_fmac_f32_e32 v18, 0x3f317217, v19
	v_cmp_lt_f32_e64 s[4:5], |v19|, s13
	v_cmp_class_f32_e64 s[2:3], v5, v17
	s_nop 0
	v_cndmask_b32_e64 v18, v19, v18, s[4:5]
	v_cndmask_b32_e32 v19, 0, v16, vcc
	v_sub_f32_e32 v18, v18, v19
	v_cmp_lt_f16_e32 vcc, s9, v6
	v_mul_f32_e32 v19, 0x3fb8aa3b, v22
	v_exp_f32_e32 v19, v19
	v_cndmask_b32_e32 v6, v18, v21, vcc
	v_mul_f32_e32 v18, 0x4f800000, v6
	v_cmp_gt_f32_e32 vcc, s11, v6
	v_cndmask_b32_e64 v3, v3, v5, s[2:3]
	v_add_f32_e32 v19, 1.0, v19
	v_cndmask_b32_e32 v6, v6, v18, vcc
	v_sqrt_f32_e32 v18, v6
	s_nop 0
	v_add_u32_e32 v4, -1, v18
	v_fma_f32 v5, -v4, v18, v6
	v_cmp_ge_f32_e64 s[2:3], 0, v5
	v_add_u32_e32 v5, 1, v18
	s_nop 0
	v_cndmask_b32_e64 v4, v18, v4, s[2:3]
	v_cmp_gt_f32_e64 s[2:3], s12, v19
	v_fma_f32 v18, -v5, v18, v6
	v_cmp_lt_f32_e64 s[4:5], 0, v18
	v_cndmask_b32_e64 v20, 1.0, v11, s[2:3]
	v_mul_f32_e32 v19, v19, v20
	v_log_f32_e32 v19, v19
	v_cndmask_b32_e64 v4, v4, v5, s[4:5]
	v_mul_f32_e32 v5, 0x37800000, v4
	v_cndmask_b32_e32 v4, v4, v5, vcc
	v_mul_f32_e32 v18, 0x3f317217, v19
	v_fma_f32 v18, v19, s10, -v18
	v_fmac_f32_e32 v18, 0x3377d1cf, v19
	v_fmac_f32_e32 v18, 0x3f317217, v19
	v_cmp_lt_f32_e64 s[4:5], |v19|, s13
	v_cmp_class_f32_e32 vcc, v6, v17
	s_nop 0
	v_cndmask_b32_e64 v18, v19, v18, s[4:5]
	v_cndmask_b32_e64 v19, 0, v16, s[2:3]
	v_sub_f32_e32 v18, v18, v19
	v_cmp_lt_f16_e64 s[2:3], s9, v7
	v_mul_f32_e32 v19, 0x3fb8aa3b, v23
	v_exp_f32_e32 v19, v19
	v_cndmask_b32_e64 v7, v18, v22, s[2:3]
	v_mul_f32_e32 v18, 0x4f800000, v7
	v_cmp_gt_f32_e64 s[2:3], s11, v7
	v_cndmask_b32_e32 v4, v4, v6, vcc
	v_add_f32_e32 v19, 1.0, v19
	v_cndmask_b32_e64 v7, v7, v18, s[2:3]
	v_sqrt_f32_e32 v18, v7
	s_nop 0
	v_add_u32_e32 v5, -1, v18
	v_fma_f32 v6, -v5, v18, v7
	v_cmp_ge_f32_e32 vcc, 0, v6
	v_add_u32_e32 v6, 1, v18
	s_nop 0
	v_cndmask_b32_e32 v5, v18, v5, vcc
	v_cmp_gt_f32_e32 vcc, s12, v19
	v_fma_f32 v18, -v6, v18, v7
	v_cmp_lt_f32_e64 s[4:5], 0, v18
	v_cndmask_b32_e32 v20, 1.0, v11, vcc
	v_mul_f32_e32 v19, v19, v20
	v_log_f32_e32 v19, v19
	v_cndmask_b32_e64 v5, v5, v6, s[4:5]
	v_mul_f32_e32 v6, 0x37800000, v5
	v_cndmask_b32_e64 v5, v5, v6, s[2:3]
	v_mul_f32_e32 v18, 0x3f317217, v19
	v_fma_f32 v18, v19, s10, -v18
	v_fmac_f32_e32 v18, 0x3377d1cf, v19
	v_fmac_f32_e32 v18, 0x3f317217, v19
	v_cmp_lt_f32_e64 s[4:5], |v19|, s13
	v_cmp_class_f32_e64 s[2:3], v7, v17
	s_nop 0
	v_cndmask_b32_e64 v18, v19, v18, s[4:5]
	v_cndmask_b32_e32 v19, 0, v16, vcc
	v_sub_f32_e32 v18, v18, v19
	v_cmp_lt_f16_e32 vcc, s9, v8
	v_mul_f32_e32 v19, 0x3fb8aa3b, v24
	v_exp_f32_e32 v19, v19
	v_cndmask_b32_e32 v8, v18, v23, vcc
	v_mul_f32_e32 v18, 0x4f800000, v8
	v_cmp_gt_f32_e32 vcc, s11, v8
	v_cndmask_b32_e64 v5, v5, v7, s[2:3]
	v_add_f32_e32 v19, 1.0, v19
	v_cndmask_b32_e32 v8, v8, v18, vcc
	v_sqrt_f32_e32 v18, v8
	s_nop 0
	v_add_u32_e32 v6, -1, v18
	v_fma_f32 v7, -v6, v18, v8
	v_cmp_ge_f32_e64 s[2:3], 0, v7
	v_add_u32_e32 v7, 1, v18
	s_nop 0
	v_cndmask_b32_e64 v6, v18, v6, s[2:3]
	v_cmp_gt_f32_e64 s[2:3], s12, v19
	v_fma_f32 v18, -v7, v18, v8
	v_cmp_lt_f32_e64 s[4:5], 0, v18
	v_cndmask_b32_e64 v20, 1.0, v11, s[2:3]
	v_mul_f32_e32 v19, v19, v20
	v_log_f32_e32 v19, v19
	v_cndmask_b32_e64 v6, v6, v7, s[4:5]
	v_mul_f32_e32 v7, 0x37800000, v6
	v_cndmask_b32_e32 v6, v6, v7, vcc
	v_mul_f32_e32 v18, 0x3f317217, v19
	v_fma_f32 v18, v19, s10, -v18
	v_fmac_f32_e32 v18, 0x3377d1cf, v19
	v_fmac_f32_e32 v18, 0x3f317217, v19
	v_cmp_lt_f32_e64 s[4:5], |v19|, s13
	v_cmp_class_f32_e32 vcc, v8, v17
	s_nop 0
	v_cndmask_b32_e64 v18, v19, v18, s[4:5]
	v_cndmask_b32_e64 v19, 0, v16, s[2:3]
	v_sub_f32_e32 v18, v18, v19
	v_cmp_lt_f16_e64 s[2:3], s9, v12
	v_mul_f32_e32 v19, 0x3fb8aa3b, v25
	v_exp_f32_e32 v19, v19
	v_cndmask_b32_e64 v12, v18, v24, s[2:3]
	v_mul_f32_e32 v18, 0x4f800000, v12
	v_cmp_gt_f32_e64 s[2:3], s11, v12
	v_cndmask_b32_e32 v6, v6, v8, vcc
	v_add_f32_e32 v19, 1.0, v19
	v_cndmask_b32_e64 v12, v12, v18, s[2:3]
	v_sqrt_f32_e32 v18, v12
	s_nop 0
	v_add_u32_e32 v7, -1, v18
	v_fma_f32 v8, -v7, v18, v12
	v_cmp_ge_f32_e32 vcc, 0, v8
	v_add_u32_e32 v8, 1, v18
	s_nop 0
	v_cndmask_b32_e32 v7, v18, v7, vcc
	v_cmp_gt_f32_e32 vcc, s12, v19
	v_fma_f32 v18, -v8, v18, v12
	v_cmp_lt_f32_e64 s[4:5], 0, v18
	v_cndmask_b32_e32 v11, 1.0, v11, vcc
	v_mul_f32_e32 v11, v19, v11
	v_log_f32_e32 v11, v11
	v_cndmask_b32_e64 v7, v7, v8, s[4:5]
	v_cndmask_b32_e32 v16, 0, v16, vcc
	v_cmp_lt_f16_e32 vcc, s9, v13
	v_mul_f32_e32 v18, 0x3f317217, v11
	v_fma_f32 v18, v11, s10, -v18
	v_fmac_f32_e32 v18, 0x3377d1cf, v11
	v_fmac_f32_e32 v18, 0x3f317217, v11
	v_cmp_lt_f32_e64 s[4:5], |v11|, s13
	v_mul_f32_e32 v8, 0x37800000, v7
	v_cndmask_b32_e64 v7, v7, v8, s[2:3]
	v_cndmask_b32_e64 v11, v11, v18, s[4:5]
	v_sub_f32_e32 v11, v11, v16
	v_cndmask_b32_e32 v11, v11, v25, vcc
	v_mul_f32_e32 v13, 0x4f800000, v11
	v_cmp_gt_f32_e32 vcc, s11, v11
	v_cmp_class_f32_e64 s[2:3], v12, v17
	s_cselect_b64 s[4:5], -1, 0
	v_cndmask_b32_e32 v11, v11, v13, vcc
	v_sqrt_f32_e32 v13, v11
	v_cndmask_b32_e64 v7, v7, v12, s[2:3]
	s_cmp_lt_i32 s33, 1
	v_add_u32_e32 v8, -1, v13
	v_fma_f32 v12, -v8, v13, v11
	v_cmp_ge_f32_e64 s[2:3], 0, v12
	v_add_u32_e32 v12, 1, v13
	s_nop 0
	v_cndmask_b32_e64 v8, v13, v8, s[2:3]
	v_fma_f32 v13, -v12, v13, v11
	v_cmp_lt_f32_e64 s[2:3], 0, v13
	s_nop 1
	v_cndmask_b32_e64 v8, v8, v12, s[2:3]
	v_mul_f32_e32 v12, 0x37800000, v8
	v_cndmask_b32_e32 v8, v8, v12, vcc
	v_cmp_class_f32_e32 vcc, v11, v17
	v_lshl_add_u64 v[12:13], v[14:15], 2, s[6:7]
	s_nop 0
	v_cndmask_b32_e32 v8, v8, v11, vcc
	s_cbranch_scc1 .LBB296_29
; %bb.2:
	s_load_dwordx2 s[6:7], s[0:1], 0x20
	s_cmp_lt_u32 s33, 4
	s_cbranch_scc1 .LBB296_21
; %bb.3:
	s_mov_b32 s11, 0
	s_and_b32 s8, s33, 0x7ffffffc
	v_ashrrev_i32_e32 v11, 31, v10
	v_mov_b32_e32 v15, 0
	s_mov_b32 s10, s11
	s_branch .LBB296_5
.LBB296_4:                              ;   in Loop: Header=BB296_5 Depth=1
	s_or_b64 exec, exec, s[12:13]
	s_add_i32 s10, s10, 4
	s_cmp_eq_u32 s10, s8
	s_cbranch_scc1 .LBB296_22
.LBB296_5:                              ; =>This Loop Header: Depth=1
                                        ;     Child Loop BB296_7 Depth 2
                                        ;     Child Loop BB296_11 Depth 2
	;; [unrolled: 1-line block ×4, first 2 shown]
	v_lshl_add_u64 v[16:17], s[10:11], 2, v[12:13]
	global_load_dword v14, v[16:17], off
	v_add_u32_e32 v18, s10, v10
	v_ashrrev_i32_e32 v19, 31, v18
	s_waitcnt lgkmcnt(0)
	v_lshl_add_u64 v[18:19], v[18:19], 2, s[6:7]
	s_mov_b64 s[12:13], 0
	v_mov_b32_e32 v20, v9
	s_mov_b64 s[14:15], 0
	s_waitcnt vmcnt(0)
	s_branch .LBB296_7
.LBB296_6:                              ;   in Loop: Header=BB296_7 Depth=2
	s_or_b64 exec, exec, s[16:17]
	s_cmp_gt_u32 s14, 7
	s_cselect_b64 s[2:3], -1, 0
	s_xor_b64 s[16:17], vcc, -1
	s_or_b64 s[2:3], s[16:17], s[2:3]
	s_add_u32 s14, s14, 1
	s_addc_u32 s15, s15, 0
	s_and_b64 s[2:3], exec, s[2:3]
	s_or_b64 s[12:13], s[2:3], s[12:13]
	v_add_u32_e32 v20, 64, v20
	s_andn2_b64 exec, exec, s[12:13]
	s_cbranch_execz .LBB296_9
.LBB296_7:                              ;   Parent Loop BB296_5 Depth=1
                                        ; =>  This Inner Loop Header: Depth=2
	v_cmp_ne_u32_e32 vcc, v14, v20
	v_cmp_eq_u32_e64 s[2:3], v14, v20
	s_and_saveexec_b64 s[16:17], s[2:3]
	s_cbranch_execz .LBB296_6
; %bb.8:                                ;   in Loop: Header=BB296_7 Depth=2
	s_set_gpr_idx_on s14, gpr_idx(SRC0)
	v_mov_b32_e32 v21, v0
	s_set_gpr_idx_off
	v_add_f32_e32 v15, v15, v21
	global_store_dword v[18:19], v14, off
	s_branch .LBB296_6
.LBB296_9:                              ;   in Loop: Header=BB296_5 Depth=1
	s_or_b64 exec, exec, s[12:13]
	global_load_dword v14, v[16:17], off offset:4
	s_ashr_i32 s3, s10, 31
	s_mov_b32 s2, s10
	v_lshl_add_u64 v[18:19], s[2:3], 0, v[10:11]
	v_lshl_add_u64 v[18:19], v[18:19], 2, s[6:7]
	s_mov_b64 s[12:13], 0
	v_mov_b32_e32 v20, v9
	s_mov_b64 s[14:15], 0
	s_waitcnt vmcnt(0)
	s_branch .LBB296_11
.LBB296_10:                             ;   in Loop: Header=BB296_11 Depth=2
	s_or_b64 exec, exec, s[16:17]
	s_cmp_gt_u32 s14, 7
	s_cselect_b64 s[2:3], -1, 0
	s_xor_b64 s[16:17], vcc, -1
	s_or_b64 s[2:3], s[16:17], s[2:3]
	s_add_u32 s14, s14, 1
	s_addc_u32 s15, s15, 0
	s_and_b64 s[2:3], exec, s[2:3]
	s_or_b64 s[12:13], s[2:3], s[12:13]
	v_add_u32_e32 v20, 64, v20
	s_andn2_b64 exec, exec, s[12:13]
	s_cbranch_execz .LBB296_13
.LBB296_11:                             ;   Parent Loop BB296_5 Depth=1
                                        ; =>  This Inner Loop Header: Depth=2
	v_cmp_ne_u32_e32 vcc, v14, v20
	v_cmp_eq_u32_e64 s[2:3], v14, v20
	s_and_saveexec_b64 s[16:17], s[2:3]
	s_cbranch_execz .LBB296_10
; %bb.12:                               ;   in Loop: Header=BB296_11 Depth=2
	s_set_gpr_idx_on s14, gpr_idx(SRC0)
	v_mov_b32_e32 v21, v0
	s_set_gpr_idx_off
	v_add_f32_e32 v15, v15, v21
	global_store_dword v[18:19], v14, off offset:4
	s_branch .LBB296_10
.LBB296_13:                             ;   in Loop: Header=BB296_5 Depth=1
	s_or_b64 exec, exec, s[12:13]
	global_load_dword v14, v[16:17], off offset:8
	s_mov_b64 s[12:13], 0
	v_mov_b32_e32 v20, v9
	s_mov_b64 s[14:15], 0
	s_waitcnt vmcnt(0)
	s_branch .LBB296_15
.LBB296_14:                             ;   in Loop: Header=BB296_15 Depth=2
	s_or_b64 exec, exec, s[16:17]
	s_cmp_gt_u32 s14, 7
	s_cselect_b64 s[2:3], -1, 0
	s_xor_b64 s[16:17], vcc, -1
	s_or_b64 s[2:3], s[16:17], s[2:3]
	s_add_u32 s14, s14, 1
	s_addc_u32 s15, s15, 0
	s_and_b64 s[2:3], exec, s[2:3]
	s_or_b64 s[12:13], s[2:3], s[12:13]
	v_add_u32_e32 v20, 64, v20
	s_andn2_b64 exec, exec, s[12:13]
	s_cbranch_execz .LBB296_17
.LBB296_15:                             ;   Parent Loop BB296_5 Depth=1
                                        ; =>  This Inner Loop Header: Depth=2
	v_cmp_ne_u32_e32 vcc, v14, v20
	v_cmp_eq_u32_e64 s[2:3], v14, v20
	s_and_saveexec_b64 s[16:17], s[2:3]
	s_cbranch_execz .LBB296_14
; %bb.16:                               ;   in Loop: Header=BB296_15 Depth=2
	s_set_gpr_idx_on s14, gpr_idx(SRC0)
	v_mov_b32_e32 v21, v0
	s_set_gpr_idx_off
	v_add_f32_e32 v15, v15, v21
	global_store_dword v[18:19], v14, off offset:8
	s_branch .LBB296_14
.LBB296_17:                             ;   in Loop: Header=BB296_5 Depth=1
	s_or_b64 exec, exec, s[12:13]
	global_load_dword v14, v[16:17], off offset:12
	s_mov_b64 s[12:13], 0
	v_mov_b32_e32 v16, v9
	s_mov_b64 s[14:15], 0
	s_waitcnt vmcnt(0)
	s_branch .LBB296_19
.LBB296_18:                             ;   in Loop: Header=BB296_19 Depth=2
	s_or_b64 exec, exec, s[16:17]
	s_cmp_gt_u32 s14, 7
	s_cselect_b64 s[2:3], -1, 0
	s_xor_b64 s[16:17], vcc, -1
	s_or_b64 s[2:3], s[16:17], s[2:3]
	s_add_u32 s14, s14, 1
	s_addc_u32 s15, s15, 0
	s_and_b64 s[2:3], exec, s[2:3]
	s_or_b64 s[12:13], s[2:3], s[12:13]
	v_add_u32_e32 v16, 64, v16
	s_andn2_b64 exec, exec, s[12:13]
	s_cbranch_execz .LBB296_4
.LBB296_19:                             ;   Parent Loop BB296_5 Depth=1
                                        ; =>  This Inner Loop Header: Depth=2
	v_cmp_ne_u32_e32 vcc, v14, v16
	v_cmp_eq_u32_e64 s[2:3], v14, v16
	s_and_saveexec_b64 s[16:17], s[2:3]
	s_cbranch_execz .LBB296_18
; %bb.20:                               ;   in Loop: Header=BB296_19 Depth=2
	s_set_gpr_idx_on s14, gpr_idx(SRC0)
	v_mov_b32_e32 v17, v0
	s_set_gpr_idx_off
	v_add_f32_e32 v15, v15, v17
	global_store_dword v[18:19], v14, off offset:12
	s_branch .LBB296_18
.LBB296_21:
	v_mov_b32_e32 v15, 0
.LBB296_22:
	s_and_b32 s16, s33, 3
	s_cmp_eq_u32 s16, 0
	s_mov_b32 s9, 0
	s_cbranch_scc1 .LBB296_29
; %bb.23:
	s_mov_b32 s17, s9
	s_branch .LBB296_25
.LBB296_24:                             ;   in Loop: Header=BB296_25 Depth=1
	s_or_b64 exec, exec, s[10:11]
	s_add_i32 s8, s8, 1
	s_add_i32 s17, s17, 1
	s_cmp_lg_u32 s17, s16
	s_cbranch_scc0 .LBB296_29
.LBB296_25:                             ; =>This Loop Header: Depth=1
                                        ;     Child Loop BB296_27 Depth 2
	v_lshl_add_u64 v[16:17], s[8:9], 2, v[12:13]
	global_load_dword v11, v[16:17], off
	v_add_u32_e32 v16, s8, v10
	v_ashrrev_i32_e32 v17, 31, v16
	s_waitcnt lgkmcnt(0)
	v_lshl_add_u64 v[16:17], v[16:17], 2, s[6:7]
	s_mov_b64 s[10:11], 0
	v_mov_b32_e32 v14, v9
	s_mov_b64 s[12:13], 0
	s_waitcnt vmcnt(0)
	s_branch .LBB296_27
.LBB296_26:                             ;   in Loop: Header=BB296_27 Depth=2
	s_or_b64 exec, exec, s[14:15]
	s_cmp_gt_u32 s12, 7
	s_cselect_b64 s[2:3], -1, 0
	s_xor_b64 s[14:15], vcc, -1
	s_or_b64 s[2:3], s[14:15], s[2:3]
	s_add_u32 s12, s12, 1
	s_addc_u32 s13, s13, 0
	s_and_b64 s[2:3], exec, s[2:3]
	s_or_b64 s[10:11], s[2:3], s[10:11]
	v_add_u32_e32 v14, 64, v14
	s_andn2_b64 exec, exec, s[10:11]
	s_cbranch_execz .LBB296_24
.LBB296_27:                             ;   Parent Loop BB296_25 Depth=1
                                        ; =>  This Inner Loop Header: Depth=2
	v_cmp_ne_u32_e32 vcc, v11, v14
	v_cmp_eq_u32_e64 s[2:3], v11, v14
	s_and_saveexec_b64 s[14:15], s[2:3]
	s_cbranch_execz .LBB296_26
; %bb.28:                               ;   in Loop: Header=BB296_27 Depth=2
	s_set_gpr_idx_on s12, gpr_idx(SRC0)
	v_mov_b32_e32 v18, v0
	s_set_gpr_idx_off
	v_add_f32_e32 v15, v15, v18
	global_store_dword v[16:17], v11, off
	s_branch .LBB296_26
.LBB296_29:
	s_waitcnt lgkmcnt(0)
	s_load_dword s6, s[0:1], 0x3c
	s_waitcnt lgkmcnt(0)
	s_bitcmp1_b32 s6, 0
	s_cselect_b64 s[2:3], -1, 0
	s_bitcmp0_b32 s6, 0
	s_cbranch_scc0 .LBB296_33
; %bb.30:
	s_load_dwordx2 s[6:7], s[0:1], 0x40
	s_andn2_b64 vcc, exec, s[2:3]
	s_waitcnt lgkmcnt(0)
	v_cvt_f32_f64_e32 v20, s[6:7]
	s_cbranch_vccz .LBB296_34
.LBB296_31:
	s_andn2_b64 vcc, exec, s[4:5]
	s_cbranch_vccz .LBB296_35
.LBB296_32:
	s_endpgm
.LBB296_33:
	v_mbcnt_lo_u32_b32 v11, -1, 0
	v_mbcnt_hi_u32_b32 v11, -1, v11
	v_and_b32_e32 v14, 64, v11
	v_add_u32_e32 v14, 64, v14
	v_xor_b32_e32 v16, 32, v11
	v_cmp_lt_i32_e32 vcc, v16, v14
	v_xor_b32_e32 v17, 16, v11
	s_nop 0
	v_cndmask_b32_e32 v16, v11, v16, vcc
	v_lshlrev_b32_e32 v16, 2, v16
	ds_bpermute_b32 v16, v16, v15
	v_cmp_lt_i32_e32 vcc, v17, v14
	s_waitcnt lgkmcnt(0)
	v_add_f32_e32 v15, v15, v16
	v_cndmask_b32_e32 v16, v11, v17, vcc
	v_lshlrev_b32_e32 v16, 2, v16
	ds_bpermute_b32 v16, v16, v15
	v_xor_b32_e32 v17, 8, v11
	v_cmp_lt_i32_e32 vcc, v17, v14
	s_waitcnt lgkmcnt(0)
	v_add_f32_e32 v15, v15, v16
	v_cndmask_b32_e32 v16, v11, v17, vcc
	v_lshlrev_b32_e32 v16, 2, v16
	ds_bpermute_b32 v16, v16, v15
	v_xor_b32_e32 v17, 4, v11
	;; [unrolled: 7-line block ×4, first 2 shown]
	v_cmp_lt_i32_e32 vcc, v17, v14
	s_waitcnt lgkmcnt(0)
	v_add_f32_e32 v15, v15, v16
	v_cndmask_b32_e32 v11, v11, v17, vcc
	v_lshlrev_b32_e32 v11, 2, v11
	ds_bpermute_b32 v11, v11, v15
	s_waitcnt lgkmcnt(0)
	v_add_f32_e32 v15, v15, v11
	s_load_dwordx2 s[6:7], s[0:1], 0x40
	s_andn2_b64 vcc, exec, s[2:3]
	s_waitcnt lgkmcnt(0)
	v_cvt_f32_f64_e32 v20, s[6:7]
	s_cbranch_vccnz .LBB296_31
.LBB296_34:
	v_cmp_lt_f32_e32 vcc, 0, v15
	s_nop 1
	v_cndmask_b32_e32 v11, 1.0, v15, vcc
	v_div_scale_f32 v14, s[2:3], v11, v11, v20
	v_rcp_f32_e32 v15, v14
	s_nop 0
	v_fma_f32 v16, -v14, v15, 1.0
	v_fmac_f32_e32 v15, v16, v15
	v_div_scale_f32 v16, vcc, v20, v11, v20
	v_mul_f32_e32 v17, v16, v15
	v_fma_f32 v18, -v14, v17, v16
	v_fmac_f32_e32 v17, v18, v15
	v_fma_f32 v14, -v14, v17, v16
	v_div_fmas_f32 v14, v14, v15, v17
	v_div_fixup_f32 v20, v14, v11, v20
	s_andn2_b64 vcc, exec, s[4:5]
	s_cbranch_vccnz .LBB296_32
.LBB296_35:
	s_load_dwordx2 s[14:15], s[0:1], 0x10
	v_or_b32_e32 v28, 64, v9
	v_or_b32_e32 v27, 0x80, v9
	;; [unrolled: 1-line block ×8, first 2 shown]
	s_cmp_eq_u32 s33, 1
	s_mov_b32 s16, 0
	s_cbranch_scc1 .LBB296_74
; %bb.36:
	v_ashrrev_i32_e32 v11, 31, v10
	s_waitcnt lgkmcnt(0)
	v_lshl_add_u64 v[14:15], v[10:11], 2, s[14:15]
	s_and_b32 s16, s33, 0x7ffffffe
	v_lshl_add_u64 v[14:15], v[14:15], 0, 4
	v_lshl_add_u64 v[16:17], v[12:13], 0, 4
	s_mov_b32 s17, 0
	s_branch .LBB296_38
.LBB296_37:                             ;   in Loop: Header=BB296_38 Depth=1
	s_or_b64 exec, exec, s[0:1]
	s_add_i32 s17, s17, 2
	v_lshl_add_u64 v[14:15], v[14:15], 0, 8
	s_cmp_lg_u32 s16, s17
	v_lshl_add_u64 v[16:17], v[16:17], 0, 8
	s_cbranch_scc0 .LBB296_74
.LBB296_38:                             ; =>This Inner Loop Header: Depth=1
	global_load_dword v11, v[16:17], off offset:-4
	v_mov_b64_e32 v[18:19], 0
	s_waitcnt vmcnt(0)
	v_cmp_eq_u32_e32 vcc, v11, v9
	v_cmp_ne_u32_e64 s[0:1], v11, v9
	s_and_saveexec_b64 s[18:19], s[0:1]
	s_cbranch_execz .LBB296_54
; %bb.39:                               ;   in Loop: Header=BB296_38 Depth=1
	v_cmp_eq_u32_e64 s[0:1], v11, v28
	v_cmp_ne_u32_e64 s[2:3], v11, v28
	v_mov_b64_e32 v[18:19], 1
	s_and_saveexec_b64 s[20:21], s[2:3]
	s_cbranch_execz .LBB296_53
; %bb.40:                               ;   in Loop: Header=BB296_38 Depth=1
	v_cmp_eq_u32_e64 s[2:3], v11, v27
	v_cmp_ne_u32_e64 s[4:5], v11, v27
	v_mov_b64_e32 v[18:19], 2
	;; [unrolled: 6-line block ×7, first 2 shown]
	s_and_saveexec_b64 s[36:37], s[12:13]
	s_xor_b64 s[36:37], exec, s[36:37]
; %bb.46:                               ;   in Loop: Header=BB296_38 Depth=1
	v_cmp_eq_u32_e64 s[12:13], v11, v21
	s_andn2_b64 s[34:35], s[34:35], exec
	s_and_b64 s[12:13], s[12:13], exec
	v_mov_b64_e32 v[18:19], 8
	s_or_b64 s[34:35], s[34:35], s[12:13]
; %bb.47:                               ;   in Loop: Header=BB296_38 Depth=1
	s_or_b64 exec, exec, s[36:37]
	s_andn2_b64 s[10:11], s[10:11], exec
	s_and_b64 s[12:13], s[34:35], exec
	s_or_b64 s[10:11], s[10:11], s[12:13]
.LBB296_48:                             ;   in Loop: Header=BB296_38 Depth=1
	s_or_b64 exec, exec, s[30:31]
	s_andn2_b64 s[8:9], s[8:9], exec
	s_and_b64 s[10:11], s[10:11], exec
	s_or_b64 s[8:9], s[8:9], s[10:11]
.LBB296_49:                             ;   in Loop: Header=BB296_38 Depth=1
	s_or_b64 exec, exec, s[28:29]
	s_andn2_b64 s[6:7], s[6:7], exec
	s_and_b64 s[8:9], s[8:9], exec
	s_or_b64 s[6:7], s[6:7], s[8:9]
.LBB296_50:                             ;   in Loop: Header=BB296_38 Depth=1
	s_or_b64 exec, exec, s[26:27]
	s_andn2_b64 s[4:5], s[4:5], exec
	s_and_b64 s[6:7], s[6:7], exec
	s_or_b64 s[4:5], s[4:5], s[6:7]
.LBB296_51:                             ;   in Loop: Header=BB296_38 Depth=1
	s_or_b64 exec, exec, s[24:25]
	s_andn2_b64 s[2:3], s[2:3], exec
	s_and_b64 s[4:5], s[4:5], exec
	s_or_b64 s[2:3], s[2:3], s[4:5]
.LBB296_52:                             ;   in Loop: Header=BB296_38 Depth=1
	s_or_b64 exec, exec, s[22:23]
	s_andn2_b64 s[0:1], s[0:1], exec
	s_and_b64 s[2:3], s[2:3], exec
	s_or_b64 s[0:1], s[0:1], s[2:3]
.LBB296_53:                             ;   in Loop: Header=BB296_38 Depth=1
	s_or_b64 exec, exec, s[20:21]
	s_andn2_b64 s[2:3], vcc, exec
	s_and_b64 s[0:1], s[0:1], exec
	s_or_b64 vcc, s[2:3], s[0:1]
.LBB296_54:                             ;   in Loop: Header=BB296_38 Depth=1
	s_or_b64 exec, exec, s[18:19]
	s_and_saveexec_b64 s[0:1], vcc
	s_cbranch_execz .LBB296_56
; %bb.55:                               ;   in Loop: Header=BB296_38 Depth=1
	v_cmp_eq_u32_e32 vcc, 1, v18
	v_add_u32_e32 v30, s17, v10
	v_ashrrev_i32_e32 v31, 31, v30
	v_cndmask_b32_e32 v11, v0, v1, vcc
	v_cmp_eq_u32_e32 vcc, 2, v18
	s_nop 1
	v_cndmask_b32_e32 v11, v11, v2, vcc
	v_cmp_eq_u32_e32 vcc, 3, v18
	s_nop 1
	;; [unrolled: 3-line block ×6, first 2 shown]
	v_cndmask_b32_e32 v11, v11, v7, vcc
	v_cmp_eq_u32_e32 vcc, 8, v18
	v_lshl_add_u64 v[18:19], v[30:31], 2, s[14:15]
	s_nop 0
	v_cndmask_b32_e32 v11, v11, v8, vcc
	v_mul_f32_e32 v11, v20, v11
	global_store_dword v[18:19], v11, off
.LBB296_56:                             ;   in Loop: Header=BB296_38 Depth=1
	s_or_b64 exec, exec, s[0:1]
	global_load_dword v11, v[16:17], off
	v_mov_b64_e32 v[18:19], 0
	s_waitcnt vmcnt(0)
	v_cmp_eq_u32_e64 s[10:11], v11, v9
	v_cmp_ne_u32_e32 vcc, v11, v9
	s_and_saveexec_b64 s[12:13], vcc
	s_cbranch_execz .LBB296_72
; %bb.57:                               ;   in Loop: Header=BB296_38 Depth=1
	v_cmp_eq_u32_e32 vcc, v11, v28
	v_cmp_ne_u32_e64 s[0:1], v11, v28
	v_mov_b64_e32 v[18:19], 1
	s_and_saveexec_b64 s[18:19], s[0:1]
	s_cbranch_execz .LBB296_71
; %bb.58:                               ;   in Loop: Header=BB296_38 Depth=1
	v_cmp_eq_u32_e64 s[0:1], v11, v27
	v_cmp_ne_u32_e64 s[2:3], v11, v27
	v_mov_b64_e32 v[18:19], 2
	s_and_saveexec_b64 s[20:21], s[2:3]
	s_cbranch_execz .LBB296_70
; %bb.59:                               ;   in Loop: Header=BB296_38 Depth=1
	v_cmp_eq_u32_e64 s[2:3], v11, v26
	;; [unrolled: 6-line block ×6, first 2 shown]
	v_cmp_ne_u32_e64 s[8:9], v11, v22
	v_mov_b64_e32 v[18:19], 7
	s_and_saveexec_b64 s[36:37], s[8:9]
; %bb.64:                               ;   in Loop: Header=BB296_38 Depth=1
	v_cmp_eq_u32_e64 s[8:9], v11, v21
	s_andn2_b64 s[34:35], s[34:35], exec
	s_and_b64 s[8:9], s[8:9], exec
	v_mov_b64_e32 v[18:19], 8
	s_or_b64 s[34:35], s[34:35], s[8:9]
; %bb.65:                               ;   in Loop: Header=BB296_38 Depth=1
	s_or_b64 exec, exec, s[36:37]
	s_andn2_b64 s[8:9], s[28:29], exec
	s_and_b64 s[28:29], s[34:35], exec
	s_or_b64 s[28:29], s[8:9], s[28:29]
.LBB296_66:                             ;   in Loop: Header=BB296_38 Depth=1
	s_or_b64 exec, exec, s[30:31]
	s_andn2_b64 s[6:7], s[6:7], exec
	s_and_b64 s[8:9], s[28:29], exec
	s_or_b64 s[6:7], s[6:7], s[8:9]
.LBB296_67:                             ;   in Loop: Header=BB296_38 Depth=1
	s_or_b64 exec, exec, s[26:27]
	s_andn2_b64 s[4:5], s[4:5], exec
	s_and_b64 s[6:7], s[6:7], exec
	s_or_b64 s[4:5], s[4:5], s[6:7]
.LBB296_68:                             ;   in Loop: Header=BB296_38 Depth=1
	s_or_b64 exec, exec, s[24:25]
	s_andn2_b64 s[2:3], s[2:3], exec
	s_and_b64 s[4:5], s[4:5], exec
	s_or_b64 s[2:3], s[2:3], s[4:5]
.LBB296_69:                             ;   in Loop: Header=BB296_38 Depth=1
	s_or_b64 exec, exec, s[22:23]
	s_andn2_b64 s[0:1], s[0:1], exec
	s_and_b64 s[2:3], s[2:3], exec
	s_or_b64 s[0:1], s[0:1], s[2:3]
.LBB296_70:                             ;   in Loop: Header=BB296_38 Depth=1
	s_or_b64 exec, exec, s[20:21]
	s_andn2_b64 s[2:3], vcc, exec
	s_and_b64 s[0:1], s[0:1], exec
	s_or_b64 vcc, s[2:3], s[0:1]
.LBB296_71:                             ;   in Loop: Header=BB296_38 Depth=1
	s_or_b64 exec, exec, s[18:19]
	s_andn2_b64 s[0:1], s[10:11], exec
	s_and_b64 s[2:3], vcc, exec
	s_or_b64 s[10:11], s[0:1], s[2:3]
.LBB296_72:                             ;   in Loop: Header=BB296_38 Depth=1
	s_or_b64 exec, exec, s[12:13]
	s_and_saveexec_b64 s[0:1], s[10:11]
	s_cbranch_execz .LBB296_37
; %bb.73:                               ;   in Loop: Header=BB296_38 Depth=1
	v_cmp_eq_u32_e32 vcc, 1, v18
	s_nop 1
	v_cndmask_b32_e32 v11, v0, v1, vcc
	v_cmp_eq_u32_e32 vcc, 2, v18
	s_nop 1
	v_cndmask_b32_e32 v11, v11, v2, vcc
	;; [unrolled: 3-line block ×8, first 2 shown]
	v_mul_f32_e32 v11, v20, v11
	global_store_dword v[14:15], v11, off
	s_branch .LBB296_37
.LBB296_74:
	s_bitcmp0_b32 s33, 0
	s_mov_b32 s17, 0
	s_cbranch_scc1 .LBB296_32
; %bb.75:
	v_lshl_add_u64 v[12:13], s[16:17], 2, v[12:13]
	global_load_dword v11, v[12:13], off
	v_mov_b64_e32 v[12:13], 0
	s_waitcnt vmcnt(0)
	v_cmp_eq_u32_e64 s[10:11], v11, v9
	v_cmp_ne_u32_e32 vcc, v11, v9
	s_and_saveexec_b64 s[12:13], vcc
	s_cbranch_execz .LBB296_91
; %bb.76:
	v_cmp_eq_u32_e32 vcc, v11, v28
	v_cmp_ne_u32_e64 s[0:1], v11, v28
	v_mov_b64_e32 v[12:13], 1
	s_and_saveexec_b64 s[18:19], s[0:1]
	s_cbranch_execz .LBB296_90
; %bb.77:
	v_cmp_eq_u32_e64 s[0:1], v11, v27
	v_cmp_ne_u32_e64 s[2:3], v11, v27
	v_mov_b64_e32 v[12:13], 2
	s_and_saveexec_b64 s[20:21], s[2:3]
	s_cbranch_execz .LBB296_89
; %bb.78:
	v_cmp_eq_u32_e64 s[2:3], v11, v26
	;; [unrolled: 6-line block ×6, first 2 shown]
	v_cmp_ne_u32_e64 s[8:9], v11, v22
	v_mov_b64_e32 v[12:13], 7
	s_and_saveexec_b64 s[36:37], s[8:9]
; %bb.83:
	v_cmp_eq_u32_e64 s[8:9], v11, v21
	s_andn2_b64 s[34:35], s[34:35], exec
	s_and_b64 s[8:9], s[8:9], exec
	v_mov_b64_e32 v[12:13], 8
	s_or_b64 s[34:35], s[34:35], s[8:9]
; %bb.84:
	s_or_b64 exec, exec, s[36:37]
	s_andn2_b64 s[8:9], s[28:29], exec
	s_and_b64 s[28:29], s[34:35], exec
	s_or_b64 s[28:29], s[8:9], s[28:29]
.LBB296_85:
	s_or_b64 exec, exec, s[30:31]
	s_andn2_b64 s[6:7], s[6:7], exec
	s_and_b64 s[8:9], s[28:29], exec
	s_or_b64 s[6:7], s[6:7], s[8:9]
.LBB296_86:
	s_or_b64 exec, exec, s[26:27]
	s_andn2_b64 s[4:5], s[4:5], exec
	s_and_b64 s[6:7], s[6:7], exec
	s_or_b64 s[4:5], s[4:5], s[6:7]
.LBB296_87:
	s_or_b64 exec, exec, s[24:25]
	s_andn2_b64 s[2:3], s[2:3], exec
	s_and_b64 s[4:5], s[4:5], exec
	s_or_b64 s[2:3], s[2:3], s[4:5]
.LBB296_88:
	s_or_b64 exec, exec, s[22:23]
	s_andn2_b64 s[0:1], s[0:1], exec
	s_and_b64 s[2:3], s[2:3], exec
	s_or_b64 s[0:1], s[0:1], s[2:3]
.LBB296_89:
	s_or_b64 exec, exec, s[20:21]
	s_andn2_b64 s[2:3], vcc, exec
	s_and_b64 s[0:1], s[0:1], exec
	s_or_b64 vcc, s[2:3], s[0:1]
.LBB296_90:
	s_or_b64 exec, exec, s[18:19]
	s_andn2_b64 s[0:1], s[10:11], exec
	s_and_b64 s[2:3], vcc, exec
	s_or_b64 s[10:11], s[0:1], s[2:3]
.LBB296_91:
	s_or_b64 exec, exec, s[12:13]
	s_and_b64 exec, exec, s[10:11]
	s_cbranch_execz .LBB296_32
; %bb.92:
	v_cmp_eq_u32_e32 vcc, 1, v12
	v_add_u32_e32 v10, s16, v10
	v_ashrrev_i32_e32 v11, 31, v10
	v_cndmask_b32_e32 v0, v0, v1, vcc
	v_cmp_eq_u32_e32 vcc, 2, v12
	s_nop 1
	v_cndmask_b32_e32 v0, v0, v2, vcc
	v_cmp_eq_u32_e32 vcc, 3, v12
	s_nop 1
	;; [unrolled: 3-line block ×7, first 2 shown]
	v_cndmask_b32_e32 v0, v0, v8, vcc
	v_mul_f32_e32 v2, v20, v0
	s_waitcnt lgkmcnt(0)
	v_lshl_add_u64 v[0:1], v[10:11], 2, s[14:15]
	global_store_dword v[0:1], v2, off
	s_endpgm
	.section	.rodata,"a",@progbits
	.p2align	6, 0x0
	.amdhsa_kernel _ZN4vllm3moe22topkGatingSoftplusSqrtILi9ELi576ELi4ELi2ELi64ELb1Ej6__halfEEvPKT6_PKbPfiPT5_PiiiibdPKfPKS9_SF_
		.amdhsa_group_segment_fixed_size 0
		.amdhsa_private_segment_fixed_size 0
		.amdhsa_kernarg_size 96
		.amdhsa_user_sgpr_count 2
		.amdhsa_user_sgpr_dispatch_ptr 0
		.amdhsa_user_sgpr_queue_ptr 0
		.amdhsa_user_sgpr_kernarg_segment_ptr 1
		.amdhsa_user_sgpr_dispatch_id 0
		.amdhsa_user_sgpr_kernarg_preload_length 0
		.amdhsa_user_sgpr_kernarg_preload_offset 0
		.amdhsa_user_sgpr_private_segment_size 0
		.amdhsa_uses_dynamic_stack 0
		.amdhsa_enable_private_segment 0
		.amdhsa_system_sgpr_workgroup_id_x 1
		.amdhsa_system_sgpr_workgroup_id_y 0
		.amdhsa_system_sgpr_workgroup_id_z 0
		.amdhsa_system_sgpr_workgroup_info 0
		.amdhsa_system_vgpr_workitem_id 1
		.amdhsa_next_free_vgpr 34
		.amdhsa_next_free_sgpr 38
		.amdhsa_accum_offset 36
		.amdhsa_reserve_vcc 1
		.amdhsa_float_round_mode_32 0
		.amdhsa_float_round_mode_16_64 0
		.amdhsa_float_denorm_mode_32 3
		.amdhsa_float_denorm_mode_16_64 3
		.amdhsa_dx10_clamp 1
		.amdhsa_ieee_mode 1
		.amdhsa_fp16_overflow 0
		.amdhsa_tg_split 0
		.amdhsa_exception_fp_ieee_invalid_op 0
		.amdhsa_exception_fp_denorm_src 0
		.amdhsa_exception_fp_ieee_div_zero 0
		.amdhsa_exception_fp_ieee_overflow 0
		.amdhsa_exception_fp_ieee_underflow 0
		.amdhsa_exception_fp_ieee_inexact 0
		.amdhsa_exception_int_div_zero 0
	.end_amdhsa_kernel
	.section	.text._ZN4vllm3moe22topkGatingSoftplusSqrtILi9ELi576ELi4ELi2ELi64ELb1Ej6__halfEEvPKT6_PKbPfiPT5_PiiiibdPKfPKS9_SF_,"axG",@progbits,_ZN4vllm3moe22topkGatingSoftplusSqrtILi9ELi576ELi4ELi2ELi64ELb1Ej6__halfEEvPKT6_PKbPfiPT5_PiiiibdPKfPKS9_SF_,comdat
.Lfunc_end296:
	.size	_ZN4vllm3moe22topkGatingSoftplusSqrtILi9ELi576ELi4ELi2ELi64ELb1Ej6__halfEEvPKT6_PKbPfiPT5_PiiiibdPKfPKS9_SF_, .Lfunc_end296-_ZN4vllm3moe22topkGatingSoftplusSqrtILi9ELi576ELi4ELi2ELi64ELb1Ej6__halfEEvPKT6_PKbPfiPT5_PiiiibdPKfPKS9_SF_
                                        ; -- End function
	.section	.AMDGPU.csdata,"",@progbits
; Kernel info:
; codeLenInByte = 5236
; NumSgprs: 44
; NumVgprs: 34
; NumAgprs: 0
; TotalNumVgprs: 34
; ScratchSize: 0
; MemoryBound: 0
; FloatMode: 240
; IeeeMode: 1
; LDSByteSize: 0 bytes/workgroup (compile time only)
; SGPRBlocks: 5
; VGPRBlocks: 4
; NumSGPRsForWavesPerEU: 44
; NumVGPRsForWavesPerEU: 34
; AccumOffset: 36
; Occupancy: 8
; WaveLimiterHint : 1
; COMPUTE_PGM_RSRC2:SCRATCH_EN: 0
; COMPUTE_PGM_RSRC2:USER_SGPR: 2
; COMPUTE_PGM_RSRC2:TRAP_HANDLER: 0
; COMPUTE_PGM_RSRC2:TGID_X_EN: 1
; COMPUTE_PGM_RSRC2:TGID_Y_EN: 0
; COMPUTE_PGM_RSRC2:TGID_Z_EN: 0
; COMPUTE_PGM_RSRC2:TIDIG_COMP_CNT: 1
; COMPUTE_PGM_RSRC3_GFX90A:ACCUM_OFFSET: 8
; COMPUTE_PGM_RSRC3_GFX90A:TG_SPLIT: 0
	.section	.text._ZN4vllm3moe22topkGatingSoftplusSqrtILi9ELi576ELi4ELi2ELi64ELb0Ej6__halfEEvPKT6_PKbPfiPT5_PiiiibdPKfPKS9_SF_,"axG",@progbits,_ZN4vllm3moe22topkGatingSoftplusSqrtILi9ELi576ELi4ELi2ELi64ELb0Ej6__halfEEvPKT6_PKbPfiPT5_PiiiibdPKfPKS9_SF_,comdat
	.protected	_ZN4vllm3moe22topkGatingSoftplusSqrtILi9ELi576ELi4ELi2ELi64ELb0Ej6__halfEEvPKT6_PKbPfiPT5_PiiiibdPKfPKS9_SF_ ; -- Begin function _ZN4vllm3moe22topkGatingSoftplusSqrtILi9ELi576ELi4ELi2ELi64ELb0Ej6__halfEEvPKT6_PKbPfiPT5_PiiiibdPKfPKS9_SF_
	.globl	_ZN4vllm3moe22topkGatingSoftplusSqrtILi9ELi576ELi4ELi2ELi64ELb0Ej6__halfEEvPKT6_PKbPfiPT5_PiiiibdPKfPKS9_SF_
	.p2align	8
	.type	_ZN4vllm3moe22topkGatingSoftplusSqrtILi9ELi576ELi4ELi2ELi64ELb0Ej6__halfEEvPKT6_PKbPfiPT5_PiiiibdPKfPKS9_SF_,@function
_ZN4vllm3moe22topkGatingSoftplusSqrtILi9ELi576ELi4ELi2ELi64ELb0Ej6__halfEEvPKT6_PKbPfiPT5_PiiiibdPKfPKS9_SF_: ; @_ZN4vllm3moe22topkGatingSoftplusSqrtILi9ELi576ELi4ELi2ELi64ELb0Ej6__halfEEvPKT6_PKbPfiPT5_PiiiibdPKfPKS9_SF_
; %bb.0:
	s_load_dword s30, s[0:1], 0x18
	v_and_b32_e32 v1, 0x3ff, v0
	s_lshl_b32 s2, s2, 2
	v_lshrrev_b32_e32 v2, 6, v1
	v_bfe_u32 v0, v0, 10, 10
	v_add3_u32 v10, s2, v0, v2
	s_waitcnt lgkmcnt(0)
	v_cmp_gt_i32_e32 vcc, s30, v10
	s_and_saveexec_b64 s[2:3], vcc
	s_cbranch_execz .LBB297_67
; %bb.1:
	s_load_dwordx4 s[4:7], s[0:1], 0x0
	s_load_dwordx2 s[20:21], s[0:1], 0x10
	s_waitcnt lgkmcnt(0)
	s_cmp_eq_u64 s[6:7], 0
	s_cbranch_scc1 .LBB297_3
; %bb.2:
	v_ashrrev_i32_e32 v11, 31, v10
	v_lshl_add_u64 v[2:3], s[6:7], 0, v[10:11]
	global_load_ubyte v0, v[2:3], off
	s_waitcnt vmcnt(0)
	v_and_b32_e32 v0, 1, v0
	v_cmp_eq_u32_e32 vcc, 1, v0
	s_xor_b64 s[2:3], vcc, -1
	s_orn2_b64 s[22:23], s[2:3], exec
	s_branch .LBB297_4
.LBB297_3:
	s_mov_b64 s[22:23], -1
.LBB297_4:
	s_movk_i32 s2, 0x240
	v_mul_lo_u32 v4, v10, s2
	v_mov_b32_e32 v2, s4
	v_mov_b32_e32 v3, s5
	v_ashrrev_i32_e32 v5, 31, v4
	v_and_b32_e32 v12, 63, v1
	v_lshl_add_u64 v[2:3], v[4:5], 1, v[2:3]
	v_mov_b32_e32 v1, 0
	v_lshlrev_b32_e32 v0, 1, v12
	v_lshl_add_u64 v[14:15], v[2:3], 0, v[0:1]
	global_load_ushort v0, v[14:15], off
	global_load_ushort v1, v[14:15], off offset:128
	global_load_ushort v2, v[14:15], off offset:256
	;; [unrolled: 1-line block ×8, first 2 shown]
	s_mov_b32 s16, 0x800000
	v_mov_b32_e32 v13, 0x4f800000
	s_mov_b32 s13, 0x3f317217
	s_mov_b32 s14, 0x7f800000
	v_mov_b32_e32 v14, 0x41b17218
	s_movk_i32 s12, 0x4d00
	s_mov_b32 s15, 0xf800000
	s_load_dwordx4 s[8:11], s[0:1], 0x40
	s_waitcnt lgkmcnt(0)
	s_cmp_lg_u64 s[10:11], 0
	s_cselect_b64 s[6:7], -1, 0
	s_and_b64 s[2:3], exec, s[6:7]
	s_waitcnt vmcnt(8)
	v_cvt_f32_f16_e32 v15, v0
	v_mul_f32_e32 v9, 0x3fb8aa3b, v15
	v_exp_f32_e32 v9, v9
	s_nop 0
	v_add_f32_e32 v9, 1.0, v9
	v_cmp_gt_f32_e32 vcc, s16, v9
	s_nop 1
	v_cndmask_b32_e32 v11, 1.0, v13, vcc
	v_mul_f32_e32 v9, v9, v11
	v_log_f32_e32 v16, v9
	v_cndmask_b32_e32 v17, 0, v14, vcc
	v_mov_b32_e32 v11, 0x260
	v_lshlrev_b32_e32 v9, 2, v12
	v_mul_f32_e32 v18, 0x3f317217, v16
	v_fma_f32 v18, v16, s13, -v18
	v_fmac_f32_e32 v18, 0x3377d1cf, v16
	v_fmac_f32_e32 v18, 0x3f317217, v16
	v_cmp_lt_f32_e64 vcc, |v16|, s14
	s_nop 1
	v_cndmask_b32_e32 v16, v16, v18, vcc
	v_sub_f32_e32 v16, v16, v17
	v_cmp_lt_f16_e32 vcc, s12, v0
	s_nop 1
	v_cndmask_b32_e32 v0, v16, v15, vcc
	v_mul_f32_e32 v15, 0x4f800000, v0
	v_cmp_gt_f32_e32 vcc, s15, v0
	s_nop 1
	v_cndmask_b32_e32 v0, v0, v15, vcc
	v_sqrt_f32_e32 v15, v0
	s_nop 0
	v_add_u32_e32 v16, -1, v15
	v_add_u32_e32 v17, 1, v15
	v_fma_f32 v18, -v16, v15, v0
	v_fma_f32 v19, -v17, v15, v0
	v_cmp_ge_f32_e64 s[4:5], 0, v18
	s_nop 1
	v_cndmask_b32_e64 v15, v15, v16, s[4:5]
	v_cmp_lt_f32_e64 s[4:5], 0, v19
	s_nop 1
	v_cndmask_b32_e64 v15, v15, v17, s[4:5]
	v_mul_f32_e32 v16, 0x37800000, v15
	v_cndmask_b32_e32 v15, v15, v16, vcc
	v_cmp_class_f32_e32 vcc, v0, v11
	s_nop 1
	v_cndmask_b32_e32 v0, v15, v0, vcc
	s_mov_b64 vcc, s[2:3]
	s_cbranch_vccz .LBB297_6
; %bb.5:
	global_load_dword v15, v9, s[10:11]
	s_waitcnt vmcnt(0)
	v_add_f32_e32 v0, v0, v15
.LBB297_6:
	s_waitcnt vmcnt(7)
	v_cvt_f32_f16_e32 v15, v1
	v_mul_f32_e32 v16, 0x3fb8aa3b, v15
	v_exp_f32_e32 v16, v16
	s_nop 0
	v_add_f32_e32 v16, 1.0, v16
	v_cmp_gt_f32_e32 vcc, s16, v16
	s_nop 1
	v_cndmask_b32_e32 v13, 1.0, v13, vcc
	v_mul_f32_e32 v13, v16, v13
	v_log_f32_e32 v13, v13
	v_cndmask_b32_e32 v14, 0, v14, vcc
	v_mul_f32_e32 v16, 0x3f317217, v13
	v_fma_f32 v16, v13, s13, -v16
	v_fmac_f32_e32 v16, 0x3377d1cf, v13
	v_fmac_f32_e32 v16, 0x3f317217, v13
	v_cmp_lt_f32_e64 vcc, |v13|, s14
	s_nop 1
	v_cndmask_b32_e32 v13, v13, v16, vcc
	v_sub_f32_e32 v13, v13, v14
	v_cmp_lt_f16_e32 vcc, s12, v1
	v_cndmask_b32_e64 v14, 0, 1, s[6:7]
	v_cmp_ne_u32_e64 s[2:3], 1, v14
	v_cndmask_b32_e32 v1, v13, v15, vcc
	v_mul_f32_e32 v13, 0x4f800000, v1
	v_cmp_gt_f32_e64 s[4:5], s15, v1
	s_andn2_b64 vcc, exec, s[6:7]
	s_nop 0
	v_cndmask_b32_e64 v1, v1, v13, s[4:5]
	v_sqrt_f32_e32 v13, v1
	s_nop 0
	v_add_u32_e32 v14, -1, v13
	v_add_u32_e32 v15, 1, v13
	v_fma_f32 v16, -v14, v13, v1
	v_fma_f32 v17, -v15, v13, v1
	v_cmp_ge_f32_e64 s[6:7], 0, v16
	s_nop 1
	v_cndmask_b32_e64 v13, v13, v14, s[6:7]
	v_cmp_lt_f32_e64 s[6:7], 0, v17
	s_nop 1
	v_cndmask_b32_e64 v13, v13, v15, s[6:7]
	v_mul_f32_e32 v14, 0x37800000, v13
	v_cndmask_b32_e64 v13, v13, v14, s[4:5]
	v_cmp_class_f32_e64 s[4:5], v1, v11
	s_nop 1
	v_cndmask_b32_e64 v1, v13, v1, s[4:5]
	s_cbranch_vccnz .LBB297_8
; %bb.7:
	global_load_dword v11, v9, s[10:11] offset:256
	s_waitcnt vmcnt(0)
	v_add_f32_e32 v1, v1, v11
.LBB297_8:
	s_waitcnt vmcnt(6)
	v_cvt_f32_f16_e32 v11, v2
	s_mov_b32 s12, 0x800000
	s_mov_b32 s7, 0x3f317217
	s_mov_b32 s13, 0x7f800000
	v_mul_f32_e32 v13, 0x3fb8aa3b, v11
	v_exp_f32_e32 v14, v13
	v_mov_b32_e32 v13, 0x4f800000
	s_movk_i32 s6, 0x4d00
	s_mov_b32 s14, 0xf800000
	v_add_f32_e32 v14, 1.0, v14
	v_cmp_gt_f32_e32 vcc, s12, v14
	s_nop 1
	v_cndmask_b32_e32 v15, 1.0, v13, vcc
	v_mul_f32_e32 v14, v14, v15
	v_log_f32_e32 v15, v14
	v_mov_b32_e32 v14, 0x41b17218
	v_cndmask_b32_e32 v16, 0, v14, vcc
	v_mul_f32_e32 v17, 0x3f317217, v15
	v_fma_f32 v17, v15, s7, -v17
	v_fmac_f32_e32 v17, 0x3377d1cf, v15
	v_fmac_f32_e32 v17, 0x3f317217, v15
	v_cmp_lt_f32_e64 vcc, |v15|, s13
	s_nop 1
	v_cndmask_b32_e32 v15, v15, v17, vcc
	v_sub_f32_e32 v15, v15, v16
	v_cmp_lt_f16_e32 vcc, s6, v2
	s_nop 1
	v_cndmask_b32_e32 v2, v15, v11, vcc
	v_mul_f32_e32 v11, 0x4f800000, v2
	v_cmp_gt_f32_e32 vcc, s14, v2
	s_nop 1
	v_cndmask_b32_e32 v2, v2, v11, vcc
	v_sqrt_f32_e32 v11, v2
	s_nop 0
	v_add_u32_e32 v15, -1, v11
	v_fma_f32 v16, -v15, v11, v2
	v_cmp_ge_f32_e64 s[4:5], 0, v16
	v_add_u32_e32 v16, 1, v11
	s_nop 0
	v_cndmask_b32_e64 v15, v11, v15, s[4:5]
	v_fma_f32 v11, -v16, v11, v2
	v_cmp_lt_f32_e64 s[4:5], 0, v11
	s_nop 1
	v_cndmask_b32_e64 v11, v15, v16, s[4:5]
	v_mul_f32_e32 v15, 0x37800000, v11
	v_cndmask_b32_e32 v15, v11, v15, vcc
	v_mov_b32_e32 v11, 0x260
	v_cmp_class_f32_e64 s[4:5], v2, v11
	s_and_b64 vcc, exec, s[2:3]
	s_nop 0
	v_cndmask_b32_e64 v2, v15, v2, s[4:5]
	s_cbranch_vccnz .LBB297_10
; %bb.9:
	global_load_dword v15, v9, s[10:11] offset:512
	s_waitcnt vmcnt(0)
	v_add_f32_e32 v2, v2, v15
.LBB297_10:
	s_waitcnt vmcnt(5)
	v_cvt_f32_f16_e32 v15, v3
	v_mul_f32_e32 v16, 0x3fb8aa3b, v15
	v_exp_f32_e32 v16, v16
	s_nop 0
	v_add_f32_e32 v16, 1.0, v16
	v_cmp_gt_f32_e32 vcc, s12, v16
	s_nop 1
	v_cndmask_b32_e32 v13, 1.0, v13, vcc
	v_mul_f32_e32 v13, v16, v13
	v_log_f32_e32 v13, v13
	v_cndmask_b32_e32 v14, 0, v14, vcc
	v_mul_f32_e32 v16, 0x3f317217, v13
	v_fma_f32 v16, v13, s7, -v16
	v_fmac_f32_e32 v16, 0x3377d1cf, v13
	v_fmac_f32_e32 v16, 0x3f317217, v13
	v_cmp_lt_f32_e64 vcc, |v13|, s13
	s_nop 1
	v_cndmask_b32_e32 v13, v13, v16, vcc
	v_sub_f32_e32 v13, v13, v14
	v_cmp_lt_f16_e32 vcc, s6, v3
	s_nop 1
	v_cndmask_b32_e32 v3, v13, v15, vcc
	v_mul_f32_e32 v13, 0x4f800000, v3
	v_cmp_gt_f32_e64 s[4:5], s14, v3
	s_and_b64 vcc, exec, s[2:3]
	s_nop 0
	v_cndmask_b32_e64 v3, v3, v13, s[4:5]
	v_sqrt_f32_e32 v13, v3
	s_nop 0
	v_add_u32_e32 v14, -1, v13
	v_add_u32_e32 v15, 1, v13
	v_fma_f32 v16, -v14, v13, v3
	v_fma_f32 v17, -v15, v13, v3
	v_cmp_ge_f32_e64 s[6:7], 0, v16
	s_nop 1
	v_cndmask_b32_e64 v13, v13, v14, s[6:7]
	v_cmp_lt_f32_e64 s[6:7], 0, v17
	s_nop 1
	v_cndmask_b32_e64 v13, v13, v15, s[6:7]
	v_mul_f32_e32 v14, 0x37800000, v13
	v_cndmask_b32_e64 v13, v13, v14, s[4:5]
	v_cmp_class_f32_e64 s[4:5], v3, v11
	s_nop 1
	v_cndmask_b32_e64 v3, v13, v3, s[4:5]
	s_cbranch_vccnz .LBB297_12
; %bb.11:
	global_load_dword v11, v9, s[10:11] offset:768
	s_waitcnt vmcnt(0)
	v_add_f32_e32 v3, v3, v11
.LBB297_12:
	s_waitcnt vmcnt(4)
	v_cvt_f32_f16_e32 v11, v4
	s_mov_b32 s7, 0x3f317217
	s_movk_i32 s6, 0x4d00
	v_mul_f32_e32 v13, 0x3fb8aa3b, v11
	v_exp_f32_e32 v14, v13
	v_mov_b32_e32 v13, 0x4f800000
	v_add_f32_e32 v14, 1.0, v14
	v_cmp_gt_f32_e32 vcc, s12, v14
	s_nop 1
	v_cndmask_b32_e32 v15, 1.0, v13, vcc
	v_mul_f32_e32 v14, v14, v15
	v_log_f32_e32 v15, v14
	v_mov_b32_e32 v14, 0x41b17218
	v_cndmask_b32_e32 v16, 0, v14, vcc
	v_mul_f32_e32 v17, 0x3f317217, v15
	v_fma_f32 v17, v15, s7, -v17
	v_fmac_f32_e32 v17, 0x3377d1cf, v15
	v_fmac_f32_e32 v17, 0x3f317217, v15
	v_cmp_lt_f32_e64 vcc, |v15|, s13
	s_nop 1
	v_cndmask_b32_e32 v15, v15, v17, vcc
	v_sub_f32_e32 v15, v15, v16
	v_cmp_lt_f16_e32 vcc, s6, v4
	s_nop 1
	v_cndmask_b32_e32 v4, v15, v11, vcc
	v_mul_f32_e32 v11, 0x4f800000, v4
	v_cmp_gt_f32_e32 vcc, s14, v4
	s_nop 1
	v_cndmask_b32_e32 v4, v4, v11, vcc
	v_sqrt_f32_e32 v11, v4
	s_nop 0
	v_add_u32_e32 v15, -1, v11
	v_fma_f32 v16, -v15, v11, v4
	v_cmp_ge_f32_e64 s[4:5], 0, v16
	v_add_u32_e32 v16, 1, v11
	s_nop 0
	v_cndmask_b32_e64 v15, v11, v15, s[4:5]
	v_fma_f32 v11, -v16, v11, v4
	v_cmp_lt_f32_e64 s[4:5], 0, v11
	s_nop 1
	v_cndmask_b32_e64 v11, v15, v16, s[4:5]
	v_mul_f32_e32 v15, 0x37800000, v11
	v_cndmask_b32_e32 v15, v11, v15, vcc
	v_mov_b32_e32 v11, 0x260
	v_cmp_class_f32_e64 s[4:5], v4, v11
	s_and_b64 vcc, exec, s[2:3]
	s_nop 0
	v_cndmask_b32_e64 v4, v15, v4, s[4:5]
	s_cbranch_vccnz .LBB297_14
; %bb.13:
	global_load_dword v15, v9, s[10:11] offset:1024
	s_waitcnt vmcnt(0)
	v_add_f32_e32 v4, v4, v15
.LBB297_14:
	s_waitcnt vmcnt(3)
	v_cvt_f32_f16_e32 v15, v5
	v_mul_f32_e32 v16, 0x3fb8aa3b, v15
	v_exp_f32_e32 v16, v16
	s_nop 0
	v_add_f32_e32 v16, 1.0, v16
	v_cmp_gt_f32_e32 vcc, s12, v16
	s_nop 1
	v_cndmask_b32_e32 v13, 1.0, v13, vcc
	v_mul_f32_e32 v13, v16, v13
	v_log_f32_e32 v13, v13
	v_cndmask_b32_e32 v14, 0, v14, vcc
	v_mul_f32_e32 v16, 0x3f317217, v13
	v_fma_f32 v16, v13, s7, -v16
	v_fmac_f32_e32 v16, 0x3377d1cf, v13
	v_fmac_f32_e32 v16, 0x3f317217, v13
	v_cmp_lt_f32_e64 vcc, |v13|, s13
	s_nop 1
	v_cndmask_b32_e32 v13, v13, v16, vcc
	v_sub_f32_e32 v13, v13, v14
	v_cmp_lt_f16_e32 vcc, s6, v5
	s_nop 1
	v_cndmask_b32_e32 v5, v13, v15, vcc
	v_mul_f32_e32 v13, 0x4f800000, v5
	v_cmp_gt_f32_e64 s[4:5], s14, v5
	s_and_b64 vcc, exec, s[2:3]
	s_nop 0
	v_cndmask_b32_e64 v5, v5, v13, s[4:5]
	v_sqrt_f32_e32 v13, v5
	s_nop 0
	v_add_u32_e32 v14, -1, v13
	v_add_u32_e32 v15, 1, v13
	v_fma_f32 v16, -v14, v13, v5
	v_fma_f32 v17, -v15, v13, v5
	v_cmp_ge_f32_e64 s[6:7], 0, v16
	s_nop 1
	v_cndmask_b32_e64 v13, v13, v14, s[6:7]
	v_cmp_lt_f32_e64 s[6:7], 0, v17
	s_nop 1
	v_cndmask_b32_e64 v13, v13, v15, s[6:7]
	v_mul_f32_e32 v14, 0x37800000, v13
	v_cndmask_b32_e64 v13, v13, v14, s[4:5]
	v_cmp_class_f32_e64 s[4:5], v5, v11
	s_nop 1
	v_cndmask_b32_e64 v5, v13, v5, s[4:5]
	s_cbranch_vccnz .LBB297_16
; %bb.15:
	global_load_dword v11, v9, s[10:11] offset:1280
	s_waitcnt vmcnt(0)
	v_add_f32_e32 v5, v5, v11
.LBB297_16:
	s_waitcnt vmcnt(2)
	v_cvt_f32_f16_e32 v11, v6
	s_mov_b32 s7, 0x3f317217
	s_movk_i32 s6, 0x4d00
	v_mul_f32_e32 v13, 0x3fb8aa3b, v11
	v_exp_f32_e32 v14, v13
	v_mov_b32_e32 v13, 0x4f800000
	v_add_f32_e32 v14, 1.0, v14
	v_cmp_gt_f32_e32 vcc, s12, v14
	s_nop 1
	v_cndmask_b32_e32 v15, 1.0, v13, vcc
	v_mul_f32_e32 v14, v14, v15
	v_log_f32_e32 v15, v14
	v_mov_b32_e32 v14, 0x41b17218
	v_cndmask_b32_e32 v16, 0, v14, vcc
	v_mul_f32_e32 v17, 0x3f317217, v15
	v_fma_f32 v17, v15, s7, -v17
	v_fmac_f32_e32 v17, 0x3377d1cf, v15
	v_fmac_f32_e32 v17, 0x3f317217, v15
	v_cmp_lt_f32_e64 vcc, |v15|, s13
	s_nop 1
	v_cndmask_b32_e32 v15, v15, v17, vcc
	v_sub_f32_e32 v15, v15, v16
	v_cmp_lt_f16_e32 vcc, s6, v6
	s_nop 1
	v_cndmask_b32_e32 v6, v15, v11, vcc
	v_mul_f32_e32 v11, 0x4f800000, v6
	v_cmp_gt_f32_e32 vcc, s14, v6
	s_nop 1
	v_cndmask_b32_e32 v6, v6, v11, vcc
	v_sqrt_f32_e32 v11, v6
	s_nop 0
	v_add_u32_e32 v15, -1, v11
	v_fma_f32 v16, -v15, v11, v6
	v_cmp_ge_f32_e64 s[4:5], 0, v16
	v_add_u32_e32 v16, 1, v11
	s_nop 0
	v_cndmask_b32_e64 v15, v11, v15, s[4:5]
	v_fma_f32 v11, -v16, v11, v6
	v_cmp_lt_f32_e64 s[4:5], 0, v11
	s_nop 1
	v_cndmask_b32_e64 v11, v15, v16, s[4:5]
	v_mul_f32_e32 v15, 0x37800000, v11
	v_cndmask_b32_e32 v15, v11, v15, vcc
	v_mov_b32_e32 v11, 0x260
	v_cmp_class_f32_e64 s[4:5], v6, v11
	s_and_b64 vcc, exec, s[2:3]
	s_nop 0
	v_cndmask_b32_e64 v6, v15, v6, s[4:5]
	s_cbranch_vccnz .LBB297_18
; %bb.17:
	global_load_dword v15, v9, s[10:11] offset:1536
	s_waitcnt vmcnt(0)
	v_add_f32_e32 v6, v6, v15
.LBB297_18:
	s_waitcnt vmcnt(1)
	v_cvt_f32_f16_e32 v15, v7
	v_mul_f32_e32 v16, 0x3fb8aa3b, v15
	v_exp_f32_e32 v16, v16
	s_nop 0
	v_add_f32_e32 v16, 1.0, v16
	v_cmp_gt_f32_e32 vcc, s12, v16
	s_nop 1
	v_cndmask_b32_e32 v13, 1.0, v13, vcc
	v_mul_f32_e32 v13, v16, v13
	v_log_f32_e32 v13, v13
	v_cndmask_b32_e32 v14, 0, v14, vcc
	v_mul_f32_e32 v16, 0x3f317217, v13
	v_fma_f32 v16, v13, s7, -v16
	v_fmac_f32_e32 v16, 0x3377d1cf, v13
	v_fmac_f32_e32 v16, 0x3f317217, v13
	v_cmp_lt_f32_e64 vcc, |v13|, s13
	s_nop 1
	v_cndmask_b32_e32 v13, v13, v16, vcc
	v_sub_f32_e32 v13, v13, v14
	v_cmp_lt_f16_e32 vcc, s6, v7
	s_nop 1
	v_cndmask_b32_e32 v7, v13, v15, vcc
	v_mul_f32_e32 v13, 0x4f800000, v7
	v_cmp_gt_f32_e64 s[4:5], s14, v7
	s_and_b64 vcc, exec, s[2:3]
	s_nop 0
	v_cndmask_b32_e64 v7, v7, v13, s[4:5]
	v_sqrt_f32_e32 v13, v7
	s_nop 0
	v_add_u32_e32 v14, -1, v13
	v_add_u32_e32 v15, 1, v13
	v_fma_f32 v16, -v14, v13, v7
	v_fma_f32 v17, -v15, v13, v7
	v_cmp_ge_f32_e64 s[6:7], 0, v16
	s_nop 1
	v_cndmask_b32_e64 v13, v13, v14, s[6:7]
	v_cmp_lt_f32_e64 s[6:7], 0, v17
	s_nop 1
	v_cndmask_b32_e64 v13, v13, v15, s[6:7]
	v_mul_f32_e32 v14, 0x37800000, v13
	v_cndmask_b32_e64 v13, v13, v14, s[4:5]
	v_cmp_class_f32_e64 s[4:5], v7, v11
	s_nop 1
	v_cndmask_b32_e64 v7, v13, v7, s[4:5]
	s_cbranch_vccnz .LBB297_20
; %bb.19:
	global_load_dword v11, v9, s[10:11] offset:1792
	s_waitcnt vmcnt(0)
	v_add_f32_e32 v7, v7, v11
.LBB297_20:
	s_waitcnt vmcnt(0)
	v_cvt_f32_f16_e32 v11, v8
	s_mov_b32 s5, 0x800000
	v_mov_b32_e32 v14, 0x4f800000
	s_mov_b32 s6, 0x3f317217
	v_mul_f32_e32 v13, 0x3fb8aa3b, v11
	v_exp_f32_e32 v13, v13
	s_movk_i32 s4, 0x4d00
	v_add_f32_e32 v13, 1.0, v13
	v_cmp_gt_f32_e32 vcc, s5, v13
	s_mov_b32 s5, 0x7f800000
	s_nop 0
	v_cndmask_b32_e32 v14, 1.0, v14, vcc
	v_mul_f32_e32 v13, v13, v14
	v_log_f32_e32 v13, v13
	v_mov_b32_e32 v14, 0x41b17218
	v_cndmask_b32_e32 v14, 0, v14, vcc
	v_mul_f32_e32 v15, 0x3f317217, v13
	v_fma_f32 v15, v13, s6, -v15
	v_fmamk_f32 v15, v13, 0x3377d1cf, v15
	v_fmac_f32_e32 v15, 0x3f317217, v13
	v_cmp_lt_f32_e64 vcc, |v13|, s5
	s_nop 1
	v_cndmask_b32_e32 v13, v13, v15, vcc
	v_sub_f32_e32 v13, v13, v14
	v_cmp_lt_f16_e32 vcc, s4, v8
	s_mov_b32 s4, 0xf800000
	s_nop 0
	v_cndmask_b32_e32 v8, v13, v11, vcc
	v_mul_f32_e32 v11, 0x4f800000, v8
	v_cmp_gt_f32_e32 vcc, s4, v8
	s_nop 1
	v_cndmask_b32_e32 v8, v8, v11, vcc
	v_sqrt_f32_e32 v11, v8
	s_nop 0
	v_add_u32_e32 v13, -1, v11
	v_fma_f32 v14, -v13, v11, v8
	v_cmp_ge_f32_e64 s[4:5], 0, v14
	v_add_u32_e32 v14, 1, v11
	s_nop 0
	v_cndmask_b32_e64 v13, v11, v13, s[4:5]
	v_fma_f32 v11, -v14, v11, v8
	v_cmp_lt_f32_e64 s[4:5], 0, v11
	s_nop 1
	v_cndmask_b32_e64 v11, v13, v14, s[4:5]
	v_mul_f32_e32 v13, 0x37800000, v11
	v_cndmask_b32_e32 v11, v11, v13, vcc
	v_mov_b32_e32 v13, 0x260
	v_cmp_class_f32_e64 s[4:5], v8, v13
	s_and_b64 vcc, exec, s[2:3]
	s_nop 0
	v_cndmask_b32_e64 v8, v11, v8, s[4:5]
	s_cbranch_vccnz .LBB297_22
; %bb.21:
	global_load_dword v9, v9, s[10:11] offset:2048
	s_waitcnt vmcnt(0)
	v_add_f32_e32 v8, v8, v9
.LBB297_22:
	s_load_dwordx4 s[12:15], s[0:1], 0x30
	v_cmp_eq_u32_e64 s[6:7], 0, v12
	s_waitcnt lgkmcnt(0)
	s_bitcmp1_b32 s15, 0
	s_cselect_b64 s[4:5], -1, 0
	s_cmp_gt_i32 s12, 0
	s_cselect_b64 s[24:25], -1, 0
	s_and_b64 vcc, exec, s[24:25]
	s_cbranch_vccz .LBB297_53
; %bb.23:
	v_mbcnt_lo_u32_b32 v9, -1, 0
	v_mbcnt_hi_u32_b32 v14, -1, v9
	v_and_b32_e32 v9, 64, v14
	v_add_u32_e32 v15, 64, v9
	v_xor_b32_e32 v18, 32, v14
	v_cmp_lt_i32_e32 vcc, v18, v15
	s_load_dwordx4 s[16:19], s[0:1], 0x20
	s_mov_b32 s15, 0
	v_cndmask_b32_e32 v18, v14, v18, vcc
	v_lshlrev_b32_e32 v23, 2, v18
	v_xor_b32_e32 v18, 16, v14
	v_cmp_lt_i32_e32 vcc, v18, v15
	v_mul_lo_u32 v9, v10, s12
	v_or_b32_e32 v11, 64, v12
	v_cndmask_b32_e32 v18, v14, v18, vcc
	v_lshlrev_b32_e32 v24, 2, v18
	v_xor_b32_e32 v18, 8, v14
	v_cmp_lt_i32_e32 vcc, v18, v15
	v_or_b32_e32 v13, 0x80, v12
	v_or_b32_e32 v16, 0xc0, v12
	v_cndmask_b32_e32 v18, v14, v18, vcc
	v_lshlrev_b32_e32 v25, 2, v18
	v_xor_b32_e32 v18, 4, v14
	v_cmp_lt_i32_e32 vcc, v18, v15
	v_or_b32_e32 v17, 0x100, v12
	;; [unrolled: 6-line block ×4, first 2 shown]
	v_mov_b32_e32 v29, 0x240
	v_cndmask_b32_e32 v14, v14, v18, vcc
	v_lshlrev_b32_e32 v28, 2, v14
	v_mov_b32_e32 v18, 0
	v_mov_b32_e32 v30, 0xc61c4000
	;; [unrolled: 1-line block ×3, first 2 shown]
	s_branch .LBB297_26
.LBB297_24:                             ;   in Loop: Header=BB297_26 Depth=1
	v_add_u32_e32 v34, s15, v9
	v_cmp_le_i32_e32 vcc, s13, v14
	v_cmp_gt_i32_e64 s[0:1], s14, v14
	v_ashrrev_i32_e32 v35, 31, v34
	s_and_b64 s[0:1], vcc, s[0:1]
	v_lshlrev_b64 v[34:35], 2, v[34:35]
	v_lshl_add_u64 v[36:37], s[20:21], 0, v[34:35]
	v_subrev_u32_e32 v15, s13, v14
	s_and_b64 vcc, s[22:23], s[0:1]
	global_store_dword v[36:37], v32, off
	v_cndmask_b32_e32 v15, v29, v15, vcc
	v_lshl_add_u64 v[36:37], s[16:17], 0, v[34:35]
	global_store_dword v[36:37], v15, off
	v_add_f32_e32 v15, v18, v32
	v_lshl_add_u64 v[34:35], s[18:19], 0, v[34:35]
	v_cndmask_b32_e64 v18, v18, v15, s[4:5]
	global_store_dword v[34:35], v31, off
.LBB297_25:                             ;   in Loop: Header=BB297_26 Depth=1
	s_or_b64 exec, exec, s[26:27]
	v_ashrrev_i32_e32 v15, 31, v14
	v_lshrrev_b32_e32 v15, 26, v15
	v_add_u32_e32 v15, v14, v15
	v_and_b32_e32 v32, 0xffffffc0, v15
	v_sub_u32_e32 v14, v14, v32
	s_add_i32 s15, s15, 1
	v_cmp_eq_u32_e32 vcc, v12, v14
	s_cmp_lt_i32 s15, s12
	v_ashrrev_i32_e32 v14, 6, v15
	s_cselect_b64 s[26:27], -1, 0
	v_cmp_ne_u32_e64 s[0:1], 8, v14
	s_and_b64 vcc, s[26:27], vcc
	s_cmp_eq_u32 s12, s15
	v_cndmask_b32_e64 v15, v30, v8, s[0:1]
	v_cmp_ne_u32_e64 s[0:1], 7, v14
	v_cndmask_b32_e32 v8, v8, v15, vcc
	v_add_u32_e32 v31, s30, v31
	v_cndmask_b32_e64 v15, v30, v7, s[0:1]
	v_cmp_ne_u32_e64 s[0:1], 6, v14
	v_cndmask_b32_e32 v7, v7, v15, vcc
	s_nop 0
	v_cndmask_b32_e64 v15, v30, v6, s[0:1]
	v_cmp_ne_u32_e64 s[0:1], 5, v14
	v_cndmask_b32_e32 v6, v6, v15, vcc
	s_nop 0
	;; [unrolled: 4-line block ×7, first 2 shown]
	v_cndmask_b32_e64 v14, v30, v0, s[0:1]
	v_cndmask_b32_e32 v0, v0, v14, vcc
	s_cbranch_scc1 .LBB297_54
.LBB297_26:                             ; =>This Inner Loop Header: Depth=1
	v_cmp_gt_f32_e32 vcc, v1, v0
	s_nop 1
	v_cndmask_b32_e32 v15, v0, v1, vcc
	v_cndmask_b32_e32 v14, v12, v11, vcc
	v_cmp_gt_f32_e32 vcc, v2, v15
	s_nop 1
	v_cndmask_b32_e32 v15, v15, v2, vcc
	v_cndmask_b32_e32 v14, v14, v13, vcc
	;; [unrolled: 4-line block ×8, first 2 shown]
	ds_bpermute_b32 v15, v23, v32
	s_waitcnt lgkmcnt(0)
	ds_bpermute_b32 v33, v23, v14
	s_waitcnt lgkmcnt(0)
	v_cmp_lt_f32_e64 s[26:27], v32, v15
	v_cmp_nlt_f32_e32 vcc, v32, v15
	s_and_saveexec_b64 s[28:29], vcc
; %bb.27:                               ;   in Loop: Header=BB297_26 Depth=1
	v_cmp_eq_f32_e32 vcc, v32, v15
	v_cmp_lt_i32_e64 s[0:1], v33, v14
	s_and_b64 s[0:1], vcc, s[0:1]
	s_andn2_b64 s[26:27], s[26:27], exec
	s_and_b64 s[0:1], s[0:1], exec
	s_or_b64 s[26:27], s[26:27], s[0:1]
; %bb.28:                               ;   in Loop: Header=BB297_26 Depth=1
	s_or_b64 exec, exec, s[28:29]
	s_and_saveexec_b64 s[0:1], s[26:27]
; %bb.29:                               ;   in Loop: Header=BB297_26 Depth=1
	v_mov_b32_e32 v32, v15
	v_mov_b32_e32 v14, v33
; %bb.30:                               ;   in Loop: Header=BB297_26 Depth=1
	s_or_b64 exec, exec, s[0:1]
	ds_bpermute_b32 v15, v24, v32
	ds_bpermute_b32 v33, v24, v14
	s_waitcnt lgkmcnt(1)
	v_cmp_lt_f32_e64 s[26:27], v32, v15
	v_cmp_nlt_f32_e32 vcc, v32, v15
	s_and_saveexec_b64 s[28:29], vcc
	s_cbranch_execz .LBB297_32
; %bb.31:                               ;   in Loop: Header=BB297_26 Depth=1
	v_cmp_eq_f32_e32 vcc, v32, v15
	s_waitcnt lgkmcnt(0)
	v_cmp_lt_i32_e64 s[0:1], v33, v14
	s_and_b64 s[0:1], vcc, s[0:1]
	s_andn2_b64 s[26:27], s[26:27], exec
	s_and_b64 s[0:1], s[0:1], exec
	s_or_b64 s[26:27], s[26:27], s[0:1]
.LBB297_32:                             ;   in Loop: Header=BB297_26 Depth=1
	s_or_b64 exec, exec, s[28:29]
	s_and_saveexec_b64 s[0:1], s[26:27]
	s_cbranch_execz .LBB297_34
; %bb.33:                               ;   in Loop: Header=BB297_26 Depth=1
	v_mov_b32_e32 v32, v15
	s_waitcnt lgkmcnt(0)
	v_mov_b32_e32 v14, v33
.LBB297_34:                             ;   in Loop: Header=BB297_26 Depth=1
	s_or_b64 exec, exec, s[0:1]
	ds_bpermute_b32 v15, v25, v32
	s_waitcnt lgkmcnt(1)
	ds_bpermute_b32 v33, v25, v14
	s_waitcnt lgkmcnt(1)
	v_cmp_lt_f32_e64 s[26:27], v32, v15
	v_cmp_nlt_f32_e32 vcc, v32, v15
	s_and_saveexec_b64 s[28:29], vcc
	s_cbranch_execz .LBB297_36
; %bb.35:                               ;   in Loop: Header=BB297_26 Depth=1
	v_cmp_eq_f32_e32 vcc, v32, v15
	s_waitcnt lgkmcnt(0)
	v_cmp_lt_i32_e64 s[0:1], v33, v14
	s_and_b64 s[0:1], vcc, s[0:1]
	s_andn2_b64 s[26:27], s[26:27], exec
	s_and_b64 s[0:1], s[0:1], exec
	s_or_b64 s[26:27], s[26:27], s[0:1]
.LBB297_36:                             ;   in Loop: Header=BB297_26 Depth=1
	s_or_b64 exec, exec, s[28:29]
	s_and_saveexec_b64 s[0:1], s[26:27]
	s_cbranch_execz .LBB297_38
; %bb.37:                               ;   in Loop: Header=BB297_26 Depth=1
	v_mov_b32_e32 v32, v15
	s_waitcnt lgkmcnt(0)
	v_mov_b32_e32 v14, v33
.LBB297_38:                             ;   in Loop: Header=BB297_26 Depth=1
	s_or_b64 exec, exec, s[0:1]
	ds_bpermute_b32 v15, v26, v32
	s_waitcnt lgkmcnt(1)
	;; [unrolled: 26-line block ×4, first 2 shown]
	ds_bpermute_b32 v33, v28, v14
	s_waitcnt lgkmcnt(1)
	v_cmp_lt_f32_e64 s[26:27], v32, v15
	v_cmp_nlt_f32_e32 vcc, v32, v15
	s_and_saveexec_b64 s[28:29], vcc
	s_cbranch_execnz .LBB297_49
; %bb.47:                               ;   in Loop: Header=BB297_26 Depth=1
	s_or_b64 exec, exec, s[28:29]
	s_and_saveexec_b64 s[0:1], s[26:27]
	s_cbranch_execnz .LBB297_50
.LBB297_48:                             ;   in Loop: Header=BB297_26 Depth=1
	s_or_b64 exec, exec, s[0:1]
	s_and_saveexec_b64 s[26:27], s[6:7]
	s_cbranch_execz .LBB297_25
	s_branch .LBB297_51
.LBB297_49:                             ;   in Loop: Header=BB297_26 Depth=1
	v_cmp_eq_f32_e32 vcc, v32, v15
	s_waitcnt lgkmcnt(0)
	v_cmp_lt_i32_e64 s[0:1], v33, v14
	s_and_b64 s[0:1], vcc, s[0:1]
	s_andn2_b64 s[26:27], s[26:27], exec
	s_and_b64 s[0:1], s[0:1], exec
	s_or_b64 s[26:27], s[26:27], s[0:1]
	s_or_b64 exec, exec, s[28:29]
	s_and_saveexec_b64 s[0:1], s[26:27]
	s_cbranch_execz .LBB297_48
.LBB297_50:                             ;   in Loop: Header=BB297_26 Depth=1
	s_waitcnt lgkmcnt(0)
	v_mov_b32_e32 v14, v33
	v_mov_b32_e32 v32, v15
	s_or_b64 exec, exec, s[0:1]
	s_and_saveexec_b64 s[26:27], s[6:7]
	s_cbranch_execz .LBB297_25
.LBB297_51:                             ;   in Loop: Header=BB297_26 Depth=1
	s_and_b64 vcc, exec, s[2:3]
	s_cbranch_vccnz .LBB297_24
; %bb.52:                               ;   in Loop: Header=BB297_26 Depth=1
	v_ashrrev_i32_e32 v15, 31, v14
	v_lshl_add_u64 v[34:35], v[14:15], 2, s[10:11]
	global_load_dword v15, v[34:35], off
	s_waitcnt vmcnt(0)
	v_sub_f32_e32 v32, v32, v15
	s_branch .LBB297_24
.LBB297_53:
	v_mov_b32_e32 v18, 0
.LBB297_54:
	v_cmp_eq_u32_e32 vcc, 0, v12
	s_and_b64 exec, exec, vcc
	s_cbranch_execz .LBB297_67
; %bb.55:
	s_andn2_b64 vcc, exec, s[4:5]
	v_cvt_f32_f64_e32 v0, s[8:9]
	s_cbranch_vccnz .LBB297_57
; %bb.56:
	v_cmp_lt_f32_e32 vcc, 0, v18
	s_nop 1
	v_cndmask_b32_e32 v1, 1.0, v18, vcc
	v_div_scale_f32 v2, s[0:1], v1, v1, v0
	v_rcp_f32_e32 v3, v2
	s_nop 0
	v_fma_f32 v4, -v2, v3, 1.0
	v_fmac_f32_e32 v3, v4, v3
	v_div_scale_f32 v4, vcc, v0, v1, v0
	v_mul_f32_e32 v5, v4, v3
	v_fma_f32 v6, -v2, v5, v4
	v_fmac_f32_e32 v5, v6, v3
	v_fma_f32 v2, -v2, v5, v4
	v_div_fmas_f32 v2, v2, v3, v5
	v_div_fixup_f32 v0, v2, v1, v0
.LBB297_57:
	s_andn2_b64 vcc, exec, s[24:25]
	s_cbranch_vccnz .LBB297_67
; %bb.58:
	v_mul_lo_u32 v2, v10, s12
	s_cmp_gt_u32 s12, 3
	v_ashrrev_i32_e32 v3, 31, v2
	s_cbranch_scc0 .LBB297_62
; %bb.59:
	s_and_b32 s0, s12, 0x7ffffffc
	v_lshl_add_u64 v[4:5], v[2:3], 2, s[20:21]
	v_mov_b32_e32 v1, v0
	v_lshl_add_u64 v[4:5], v[4:5], 0, 8
	s_mov_b32 s1, s0
.LBB297_60:                             ; =>This Inner Loop Header: Depth=1
	global_load_dwordx4 v[6:9], v[4:5], off offset:-8
	s_add_i32 s1, s1, -4
	s_cmp_lg_u32 s1, 0
	s_waitcnt vmcnt(0)
	v_pk_mul_f32 v[6:7], v[0:1], v[6:7]
	v_pk_mul_f32 v[8:9], v[0:1], v[8:9]
	global_store_dwordx4 v[4:5], v[6:9], off offset:-8
	v_lshl_add_u64 v[4:5], v[4:5], 0, 16
	s_cbranch_scc1 .LBB297_60
; %bb.61:
	s_cmp_lg_u32 s0, s12
	s_cselect_b64 s[2:3], -1, 0
	s_branch .LBB297_64
.LBB297_62:
	s_mov_b64 s[2:3], 0
                                        ; implicit-def: $sgpr0
	s_cbranch_execz .LBB297_64
; %bb.63:
	s_mov_b64 s[2:3], -1
	s_mov_b32 s0, 0
.LBB297_64:
	s_andn2_b64 vcc, exec, s[2:3]
	s_cbranch_vccnz .LBB297_67
; %bb.65:
	s_mov_b32 s1, 0
	v_lshl_add_u64 v[2:3], v[2:3], 0, s[0:1]
	s_sub_i32 s2, s12, s0
	v_lshl_add_u64 v[2:3], v[2:3], 2, s[20:21]
.LBB297_66:                             ; =>This Inner Loop Header: Depth=1
	global_load_dword v1, v[2:3], off
	s_add_i32 s2, s2, -1
	s_cmp_lg_u32 s2, 0
	s_waitcnt vmcnt(0)
	v_mul_f32_e32 v1, v0, v1
	global_store_dword v[2:3], v1, off
	v_lshl_add_u64 v[2:3], v[2:3], 0, 4
	s_cbranch_scc1 .LBB297_66
.LBB297_67:
	s_endpgm
	.section	.rodata,"a",@progbits
	.p2align	6, 0x0
	.amdhsa_kernel _ZN4vllm3moe22topkGatingSoftplusSqrtILi9ELi576ELi4ELi2ELi64ELb0Ej6__halfEEvPKT6_PKbPfiPT5_PiiiibdPKfPKS9_SF_
		.amdhsa_group_segment_fixed_size 0
		.amdhsa_private_segment_fixed_size 0
		.amdhsa_kernarg_size 96
		.amdhsa_user_sgpr_count 2
		.amdhsa_user_sgpr_dispatch_ptr 0
		.amdhsa_user_sgpr_queue_ptr 0
		.amdhsa_user_sgpr_kernarg_segment_ptr 1
		.amdhsa_user_sgpr_dispatch_id 0
		.amdhsa_user_sgpr_kernarg_preload_length 0
		.amdhsa_user_sgpr_kernarg_preload_offset 0
		.amdhsa_user_sgpr_private_segment_size 0
		.amdhsa_uses_dynamic_stack 0
		.amdhsa_enable_private_segment 0
		.amdhsa_system_sgpr_workgroup_id_x 1
		.amdhsa_system_sgpr_workgroup_id_y 0
		.amdhsa_system_sgpr_workgroup_id_z 0
		.amdhsa_system_sgpr_workgroup_info 0
		.amdhsa_system_vgpr_workitem_id 1
		.amdhsa_next_free_vgpr 38
		.amdhsa_next_free_sgpr 31
		.amdhsa_accum_offset 40
		.amdhsa_reserve_vcc 1
		.amdhsa_float_round_mode_32 0
		.amdhsa_float_round_mode_16_64 0
		.amdhsa_float_denorm_mode_32 3
		.amdhsa_float_denorm_mode_16_64 3
		.amdhsa_dx10_clamp 1
		.amdhsa_ieee_mode 1
		.amdhsa_fp16_overflow 0
		.amdhsa_tg_split 0
		.amdhsa_exception_fp_ieee_invalid_op 0
		.amdhsa_exception_fp_denorm_src 0
		.amdhsa_exception_fp_ieee_div_zero 0
		.amdhsa_exception_fp_ieee_overflow 0
		.amdhsa_exception_fp_ieee_underflow 0
		.amdhsa_exception_fp_ieee_inexact 0
		.amdhsa_exception_int_div_zero 0
	.end_amdhsa_kernel
	.section	.text._ZN4vllm3moe22topkGatingSoftplusSqrtILi9ELi576ELi4ELi2ELi64ELb0Ej6__halfEEvPKT6_PKbPfiPT5_PiiiibdPKfPKS9_SF_,"axG",@progbits,_ZN4vllm3moe22topkGatingSoftplusSqrtILi9ELi576ELi4ELi2ELi64ELb0Ej6__halfEEvPKT6_PKbPfiPT5_PiiiibdPKfPKS9_SF_,comdat
.Lfunc_end297:
	.size	_ZN4vllm3moe22topkGatingSoftplusSqrtILi9ELi576ELi4ELi2ELi64ELb0Ej6__halfEEvPKT6_PKbPfiPT5_PiiiibdPKfPKS9_SF_, .Lfunc_end297-_ZN4vllm3moe22topkGatingSoftplusSqrtILi9ELi576ELi4ELi2ELi64ELb0Ej6__halfEEvPKT6_PKbPfiPT5_PiiiibdPKfPKS9_SF_
                                        ; -- End function
	.section	.AMDGPU.csdata,"",@progbits
; Kernel info:
; codeLenInByte = 4744
; NumSgprs: 37
; NumVgprs: 38
; NumAgprs: 0
; TotalNumVgprs: 38
; ScratchSize: 0
; MemoryBound: 0
; FloatMode: 240
; IeeeMode: 1
; LDSByteSize: 0 bytes/workgroup (compile time only)
; SGPRBlocks: 4
; VGPRBlocks: 4
; NumSGPRsForWavesPerEU: 37
; NumVGPRsForWavesPerEU: 38
; AccumOffset: 40
; Occupancy: 8
; WaveLimiterHint : 1
; COMPUTE_PGM_RSRC2:SCRATCH_EN: 0
; COMPUTE_PGM_RSRC2:USER_SGPR: 2
; COMPUTE_PGM_RSRC2:TRAP_HANDLER: 0
; COMPUTE_PGM_RSRC2:TGID_X_EN: 1
; COMPUTE_PGM_RSRC2:TGID_Y_EN: 0
; COMPUTE_PGM_RSRC2:TGID_Z_EN: 0
; COMPUTE_PGM_RSRC2:TIDIG_COMP_CNT: 1
; COMPUTE_PGM_RSRC3_GFX90A:ACCUM_OFFSET: 9
; COMPUTE_PGM_RSRC3_GFX90A:TG_SPLIT: 0
	.section	.text._ZN4vllm3moe22topkGatingSoftplusSqrtILi18ELi576ELi4ELi2ELi32ELb1Ej6__halfEEvPKT6_PKbPfiPT5_PiiiibdPKfPKS9_SF_,"axG",@progbits,_ZN4vllm3moe22topkGatingSoftplusSqrtILi18ELi576ELi4ELi2ELi32ELb1Ej6__halfEEvPKT6_PKbPfiPT5_PiiiibdPKfPKS9_SF_,comdat
	.protected	_ZN4vllm3moe22topkGatingSoftplusSqrtILi18ELi576ELi4ELi2ELi32ELb1Ej6__halfEEvPKT6_PKbPfiPT5_PiiiibdPKfPKS9_SF_ ; -- Begin function _ZN4vllm3moe22topkGatingSoftplusSqrtILi18ELi576ELi4ELi2ELi32ELb1Ej6__halfEEvPKT6_PKbPfiPT5_PiiiibdPKfPKS9_SF_
	.globl	_ZN4vllm3moe22topkGatingSoftplusSqrtILi18ELi576ELi4ELi2ELi32ELb1Ej6__halfEEvPKT6_PKbPfiPT5_PiiiibdPKfPKS9_SF_
	.p2align	8
	.type	_ZN4vllm3moe22topkGatingSoftplusSqrtILi18ELi576ELi4ELi2ELi32ELb1Ej6__halfEEvPKT6_PKbPfiPT5_PiiiibdPKfPKS9_SF_,@function
_ZN4vllm3moe22topkGatingSoftplusSqrtILi18ELi576ELi4ELi2ELi32ELb1Ej6__halfEEvPKT6_PKbPfiPT5_PiiiibdPKfPKS9_SF_: ; @_ZN4vllm3moe22topkGatingSoftplusSqrtILi18ELi576ELi4ELi2ELi32ELb1Ej6__halfEEvPKT6_PKbPfiPT5_PiiiibdPKfPKS9_SF_
; %bb.0:
	s_load_dword s3, s[0:1], 0x18
	v_and_b32_e32 v1, 0x3ff, v0
	s_lshl_b32 s2, s2, 2
	v_lshrrev_b32_e32 v2, 5, v1
	v_bfe_u32 v0, v0, 10, 10
	v_add3_u32 v10, s2, v0, v2
	s_waitcnt lgkmcnt(0)
	v_cmp_gt_i32_e32 vcc, s3, v10
	s_and_saveexec_b64 s[2:3], vcc
	s_cbranch_execz .LBB298_72
; %bb.1:
	s_load_dwordx4 s[4:7], s[0:1], 0x50
	s_load_dwordx2 s[2:3], s[0:1], 0x0
	s_load_dword s33, s[0:1], 0x30
	s_movk_i32 s8, 0x240
	v_mul_lo_u32 v4, v10, s8
	v_ashrrev_i32_e32 v5, 31, v4
	v_and_b32_e32 v14, 31, v1
	s_waitcnt lgkmcnt(0)
	v_lshl_add_u64 v[4:5], v[4:5], 1, s[2:3]
	v_lshlrev_b32_e32 v8, 1, v14
	v_mov_b32_e32 v9, 0
	v_lshl_add_u64 v[0:1], v[4:5], 0, v[8:9]
	global_load_ushort v20, v[0:1], off
	global_load_ushort v21, v[0:1], off offset:64
	global_load_ushort v22, v[0:1], off offset:128
	;; [unrolled: 1-line block ×17, first 2 shown]
	v_mov_b32_e32 v2, s4
	v_mov_b32_e32 v3, s5
	v_ashrrev_i32_e32 v11, 31, v10
	v_lshl_add_u64 v[0:1], v[10:11], 2, v[2:3]
	global_load_dword v30, v[0:1], off
	s_mov_b32 s11, 0x800000
	v_mov_b32_e32 v15, 0x4f800000
	s_mov_b32 s9, 0x3f317217
	s_mov_b32 s12, 0x7f800000
	v_mov_b32_e32 v16, 0x41b17218
	s_movk_i32 s13, 0x4d00
	s_mov_b32 s10, 0xf800000
	v_mov_b32_e32 v11, 0x260
	v_mov_b32_e32 v12, s6
	s_mov_b32 s6, 0x41a00000
	v_mov_b32_e32 v13, s7
	s_cmp_gt_i32 s33, 0
	s_mov_b32 s8, 0
	s_waitcnt vmcnt(18)
	v_cvt_f32_f16_e32 v31, v20
	s_waitcnt vmcnt(17)
	v_cvt_f32_f16_e32 v32, v21
	s_waitcnt vmcnt(16)
	v_cvt_f32_f16_e32 v33, v22
	s_waitcnt vmcnt(15)
	v_cvt_f32_f16_e32 v34, v23
	s_waitcnt vmcnt(14)
	v_cvt_f32_f16_e32 v35, v24
	s_waitcnt vmcnt(13)
	v_cvt_f32_f16_e32 v36, v25
	s_waitcnt vmcnt(12)
	v_cvt_f32_f16_e32 v37, v26
	s_waitcnt vmcnt(11)
	v_cvt_f32_f16_e32 v4, v4
	s_waitcnt vmcnt(10)
	v_cvt_f32_f16_e32 v5, v5
	s_waitcnt vmcnt(9)
	v_cvt_f32_f16_e32 v6, v6
	s_waitcnt vmcnt(8)
	v_cvt_f32_f16_e32 v7, v7
	s_waitcnt vmcnt(7)
	v_cvt_f32_f16_e32 v0, v8
	s_waitcnt vmcnt(6)
	v_cvt_f32_f16_e32 v1, v17
	s_waitcnt vmcnt(5)
	v_cvt_f32_f16_e32 v2, v18
	s_waitcnt vmcnt(4)
	v_cvt_f32_f16_e32 v3, v19
	s_waitcnt vmcnt(3)
	v_cvt_f32_f16_e32 v18, v27
	v_mul_f32_e32 v27, 0x3fb8aa3b, v31
	s_waitcnt vmcnt(2)
	v_cvt_f32_f16_e32 v19, v28
	v_mul_f32_e32 v28, 0x3fb8aa3b, v32
	v_exp_f32_e32 v27, v27
	v_exp_f32_e32 v28, v28
	s_waitcnt vmcnt(1)
	v_cvt_f32_f16_e32 v17, v29
	s_waitcnt vmcnt(0)
	v_mul_lo_u32 v8, v30, s33
	v_add_f32_e32 v27, 1.0, v27
	v_add_f32_e32 v28, 1.0, v28
	v_cmp_gt_f32_e32 vcc, s11, v27
	v_cmp_gt_f32_e64 s[2:3], s11, v28
	scratch_store_dwordx4 off, v[4:7], off offset:28
	scratch_store_dwordx4 off, v[0:3], off offset:44
	v_cndmask_b32_e32 v29, 1.0, v15, vcc
	v_cndmask_b32_e64 v30, 1.0, v15, s[2:3]
	v_mul_f32_e32 v27, v27, v29
	v_mul_f32_e32 v28, v28, v30
	v_log_f32_e32 v27, v27
	v_log_f32_e32 v28, v28
	v_cndmask_b32_e32 v29, 0, v16, vcc
	v_cndmask_b32_e64 v30, 0, v16, s[2:3]
	v_mul_f32_e32 v38, 0x3f317217, v27
	v_mul_f32_e32 v39, 0x3f317217, v28
	v_fma_f32 v38, v27, s9, -v38
	v_fma_f32 v39, v28, s9, -v39
	v_fmac_f32_e32 v38, 0x3377d1cf, v27
	v_fmac_f32_e32 v39, 0x3377d1cf, v28
	;; [unrolled: 1-line block ×3, first 2 shown]
	v_cmp_lt_f32_e64 vcc, |v27|, s12
	v_fmac_f32_e32 v39, 0x3f317217, v28
	s_nop 0
	v_cndmask_b32_e32 v27, v27, v38, vcc
	v_cmp_lt_f32_e64 vcc, |v28|, s12
	v_sub_f32_e32 v27, v27, v29
	v_mul_f32_e32 v29, 0x3fb8aa3b, v33
	v_cndmask_b32_e32 v28, v28, v39, vcc
	v_cmp_lt_f16_e32 vcc, s13, v20
	v_sub_f32_e32 v28, v28, v30
	s_nop 0
	v_cndmask_b32_e32 v20, v27, v31, vcc
	v_cmp_lt_f16_e32 vcc, s13, v21
	v_mul_f32_e32 v27, 0x4f800000, v20
	s_nop 0
	v_cndmask_b32_e32 v21, v28, v32, vcc
	v_cmp_gt_f32_e32 vcc, s10, v20
	v_mul_f32_e32 v28, 0x4f800000, v21
	v_cmp_gt_f32_e64 s[2:3], s10, v21
	v_cndmask_b32_e32 v20, v20, v27, vcc
	v_sqrt_f32_e32 v27, v20
	v_cndmask_b32_e64 v21, v21, v28, s[2:3]
	v_sqrt_f32_e32 v28, v21
	v_add_u32_e32 v30, -1, v27
	v_add_u32_e32 v31, 1, v27
	v_fma_f32 v38, -v30, v27, v20
	v_fma_f32 v39, -v31, v27, v20
	v_cmp_ge_f32_e64 s[4:5], 0, v38
	v_add_u32_e32 v32, -1, v28
	v_fma_f32 v40, -v32, v28, v21
	v_cndmask_b32_e64 v27, v27, v30, s[4:5]
	v_cmp_lt_f32_e64 s[4:5], 0, v39
	s_nop 1
	v_cndmask_b32_e64 v27, v27, v31, s[4:5]
	v_mul_f32_e32 v30, 0x37800000, v27
	v_cndmask_b32_e32 v27, v27, v30, vcc
	v_cmp_class_f32_e32 vcc, v20, v11
	v_add_u32_e32 v30, 1, v28
	s_nop 0
	v_cndmask_b32_e32 v20, v27, v20, vcc
	v_exp_f32_e32 v27, v29
	v_cmp_ge_f32_e32 vcc, 0, v40
	v_add_f32_e32 v27, 1.0, v27
	s_nop 0
	v_cndmask_b32_e32 v29, v28, v32, vcc
	v_cmp_gt_f32_e32 vcc, s11, v27
	v_fma_f32 v28, -v30, v28, v21
	v_cmp_lt_f32_e64 s[4:5], 0, v28
	v_cndmask_b32_e32 v31, 1.0, v15, vcc
	v_mul_f32_e32 v27, v27, v31
	v_log_f32_e32 v27, v27
	v_cndmask_b32_e64 v28, v29, v30, s[4:5]
	v_mul_f32_e32 v29, 0x37800000, v28
	v_cndmask_b32_e64 v28, v28, v29, s[2:3]
	v_mul_f32_e32 v30, 0x3f317217, v27
	v_fma_f32 v30, v27, s9, -v30
	v_fmac_f32_e32 v30, 0x3377d1cf, v27
	v_fmac_f32_e32 v30, 0x3f317217, v27
	v_cmp_lt_f32_e64 s[4:5], |v27|, s12
	v_cmp_class_f32_e64 s[2:3], v21, v11
	s_nop 0
	v_cndmask_b32_e64 v27, v27, v30, s[4:5]
	v_cndmask_b32_e32 v30, 0, v16, vcc
	v_sub_f32_e32 v27, v27, v30
	v_cmp_lt_f16_e32 vcc, s13, v22
	v_mul_f32_e32 v30, 0x3fb8aa3b, v34
	v_exp_f32_e32 v30, v30
	v_cndmask_b32_e32 v22, v27, v33, vcc
	v_mul_f32_e32 v27, 0x4f800000, v22
	v_cmp_gt_f32_e32 vcc, s10, v22
	v_cndmask_b32_e64 v21, v28, v21, s[2:3]
	v_add_f32_e32 v30, 1.0, v30
	v_cndmask_b32_e32 v22, v22, v27, vcc
	v_sqrt_f32_e32 v27, v22
	s_nop 0
	v_add_u32_e32 v28, -1, v27
	v_fma_f32 v29, -v28, v27, v22
	v_cmp_ge_f32_e64 s[2:3], 0, v29
	v_add_u32_e32 v29, 1, v27
	s_nop 0
	v_cndmask_b32_e64 v28, v27, v28, s[2:3]
	v_cmp_gt_f32_e64 s[2:3], s11, v30
	v_fma_f32 v27, -v29, v27, v22
	v_cmp_lt_f32_e64 s[4:5], 0, v27
	v_cndmask_b32_e64 v31, 1.0, v15, s[2:3]
	v_mul_f32_e32 v30, v30, v31
	v_log_f32_e32 v30, v30
	v_cndmask_b32_e64 v27, v28, v29, s[4:5]
	v_mul_f32_e32 v28, 0x37800000, v27
	v_cndmask_b32_e32 v27, v27, v28, vcc
	v_mul_f32_e32 v29, 0x3f317217, v30
	v_fma_f32 v29, v30, s9, -v29
	v_fmac_f32_e32 v29, 0x3377d1cf, v30
	v_fmac_f32_e32 v29, 0x3f317217, v30
	v_cmp_lt_f32_e64 s[4:5], |v30|, s12
	v_cmp_class_f32_e32 vcc, v22, v11
	s_nop 0
	v_cndmask_b32_e64 v29, v30, v29, s[4:5]
	v_cndmask_b32_e64 v30, 0, v16, s[2:3]
	v_sub_f32_e32 v29, v29, v30
	v_cmp_lt_f16_e64 s[2:3], s13, v23
	v_mul_f32_e32 v30, 0x3fb8aa3b, v35
	v_exp_f32_e32 v30, v30
	v_cndmask_b32_e64 v23, v29, v34, s[2:3]
	v_mul_f32_e32 v29, 0x4f800000, v23
	v_cmp_gt_f32_e64 s[2:3], s10, v23
	v_cndmask_b32_e32 v22, v27, v22, vcc
	v_add_f32_e32 v30, 1.0, v30
	v_cndmask_b32_e64 v23, v23, v29, s[2:3]
	v_sqrt_f32_e32 v29, v23
	s_nop 0
	v_add_u32_e32 v27, -1, v29
	v_fma_f32 v28, -v27, v29, v23
	v_cmp_ge_f32_e32 vcc, 0, v28
	v_add_u32_e32 v28, 1, v29
	s_nop 0
	v_cndmask_b32_e32 v27, v29, v27, vcc
	v_cmp_gt_f32_e32 vcc, s11, v30
	v_fma_f32 v29, -v28, v29, v23
	v_cmp_lt_f32_e64 s[4:5], 0, v29
	v_cndmask_b32_e32 v31, 1.0, v15, vcc
	v_mul_f32_e32 v30, v30, v31
	v_log_f32_e32 v30, v30
	v_cndmask_b32_e64 v27, v27, v28, s[4:5]
	v_mul_f32_e32 v28, 0x37800000, v27
	v_cndmask_b32_e64 v27, v27, v28, s[2:3]
	v_mul_f32_e32 v28, 0x3f317217, v30
	v_fma_f32 v28, v30, s9, -v28
	v_fmac_f32_e32 v28, 0x3377d1cf, v30
	v_fmac_f32_e32 v28, 0x3f317217, v30
	v_cmp_lt_f32_e64 s[2:3], |v30|, s12
	v_cndmask_b32_e32 v29, 0, v16, vcc
	v_cmp_lt_f16_e32 vcc, s13, v24
	v_cndmask_b32_e64 v28, v30, v28, s[2:3]
	v_sub_f32_e32 v28, v28, v29
	v_cndmask_b32_e32 v24, v28, v35, vcc
	v_mul_f32_e32 v28, 0x4f800000, v24
	v_cmp_gt_f32_e32 vcc, s10, v24
	v_cmp_class_f32_e64 s[2:3], v23, v11
	s_nop 0
	v_cndmask_b32_e32 v24, v24, v28, vcc
	v_sqrt_f32_e32 v28, v24
	v_cndmask_b32_e64 v23, v27, v23, s[2:3]
	scratch_store_dwordx4 off, v[20:23], off
	s_nop 1
	v_mul_f32_e32 v22, 0x3fb8aa3b, v36
	v_exp_f32_e32 v22, v22
	v_add_u32_e32 v20, -1, v28
	v_fma_f32 v21, -v20, v28, v24
	v_cmp_ge_f32_e64 s[2:3], 0, v21
	v_add_f32_e32 v22, 1.0, v22
	v_add_u32_e32 v21, 1, v28
	v_cndmask_b32_e64 v20, v28, v20, s[2:3]
	v_cmp_gt_f32_e64 s[2:3], s11, v22
	v_fma_f32 v23, -v21, v28, v24
	v_cmp_lt_f32_e64 s[4:5], 0, v23
	v_cndmask_b32_e64 v27, 1.0, v15, s[2:3]
	v_mul_f32_e32 v22, v22, v27
	v_log_f32_e32 v22, v22
	v_cndmask_b32_e64 v20, v20, v21, s[4:5]
	v_mul_f32_e32 v21, 0x37800000, v20
	v_cndmask_b32_e32 v20, v20, v21, vcc
	v_mul_f32_e32 v23, 0x3f317217, v22
	v_fma_f32 v23, v22, s9, -v23
	v_fmac_f32_e32 v23, 0x3377d1cf, v22
	v_fmac_f32_e32 v23, 0x3f317217, v22
	v_cmp_lt_f32_e64 s[4:5], |v22|, s12
	v_cmp_class_f32_e32 vcc, v24, v11
	s_nop 0
	v_cndmask_b32_e64 v22, v22, v23, s[4:5]
	v_cndmask_b32_e64 v23, 0, v16, s[2:3]
	v_sub_f32_e32 v22, v22, v23
	v_cmp_lt_f16_e64 s[2:3], s13, v25
	v_mul_f32_e32 v25, 0x3fb8aa3b, v37
	v_exp_f32_e32 v25, v25
	v_cndmask_b32_e64 v22, v22, v36, s[2:3]
	v_mul_f32_e32 v23, 0x4f800000, v22
	v_cmp_gt_f32_e64 s[2:3], s10, v22
	v_cndmask_b32_e32 v20, v20, v24, vcc
	v_add_f32_e32 v25, 1.0, v25
	v_cndmask_b32_e64 v22, v22, v23, s[2:3]
	v_sqrt_f32_e32 v23, v22
	s_nop 0
	v_add_u32_e32 v21, -1, v23
	v_fma_f32 v24, -v21, v23, v22
	v_cmp_ge_f32_e32 vcc, 0, v24
	v_add_u32_e32 v24, 1, v23
	s_nop 0
	v_cndmask_b32_e32 v21, v23, v21, vcc
	v_cmp_gt_f32_e32 vcc, s11, v25
	v_fma_f32 v23, -v24, v23, v22
	v_cmp_lt_f32_e64 s[4:5], 0, v23
	v_cndmask_b32_e32 v27, 1.0, v15, vcc
	v_mul_f32_e32 v25, v25, v27
	v_log_f32_e32 v25, v25
	v_cndmask_b32_e64 v21, v21, v24, s[4:5]
	v_mul_f32_e32 v23, 0x37800000, v21
	v_cndmask_b32_e64 v21, v21, v23, s[2:3]
	v_mul_f32_e32 v24, 0x3f317217, v25
	v_fma_f32 v24, v25, s9, -v24
	v_fmac_f32_e32 v24, 0x3377d1cf, v25
	v_fmac_f32_e32 v24, 0x3f317217, v25
	v_cmp_lt_f32_e64 s[4:5], |v25|, s12
	v_cmp_class_f32_e64 s[2:3], v22, v11
	s_nop 0
	v_cndmask_b32_e64 v24, v25, v24, s[4:5]
	v_cndmask_b32_e32 v25, 0, v16, vcc
	v_sub_f32_e32 v24, v24, v25
	v_cmp_lt_f16_e32 vcc, s13, v26
	v_cndmask_b32_e64 v21, v21, v22, s[2:3]
	s_nop 0
	v_cndmask_b32_e32 v24, v24, v37, vcc
	v_mul_f32_e32 v25, 0x4f800000, v24
	v_cmp_gt_f32_e32 vcc, s10, v24
	s_nop 1
	v_cndmask_b32_e32 v26, v24, v25, vcc
	v_sqrt_f32_e32 v24, v26
	s_nop 0
	v_add_u32_e32 v22, -1, v24
	v_fma_f32 v23, -v22, v24, v26
	v_cmp_ge_f32_e64 s[2:3], 0, v23
	v_add_u32_e32 v27, 1, v24
	v_mul_f32_e32 v23, 0x3fb8aa3b, v5
	v_cndmask_b32_e64 v25, v24, v22, s[2:3]
	v_mul_f32_e32 v22, 0x3fb8aa3b, v4
	v_fma_f32 v24, -v27, v24, v26
	v_exp_f32_e32 v22, v22
	v_exp_f32_e32 v23, v23
	v_cmp_lt_f32_e64 s[2:3], 0, v24
	s_nop 1
	v_cndmask_b32_e64 v24, v25, v27, s[2:3]
	v_mul_f32_e32 v25, 0x37800000, v24
	v_cndmask_b32_e32 v27, v24, v25, vcc
	v_pk_add_f32 v[24:25], v[22:23], 1.0 op_sel_hi:[1,0]
	v_cmp_class_f32_e64 s[2:3], v26, v11
	v_cmp_gt_f32_e32 vcc, s11, v25
	s_nop 1
	v_cndmask_b32_e32 v22, 1.0, v15, vcc
	v_mul_f32_e32 v22, v25, v22
	v_log_f32_e32 v23, v22
	v_cndmask_b32_e64 v22, v27, v26, s[2:3]
	v_cmp_gt_f32_e64 s[2:3], s11, v24
	scratch_store_dwordx3 off, v[20:22], off offset:16
	v_cmp_lt_f32_e64 s[4:5], |v23|, s12
	s_nop 0
	v_cndmask_b32_e64 v21, 1.0, v15, s[2:3]
	v_mul_f32_e32 v20, 0x3f317217, v23
	v_mul_f32_e32 v21, v24, v21
	v_fma_f32 v20, v23, s9, -v20
	v_log_f32_e32 v21, v21
	v_fmac_f32_e32 v20, 0x3377d1cf, v23
	v_fmac_f32_e32 v20, 0x3f317217, v23
	v_cndmask_b32_e64 v20, v23, v20, s[4:5]
	v_cndmask_b32_e32 v22, 0, v16, vcc
	v_sub_f32_e32 v20, v20, v22
	v_mul_f32_e32 v22, 0x3f317217, v21
	v_fma_f32 v22, v21, s9, -v22
	v_fmac_f32_e32 v22, 0x3377d1cf, v21
	v_fmac_f32_e32 v22, 0x3f317217, v21
	v_cmp_lt_f32_e64 vcc, |v21|, s12
	s_nop 1
	v_cndmask_b32_e32 v21, v21, v22, vcc
	v_cmp_lt_f32_e32 vcc, s6, v5
	v_cndmask_b32_e64 v22, 0, v16, s[2:3]
	v_sub_f32_e32 v21, v21, v22
	v_cndmask_b32_e32 v5, v20, v5, vcc
	v_mul_f32_e32 v20, 0x4f800000, v5
	v_cmp_gt_f32_e32 vcc, s10, v5
	v_cmp_lt_f32_e64 s[2:3], s6, v4
	s_nop 0
	v_cndmask_b32_e32 v5, v5, v20, vcc
	v_sqrt_f32_e32 v20, v5
	v_cndmask_b32_e64 v4, v21, v4, s[2:3]
	v_add_u32_e32 v21, -1, v20
	v_fma_f32 v22, -v21, v20, v5
	v_cmp_ge_f32_e64 s[2:3], 0, v22
	v_add_u32_e32 v22, 1, v20
	s_nop 0
	v_cndmask_b32_e64 v21, v20, v21, s[2:3]
	v_fma_f32 v20, -v22, v20, v5
	v_cmp_lt_f32_e64 s[2:3], 0, v20
	s_nop 1
	v_cndmask_b32_e64 v20, v21, v22, s[2:3]
	v_mul_f32_e32 v22, 0x4f800000, v4
	v_cmp_gt_f32_e64 s[2:3], s10, v4
	v_mul_f32_e32 v21, 0x37800000, v20
	v_cndmask_b32_e32 v20, v20, v21, vcc
	v_cndmask_b32_e64 v4, v4, v22, s[2:3]
	v_sqrt_f32_e32 v22, v4
	v_cmp_class_f32_e32 vcc, v5, v11
	v_add_u32_e32 v24, 1, v22
	s_nop 0
	v_cndmask_b32_e32 v5, v20, v5, vcc
	v_add_u32_e32 v20, -1, v22
	v_fma_f32 v21, -v20, v22, v4
	v_cmp_ge_f32_e32 vcc, 0, v21
	v_mul_f32_e32 v21, 0x3fb8aa3b, v7
	v_exp_f32_e32 v21, v21
	v_cndmask_b32_e32 v23, v22, v20, vcc
	v_mul_f32_e32 v20, 0x3fb8aa3b, v6
	v_exp_f32_e32 v20, v20
	v_fma_f32 v22, -v24, v22, v4
	v_cmp_lt_f32_e32 vcc, 0, v22
	v_pk_add_f32 v[20:21], v[20:21], 1.0 op_sel_hi:[1,0]
	s_nop 0
	v_cndmask_b32_e32 v22, v23, v24, vcc
	v_cmp_gt_f32_e32 vcc, s11, v21
	v_mul_f32_e32 v23, 0x37800000, v22
	v_cndmask_b32_e64 v22, v22, v23, s[2:3]
	v_cndmask_b32_e32 v24, 1.0, v15, vcc
	v_mul_f32_e32 v21, v21, v24
	v_log_f32_e32 v21, v21
	v_cmp_class_f32_e64 s[2:3], v4, v11
	v_cmp_lt_f32_e64 s[4:5], |v21|, s12
	s_nop 0
	v_cndmask_b32_e64 v4, v22, v4, s[2:3]
	v_cmp_gt_f32_e64 s[2:3], s11, v20
	v_mul_f32_e32 v22, 0x3f317217, v21
	v_fma_f32 v22, v21, s9, -v22
	v_cndmask_b32_e64 v23, 1.0, v15, s[2:3]
	v_mul_f32_e32 v20, v20, v23
	v_log_f32_e32 v20, v20
	v_fmac_f32_e32 v22, 0x3377d1cf, v21
	v_fmac_f32_e32 v22, 0x3f317217, v21
	v_cndmask_b32_e64 v21, v21, v22, s[4:5]
	v_cndmask_b32_e32 v22, 0, v16, vcc
	v_sub_f32_e32 v21, v21, v22
	v_mul_f32_e32 v22, 0x3f317217, v20
	v_fma_f32 v22, v20, s9, -v22
	v_fmac_f32_e32 v22, 0x3377d1cf, v20
	v_fmac_f32_e32 v22, 0x3f317217, v20
	v_cmp_lt_f32_e64 vcc, |v20|, s12
	s_nop 1
	v_cndmask_b32_e32 v20, v20, v22, vcc
	v_cmp_lt_f32_e32 vcc, s6, v7
	v_cndmask_b32_e64 v22, 0, v16, s[2:3]
	v_sub_f32_e32 v20, v20, v22
	v_cndmask_b32_e32 v7, v21, v7, vcc
	v_mul_f32_e32 v21, 0x4f800000, v7
	v_cmp_gt_f32_e32 vcc, s10, v7
	v_cmp_lt_f32_e64 s[2:3], s6, v6
	s_nop 0
	v_cndmask_b32_e32 v7, v7, v21, vcc
	v_sqrt_f32_e32 v21, v7
	v_cndmask_b32_e64 v6, v20, v6, s[2:3]
	v_add_u32_e32 v20, -1, v21
	v_fma_f32 v22, -v20, v21, v7
	v_cmp_ge_f32_e64 s[2:3], 0, v22
	v_add_u32_e32 v22, 1, v21
	s_nop 0
	v_cndmask_b32_e64 v20, v21, v20, s[2:3]
	v_fma_f32 v21, -v22, v21, v7
	v_cmp_lt_f32_e64 s[2:3], 0, v21
	s_nop 1
	v_cndmask_b32_e64 v20, v20, v22, s[2:3]
	v_mul_f32_e32 v22, 0x4f800000, v6
	v_cmp_gt_f32_e64 s[2:3], s10, v6
	v_mul_f32_e32 v21, 0x37800000, v20
	v_cndmask_b32_e32 v20, v20, v21, vcc
	v_cndmask_b32_e64 v6, v6, v22, s[2:3]
	v_sqrt_f32_e32 v22, v6
	v_cmp_class_f32_e32 vcc, v7, v11
	v_add_u32_e32 v24, 1, v22
	s_nop 0
	v_cndmask_b32_e32 v7, v20, v7, vcc
	v_add_u32_e32 v20, -1, v22
	v_fma_f32 v21, -v20, v22, v6
	v_cmp_ge_f32_e32 vcc, 0, v21
	v_mul_f32_e32 v21, 0x3fb8aa3b, v1
	v_exp_f32_e32 v21, v21
	v_cndmask_b32_e32 v23, v22, v20, vcc
	v_mul_f32_e32 v20, 0x3fb8aa3b, v0
	v_exp_f32_e32 v20, v20
	v_fma_f32 v22, -v24, v22, v6
	v_cmp_lt_f32_e32 vcc, 0, v22
	v_pk_add_f32 v[20:21], v[20:21], 1.0 op_sel_hi:[1,0]
	s_nop 0
	v_cndmask_b32_e32 v22, v23, v24, vcc
	v_mul_f32_e32 v23, 0x37800000, v22
	v_cmp_gt_f32_e32 vcc, s11, v21
	v_cndmask_b32_e64 v22, v22, v23, s[2:3]
	v_cmp_class_f32_e64 s[2:3], v6, v11
	v_cndmask_b32_e32 v23, 1.0, v15, vcc
	v_mul_f32_e32 v21, v21, v23
	v_log_f32_e32 v21, v21
	v_cndmask_b32_e64 v6, v22, v6, s[2:3]
	v_cmp_gt_f32_e64 s[2:3], s11, v20
	scratch_store_dwordx4 off, v[4:7], off offset:28
	v_cmp_lt_f32_e64 s[4:5], |v21|, s12
	s_nop 0
	v_cndmask_b32_e64 v5, 1.0, v15, s[2:3]
	v_mul_f32_e32 v4, 0x3f317217, v21
	v_mul_f32_e32 v5, v20, v5
	v_fma_f32 v4, v21, s9, -v4
	v_log_f32_e32 v5, v5
	v_fmac_f32_e32 v4, 0x3377d1cf, v21
	v_fmac_f32_e32 v4, 0x3f317217, v21
	v_cndmask_b32_e64 v4, v21, v4, s[4:5]
	v_cndmask_b32_e32 v6, 0, v16, vcc
	v_sub_f32_e32 v4, v4, v6
	v_mul_f32_e32 v6, 0x3f317217, v5
	v_fma_f32 v6, v5, s9, -v6
	v_fmac_f32_e32 v6, 0x3377d1cf, v5
	v_fmac_f32_e32 v6, 0x3f317217, v5
	v_cmp_lt_f32_e64 vcc, |v5|, s12
	s_nop 1
	v_cndmask_b32_e32 v5, v5, v6, vcc
	v_cmp_lt_f32_e32 vcc, s6, v1
	v_cndmask_b32_e64 v6, 0, v16, s[2:3]
	v_sub_f32_e32 v5, v5, v6
	v_cndmask_b32_e32 v1, v4, v1, vcc
	v_mul_f32_e32 v4, 0x4f800000, v1
	v_cmp_gt_f32_e32 vcc, s10, v1
	v_cmp_lt_f32_e64 s[2:3], s6, v0
	s_nop 0
	v_cndmask_b32_e32 v1, v1, v4, vcc
	v_sqrt_f32_e32 v4, v1
	v_cndmask_b32_e64 v0, v5, v0, s[2:3]
	v_add_u32_e32 v5, -1, v4
	v_fma_f32 v6, -v5, v4, v1
	v_cmp_ge_f32_e64 s[2:3], 0, v6
	v_add_u32_e32 v6, 1, v4
	s_nop 0
	v_cndmask_b32_e64 v5, v4, v5, s[2:3]
	v_fma_f32 v4, -v6, v4, v1
	v_cmp_lt_f32_e64 s[2:3], 0, v4
	s_nop 1
	v_cndmask_b32_e64 v4, v5, v6, s[2:3]
	v_mul_f32_e32 v6, 0x4f800000, v0
	v_cmp_gt_f32_e64 s[2:3], s10, v0
	v_mul_f32_e32 v5, 0x37800000, v4
	v_cndmask_b32_e32 v4, v4, v5, vcc
	v_cndmask_b32_e64 v0, v0, v6, s[2:3]
	v_sqrt_f32_e32 v6, v0
	v_cmp_class_f32_e32 vcc, v1, v11
	v_add_u32_e32 v20, 1, v6
	s_nop 0
	v_cndmask_b32_e32 v1, v4, v1, vcc
	v_add_u32_e32 v4, -1, v6
	v_fma_f32 v5, -v4, v6, v0
	v_cmp_ge_f32_e32 vcc, 0, v5
	v_mul_f32_e32 v5, 0x3fb8aa3b, v3
	v_exp_f32_e32 v5, v5
	v_cndmask_b32_e32 v7, v6, v4, vcc
	v_mul_f32_e32 v4, 0x3fb8aa3b, v2
	v_exp_f32_e32 v4, v4
	v_fma_f32 v6, -v20, v6, v0
	v_cmp_lt_f32_e32 vcc, 0, v6
	v_pk_add_f32 v[4:5], v[4:5], 1.0 op_sel_hi:[1,0]
	s_nop 0
	v_cndmask_b32_e32 v6, v7, v20, vcc
	v_cmp_gt_f32_e32 vcc, s11, v5
	v_mul_f32_e32 v7, 0x37800000, v6
	v_cndmask_b32_e64 v6, v6, v7, s[2:3]
	v_cndmask_b32_e32 v20, 1.0, v15, vcc
	v_mul_f32_e32 v5, v5, v20
	v_log_f32_e32 v5, v5
	v_cmp_class_f32_e64 s[2:3], v0, v11
	v_cmp_lt_f32_e64 s[4:5], |v5|, s12
	s_nop 0
	v_cndmask_b32_e64 v0, v6, v0, s[2:3]
	v_cmp_gt_f32_e64 s[2:3], s11, v4
	v_mul_f32_e32 v6, 0x3f317217, v5
	v_fma_f32 v6, v5, s9, -v6
	v_cndmask_b32_e64 v7, 1.0, v15, s[2:3]
	v_mul_f32_e32 v4, v4, v7
	v_log_f32_e32 v4, v4
	v_fmac_f32_e32 v6, 0x3377d1cf, v5
	v_fmac_f32_e32 v6, 0x3f317217, v5
	v_cndmask_b32_e64 v5, v5, v6, s[4:5]
	v_cndmask_b32_e32 v6, 0, v16, vcc
	v_sub_f32_e32 v5, v5, v6
	v_mul_f32_e32 v6, 0x3f317217, v4
	v_fma_f32 v6, v4, s9, -v6
	v_fmac_f32_e32 v6, 0x3377d1cf, v4
	v_fmac_f32_e32 v6, 0x3f317217, v4
	v_cmp_lt_f32_e64 vcc, |v4|, s12
	s_nop 1
	v_cndmask_b32_e32 v4, v4, v6, vcc
	v_cmp_lt_f32_e32 vcc, s6, v3
	v_cndmask_b32_e64 v6, 0, v16, s[2:3]
	v_sub_f32_e32 v4, v4, v6
	v_cndmask_b32_e32 v3, v5, v3, vcc
	v_mul_f32_e32 v5, 0x4f800000, v3
	v_cmp_gt_f32_e32 vcc, s10, v3
	v_cmp_lt_f32_e64 s[2:3], s6, v2
	s_nop 0
	v_cndmask_b32_e32 v3, v3, v5, vcc
	v_sqrt_f32_e32 v5, v3
	v_cndmask_b32_e64 v2, v4, v2, s[2:3]
	v_add_u32_e32 v4, -1, v5
	v_fma_f32 v6, -v4, v5, v3
	v_cmp_ge_f32_e64 s[2:3], 0, v6
	v_add_u32_e32 v6, 1, v5
	s_nop 0
	v_cndmask_b32_e64 v4, v5, v4, s[2:3]
	v_fma_f32 v5, -v6, v5, v3
	v_cmp_lt_f32_e64 s[2:3], 0, v5
	s_nop 1
	v_cndmask_b32_e64 v4, v4, v6, s[2:3]
	v_mul_f32_e32 v6, 0x4f800000, v2
	v_cmp_gt_f32_e64 s[2:3], s10, v2
	v_mul_f32_e32 v5, 0x37800000, v4
	v_cndmask_b32_e32 v4, v4, v5, vcc
	v_cndmask_b32_e64 v2, v2, v6, s[2:3]
	v_sqrt_f32_e32 v6, v2
	v_cmp_class_f32_e32 vcc, v3, v11
	v_add_u32_e32 v20, 1, v6
	s_nop 0
	v_cndmask_b32_e32 v3, v4, v3, vcc
	v_add_u32_e32 v4, -1, v6
	v_fma_f32 v5, -v4, v6, v2
	v_cmp_ge_f32_e32 vcc, 0, v5
	v_mul_f32_e32 v5, 0x3fb8aa3b, v19
	v_exp_f32_e32 v5, v5
	v_cndmask_b32_e32 v7, v6, v4, vcc
	v_mul_f32_e32 v4, 0x3fb8aa3b, v18
	v_exp_f32_e32 v4, v4
	v_fma_f32 v6, -v20, v6, v2
	v_cmp_lt_f32_e32 vcc, 0, v6
	v_pk_add_f32 v[4:5], v[4:5], 1.0 op_sel_hi:[1,0]
	s_nop 0
	v_cndmask_b32_e32 v6, v7, v20, vcc
	v_mul_f32_e32 v7, 0x37800000, v6
	v_cmp_gt_f32_e32 vcc, s11, v5
	v_cndmask_b32_e64 v6, v6, v7, s[2:3]
	v_cmp_class_f32_e64 s[2:3], v2, v11
	v_cndmask_b32_e32 v7, 1.0, v15, vcc
	v_mul_f32_e32 v5, v5, v7
	v_log_f32_e32 v5, v5
	v_cndmask_b32_e64 v2, v6, v2, s[2:3]
	v_cmp_gt_f32_e64 s[2:3], s11, v4
	scratch_store_dwordx4 off, v[0:3], off offset:44
	v_cmp_lt_f32_e64 s[4:5], |v5|, s12
	s_nop 0
	v_cndmask_b32_e64 v1, 1.0, v15, s[2:3]
	v_mul_f32_e32 v0, 0x3f317217, v5
	v_mul_f32_e32 v1, v4, v1
	v_fma_f32 v0, v5, s9, -v0
	v_log_f32_e32 v1, v1
	v_fmac_f32_e32 v0, 0x3377d1cf, v5
	v_fmac_f32_e32 v0, 0x3f317217, v5
	v_cndmask_b32_e64 v0, v5, v0, s[4:5]
	v_cndmask_b32_e32 v2, 0, v16, vcc
	v_sub_f32_e32 v0, v0, v2
	v_mul_f32_e32 v2, 0x3f317217, v1
	v_fma_f32 v2, v1, s9, -v2
	v_fmac_f32_e32 v2, 0x3377d1cf, v1
	v_fmac_f32_e32 v2, 0x3f317217, v1
	v_cmp_lt_f32_e64 vcc, |v1|, s12
	s_nop 1
	v_cndmask_b32_e32 v1, v1, v2, vcc
	v_cmp_lt_f32_e32 vcc, s6, v19
	v_cndmask_b32_e64 v2, 0, v16, s[2:3]
	v_sub_f32_e32 v1, v1, v2
	v_cndmask_b32_e32 v0, v0, v19, vcc
	v_mul_f32_e32 v3, 0x4f800000, v0
	v_cmp_gt_f32_e32 vcc, s10, v0
	v_cmp_lt_f32_e64 s[2:3], s6, v18
	s_nop 0
	v_cndmask_b32_e32 v0, v0, v3, vcc
	v_sqrt_f32_e32 v3, v0
	v_cndmask_b32_e64 v1, v1, v18, s[2:3]
	v_add_u32_e32 v2, -1, v3
	v_fma_f32 v4, -v2, v3, v0
	v_cmp_ge_f32_e64 s[2:3], 0, v4
	v_add_u32_e32 v4, 1, v3
	s_nop 0
	v_cndmask_b32_e64 v2, v3, v2, s[2:3]
	v_fma_f32 v3, -v4, v3, v0
	v_cmp_lt_f32_e64 s[2:3], 0, v3
	s_nop 1
	v_cndmask_b32_e64 v2, v2, v4, s[2:3]
	v_mul_f32_e32 v4, 0x4f800000, v1
	v_cmp_gt_f32_e64 s[2:3], s10, v1
	v_mul_f32_e32 v3, 0x37800000, v2
	s_nop 0
	v_cndmask_b32_e64 v4, v1, v4, s[2:3]
	v_sqrt_f32_e32 v5, v4
	v_cndmask_b32_e32 v1, v2, v3, vcc
	v_mul_f32_e32 v3, 0x3fb8aa3b, v17
	v_exp_f32_e32 v3, v3
	v_cmp_class_f32_e32 vcc, v0, v11
	v_add_f32_e32 v3, 1.0, v3
	s_nop 0
	v_cndmask_b32_e32 v1, v1, v0, vcc
	v_add_u32_e32 v0, -1, v5
	v_fma_f32 v2, -v0, v5, v4
	v_cmp_ge_f32_e32 vcc, 0, v2
	v_add_u32_e32 v2, 1, v5
	s_nop 0
	v_cndmask_b32_e32 v0, v5, v0, vcc
	v_cmp_gt_f32_e32 vcc, s11, v3
	v_fma_f32 v5, -v2, v5, v4
	v_cmp_lt_f32_e64 s[4:5], 0, v5
	v_cndmask_b32_e32 v6, 1.0, v15, vcc
	v_mul_f32_e32 v3, v3, v6
	v_log_f32_e32 v3, v3
	v_cndmask_b32_e64 v0, v0, v2, s[4:5]
	v_mul_f32_e32 v2, 0x37800000, v0
	v_cndmask_b32_e64 v0, v0, v2, s[2:3]
	v_mul_f32_e32 v5, 0x3f317217, v3
	v_fma_f32 v5, v3, s9, -v5
	v_fmac_f32_e32 v5, 0x3377d1cf, v3
	v_fmac_f32_e32 v5, 0x3f317217, v3
	v_cmp_lt_f32_e64 s[4:5], |v3|, s12
	v_cmp_class_f32_e64 s[2:3], v4, v11
	s_nop 0
	v_cndmask_b32_e64 v3, v3, v5, s[4:5]
	v_cndmask_b32_e32 v5, 0, v16, vcc
	v_sub_f32_e32 v3, v3, v5
	v_cmp_lt_f32_e32 vcc, s6, v17
	v_cndmask_b32_e64 v0, v0, v4, s[2:3]
	s_cselect_b64 s[4:5], -1, 0
	v_cndmask_b32_e32 v3, v3, v17, vcc
	v_mul_f32_e32 v5, 0x4f800000, v3
	v_cmp_gt_f32_e32 vcc, s10, v3
	s_cmp_lt_i32 s33, 1
	s_nop 0
	v_cndmask_b32_e32 v3, v3, v5, vcc
	v_sqrt_f32_e32 v5, v3
	s_nop 0
	v_add_u32_e32 v2, -1, v5
	v_fma_f32 v4, -v2, v5, v3
	v_cmp_ge_f32_e64 s[2:3], 0, v4
	v_add_u32_e32 v4, 1, v5
	s_nop 0
	v_cndmask_b32_e64 v2, v5, v2, s[2:3]
	v_fma_f32 v5, -v4, v5, v3
	v_cmp_lt_f32_e64 s[2:3], 0, v5
	s_nop 1
	v_cndmask_b32_e64 v2, v2, v4, s[2:3]
	v_mul_f32_e32 v4, 0x37800000, v2
	v_cndmask_b32_e32 v2, v2, v4, vcc
	v_cmp_class_f32_e32 vcc, v3, v11
	s_nop 1
	v_cndmask_b32_e32 v2, v2, v3, vcc
	scratch_store_dwordx3 off, v[0:2], off offset:60
	s_nop 1
	v_lshl_add_u64 v[0:1], v[8:9], 2, v[12:13]
	v_mul_lo_u32 v2, v10, s33
	s_cbranch_scc1 .LBB298_29
; %bb.2:
	s_load_dwordx2 s[6:7], s[0:1], 0x20
	s_cmp_lt_u32 s33, 4
	v_mul_lo_u32 v4, v10, s33
	s_cbranch_scc1 .LBB298_21
; %bb.3:
	s_mov_b32 s11, 0
	s_and_b32 s8, s33, 0x7ffffffc
	v_ashrrev_i32_e32 v5, 31, v4
	v_mov_b32_e32 v9, 0
	s_mov_b32 s10, s11
	s_branch .LBB298_5
.LBB298_4:                              ;   in Loop: Header=BB298_5 Depth=1
	s_or_b64 exec, exec, s[12:13]
	s_add_i32 s10, s10, 4
	s_cmp_eq_u32 s10, s8
	s_cbranch_scc1 .LBB298_22
.LBB298_5:                              ; =>This Loop Header: Depth=1
                                        ;     Child Loop BB298_7 Depth 2
                                        ;     Child Loop BB298_11 Depth 2
                                        ;     Child Loop BB298_15 Depth 2
                                        ;     Child Loop BB298_19 Depth 2
	v_lshl_add_u64 v[6:7], s[10:11], 2, v[0:1]
	global_load_dword v3, v[6:7], off
	v_add_u32_e32 v10, s10, v4
	v_ashrrev_i32_e32 v11, 31, v10
	s_waitcnt lgkmcnt(0)
	v_lshl_add_u64 v[10:11], v[10:11], 2, s[6:7]
	v_mov_b32_e32 v8, 0
	s_mov_b64 s[12:13], 0
	v_mov_b32_e32 v12, v14
	s_mov_b32 s9, 0
	s_branch .LBB298_7
.LBB298_6:                              ;   in Loop: Header=BB298_7 Depth=2
	s_or_b64 exec, exec, s[14:15]
	s_add_i32 s16, s9, 1
	s_cmp_gt_u32 s9, 16
	s_cselect_b64 s[2:3], -1, 0
	s_xor_b64 s[14:15], vcc, -1
	s_or_b64 s[2:3], s[14:15], s[2:3]
	s_and_b64 s[2:3], exec, s[2:3]
	v_add_u32_e32 v12, 32, v12
	v_add_u32_e32 v8, 4, v8
	s_or_b64 s[12:13], s[2:3], s[12:13]
	s_mov_b32 s9, s16
	s_andn2_b64 exec, exec, s[12:13]
	s_cbranch_execz .LBB298_9
.LBB298_7:                              ;   Parent Loop BB298_5 Depth=1
                                        ; =>  This Inner Loop Header: Depth=2
	s_waitcnt vmcnt(0)
	v_cmp_ne_u32_e32 vcc, v3, v12
	v_cmp_eq_u32_e64 s[2:3], v3, v12
	s_and_saveexec_b64 s[14:15], s[2:3]
	s_cbranch_execz .LBB298_6
; %bb.8:                                ;   in Loop: Header=BB298_7 Depth=2
	scratch_load_dword v13, v8, off
	s_waitcnt vmcnt(0)
	v_add_f32_e32 v9, v9, v13
	global_store_dword v[10:11], v3, off
	s_branch .LBB298_6
.LBB298_9:                              ;   in Loop: Header=BB298_5 Depth=1
	s_or_b64 exec, exec, s[12:13]
	global_load_dword v3, v[6:7], off offset:4
	s_ashr_i32 s3, s10, 31
	s_mov_b32 s2, s10
	v_lshl_add_u64 v[10:11], s[2:3], 0, v[4:5]
	v_lshl_add_u64 v[10:11], v[10:11], 2, s[6:7]
	v_mov_b32_e32 v8, 0
	s_mov_b32 s9, 0
	s_mov_b64 s[12:13], 0
	v_mov_b32_e32 v12, v14
	s_branch .LBB298_11
.LBB298_10:                             ;   in Loop: Header=BB298_11 Depth=2
	s_or_b64 exec, exec, s[14:15]
	s_add_i32 s16, s9, 1
	s_cmp_gt_u32 s9, 16
	s_cselect_b64 s[2:3], -1, 0
	s_xor_b64 s[14:15], vcc, -1
	s_or_b64 s[2:3], s[14:15], s[2:3]
	s_and_b64 s[2:3], exec, s[2:3]
	v_add_u32_e32 v8, 4, v8
	v_add_u32_e32 v12, 32, v12
	s_or_b64 s[12:13], s[2:3], s[12:13]
	s_mov_b32 s9, s16
	s_andn2_b64 exec, exec, s[12:13]
	s_cbranch_execz .LBB298_13
.LBB298_11:                             ;   Parent Loop BB298_5 Depth=1
                                        ; =>  This Inner Loop Header: Depth=2
	s_waitcnt vmcnt(0)
	v_cmp_ne_u32_e32 vcc, v3, v12
	v_cmp_eq_u32_e64 s[2:3], v3, v12
	s_and_saveexec_b64 s[14:15], s[2:3]
	s_cbranch_execz .LBB298_10
; %bb.12:                               ;   in Loop: Header=BB298_11 Depth=2
	scratch_load_dword v13, v8, off
	s_waitcnt vmcnt(0)
	v_add_f32_e32 v9, v9, v13
	global_store_dword v[10:11], v3, off offset:4
	s_branch .LBB298_10
.LBB298_13:                             ;   in Loop: Header=BB298_5 Depth=1
	s_or_b64 exec, exec, s[12:13]
	global_load_dword v3, v[6:7], off offset:8
	v_mov_b32_e32 v8, 0
	s_mov_b32 s9, 0
	s_mov_b64 s[12:13], 0
	v_mov_b32_e32 v12, v14
	s_branch .LBB298_15
.LBB298_14:                             ;   in Loop: Header=BB298_15 Depth=2
	s_or_b64 exec, exec, s[14:15]
	s_add_i32 s16, s9, 1
	s_cmp_gt_u32 s9, 16
	s_cselect_b64 s[2:3], -1, 0
	s_xor_b64 s[14:15], vcc, -1
	s_or_b64 s[2:3], s[14:15], s[2:3]
	s_and_b64 s[2:3], exec, s[2:3]
	v_add_u32_e32 v8, 4, v8
	v_add_u32_e32 v12, 32, v12
	s_or_b64 s[12:13], s[2:3], s[12:13]
	s_mov_b32 s9, s16
	s_andn2_b64 exec, exec, s[12:13]
	s_cbranch_execz .LBB298_17
.LBB298_15:                             ;   Parent Loop BB298_5 Depth=1
                                        ; =>  This Inner Loop Header: Depth=2
	s_waitcnt vmcnt(0)
	v_cmp_ne_u32_e32 vcc, v3, v12
	v_cmp_eq_u32_e64 s[2:3], v3, v12
	s_and_saveexec_b64 s[14:15], s[2:3]
	s_cbranch_execz .LBB298_14
; %bb.16:                               ;   in Loop: Header=BB298_15 Depth=2
	scratch_load_dword v13, v8, off
	s_waitcnt vmcnt(0)
	v_add_f32_e32 v9, v9, v13
	global_store_dword v[10:11], v3, off offset:8
	s_branch .LBB298_14
.LBB298_17:                             ;   in Loop: Header=BB298_5 Depth=1
	s_or_b64 exec, exec, s[12:13]
	global_load_dword v3, v[6:7], off offset:12
	v_mov_b32_e32 v6, 0
	s_mov_b32 s9, 0
	s_mov_b64 s[12:13], 0
	v_mov_b32_e32 v7, v14
	s_branch .LBB298_19
.LBB298_18:                             ;   in Loop: Header=BB298_19 Depth=2
	s_or_b64 exec, exec, s[14:15]
	s_add_i32 s16, s9, 1
	s_cmp_gt_u32 s9, 16
	s_cselect_b64 s[2:3], -1, 0
	s_xor_b64 s[14:15], vcc, -1
	s_or_b64 s[2:3], s[14:15], s[2:3]
	s_and_b64 s[2:3], exec, s[2:3]
	v_add_u32_e32 v6, 4, v6
	v_add_u32_e32 v7, 32, v7
	s_or_b64 s[12:13], s[2:3], s[12:13]
	s_mov_b32 s9, s16
	s_andn2_b64 exec, exec, s[12:13]
	s_cbranch_execz .LBB298_4
.LBB298_19:                             ;   Parent Loop BB298_5 Depth=1
                                        ; =>  This Inner Loop Header: Depth=2
	s_waitcnt vmcnt(0)
	v_cmp_ne_u32_e32 vcc, v3, v7
	v_cmp_eq_u32_e64 s[2:3], v3, v7
	s_and_saveexec_b64 s[14:15], s[2:3]
	s_cbranch_execz .LBB298_18
; %bb.20:                               ;   in Loop: Header=BB298_19 Depth=2
	scratch_load_dword v8, v6, off
	s_waitcnt vmcnt(0)
	v_add_f32_e32 v9, v9, v8
	global_store_dword v[10:11], v3, off offset:12
	s_branch .LBB298_18
.LBB298_21:
	v_mov_b32_e32 v9, 0
.LBB298_22:
	s_and_b32 s14, s33, 3
	s_cmp_eq_u32 s14, 0
	s_mov_b32 s9, 0
	s_cbranch_scc1 .LBB298_29
; %bb.23:
	s_mov_b32 s15, s9
	s_branch .LBB298_25
.LBB298_24:                             ;   in Loop: Header=BB298_25 Depth=1
	s_or_b64 exec, exec, s[10:11]
	s_add_i32 s8, s8, 1
	s_add_i32 s15, s15, 1
	s_cmp_lg_u32 s15, s14
	s_cbranch_scc0 .LBB298_29
.LBB298_25:                             ; =>This Loop Header: Depth=1
                                        ;     Child Loop BB298_27 Depth 2
	v_lshl_add_u64 v[6:7], s[8:9], 2, v[0:1]
	global_load_dword v3, v[6:7], off
	v_add_u32_e32 v6, s8, v4
	v_ashrrev_i32_e32 v7, 31, v6
	s_waitcnt lgkmcnt(0)
	v_lshl_add_u64 v[6:7], v[6:7], 2, s[6:7]
	v_mov_b32_e32 v5, 0
	s_mov_b32 s16, 0
	s_mov_b64 s[10:11], 0
	v_mov_b32_e32 v8, v14
	s_branch .LBB298_27
.LBB298_26:                             ;   in Loop: Header=BB298_27 Depth=2
	s_or_b64 exec, exec, s[12:13]
	s_add_i32 s17, s16, 1
	s_cmp_gt_u32 s16, 16
	s_cselect_b64 s[2:3], -1, 0
	s_xor_b64 s[12:13], vcc, -1
	s_or_b64 s[2:3], s[12:13], s[2:3]
	s_and_b64 s[2:3], exec, s[2:3]
	v_add_u32_e32 v5, 4, v5
	v_add_u32_e32 v8, 32, v8
	s_or_b64 s[10:11], s[2:3], s[10:11]
	s_mov_b32 s16, s17
	s_andn2_b64 exec, exec, s[10:11]
	s_cbranch_execz .LBB298_24
.LBB298_27:                             ;   Parent Loop BB298_25 Depth=1
                                        ; =>  This Inner Loop Header: Depth=2
	s_waitcnt vmcnt(0)
	v_cmp_ne_u32_e32 vcc, v3, v8
	v_cmp_eq_u32_e64 s[2:3], v3, v8
	s_and_saveexec_b64 s[12:13], s[2:3]
	s_cbranch_execz .LBB298_26
; %bb.28:                               ;   in Loop: Header=BB298_27 Depth=2
	scratch_load_dword v10, v5, off
	s_waitcnt vmcnt(0)
	v_add_f32_e32 v9, v9, v10
	global_store_dword v[6:7], v3, off
	s_branch .LBB298_26
.LBB298_29:
	s_waitcnt lgkmcnt(0)
	s_load_dword s6, s[0:1], 0x3c
	s_waitcnt lgkmcnt(0)
	s_bitcmp1_b32 s6, 0
	s_cselect_b64 s[2:3], -1, 0
	s_bitcmp0_b32 s6, 0
	s_cbranch_scc0 .LBB298_32
; %bb.30:
	s_load_dwordx2 s[6:7], s[0:1], 0x40
	s_andn2_b64 vcc, exec, s[2:3]
	s_waitcnt lgkmcnt(0)
	v_cvt_f32_f64_e32 v4, s[6:7]
	s_cbranch_vccz .LBB298_33
.LBB298_31:
	s_andn2_b64 vcc, exec, s[4:5]
	s_cbranch_vccz .LBB298_34
	s_branch .LBB298_72
.LBB298_32:
	v_mbcnt_lo_u32_b32 v3, -1, 0
	v_mbcnt_hi_u32_b32 v3, -1, v3
	v_and_b32_e32 v4, 0x60, v3
	v_add_u32_e32 v4, 32, v4
	v_xor_b32_e32 v5, 16, v3
	v_cmp_lt_i32_e32 vcc, v5, v4
	v_xor_b32_e32 v6, 8, v3
	v_xor_b32_e32 v7, 4, v3
	v_cndmask_b32_e32 v5, v3, v5, vcc
	v_lshlrev_b32_e32 v5, 2, v5
	ds_bpermute_b32 v5, v5, v9
	v_cmp_lt_i32_e32 vcc, v6, v4
	s_waitcnt lgkmcnt(0)
	v_add_f32_e32 v5, v9, v5
	v_cndmask_b32_e32 v6, v3, v6, vcc
	v_lshlrev_b32_e32 v6, 2, v6
	ds_bpermute_b32 v6, v6, v5
	v_cmp_lt_i32_e32 vcc, v7, v4
	s_waitcnt lgkmcnt(0)
	v_add_f32_e32 v5, v5, v6
	v_cndmask_b32_e32 v6, v3, v7, vcc
	v_lshlrev_b32_e32 v6, 2, v6
	ds_bpermute_b32 v6, v6, v5
	v_xor_b32_e32 v7, 2, v3
	v_cmp_lt_i32_e32 vcc, v7, v4
	s_waitcnt lgkmcnt(0)
	v_add_f32_e32 v5, v5, v6
	v_cndmask_b32_e32 v6, v3, v7, vcc
	v_lshlrev_b32_e32 v6, 2, v6
	ds_bpermute_b32 v6, v6, v5
	v_xor_b32_e32 v7, 1, v3
	v_cmp_lt_i32_e32 vcc, v7, v4
	s_waitcnt lgkmcnt(0)
	v_add_f32_e32 v5, v5, v6
	v_cndmask_b32_e32 v3, v3, v7, vcc
	v_lshlrev_b32_e32 v3, 2, v3
	ds_bpermute_b32 v3, v3, v5
	s_waitcnt lgkmcnt(0)
	v_add_f32_e32 v9, v5, v3
	s_load_dwordx2 s[6:7], s[0:1], 0x40
	s_andn2_b64 vcc, exec, s[2:3]
	s_waitcnt lgkmcnt(0)
	v_cvt_f32_f64_e32 v4, s[6:7]
	s_cbranch_vccnz .LBB298_31
.LBB298_33:
	v_cmp_lt_f32_e32 vcc, 0, v9
	s_nop 1
	v_cndmask_b32_e32 v3, 1.0, v9, vcc
	v_div_scale_f32 v5, s[2:3], v3, v3, v4
	v_rcp_f32_e32 v6, v5
	s_nop 0
	v_fma_f32 v7, -v5, v6, 1.0
	v_fmac_f32_e32 v6, v7, v6
	v_div_scale_f32 v7, vcc, v4, v3, v4
	v_mul_f32_e32 v8, v7, v6
	v_fma_f32 v9, -v5, v8, v7
	v_fmac_f32_e32 v8, v9, v6
	v_fma_f32 v5, -v5, v8, v7
	v_div_fmas_f32 v5, v5, v6, v8
	v_div_fixup_f32 v4, v5, v3, v4
	s_andn2_b64 vcc, exec, s[4:5]
	s_cbranch_vccnz .LBB298_72
.LBB298_34:
	s_load_dwordx2 s[34:35], s[0:1], 0x10
	v_mov_b32_e32 v3, 0
	v_or_b32_e32 v5, 4, v3
	v_or_b32_e32 v6, 8, v3
	;; [unrolled: 1-line block ×3, first 2 shown]
	v_add_u32_e32 v8, 16, v3
	v_add_u32_e32 v9, 20, v3
	;; [unrolled: 1-line block ×14, first 2 shown]
	v_or_b32_e32 v23, 32, v14
	v_or_b32_e32 v24, 64, v14
	;; [unrolled: 1-line block ×17, first 2 shown]
	s_branch .LBB298_36
.LBB298_35:                             ;   in Loop: Header=BB298_36 Depth=1
	s_or_b64 exec, exec, s[0:1]
	s_add_i32 s33, s33, -1
	v_add_u32_e32 v2, 1, v2
	s_cmp_eq_u32 s33, 0
	v_lshl_add_u64 v[0:1], v[0:1], 0, 4
	s_cbranch_scc1 .LBB298_72
.LBB298_36:                             ; =>This Inner Loop Header: Depth=1
	global_load_dword v40, v[0:1], off
	v_mov_b32_e32 v3, 0
	s_waitcnt vmcnt(0)
	v_cmp_eq_u32_e32 vcc, v40, v14
	v_cmp_ne_u32_e64 s[0:1], v40, v14
	s_and_saveexec_b64 s[36:37], s[0:1]
	s_cbranch_execz .LBB298_70
; %bb.37:                               ;   in Loop: Header=BB298_36 Depth=1
	v_cmp_eq_u32_e64 s[0:1], v40, v23
	v_cmp_ne_u32_e64 s[2:3], v40, v23
	v_mov_b32_e32 v3, v5
	s_and_saveexec_b64 s[38:39], s[2:3]
	s_cbranch_execz .LBB298_69
; %bb.38:                               ;   in Loop: Header=BB298_36 Depth=1
	v_cmp_eq_u32_e64 s[2:3], v40, v24
	v_cmp_ne_u32_e64 s[4:5], v40, v24
	v_mov_b32_e32 v3, v6
	;; [unrolled: 6-line block ×16, first 2 shown]
	s_and_saveexec_b64 s[70:71], s[30:31]
	s_xor_b64 s[70:71], exec, s[70:71]
; %bb.53:                               ;   in Loop: Header=BB298_36 Depth=1
	v_cmp_eq_u32_e64 s[30:31], v40, v39
	s_andn2_b64 s[68:69], s[68:69], exec
	s_and_b64 s[30:31], s[30:31], exec
	s_or_b64 s[68:69], s[68:69], s[30:31]
	v_mov_b32_e32 v3, v22
; %bb.54:                               ;   in Loop: Header=BB298_36 Depth=1
	s_or_b64 exec, exec, s[70:71]
	s_andn2_b64 s[28:29], s[28:29], exec
	s_and_b64 s[30:31], s[68:69], exec
	s_or_b64 s[28:29], s[28:29], s[30:31]
.LBB298_55:                             ;   in Loop: Header=BB298_36 Depth=1
	s_or_b64 exec, exec, s[66:67]
	s_andn2_b64 s[26:27], s[26:27], exec
	s_and_b64 s[28:29], s[28:29], exec
	s_or_b64 s[26:27], s[26:27], s[28:29]
.LBB298_56:                             ;   in Loop: Header=BB298_36 Depth=1
	s_or_b64 exec, exec, s[64:65]
	s_andn2_b64 s[24:25], s[24:25], exec
	s_and_b64 s[26:27], s[26:27], exec
	s_or_b64 s[24:25], s[24:25], s[26:27]
.LBB298_57:                             ;   in Loop: Header=BB298_36 Depth=1
	s_or_b64 exec, exec, s[62:63]
	s_andn2_b64 s[22:23], s[22:23], exec
	s_and_b64 s[24:25], s[24:25], exec
	s_or_b64 s[22:23], s[22:23], s[24:25]
.LBB298_58:                             ;   in Loop: Header=BB298_36 Depth=1
	s_or_b64 exec, exec, s[60:61]
	s_andn2_b64 s[20:21], s[20:21], exec
	s_and_b64 s[22:23], s[22:23], exec
	s_or_b64 s[20:21], s[20:21], s[22:23]
.LBB298_59:                             ;   in Loop: Header=BB298_36 Depth=1
	s_or_b64 exec, exec, s[58:59]
	s_andn2_b64 s[18:19], s[18:19], exec
	s_and_b64 s[20:21], s[20:21], exec
	s_or_b64 s[18:19], s[18:19], s[20:21]
.LBB298_60:                             ;   in Loop: Header=BB298_36 Depth=1
	s_or_b64 exec, exec, s[56:57]
	s_andn2_b64 s[16:17], s[16:17], exec
	s_and_b64 s[18:19], s[18:19], exec
	s_or_b64 s[16:17], s[16:17], s[18:19]
.LBB298_61:                             ;   in Loop: Header=BB298_36 Depth=1
	s_or_b64 exec, exec, s[54:55]
	s_andn2_b64 s[14:15], s[14:15], exec
	s_and_b64 s[16:17], s[16:17], exec
	s_or_b64 s[14:15], s[14:15], s[16:17]
.LBB298_62:                             ;   in Loop: Header=BB298_36 Depth=1
	s_or_b64 exec, exec, s[52:53]
	s_andn2_b64 s[12:13], s[12:13], exec
	s_and_b64 s[14:15], s[14:15], exec
	s_or_b64 s[12:13], s[12:13], s[14:15]
.LBB298_63:                             ;   in Loop: Header=BB298_36 Depth=1
	s_or_b64 exec, exec, s[50:51]
	s_andn2_b64 s[10:11], s[10:11], exec
	s_and_b64 s[12:13], s[12:13], exec
	s_or_b64 s[10:11], s[10:11], s[12:13]
.LBB298_64:                             ;   in Loop: Header=BB298_36 Depth=1
	s_or_b64 exec, exec, s[48:49]
	s_andn2_b64 s[8:9], s[8:9], exec
	s_and_b64 s[10:11], s[10:11], exec
	s_or_b64 s[8:9], s[8:9], s[10:11]
.LBB298_65:                             ;   in Loop: Header=BB298_36 Depth=1
	s_or_b64 exec, exec, s[46:47]
	s_andn2_b64 s[6:7], s[6:7], exec
	s_and_b64 s[8:9], s[8:9], exec
	s_or_b64 s[6:7], s[6:7], s[8:9]
.LBB298_66:                             ;   in Loop: Header=BB298_36 Depth=1
	s_or_b64 exec, exec, s[44:45]
	s_andn2_b64 s[4:5], s[4:5], exec
	s_and_b64 s[6:7], s[6:7], exec
	s_or_b64 s[4:5], s[4:5], s[6:7]
.LBB298_67:                             ;   in Loop: Header=BB298_36 Depth=1
	s_or_b64 exec, exec, s[42:43]
	s_andn2_b64 s[2:3], s[2:3], exec
	s_and_b64 s[4:5], s[4:5], exec
	s_or_b64 s[2:3], s[2:3], s[4:5]
.LBB298_68:                             ;   in Loop: Header=BB298_36 Depth=1
	s_or_b64 exec, exec, s[40:41]
	s_andn2_b64 s[0:1], s[0:1], exec
	s_and_b64 s[2:3], s[2:3], exec
	s_or_b64 s[0:1], s[0:1], s[2:3]
.LBB298_69:                             ;   in Loop: Header=BB298_36 Depth=1
	s_or_b64 exec, exec, s[38:39]
	s_andn2_b64 s[2:3], vcc, exec
	s_and_b64 s[0:1], s[0:1], exec
	s_or_b64 vcc, s[2:3], s[0:1]
.LBB298_70:                             ;   in Loop: Header=BB298_36 Depth=1
	s_or_b64 exec, exec, s[36:37]
	s_and_saveexec_b64 s[0:1], vcc
	s_cbranch_execz .LBB298_35
; %bb.71:                               ;   in Loop: Header=BB298_36 Depth=1
	scratch_load_dword v40, v3, off
	v_ashrrev_i32_e32 v3, 31, v2
	s_waitcnt vmcnt(0)
	v_mul_f32_e32 v42, v4, v40
	s_waitcnt lgkmcnt(0)
	v_lshl_add_u64 v[40:41], v[2:3], 2, s[34:35]
	global_store_dword v[40:41], v42, off
	s_branch .LBB298_35
.LBB298_72:
	s_endpgm
	.section	.rodata,"a",@progbits
	.p2align	6, 0x0
	.amdhsa_kernel _ZN4vllm3moe22topkGatingSoftplusSqrtILi18ELi576ELi4ELi2ELi32ELb1Ej6__halfEEvPKT6_PKbPfiPT5_PiiiibdPKfPKS9_SF_
		.amdhsa_group_segment_fixed_size 0
		.amdhsa_private_segment_fixed_size 80
		.amdhsa_kernarg_size 96
		.amdhsa_user_sgpr_count 2
		.amdhsa_user_sgpr_dispatch_ptr 0
		.amdhsa_user_sgpr_queue_ptr 0
		.amdhsa_user_sgpr_kernarg_segment_ptr 1
		.amdhsa_user_sgpr_dispatch_id 0
		.amdhsa_user_sgpr_kernarg_preload_length 0
		.amdhsa_user_sgpr_kernarg_preload_offset 0
		.amdhsa_user_sgpr_private_segment_size 0
		.amdhsa_uses_dynamic_stack 0
		.amdhsa_enable_private_segment 1
		.amdhsa_system_sgpr_workgroup_id_x 1
		.amdhsa_system_sgpr_workgroup_id_y 0
		.amdhsa_system_sgpr_workgroup_id_z 0
		.amdhsa_system_sgpr_workgroup_info 0
		.amdhsa_system_vgpr_workitem_id 1
		.amdhsa_next_free_vgpr 43
		.amdhsa_next_free_sgpr 72
		.amdhsa_accum_offset 44
		.amdhsa_reserve_vcc 1
		.amdhsa_float_round_mode_32 0
		.amdhsa_float_round_mode_16_64 0
		.amdhsa_float_denorm_mode_32 3
		.amdhsa_float_denorm_mode_16_64 3
		.amdhsa_dx10_clamp 1
		.amdhsa_ieee_mode 1
		.amdhsa_fp16_overflow 0
		.amdhsa_tg_split 0
		.amdhsa_exception_fp_ieee_invalid_op 0
		.amdhsa_exception_fp_denorm_src 0
		.amdhsa_exception_fp_ieee_div_zero 0
		.amdhsa_exception_fp_ieee_overflow 0
		.amdhsa_exception_fp_ieee_underflow 0
		.amdhsa_exception_fp_ieee_inexact 0
		.amdhsa_exception_int_div_zero 0
	.end_amdhsa_kernel
	.section	.text._ZN4vllm3moe22topkGatingSoftplusSqrtILi18ELi576ELi4ELi2ELi32ELb1Ej6__halfEEvPKT6_PKbPfiPT5_PiiiibdPKfPKS9_SF_,"axG",@progbits,_ZN4vllm3moe22topkGatingSoftplusSqrtILi18ELi576ELi4ELi2ELi32ELb1Ej6__halfEEvPKT6_PKbPfiPT5_PiiiibdPKfPKS9_SF_,comdat
.Lfunc_end298:
	.size	_ZN4vllm3moe22topkGatingSoftplusSqrtILi18ELi576ELi4ELi2ELi32ELb1Ej6__halfEEvPKT6_PKbPfiPT5_PiiiibdPKfPKS9_SF_, .Lfunc_end298-_ZN4vllm3moe22topkGatingSoftplusSqrtILi18ELi576ELi4ELi2ELi32ELb1Ej6__halfEEvPKT6_PKbPfiPT5_PiiiibdPKfPKS9_SF_
                                        ; -- End function
	.section	.AMDGPU.csdata,"",@progbits
; Kernel info:
; codeLenInByte = 6852
; NumSgprs: 78
; NumVgprs: 43
; NumAgprs: 0
; TotalNumVgprs: 43
; ScratchSize: 80
; MemoryBound: 0
; FloatMode: 240
; IeeeMode: 1
; LDSByteSize: 0 bytes/workgroup (compile time only)
; SGPRBlocks: 9
; VGPRBlocks: 5
; NumSGPRsForWavesPerEU: 78
; NumVGPRsForWavesPerEU: 43
; AccumOffset: 44
; Occupancy: 8
; WaveLimiterHint : 1
; COMPUTE_PGM_RSRC2:SCRATCH_EN: 1
; COMPUTE_PGM_RSRC2:USER_SGPR: 2
; COMPUTE_PGM_RSRC2:TRAP_HANDLER: 0
; COMPUTE_PGM_RSRC2:TGID_X_EN: 1
; COMPUTE_PGM_RSRC2:TGID_Y_EN: 0
; COMPUTE_PGM_RSRC2:TGID_Z_EN: 0
; COMPUTE_PGM_RSRC2:TIDIG_COMP_CNT: 1
; COMPUTE_PGM_RSRC3_GFX90A:ACCUM_OFFSET: 10
; COMPUTE_PGM_RSRC3_GFX90A:TG_SPLIT: 0
	.section	.text._ZN4vllm3moe22topkGatingSoftplusSqrtILi18ELi576ELi4ELi2ELi32ELb0Ej6__halfEEvPKT6_PKbPfiPT5_PiiiibdPKfPKS9_SF_,"axG",@progbits,_ZN4vllm3moe22topkGatingSoftplusSqrtILi18ELi576ELi4ELi2ELi32ELb0Ej6__halfEEvPKT6_PKbPfiPT5_PiiiibdPKfPKS9_SF_,comdat
	.protected	_ZN4vllm3moe22topkGatingSoftplusSqrtILi18ELi576ELi4ELi2ELi32ELb0Ej6__halfEEvPKT6_PKbPfiPT5_PiiiibdPKfPKS9_SF_ ; -- Begin function _ZN4vllm3moe22topkGatingSoftplusSqrtILi18ELi576ELi4ELi2ELi32ELb0Ej6__halfEEvPKT6_PKbPfiPT5_PiiiibdPKfPKS9_SF_
	.globl	_ZN4vllm3moe22topkGatingSoftplusSqrtILi18ELi576ELi4ELi2ELi32ELb0Ej6__halfEEvPKT6_PKbPfiPT5_PiiiibdPKfPKS9_SF_
	.p2align	8
	.type	_ZN4vllm3moe22topkGatingSoftplusSqrtILi18ELi576ELi4ELi2ELi32ELb0Ej6__halfEEvPKT6_PKbPfiPT5_PiiiibdPKfPKS9_SF_,@function
_ZN4vllm3moe22topkGatingSoftplusSqrtILi18ELi576ELi4ELi2ELi32ELb0Ej6__halfEEvPKT6_PKbPfiPT5_PiiiibdPKfPKS9_SF_: ; @_ZN4vllm3moe22topkGatingSoftplusSqrtILi18ELi576ELi4ELi2ELi32ELb0Ej6__halfEEvPKT6_PKbPfiPT5_PiiiibdPKfPKS9_SF_
; %bb.0:
	s_load_dword s30, s[0:1], 0x18
	v_and_b32_e32 v1, 0x3ff, v0
	s_lshl_b32 s2, s2, 2
	v_lshrrev_b32_e32 v2, 5, v1
	v_bfe_u32 v0, v0, 10, 10
	v_add3_u32 v16, s2, v0, v2
	s_waitcnt lgkmcnt(0)
	v_cmp_gt_i32_e32 vcc, s30, v16
	s_and_saveexec_b64 s[2:3], vcc
	s_cbranch_execz .LBB299_83
; %bb.1:
	s_load_dwordx4 s[4:7], s[0:1], 0x0
	s_load_dwordx2 s[20:21], s[0:1], 0x10
	s_waitcnt lgkmcnt(0)
	s_cmp_eq_u64 s[6:7], 0
	s_cbranch_scc1 .LBB299_3
; %bb.2:
	v_ashrrev_i32_e32 v17, 31, v16
	v_lshl_add_u64 v[2:3], s[6:7], 0, v[16:17]
	global_load_ubyte v0, v[2:3], off
	s_waitcnt vmcnt(0)
	v_and_b32_e32 v0, 1, v0
	v_cmp_eq_u32_e32 vcc, 1, v0
	s_xor_b64 s[2:3], vcc, -1
	s_orn2_b64 s[22:23], s[2:3], exec
	s_branch .LBB299_4
.LBB299_3:
	s_mov_b64 s[22:23], -1
.LBB299_4:
	s_movk_i32 s2, 0x240
	v_mul_lo_u32 v4, v16, s2
	v_mov_b32_e32 v2, s4
	v_mov_b32_e32 v3, s5
	v_ashrrev_i32_e32 v5, 31, v4
	v_and_b32_e32 v18, 31, v1
	v_lshl_add_u64 v[2:3], v[4:5], 1, v[2:3]
	v_mov_b32_e32 v1, 0
	v_lshlrev_b32_e32 v0, 1, v18
	v_lshl_add_u64 v[0:1], v[2:3], 0, v[0:1]
	global_load_ushort v41, v[0:1], off
	global_load_ushort v37, v[0:1], off offset:64
	global_load_ushort v36, v[0:1], off offset:128
	;; [unrolled: 1-line block ×17, first 2 shown]
	s_mov_b32 s16, 0x800000
	v_mov_b32_e32 v39, 0x4f800000
	s_mov_b32 s13, 0x3f317217
	s_mov_b32 s14, 0x7f800000
	v_mov_b32_e32 v40, 0x41b17218
	s_movk_i32 s12, 0x4d00
	s_mov_b32 s15, 0xf800000
	s_load_dwordx4 s[8:11], s[0:1], 0x40
	v_mov_b32_e32 v38, 0x260
	v_lshlrev_b32_e32 v19, 2, v18
	s_waitcnt lgkmcnt(0)
	s_cmp_lg_u64 s[10:11], 0
	s_cselect_b64 s[6:7], -1, 0
	s_and_b64 vcc, exec, s[6:7]
	s_waitcnt vmcnt(17)
	v_cvt_f32_f16_e32 v12, v41
	s_waitcnt vmcnt(16)
	v_cvt_f32_f16_e32 v13, v37
	s_waitcnt vmcnt(15)
	v_cvt_f32_f16_e32 v14, v36
	s_waitcnt vmcnt(14)
	v_cvt_f32_f16_e32 v15, v35
	v_mul_f32_e32 v3, 0x3fb8aa3b, v12
	v_exp_f32_e32 v42, v3
	s_waitcnt vmcnt(13)
	v_cvt_f32_f16_e32 v8, v34
	s_waitcnt vmcnt(12)
	v_cvt_f32_f16_e32 v9, v33
	;; [unrolled: 2-line block ×3, first 2 shown]
	v_add_f32_e32 v42, 1.0, v42
	v_cmp_gt_f32_e64 s[2:3], s16, v42
	s_waitcnt vmcnt(10)
	v_cvt_f32_f16_e32 v11, v31
	scratch_store_dwordx4 off, v[12:15], off
	scratch_store_dwordx4 off, v[8:11], off offset:16
	v_cndmask_b32_e64 v43, 1.0, v39, s[2:3]
	v_mul_f32_e32 v42, v42, v43
	v_log_f32_e32 v42, v42
	v_cndmask_b32_e64 v43, 0, v40, s[2:3]
	s_waitcnt vmcnt(11)
	v_cvt_f32_f16_e32 v4, v30
	s_waitcnt vmcnt(10)
	v_cvt_f32_f16_e32 v5, v29
	v_mul_f32_e32 v44, 0x3f317217, v42
	v_fma_f32 v44, v42, s13, -v44
	v_fmac_f32_e32 v44, 0x3377d1cf, v42
	v_fmac_f32_e32 v44, 0x3f317217, v42
	v_cmp_lt_f32_e64 s[2:3], |v42|, s14
	s_waitcnt vmcnt(9)
	v_cvt_f32_f16_e32 v6, v28
	s_waitcnt vmcnt(8)
	v_cvt_f32_f16_e32 v7, v27
	v_cndmask_b32_e64 v42, v42, v44, s[2:3]
	v_sub_f32_e32 v42, v42, v43
	v_cmp_lt_f16_e64 s[2:3], s12, v41
	s_waitcnt vmcnt(7)
	v_cvt_f32_f16_e32 v0, v26
	s_waitcnt vmcnt(6)
	v_cvt_f32_f16_e32 v1, v25
	v_cndmask_b32_e64 v12, v42, v12, s[2:3]
	v_mul_f32_e32 v41, 0x4f800000, v12
	v_cmp_gt_f32_e64 s[2:3], s15, v12
	s_waitcnt vmcnt(5)
	v_cvt_f32_f16_e32 v2, v24
	s_waitcnt vmcnt(4)
	v_cvt_f32_f16_e32 v3, v23
	v_cndmask_b32_e64 v12, v12, v41, s[2:3]
	v_sqrt_f32_e32 v41, v12
	s_waitcnt vmcnt(3)
	v_cvt_f32_f16_e32 v20, v22
	s_waitcnt vmcnt(2)
	v_cvt_f32_f16_e32 v21, v17
	scratch_store_dwordx4 off, v[4:7], off offset:32
	scratch_store_dwordx4 off, v[0:3], off offset:48
	scratch_store_dwordx2 off, v[20:21], off offset:64
	v_add_u32_e32 v42, -1, v41
	v_add_u32_e32 v43, 1, v41
	v_fma_f32 v44, -v42, v41, v12
	v_fma_f32 v45, -v43, v41, v12
	v_cmp_ge_f32_e64 s[4:5], 0, v44
	s_nop 1
	v_cndmask_b32_e64 v41, v41, v42, s[4:5]
	v_cmp_lt_f32_e64 s[4:5], 0, v45
	s_nop 1
	v_cndmask_b32_e64 v41, v41, v43, s[4:5]
	v_mul_f32_e32 v42, 0x37800000, v41
	v_cndmask_b32_e64 v41, v41, v42, s[2:3]
	v_cmp_class_f32_e64 s[2:3], v12, v38
	s_nop 1
	v_cndmask_b32_e64 v12, v41, v12, s[2:3]
	s_cbranch_vccz .LBB299_6
; %bb.5:
	global_load_dword v41, v19, s[10:11]
	s_waitcnt vmcnt(0)
	v_add_f32_e32 v12, v12, v41
.LBB299_6:
	v_mul_f32_e32 v41, 0x3fb8aa3b, v13
	v_exp_f32_e32 v41, v41
	scratch_store_dword off, v12, off
	v_add_f32_e32 v41, 1.0, v41
	v_cmp_gt_f32_e32 vcc, s16, v41
	s_nop 1
	v_cndmask_b32_e32 v39, 1.0, v39, vcc
	v_mul_f32_e32 v39, v41, v39
	v_log_f32_e32 v39, v39
	v_cndmask_b32_e32 v40, 0, v40, vcc
	v_mul_f32_e32 v41, 0x3f317217, v39
	v_fma_f32 v41, v39, s13, -v41
	v_fmac_f32_e32 v41, 0x3377d1cf, v39
	v_fmac_f32_e32 v41, 0x3f317217, v39
	v_cmp_lt_f32_e64 vcc, |v39|, s14
	s_nop 1
	v_cndmask_b32_e32 v39, v39, v41, vcc
	v_sub_f32_e32 v39, v39, v40
	v_cmp_lt_f16_e32 vcc, s12, v37
	s_nop 1
	v_cndmask_b32_e32 v13, v39, v13, vcc
	v_mul_f32_e32 v37, 0x4f800000, v13
	v_cmp_gt_f32_e32 vcc, s15, v13
	s_nop 1
	v_cndmask_b32_e32 v13, v13, v37, vcc
	v_sqrt_f32_e32 v37, v13
	v_cmp_class_f32_e64 s[4:5], v13, v38
	v_add_u32_e32 v12, -1, v37
	v_add_u32_e32 v39, 1, v37
	v_fma_f32 v40, -v12, v37, v13
	v_fma_f32 v41, -v39, v37, v13
	v_cmp_ge_f32_e64 s[2:3], 0, v40
	s_nop 1
	v_cndmask_b32_e64 v12, v37, v12, s[2:3]
	v_cmp_lt_f32_e64 s[2:3], 0, v41
	s_nop 1
	v_cndmask_b32_e64 v12, v12, v39, s[2:3]
	v_mul_f32_e32 v37, 0x37800000, v12
	v_cndmask_b32_e32 v12, v12, v37, vcc
	v_cndmask_b32_e64 v37, 0, 1, s[6:7]
	v_cmp_ne_u32_e64 s[2:3], 1, v37
	s_andn2_b64 vcc, exec, s[6:7]
	v_cndmask_b32_e64 v13, v12, v13, s[4:5]
	s_cbranch_vccnz .LBB299_8
; %bb.7:
	global_load_dword v12, v19, s[10:11] offset:128
	s_waitcnt vmcnt(0)
	v_add_f32_e32 v13, v13, v12
.LBB299_8:
	v_mul_f32_e32 v12, 0x3fb8aa3b, v14
	v_exp_f32_e32 v37, v12
	s_mov_b32 s13, 0x800000
	v_mov_b32_e32 v12, 0x4f800000
	s_mov_b32 s7, 0x3f317217
	v_add_f32_e32 v37, 1.0, v37
	v_cmp_gt_f32_e32 vcc, s13, v37
	s_mov_b32 s12, 0x7f800000
	s_movk_i32 s6, 0x4d00
	v_cndmask_b32_e32 v38, 1.0, v12, vcc
	v_mul_f32_e32 v37, v37, v38
	v_log_f32_e32 v37, v37
	s_mov_b32 s14, 0xf800000
	scratch_store_dword off, v13, off offset:4
	v_mul_f32_e32 v38, 0x3f317217, v37
	v_fma_f32 v38, v37, s7, -v38
	v_fmac_f32_e32 v38, 0x3377d1cf, v37
	v_fmac_f32_e32 v38, 0x3f317217, v37
	v_cmp_lt_f32_e64 s[4:5], |v37|, s12
	s_nop 1
	v_cndmask_b32_e64 v38, v37, v38, s[4:5]
	v_mov_b32_e32 v37, 0x41b17218
	v_cndmask_b32_e32 v39, 0, v37, vcc
	v_sub_f32_e32 v38, v38, v39
	v_cmp_lt_f16_e32 vcc, s6, v36
	s_nop 1
	v_cndmask_b32_e32 v14, v38, v14, vcc
	v_mul_f32_e32 v36, 0x4f800000, v14
	v_cmp_gt_f32_e32 vcc, s14, v14
	s_nop 1
	v_cndmask_b32_e32 v14, v14, v36, vcc
	v_sqrt_f32_e32 v36, v14
	s_nop 0
	v_add_u32_e32 v13, -1, v36
	v_fma_f32 v38, -v13, v36, v14
	v_cmp_ge_f32_e64 s[4:5], 0, v38
	v_add_u32_e32 v38, 1, v36
	s_nop 0
	v_cndmask_b32_e64 v13, v36, v13, s[4:5]
	v_fma_f32 v36, -v38, v36, v14
	v_cmp_lt_f32_e64 s[4:5], 0, v36
	s_nop 1
	v_cndmask_b32_e64 v13, v13, v38, s[4:5]
	v_mul_f32_e32 v36, 0x37800000, v13
	v_cndmask_b32_e32 v36, v13, v36, vcc
	v_mov_b32_e32 v13, 0x260
	v_cmp_class_f32_e64 s[4:5], v14, v13
	s_and_b64 vcc, exec, s[2:3]
	s_nop 0
	v_cndmask_b32_e64 v14, v36, v14, s[4:5]
	s_cbranch_vccnz .LBB299_10
; %bb.9:
	global_load_dword v36, v19, s[10:11] offset:256
	s_waitcnt vmcnt(0)
	v_add_f32_e32 v14, v14, v36
.LBB299_10:
	v_mul_f32_e32 v36, 0x3fb8aa3b, v15
	v_exp_f32_e32 v36, v36
	scratch_store_dword off, v14, off offset:8
	v_add_f32_e32 v36, 1.0, v36
	v_cmp_gt_f32_e32 vcc, s13, v36
	s_nop 1
	v_cndmask_b32_e32 v12, 1.0, v12, vcc
	v_mul_f32_e32 v12, v36, v12
	v_log_f32_e32 v12, v12
	v_cndmask_b32_e32 v36, 0, v37, vcc
	v_mul_f32_e32 v37, 0x3f317217, v12
	v_fma_f32 v37, v12, s7, -v37
	v_fmac_f32_e32 v37, 0x3377d1cf, v12
	v_fmac_f32_e32 v37, 0x3f317217, v12
	v_cmp_lt_f32_e64 vcc, |v12|, s12
	s_nop 1
	v_cndmask_b32_e32 v12, v12, v37, vcc
	v_sub_f32_e32 v12, v12, v36
	v_cmp_lt_f16_e32 vcc, s6, v35
	s_nop 1
	v_cndmask_b32_e32 v12, v12, v15, vcc
	v_mul_f32_e32 v15, 0x4f800000, v12
	v_cmp_gt_f32_e32 vcc, s14, v12
	s_nop 1
	v_cndmask_b32_e32 v12, v12, v15, vcc
	v_sqrt_f32_e32 v15, v12
	s_nop 0
	v_add_u32_e32 v14, -1, v15
	v_add_u32_e32 v35, 1, v15
	v_fma_f32 v36, -v14, v15, v12
	v_fma_f32 v37, -v35, v15, v12
	v_cmp_ge_f32_e64 s[4:5], 0, v36
	s_nop 1
	v_cndmask_b32_e64 v14, v15, v14, s[4:5]
	v_cmp_lt_f32_e64 s[4:5], 0, v37
	s_nop 1
	v_cndmask_b32_e64 v14, v14, v35, s[4:5]
	v_mul_f32_e32 v15, 0x37800000, v14
	v_cndmask_b32_e32 v14, v14, v15, vcc
	v_cmp_class_f32_e64 s[4:5], v12, v13
	s_and_b64 vcc, exec, s[2:3]
	s_nop 0
	v_cndmask_b32_e64 v14, v14, v12, s[4:5]
	s_cbranch_vccnz .LBB299_12
; %bb.11:
	global_load_dword v12, v19, s[10:11] offset:384
	s_waitcnt vmcnt(0)
	v_add_f32_e32 v14, v14, v12
.LBB299_12:
	v_mul_f32_e32 v12, 0x3fb8aa3b, v8
	v_exp_f32_e32 v13, v12
	v_mov_b32_e32 v12, 0x4f800000
	scratch_store_dword off, v14, off offset:12
	v_add_f32_e32 v13, 1.0, v13
	v_cmp_gt_f32_e32 vcc, s13, v13
	s_nop 1
	v_cndmask_b32_e32 v15, 1.0, v12, vcc
	v_mul_f32_e32 v13, v13, v15
	v_log_f32_e32 v13, v13
	s_nop 0
	v_mul_f32_e32 v15, 0x3f317217, v13
	v_fma_f32 v15, v13, s7, -v15
	v_fmac_f32_e32 v15, 0x3377d1cf, v13
	v_fmac_f32_e32 v15, 0x3f317217, v13
	v_cmp_lt_f32_e64 s[4:5], |v13|, s12
	s_nop 1
	v_cndmask_b32_e64 v15, v13, v15, s[4:5]
	v_mov_b32_e32 v13, 0x41b17218
	v_cndmask_b32_e32 v35, 0, v13, vcc
	v_sub_f32_e32 v15, v15, v35
	v_cmp_lt_f16_e32 vcc, s6, v34
	s_nop 1
	v_cndmask_b32_e32 v8, v15, v8, vcc
	v_mul_f32_e32 v15, 0x4f800000, v8
	v_cmp_gt_f32_e32 vcc, s14, v8
	s_nop 1
	v_cndmask_b32_e32 v15, v8, v15, vcc
	v_sqrt_f32_e32 v8, v15
	s_nop 0
	v_add_u32_e32 v14, -1, v8
	v_fma_f32 v34, -v14, v8, v15
	v_cmp_ge_f32_e64 s[4:5], 0, v34
	v_add_u32_e32 v34, 1, v8
	s_nop 0
	v_cndmask_b32_e64 v14, v8, v14, s[4:5]
	v_fma_f32 v8, -v34, v8, v15
	v_cmp_lt_f32_e64 s[4:5], 0, v8
	s_nop 1
	v_cndmask_b32_e64 v8, v14, v34, s[4:5]
	v_mul_f32_e32 v14, 0x37800000, v8
	v_cndmask_b32_e32 v14, v8, v14, vcc
	v_mov_b32_e32 v8, 0x260
	v_cmp_class_f32_e64 s[4:5], v15, v8
	s_and_b64 vcc, exec, s[2:3]
	s_nop 0
	v_cndmask_b32_e64 v14, v14, v15, s[4:5]
	s_cbranch_vccnz .LBB299_14
; %bb.13:
	global_load_dword v15, v19, s[10:11] offset:512
	s_waitcnt vmcnt(0)
	v_add_f32_e32 v14, v14, v15
.LBB299_14:
	v_mul_f32_e32 v15, 0x3fb8aa3b, v9
	v_exp_f32_e32 v15, v15
	scratch_store_dword off, v14, off offset:16
	v_add_f32_e32 v15, 1.0, v15
	v_cmp_gt_f32_e32 vcc, s13, v15
	s_nop 1
	v_cndmask_b32_e32 v12, 1.0, v12, vcc
	v_mul_f32_e32 v12, v15, v12
	v_log_f32_e32 v12, v12
	v_cndmask_b32_e32 v13, 0, v13, vcc
	v_mul_f32_e32 v15, 0x3f317217, v12
	v_fma_f32 v15, v12, s7, -v15
	v_fmac_f32_e32 v15, 0x3377d1cf, v12
	v_fmac_f32_e32 v15, 0x3f317217, v12
	v_cmp_lt_f32_e64 vcc, |v12|, s12
	s_nop 1
	v_cndmask_b32_e32 v12, v12, v15, vcc
	v_sub_f32_e32 v12, v12, v13
	v_cmp_lt_f16_e32 vcc, s6, v33
	s_nop 1
	v_cndmask_b32_e32 v9, v12, v9, vcc
	v_mul_f32_e32 v12, 0x4f800000, v9
	v_cmp_gt_f32_e32 vcc, s14, v9
	s_nop 1
	v_cndmask_b32_e32 v9, v9, v12, vcc
	v_sqrt_f32_e32 v12, v9
	s_nop 0
	v_add_u32_e32 v13, -1, v12
	v_add_u32_e32 v14, 1, v12
	v_fma_f32 v15, -v13, v12, v9
	v_fma_f32 v33, -v14, v12, v9
	v_cmp_ge_f32_e64 s[4:5], 0, v15
	s_nop 1
	v_cndmask_b32_e64 v12, v12, v13, s[4:5]
	v_cmp_lt_f32_e64 s[4:5], 0, v33
	s_nop 1
	v_cndmask_b32_e64 v12, v12, v14, s[4:5]
	v_mul_f32_e32 v13, 0x37800000, v12
	v_cndmask_b32_e32 v12, v12, v13, vcc
	v_cmp_class_f32_e64 s[4:5], v9, v8
	s_and_b64 vcc, exec, s[2:3]
	s_nop 0
	v_cndmask_b32_e64 v9, v12, v9, s[4:5]
	s_cbranch_vccnz .LBB299_16
; %bb.15:
	global_load_dword v8, v19, s[10:11] offset:640
	s_waitcnt vmcnt(0)
	v_add_f32_e32 v9, v9, v8
.LBB299_16:
	v_mul_f32_e32 v8, 0x3fb8aa3b, v10
	v_exp_f32_e32 v12, v8
	v_mov_b32_e32 v8, 0x4f800000
	scratch_store_dword off, v9, off offset:20
	v_add_f32_e32 v12, 1.0, v12
	v_cmp_gt_f32_e32 vcc, s13, v12
	s_nop 1
	v_cndmask_b32_e32 v13, 1.0, v8, vcc
	v_mul_f32_e32 v12, v12, v13
	v_log_f32_e32 v12, v12
	s_nop 0
	v_mul_f32_e32 v13, 0x3f317217, v12
	v_fma_f32 v13, v12, s7, -v13
	v_fmac_f32_e32 v13, 0x3377d1cf, v12
	v_fmac_f32_e32 v13, 0x3f317217, v12
	v_cmp_lt_f32_e64 s[4:5], |v12|, s12
	s_nop 1
	v_cndmask_b32_e64 v13, v12, v13, s[4:5]
	v_mov_b32_e32 v12, 0x41b17218
	v_cndmask_b32_e32 v14, 0, v12, vcc
	v_sub_f32_e32 v13, v13, v14
	v_cmp_lt_f16_e32 vcc, s6, v32
	s_nop 1
	v_cndmask_b32_e32 v10, v13, v10, vcc
	v_mul_f32_e32 v13, 0x4f800000, v10
	v_cmp_gt_f32_e32 vcc, s14, v10
	s_nop 1
	v_cndmask_b32_e32 v10, v10, v13, vcc
	v_sqrt_f32_e32 v13, v10
	s_nop 0
	v_add_u32_e32 v9, -1, v13
	v_fma_f32 v14, -v9, v13, v10
	v_cmp_ge_f32_e64 s[4:5], 0, v14
	v_add_u32_e32 v14, 1, v13
	s_nop 0
	v_cndmask_b32_e64 v9, v13, v9, s[4:5]
	v_fma_f32 v13, -v14, v13, v10
	v_cmp_lt_f32_e64 s[4:5], 0, v13
	s_nop 1
	v_cndmask_b32_e64 v9, v9, v14, s[4:5]
	v_mul_f32_e32 v13, 0x37800000, v9
	v_cndmask_b32_e32 v13, v9, v13, vcc
	v_mov_b32_e32 v9, 0x260
	v_cmp_class_f32_e64 s[4:5], v10, v9
	s_and_b64 vcc, exec, s[2:3]
	s_nop 0
	v_cndmask_b32_e64 v10, v13, v10, s[4:5]
	s_cbranch_vccnz .LBB299_18
; %bb.17:
	global_load_dword v13, v19, s[10:11] offset:768
	s_waitcnt vmcnt(0)
	v_add_f32_e32 v10, v10, v13
.LBB299_18:
	v_mul_f32_e32 v13, 0x3fb8aa3b, v11
	v_exp_f32_e32 v13, v13
	scratch_store_dword off, v10, off offset:24
	v_add_f32_e32 v13, 1.0, v13
	v_cmp_gt_f32_e32 vcc, s13, v13
	s_nop 1
	v_cndmask_b32_e32 v8, 1.0, v8, vcc
	v_mul_f32_e32 v8, v13, v8
	v_log_f32_e32 v8, v8
	v_cndmask_b32_e32 v12, 0, v12, vcc
	v_mul_f32_e32 v13, 0x3f317217, v8
	v_fma_f32 v13, v8, s7, -v13
	v_fmac_f32_e32 v13, 0x3377d1cf, v8
	v_fmac_f32_e32 v13, 0x3f317217, v8
	v_cmp_lt_f32_e64 vcc, |v8|, s12
	s_nop 1
	v_cndmask_b32_e32 v8, v8, v13, vcc
	v_sub_f32_e32 v8, v8, v12
	v_cmp_lt_f16_e32 vcc, s6, v31
	s_nop 1
	v_cndmask_b32_e32 v8, v8, v11, vcc
	v_mul_f32_e32 v11, 0x4f800000, v8
	v_cmp_gt_f32_e32 vcc, s14, v8
	s_nop 1
	v_cndmask_b32_e32 v8, v8, v11, vcc
	v_sqrt_f32_e32 v11, v8
	s_nop 0
	v_add_u32_e32 v10, -1, v11
	v_add_u32_e32 v12, 1, v11
	v_fma_f32 v13, -v10, v11, v8
	v_fma_f32 v14, -v12, v11, v8
	v_cmp_ge_f32_e64 s[4:5], 0, v13
	s_nop 1
	v_cndmask_b32_e64 v10, v11, v10, s[4:5]
	v_cmp_lt_f32_e64 s[4:5], 0, v14
	s_nop 1
	v_cndmask_b32_e64 v10, v10, v12, s[4:5]
	v_mul_f32_e32 v11, 0x37800000, v10
	v_cndmask_b32_e32 v10, v10, v11, vcc
	v_cmp_class_f32_e64 s[4:5], v8, v9
	s_and_b64 vcc, exec, s[2:3]
	s_nop 0
	v_cndmask_b32_e64 v10, v10, v8, s[4:5]
	s_cbranch_vccnz .LBB299_20
; %bb.19:
	global_load_dword v8, v19, s[10:11] offset:896
	s_waitcnt vmcnt(0)
	v_add_f32_e32 v10, v10, v8
.LBB299_20:
	v_mul_f32_e32 v8, 0x3fb8aa3b, v4
	v_exp_f32_e32 v9, v8
	v_mov_b32_e32 v8, 0x4f800000
	scratch_store_dword off, v10, off offset:28
	v_add_f32_e32 v9, 1.0, v9
	v_cmp_gt_f32_e32 vcc, s13, v9
	s_nop 1
	v_cndmask_b32_e32 v11, 1.0, v8, vcc
	v_mul_f32_e32 v9, v9, v11
	v_log_f32_e32 v9, v9
	s_nop 0
	v_mul_f32_e32 v11, 0x3f317217, v9
	v_fma_f32 v11, v9, s7, -v11
	v_fmac_f32_e32 v11, 0x3377d1cf, v9
	v_fmac_f32_e32 v11, 0x3f317217, v9
	v_cmp_lt_f32_e64 s[4:5], |v9|, s12
	s_nop 1
	v_cndmask_b32_e64 v11, v9, v11, s[4:5]
	v_mov_b32_e32 v9, 0x41b17218
	v_cndmask_b32_e32 v12, 0, v9, vcc
	v_sub_f32_e32 v11, v11, v12
	v_cmp_lt_f16_e32 vcc, s6, v30
	s_nop 1
	v_cndmask_b32_e32 v4, v11, v4, vcc
	v_mul_f32_e32 v11, 0x4f800000, v4
	v_cmp_gt_f32_e32 vcc, s14, v4
	s_nop 1
	v_cndmask_b32_e32 v11, v4, v11, vcc
	v_sqrt_f32_e32 v4, v11
	s_nop 0
	v_add_u32_e32 v10, -1, v4
	v_fma_f32 v12, -v10, v4, v11
	v_cmp_ge_f32_e64 s[4:5], 0, v12
	v_add_u32_e32 v12, 1, v4
	s_nop 0
	v_cndmask_b32_e64 v10, v4, v10, s[4:5]
	v_fma_f32 v4, -v12, v4, v11
	v_cmp_lt_f32_e64 s[4:5], 0, v4
	s_nop 1
	v_cndmask_b32_e64 v4, v10, v12, s[4:5]
	v_mul_f32_e32 v10, 0x37800000, v4
	v_cndmask_b32_e32 v10, v4, v10, vcc
	v_mov_b32_e32 v4, 0x260
	v_cmp_class_f32_e64 s[4:5], v11, v4
	s_and_b64 vcc, exec, s[2:3]
	s_nop 0
	v_cndmask_b32_e64 v10, v10, v11, s[4:5]
	s_cbranch_vccnz .LBB299_22
; %bb.21:
	global_load_dword v11, v19, s[10:11] offset:1024
	s_waitcnt vmcnt(0)
	v_add_f32_e32 v10, v10, v11
.LBB299_22:
	v_mul_f32_e32 v11, 0x3fb8aa3b, v5
	v_exp_f32_e32 v11, v11
	scratch_store_dword off, v10, off offset:32
	v_add_f32_e32 v11, 1.0, v11
	v_cmp_gt_f32_e32 vcc, s13, v11
	s_nop 1
	v_cndmask_b32_e32 v8, 1.0, v8, vcc
	v_mul_f32_e32 v8, v11, v8
	v_log_f32_e32 v8, v8
	v_cndmask_b32_e32 v9, 0, v9, vcc
	v_mul_f32_e32 v11, 0x3f317217, v8
	v_fma_f32 v11, v8, s7, -v11
	v_fmac_f32_e32 v11, 0x3377d1cf, v8
	v_fmac_f32_e32 v11, 0x3f317217, v8
	v_cmp_lt_f32_e64 vcc, |v8|, s12
	s_nop 1
	v_cndmask_b32_e32 v8, v8, v11, vcc
	v_sub_f32_e32 v8, v8, v9
	v_cmp_lt_f16_e32 vcc, s6, v29
	s_nop 1
	v_cndmask_b32_e32 v5, v8, v5, vcc
	v_mul_f32_e32 v8, 0x4f800000, v5
	v_cmp_gt_f32_e32 vcc, s14, v5
	s_nop 1
	v_cndmask_b32_e32 v5, v5, v8, vcc
	v_sqrt_f32_e32 v8, v5
	s_nop 0
	v_add_u32_e32 v9, -1, v8
	v_add_u32_e32 v10, 1, v8
	v_fma_f32 v11, -v9, v8, v5
	v_fma_f32 v12, -v10, v8, v5
	v_cmp_ge_f32_e64 s[4:5], 0, v11
	s_nop 1
	v_cndmask_b32_e64 v8, v8, v9, s[4:5]
	v_cmp_lt_f32_e64 s[4:5], 0, v12
	s_nop 1
	v_cndmask_b32_e64 v8, v8, v10, s[4:5]
	v_mul_f32_e32 v9, 0x37800000, v8
	v_cndmask_b32_e32 v8, v8, v9, vcc
	v_cmp_class_f32_e64 s[4:5], v5, v4
	s_and_b64 vcc, exec, s[2:3]
	s_nop 0
	v_cndmask_b32_e64 v5, v8, v5, s[4:5]
	s_cbranch_vccnz .LBB299_24
; %bb.23:
	global_load_dword v4, v19, s[10:11] offset:1152
	s_waitcnt vmcnt(0)
	v_add_f32_e32 v5, v5, v4
.LBB299_24:
	v_mul_f32_e32 v4, 0x3fb8aa3b, v6
	v_exp_f32_e32 v8, v4
	v_mov_b32_e32 v4, 0x4f800000
	scratch_store_dword off, v5, off offset:36
	v_add_f32_e32 v8, 1.0, v8
	v_cmp_gt_f32_e32 vcc, s13, v8
	s_nop 1
	v_cndmask_b32_e32 v9, 1.0, v4, vcc
	v_mul_f32_e32 v8, v8, v9
	v_log_f32_e32 v8, v8
	s_nop 0
	v_mul_f32_e32 v9, 0x3f317217, v8
	v_fma_f32 v9, v8, s7, -v9
	v_fmac_f32_e32 v9, 0x3377d1cf, v8
	v_fmac_f32_e32 v9, 0x3f317217, v8
	v_cmp_lt_f32_e64 s[4:5], |v8|, s12
	s_nop 1
	v_cndmask_b32_e64 v9, v8, v9, s[4:5]
	v_mov_b32_e32 v8, 0x41b17218
	v_cndmask_b32_e32 v10, 0, v8, vcc
	v_sub_f32_e32 v9, v9, v10
	v_cmp_lt_f16_e32 vcc, s6, v28
	s_nop 1
	v_cndmask_b32_e32 v6, v9, v6, vcc
	v_mul_f32_e32 v9, 0x4f800000, v6
	v_cmp_gt_f32_e32 vcc, s14, v6
	s_nop 1
	v_cndmask_b32_e32 v6, v6, v9, vcc
	v_sqrt_f32_e32 v9, v6
	s_nop 0
	v_add_u32_e32 v5, -1, v9
	v_fma_f32 v10, -v5, v9, v6
	v_cmp_ge_f32_e64 s[4:5], 0, v10
	v_add_u32_e32 v10, 1, v9
	s_nop 0
	v_cndmask_b32_e64 v5, v9, v5, s[4:5]
	v_fma_f32 v9, -v10, v9, v6
	v_cmp_lt_f32_e64 s[4:5], 0, v9
	s_nop 1
	v_cndmask_b32_e64 v5, v5, v10, s[4:5]
	v_mul_f32_e32 v9, 0x37800000, v5
	v_cndmask_b32_e32 v9, v5, v9, vcc
	v_mov_b32_e32 v5, 0x260
	v_cmp_class_f32_e64 s[4:5], v6, v5
	s_and_b64 vcc, exec, s[2:3]
	s_nop 0
	v_cndmask_b32_e64 v6, v9, v6, s[4:5]
	s_cbranch_vccnz .LBB299_26
; %bb.25:
	global_load_dword v9, v19, s[10:11] offset:1280
	s_waitcnt vmcnt(0)
	v_add_f32_e32 v6, v6, v9
.LBB299_26:
	v_mul_f32_e32 v9, 0x3fb8aa3b, v7
	v_exp_f32_e32 v9, v9
	scratch_store_dword off, v6, off offset:40
	v_add_f32_e32 v9, 1.0, v9
	v_cmp_gt_f32_e32 vcc, s13, v9
	s_nop 1
	v_cndmask_b32_e32 v4, 1.0, v4, vcc
	v_mul_f32_e32 v4, v9, v4
	v_log_f32_e32 v4, v4
	v_cndmask_b32_e32 v8, 0, v8, vcc
	v_mul_f32_e32 v9, 0x3f317217, v4
	v_fma_f32 v9, v4, s7, -v9
	v_fmac_f32_e32 v9, 0x3377d1cf, v4
	v_fmac_f32_e32 v9, 0x3f317217, v4
	v_cmp_lt_f32_e64 vcc, |v4|, s12
	s_nop 1
	v_cndmask_b32_e32 v4, v4, v9, vcc
	v_sub_f32_e32 v4, v4, v8
	v_cmp_lt_f16_e32 vcc, s6, v27
	s_nop 1
	v_cndmask_b32_e32 v4, v4, v7, vcc
	v_mul_f32_e32 v7, 0x4f800000, v4
	v_cmp_gt_f32_e32 vcc, s14, v4
	s_nop 1
	v_cndmask_b32_e32 v4, v4, v7, vcc
	v_sqrt_f32_e32 v7, v4
	s_nop 0
	v_add_u32_e32 v6, -1, v7
	v_add_u32_e32 v8, 1, v7
	v_fma_f32 v9, -v6, v7, v4
	v_fma_f32 v10, -v8, v7, v4
	v_cmp_ge_f32_e64 s[4:5], 0, v9
	s_nop 1
	v_cndmask_b32_e64 v6, v7, v6, s[4:5]
	v_cmp_lt_f32_e64 s[4:5], 0, v10
	s_nop 1
	v_cndmask_b32_e64 v6, v6, v8, s[4:5]
	v_mul_f32_e32 v7, 0x37800000, v6
	v_cndmask_b32_e32 v6, v6, v7, vcc
	v_cmp_class_f32_e64 s[4:5], v4, v5
	s_and_b64 vcc, exec, s[2:3]
	s_nop 0
	v_cndmask_b32_e64 v6, v6, v4, s[4:5]
	s_cbranch_vccnz .LBB299_28
; %bb.27:
	global_load_dword v4, v19, s[10:11] offset:1408
	s_waitcnt vmcnt(0)
	v_add_f32_e32 v6, v6, v4
.LBB299_28:
	v_mul_f32_e32 v4, 0x3fb8aa3b, v0
	v_exp_f32_e32 v5, v4
	v_mov_b32_e32 v4, 0x4f800000
	scratch_store_dword off, v6, off offset:44
	v_add_f32_e32 v5, 1.0, v5
	v_cmp_gt_f32_e32 vcc, s13, v5
	s_nop 1
	v_cndmask_b32_e32 v7, 1.0, v4, vcc
	v_mul_f32_e32 v5, v5, v7
	v_log_f32_e32 v5, v5
	s_nop 0
	v_mul_f32_e32 v7, 0x3f317217, v5
	v_fma_f32 v7, v5, s7, -v7
	v_fmac_f32_e32 v7, 0x3377d1cf, v5
	v_fmac_f32_e32 v7, 0x3f317217, v5
	v_cmp_lt_f32_e64 s[4:5], |v5|, s12
	s_nop 1
	v_cndmask_b32_e64 v7, v5, v7, s[4:5]
	v_mov_b32_e32 v5, 0x41b17218
	v_cndmask_b32_e32 v8, 0, v5, vcc
	v_sub_f32_e32 v7, v7, v8
	v_cmp_lt_f16_e32 vcc, s6, v26
	s_nop 1
	v_cndmask_b32_e32 v0, v7, v0, vcc
	v_mul_f32_e32 v7, 0x4f800000, v0
	v_cmp_gt_f32_e32 vcc, s14, v0
	s_nop 1
	v_cndmask_b32_e32 v7, v0, v7, vcc
	v_sqrt_f32_e32 v0, v7
	s_nop 0
	v_add_u32_e32 v6, -1, v0
	v_fma_f32 v8, -v6, v0, v7
	v_cmp_ge_f32_e64 s[4:5], 0, v8
	v_add_u32_e32 v8, 1, v0
	s_nop 0
	v_cndmask_b32_e64 v6, v0, v6, s[4:5]
	v_fma_f32 v0, -v8, v0, v7
	v_cmp_lt_f32_e64 s[4:5], 0, v0
	s_nop 1
	v_cndmask_b32_e64 v0, v6, v8, s[4:5]
	v_mul_f32_e32 v6, 0x37800000, v0
	v_cndmask_b32_e32 v6, v0, v6, vcc
	v_mov_b32_e32 v0, 0x260
	v_cmp_class_f32_e64 s[4:5], v7, v0
	s_and_b64 vcc, exec, s[2:3]
	s_nop 0
	v_cndmask_b32_e64 v6, v6, v7, s[4:5]
	s_cbranch_vccnz .LBB299_30
; %bb.29:
	global_load_dword v7, v19, s[10:11] offset:1536
	s_waitcnt vmcnt(0)
	v_add_f32_e32 v6, v6, v7
.LBB299_30:
	v_mul_f32_e32 v7, 0x3fb8aa3b, v1
	v_exp_f32_e32 v7, v7
	scratch_store_dword off, v6, off offset:48
	v_add_f32_e32 v7, 1.0, v7
	v_cmp_gt_f32_e32 vcc, s13, v7
	s_nop 1
	v_cndmask_b32_e32 v4, 1.0, v4, vcc
	v_mul_f32_e32 v4, v7, v4
	v_log_f32_e32 v4, v4
	v_cndmask_b32_e32 v5, 0, v5, vcc
	v_mul_f32_e32 v7, 0x3f317217, v4
	v_fma_f32 v7, v4, s7, -v7
	v_fmac_f32_e32 v7, 0x3377d1cf, v4
	v_fmac_f32_e32 v7, 0x3f317217, v4
	v_cmp_lt_f32_e64 vcc, |v4|, s12
	s_nop 1
	v_cndmask_b32_e32 v4, v4, v7, vcc
	v_sub_f32_e32 v4, v4, v5
	v_cmp_lt_f16_e32 vcc, s6, v25
	s_nop 1
	v_cndmask_b32_e32 v1, v4, v1, vcc
	v_mul_f32_e32 v4, 0x4f800000, v1
	v_cmp_gt_f32_e32 vcc, s14, v1
	s_nop 1
	v_cndmask_b32_e32 v1, v1, v4, vcc
	v_sqrt_f32_e32 v4, v1
	s_nop 0
	v_add_u32_e32 v5, -1, v4
	v_add_u32_e32 v6, 1, v4
	v_fma_f32 v7, -v5, v4, v1
	v_fma_f32 v8, -v6, v4, v1
	v_cmp_ge_f32_e64 s[4:5], 0, v7
	s_nop 1
	v_cndmask_b32_e64 v4, v4, v5, s[4:5]
	v_cmp_lt_f32_e64 s[4:5], 0, v8
	s_nop 1
	v_cndmask_b32_e64 v4, v4, v6, s[4:5]
	v_mul_f32_e32 v5, 0x37800000, v4
	v_cndmask_b32_e32 v4, v4, v5, vcc
	v_cmp_class_f32_e64 s[4:5], v1, v0
	s_and_b64 vcc, exec, s[2:3]
	s_nop 0
	v_cndmask_b32_e64 v1, v4, v1, s[4:5]
	s_cbranch_vccnz .LBB299_32
; %bb.31:
	global_load_dword v0, v19, s[10:11] offset:1664
	s_waitcnt vmcnt(0)
	v_add_f32_e32 v1, v1, v0
.LBB299_32:
	v_mul_f32_e32 v0, 0x3fb8aa3b, v2
	v_exp_f32_e32 v4, v0
	v_mov_b32_e32 v0, 0x4f800000
	scratch_store_dword off, v1, off offset:52
	v_add_f32_e32 v4, 1.0, v4
	v_cmp_gt_f32_e32 vcc, s13, v4
	s_nop 1
	v_cndmask_b32_e32 v5, 1.0, v0, vcc
	v_mul_f32_e32 v4, v4, v5
	v_log_f32_e32 v4, v4
	s_nop 0
	v_mul_f32_e32 v5, 0x3f317217, v4
	v_fma_f32 v5, v4, s7, -v5
	v_fmac_f32_e32 v5, 0x3377d1cf, v4
	v_fmac_f32_e32 v5, 0x3f317217, v4
	v_cmp_lt_f32_e64 s[4:5], |v4|, s12
	s_nop 1
	v_cndmask_b32_e64 v5, v4, v5, s[4:5]
	v_mov_b32_e32 v4, 0x41b17218
	v_cndmask_b32_e32 v6, 0, v4, vcc
	v_sub_f32_e32 v5, v5, v6
	v_cmp_lt_f16_e32 vcc, s6, v24
	s_nop 1
	v_cndmask_b32_e32 v2, v5, v2, vcc
	v_mul_f32_e32 v5, 0x4f800000, v2
	v_cmp_gt_f32_e32 vcc, s14, v2
	s_nop 1
	v_cndmask_b32_e32 v2, v2, v5, vcc
	v_sqrt_f32_e32 v5, v2
	s_nop 0
	v_add_u32_e32 v1, -1, v5
	v_fma_f32 v6, -v1, v5, v2
	v_cmp_ge_f32_e64 s[4:5], 0, v6
	v_add_u32_e32 v6, 1, v5
	s_nop 0
	v_cndmask_b32_e64 v1, v5, v1, s[4:5]
	v_fma_f32 v5, -v6, v5, v2
	v_cmp_lt_f32_e64 s[4:5], 0, v5
	s_nop 1
	v_cndmask_b32_e64 v1, v1, v6, s[4:5]
	v_mul_f32_e32 v5, 0x37800000, v1
	v_cndmask_b32_e32 v5, v1, v5, vcc
	v_mov_b32_e32 v1, 0x260
	v_cmp_class_f32_e64 s[4:5], v2, v1
	s_and_b64 vcc, exec, s[2:3]
	s_nop 0
	v_cndmask_b32_e64 v2, v5, v2, s[4:5]
	s_cbranch_vccnz .LBB299_34
; %bb.33:
	global_load_dword v5, v19, s[10:11] offset:1792
	s_waitcnt vmcnt(0)
	v_add_f32_e32 v2, v2, v5
.LBB299_34:
	v_mul_f32_e32 v5, 0x3fb8aa3b, v3
	v_exp_f32_e32 v5, v5
	scratch_store_dword off, v2, off offset:56
	v_add_f32_e32 v5, 1.0, v5
	v_cmp_gt_f32_e32 vcc, s13, v5
	s_nop 1
	v_cndmask_b32_e32 v0, 1.0, v0, vcc
	v_mul_f32_e32 v0, v5, v0
	v_log_f32_e32 v0, v0
	v_cndmask_b32_e32 v4, 0, v4, vcc
	v_mul_f32_e32 v5, 0x3f317217, v0
	v_fma_f32 v5, v0, s7, -v5
	v_fmac_f32_e32 v5, 0x3377d1cf, v0
	v_fmac_f32_e32 v5, 0x3f317217, v0
	v_cmp_lt_f32_e64 vcc, |v0|, s12
	s_nop 1
	v_cndmask_b32_e32 v0, v0, v5, vcc
	v_sub_f32_e32 v0, v0, v4
	v_cmp_lt_f16_e32 vcc, s6, v23
	s_nop 1
	v_cndmask_b32_e32 v0, v0, v3, vcc
	v_mul_f32_e32 v3, 0x4f800000, v0
	v_cmp_gt_f32_e32 vcc, s14, v0
	s_nop 1
	v_cndmask_b32_e32 v0, v0, v3, vcc
	v_sqrt_f32_e32 v3, v0
	s_nop 0
	v_add_u32_e32 v2, -1, v3
	v_add_u32_e32 v4, 1, v3
	v_fma_f32 v5, -v2, v3, v0
	v_fma_f32 v6, -v4, v3, v0
	v_cmp_ge_f32_e64 s[4:5], 0, v5
	s_nop 1
	v_cndmask_b32_e64 v2, v3, v2, s[4:5]
	v_cmp_lt_f32_e64 s[4:5], 0, v6
	s_nop 1
	v_cndmask_b32_e64 v2, v2, v4, s[4:5]
	v_mul_f32_e32 v3, 0x37800000, v2
	v_cndmask_b32_e32 v2, v2, v3, vcc
	v_cmp_class_f32_e64 s[4:5], v0, v1
	s_and_b64 vcc, exec, s[2:3]
	s_nop 0
	v_cndmask_b32_e64 v1, v2, v0, s[4:5]
	s_cbranch_vccnz .LBB299_36
; %bb.35:
	global_load_dword v0, v19, s[10:11] offset:1920
	s_waitcnt vmcnt(0)
	v_add_f32_e32 v1, v1, v0
.LBB299_36:
	v_mul_f32_e32 v0, 0x3fb8aa3b, v20
	v_exp_f32_e32 v2, v0
	v_mov_b32_e32 v0, 0x4f800000
	scratch_store_dword off, v1, off offset:60
	v_add_f32_e32 v2, 1.0, v2
	v_cmp_gt_f32_e32 vcc, s13, v2
	s_nop 1
	v_cndmask_b32_e32 v3, 1.0, v0, vcc
	v_mul_f32_e32 v2, v2, v3
	v_log_f32_e32 v2, v2
	s_nop 0
	v_mul_f32_e32 v3, 0x3f317217, v2
	v_fma_f32 v3, v2, s7, -v3
	v_fmac_f32_e32 v3, 0x3377d1cf, v2
	v_fmac_f32_e32 v3, 0x3f317217, v2
	v_cmp_lt_f32_e64 s[4:5], |v2|, s12
	s_nop 1
	v_cndmask_b32_e64 v3, v2, v3, s[4:5]
	v_mov_b32_e32 v2, 0x41b17218
	v_cndmask_b32_e32 v4, 0, v2, vcc
	v_sub_f32_e32 v3, v3, v4
	v_cmp_lt_f16_e32 vcc, s6, v22
	s_nop 1
	v_cndmask_b32_e32 v3, v3, v20, vcc
	v_mul_f32_e32 v4, 0x4f800000, v3
	v_cmp_gt_f32_e32 vcc, s14, v3
	s_nop 1
	v_cndmask_b32_e32 v3, v3, v4, vcc
	v_sqrt_f32_e32 v4, v3
	s_nop 0
	v_add_u32_e32 v1, -1, v4
	v_fma_f32 v5, -v1, v4, v3
	v_cmp_ge_f32_e64 s[4:5], 0, v5
	v_add_u32_e32 v5, 1, v4
	s_nop 0
	v_cndmask_b32_e64 v1, v4, v1, s[4:5]
	v_fma_f32 v4, -v5, v4, v3
	v_cmp_lt_f32_e64 s[4:5], 0, v4
	s_nop 1
	v_cndmask_b32_e64 v1, v1, v5, s[4:5]
	v_mul_f32_e32 v4, 0x37800000, v1
	v_cndmask_b32_e32 v4, v1, v4, vcc
	v_mov_b32_e32 v1, 0x260
	v_cmp_class_f32_e64 s[4:5], v3, v1
	s_and_b64 vcc, exec, s[2:3]
	s_nop 0
	v_cndmask_b32_e64 v3, v4, v3, s[4:5]
	s_cbranch_vccnz .LBB299_38
; %bb.37:
	global_load_dword v4, v19, s[10:11] offset:2048
	s_waitcnt vmcnt(0)
	v_add_f32_e32 v3, v3, v4
.LBB299_38:
	v_mul_f32_e32 v4, 0x3fb8aa3b, v21
	v_exp_f32_e32 v4, v4
	scratch_store_dword off, v3, off offset:64
	v_add_f32_e32 v4, 1.0, v4
	v_cmp_gt_f32_e32 vcc, s13, v4
	s_nop 1
	v_cndmask_b32_e32 v0, 1.0, v0, vcc
	v_mul_f32_e32 v0, v4, v0
	v_log_f32_e32 v0, v0
	v_cndmask_b32_e32 v2, 0, v2, vcc
	v_mul_f32_e32 v4, 0x3f317217, v0
	v_fma_f32 v4, v0, s7, -v4
	v_fmac_f32_e32 v4, 0x3377d1cf, v0
	v_fmac_f32_e32 v4, 0x3f317217, v0
	v_cmp_lt_f32_e64 vcc, |v0|, s12
	s_nop 1
	v_cndmask_b32_e32 v0, v0, v4, vcc
	v_sub_f32_e32 v0, v0, v2
	v_cmp_lt_f16_e32 vcc, s6, v17
	s_nop 1
	v_cndmask_b32_e32 v0, v0, v21, vcc
	v_mul_f32_e32 v2, 0x4f800000, v0
	v_cmp_gt_f32_e32 vcc, s14, v0
	s_nop 1
	v_cndmask_b32_e32 v0, v0, v2, vcc
	v_sqrt_f32_e32 v2, v0
	s_nop 0
	v_add_u32_e32 v3, -1, v2
	v_add_u32_e32 v4, 1, v2
	v_fma_f32 v5, -v3, v2, v0
	v_fma_f32 v6, -v4, v2, v0
	v_cmp_ge_f32_e64 s[4:5], 0, v5
	s_nop 1
	v_cndmask_b32_e64 v2, v2, v3, s[4:5]
	v_cmp_lt_f32_e64 s[4:5], 0, v6
	s_nop 1
	v_cndmask_b32_e64 v2, v2, v4, s[4:5]
	v_mul_f32_e32 v3, 0x37800000, v2
	v_cndmask_b32_e32 v2, v2, v3, vcc
	v_cmp_class_f32_e64 s[4:5], v0, v1
	s_and_b64 vcc, exec, s[2:3]
	s_nop 0
	v_cndmask_b32_e64 v0, v2, v0, s[4:5]
	s_cbranch_vccnz .LBB299_40
; %bb.39:
	global_load_dword v1, v19, s[10:11] offset:2176
	s_waitcnt vmcnt(0)
	v_add_f32_e32 v0, v0, v1
.LBB299_40:
	s_load_dwordx4 s[12:15], s[0:1], 0x30
	s_mov_b32 s31, 0
	v_cmp_eq_u32_e64 s[6:7], 0, v18
	scratch_store_dword off, v0, off offset:68
	s_waitcnt lgkmcnt(0)
	s_bitcmp1_b32 s15, 0
	s_cselect_b64 s[4:5], -1, 0
	s_cmp_gt_i32 s12, 0
	s_cselect_b64 s[24:25], -1, 0
	s_and_b64 vcc, exec, s[24:25]
	s_cbranch_vccz .LBB299_69
; %bb.41:
	v_mbcnt_lo_u32_b32 v0, -1, 0
	v_mbcnt_hi_u32_b32 v0, -1, v0
	v_and_b32_e32 v1, 0x60, v0
	v_add_u32_e32 v1, 32, v1
	v_xor_b32_e32 v12, 16, v0
	v_cmp_lt_i32_e32 vcc, v12, v1
	s_load_dwordx4 s[16:19], s[0:1], 0x20
	v_mul_lo_u32 v2, v16, s12
	v_cndmask_b32_e32 v12, v0, v12, vcc
	v_lshlrev_b32_e32 v23, 2, v12
	v_xor_b32_e32 v12, 8, v0
	v_cmp_lt_i32_e32 vcc, v12, v1
	v_or_b32_e32 v3, 32, v18
	v_or_b32_e32 v4, 64, v18
	v_cndmask_b32_e32 v12, v0, v12, vcc
	v_lshlrev_b32_e32 v24, 2, v12
	v_xor_b32_e32 v12, 4, v0
	v_cmp_lt_i32_e32 vcc, v12, v1
	v_or_b32_e32 v5, 0x60, v18
	v_or_b32_e32 v6, 0x80, v18
	;; [unrolled: 6-line block ×4, first 2 shown]
	v_cndmask_b32_e32 v0, v0, v12, vcc
	v_or_b32_e32 v11, 0x120, v18
	v_or_b32_e32 v13, 0x140, v18
	;; [unrolled: 1-line block ×9, first 2 shown]
	v_lshlrev_b32_e32 v27, 2, v0
	v_mov_b32_e32 v12, 0
	v_mov_b32_e32 v28, 0
	;; [unrolled: 1-line block ×5, first 2 shown]
	s_branch .LBB299_43
.LBB299_42:                             ;   in Loop: Header=BB299_43 Depth=1
	s_or_b64 exec, exec, s[0:1]
	s_cmp_eq_u32 s12, s31
	v_add_u32_e32 v31, s30, v31
	s_cbranch_scc1 .LBB299_70
.LBB299_43:                             ; =>This Inner Loop Header: Depth=1
	s_waitcnt lgkmcnt(0)
	scratch_load_dwordx4 v[32:35], off, off
	scratch_load_dwordx4 v[36:39], off, off offset:16
	scratch_load_dwordx4 v[40:43], off, off offset:32
	;; [unrolled: 1-line block ×3, first 2 shown]
	scratch_load_dwordx2 v[0:1], off, off offset:64
	s_waitcnt vmcnt(4)
	v_cmp_gt_f32_e32 vcc, v33, v32
	s_nop 1
	v_cndmask_b32_e32 v32, v32, v33, vcc
	v_cndmask_b32_e32 v48, v18, v3, vcc
	v_cmp_gt_f32_e32 vcc, v34, v32
	s_nop 1
	v_cndmask_b32_e32 v32, v32, v34, vcc
	v_cndmask_b32_e32 v33, v48, v4, vcc
	v_cmp_gt_f32_e32 vcc, v35, v32
	s_nop 1
	v_cndmask_b32_e32 v32, v32, v35, vcc
	v_cndmask_b32_e32 v33, v33, v5, vcc
	s_waitcnt vmcnt(3)
	v_cmp_gt_f32_e32 vcc, v36, v32
	s_nop 1
	v_cndmask_b32_e32 v32, v32, v36, vcc
	v_cndmask_b32_e32 v33, v33, v6, vcc
	v_cmp_gt_f32_e32 vcc, v37, v32
	s_nop 1
	v_cndmask_b32_e32 v32, v32, v37, vcc
	v_cndmask_b32_e32 v33, v33, v7, vcc
	v_cmp_gt_f32_e32 vcc, v38, v32
	s_nop 1
	v_cndmask_b32_e32 v32, v32, v38, vcc
	v_cndmask_b32_e32 v33, v33, v8, vcc
	v_cmp_gt_f32_e32 vcc, v39, v32
	s_nop 1
	v_cndmask_b32_e32 v32, v32, v39, vcc
	v_cndmask_b32_e32 v33, v33, v9, vcc
	s_waitcnt vmcnt(2)
	v_cmp_gt_f32_e32 vcc, v40, v32
	s_nop 1
	v_cndmask_b32_e32 v32, v32, v40, vcc
	v_cndmask_b32_e32 v33, v33, v10, vcc
	;; [unrolled: 17-line block ×4, first 2 shown]
	v_cmp_gt_f32_e32 vcc, v1, v32
	s_nop 1
	v_cndmask_b32_e32 v32, v32, v1, vcc
	v_cndmask_b32_e32 v0, v33, v22, vcc
	ds_bpermute_b32 v1, v23, v32
	ds_bpermute_b32 v33, v23, v0
	s_waitcnt lgkmcnt(0)
	v_cmp_lt_f32_e64 s[26:27], v32, v1
	v_cmp_nlt_f32_e32 vcc, v32, v1
	s_and_saveexec_b64 s[28:29], vcc
; %bb.44:                               ;   in Loop: Header=BB299_43 Depth=1
	v_cmp_eq_f32_e32 vcc, v32, v1
	v_cmp_lt_i32_e64 s[0:1], v33, v0
	s_and_b64 s[0:1], vcc, s[0:1]
	s_andn2_b64 s[26:27], s[26:27], exec
	s_and_b64 s[0:1], s[0:1], exec
	s_or_b64 s[26:27], s[26:27], s[0:1]
; %bb.45:                               ;   in Loop: Header=BB299_43 Depth=1
	s_or_b64 exec, exec, s[28:29]
	s_and_saveexec_b64 s[0:1], s[26:27]
; %bb.46:                               ;   in Loop: Header=BB299_43 Depth=1
	v_mov_b32_e32 v32, v1
	v_mov_b32_e32 v0, v33
; %bb.47:                               ;   in Loop: Header=BB299_43 Depth=1
	s_or_b64 exec, exec, s[0:1]
	ds_bpermute_b32 v1, v24, v32
	ds_bpermute_b32 v33, v24, v0
	s_waitcnt lgkmcnt(1)
	v_cmp_lt_f32_e64 s[26:27], v32, v1
	v_cmp_nlt_f32_e32 vcc, v32, v1
	s_and_saveexec_b64 s[28:29], vcc
	s_cbranch_execz .LBB299_49
; %bb.48:                               ;   in Loop: Header=BB299_43 Depth=1
	v_cmp_eq_f32_e32 vcc, v32, v1
	s_waitcnt lgkmcnt(0)
	v_cmp_lt_i32_e64 s[0:1], v33, v0
	s_and_b64 s[0:1], vcc, s[0:1]
	s_andn2_b64 s[26:27], s[26:27], exec
	s_and_b64 s[0:1], s[0:1], exec
	s_or_b64 s[26:27], s[26:27], s[0:1]
.LBB299_49:                             ;   in Loop: Header=BB299_43 Depth=1
	s_or_b64 exec, exec, s[28:29]
	s_and_saveexec_b64 s[0:1], s[26:27]
	s_cbranch_execz .LBB299_51
; %bb.50:                               ;   in Loop: Header=BB299_43 Depth=1
	v_mov_b32_e32 v32, v1
	s_waitcnt lgkmcnt(0)
	v_mov_b32_e32 v0, v33
.LBB299_51:                             ;   in Loop: Header=BB299_43 Depth=1
	s_or_b64 exec, exec, s[0:1]
	ds_bpermute_b32 v1, v25, v32
	s_waitcnt lgkmcnt(1)
	ds_bpermute_b32 v33, v25, v0
	s_waitcnt lgkmcnt(1)
	v_cmp_lt_f32_e64 s[26:27], v32, v1
	v_cmp_nlt_f32_e32 vcc, v32, v1
	s_and_saveexec_b64 s[28:29], vcc
	s_cbranch_execz .LBB299_53
; %bb.52:                               ;   in Loop: Header=BB299_43 Depth=1
	v_cmp_eq_f32_e32 vcc, v32, v1
	s_waitcnt lgkmcnt(0)
	v_cmp_lt_i32_e64 s[0:1], v33, v0
	s_and_b64 s[0:1], vcc, s[0:1]
	s_andn2_b64 s[26:27], s[26:27], exec
	s_and_b64 s[0:1], s[0:1], exec
	s_or_b64 s[26:27], s[26:27], s[0:1]
.LBB299_53:                             ;   in Loop: Header=BB299_43 Depth=1
	s_or_b64 exec, exec, s[28:29]
	s_and_saveexec_b64 s[0:1], s[26:27]
	s_cbranch_execz .LBB299_55
; %bb.54:                               ;   in Loop: Header=BB299_43 Depth=1
	v_mov_b32_e32 v32, v1
	s_waitcnt lgkmcnt(0)
	v_mov_b32_e32 v0, v33
.LBB299_55:                             ;   in Loop: Header=BB299_43 Depth=1
	s_or_b64 exec, exec, s[0:1]
	ds_bpermute_b32 v1, v26, v32
	s_waitcnt lgkmcnt(1)
	;; [unrolled: 26-line block ×3, first 2 shown]
	ds_bpermute_b32 v33, v27, v0
	s_waitcnt lgkmcnt(1)
	v_cmp_lt_f32_e64 s[26:27], v32, v1
	v_cmp_nlt_f32_e32 vcc, v32, v1
	s_and_saveexec_b64 s[28:29], vcc
	s_cbranch_execnz .LBB299_62
; %bb.60:                               ;   in Loop: Header=BB299_43 Depth=1
	s_or_b64 exec, exec, s[28:29]
	s_and_saveexec_b64 s[0:1], s[26:27]
	s_cbranch_execnz .LBB299_63
.LBB299_61:                             ;   in Loop: Header=BB299_43 Depth=1
	s_or_b64 exec, exec, s[0:1]
	s_and_saveexec_b64 s[26:27], s[6:7]
	s_cbranch_execnz .LBB299_64
	s_branch .LBB299_67
.LBB299_62:                             ;   in Loop: Header=BB299_43 Depth=1
	v_cmp_eq_f32_e32 vcc, v32, v1
	s_waitcnt lgkmcnt(0)
	v_cmp_lt_i32_e64 s[0:1], v33, v0
	s_and_b64 s[0:1], vcc, s[0:1]
	s_andn2_b64 s[26:27], s[26:27], exec
	s_and_b64 s[0:1], s[0:1], exec
	s_or_b64 s[26:27], s[26:27], s[0:1]
	s_or_b64 exec, exec, s[28:29]
	s_and_saveexec_b64 s[0:1], s[26:27]
	s_cbranch_execz .LBB299_61
.LBB299_63:                             ;   in Loop: Header=BB299_43 Depth=1
	s_waitcnt lgkmcnt(0)
	v_mov_b32_e32 v0, v33
	v_mov_b32_e32 v32, v1
	s_or_b64 exec, exec, s[0:1]
	s_and_saveexec_b64 s[26:27], s[6:7]
	s_cbranch_execz .LBB299_67
.LBB299_64:                             ;   in Loop: Header=BB299_43 Depth=1
	s_and_b64 vcc, exec, s[2:3]
	s_cbranch_vccnz .LBB299_66
; %bb.65:                               ;   in Loop: Header=BB299_43 Depth=1
	v_ashrrev_i32_e32 v1, 31, v0
	v_lshl_add_u64 v[34:35], v[0:1], 2, s[10:11]
	global_load_dword v1, v[34:35], off
	s_waitcnt vmcnt(0)
	v_sub_f32_e32 v32, v32, v1
.LBB299_66:                             ;   in Loop: Header=BB299_43 Depth=1
	v_add_u32_e32 v34, s31, v2
	v_cmp_le_i32_e32 vcc, s13, v0
	v_cmp_gt_i32_e64 s[0:1], s14, v0
	v_ashrrev_i32_e32 v35, 31, v34
	s_and_b64 s[0:1], vcc, s[0:1]
	v_lshlrev_b64 v[34:35], 2, v[34:35]
	v_lshl_add_u64 v[36:37], s[20:21], 0, v[34:35]
	v_subrev_u32_e32 v1, s13, v0
	s_and_b64 vcc, s[22:23], s[0:1]
	global_store_dword v[36:37], v32, off
	v_cndmask_b32_e32 v1, v30, v1, vcc
	v_lshl_add_u64 v[36:37], s[16:17], 0, v[34:35]
	global_store_dword v[36:37], v1, off
	v_add_f32_e32 v1, v12, v32
	v_lshl_add_u64 v[34:35], s[18:19], 0, v[34:35]
	v_cndmask_b32_e64 v12, v12, v1, s[4:5]
	global_store_dword v[34:35], v31, off
.LBB299_67:                             ;   in Loop: Header=BB299_43 Depth=1
	s_or_b64 exec, exec, s[26:27]
	v_ashrrev_i32_e32 v1, 31, v0
	v_lshrrev_b32_e32 v1, 27, v1
	v_add_u32_e32 v1, v0, v1
	s_add_i32 s31, s31, 1
	v_and_b32_e32 v32, 0xffffffe0, v1
	s_cmp_lt_i32 s31, s12
	v_sub_u32_e32 v0, v0, v32
	s_cselect_b64 s[0:1], -1, 0
	v_cmp_eq_u32_e32 vcc, v18, v0
	s_and_b64 s[26:27], s[0:1], vcc
	s_and_saveexec_b64 s[0:1], s[26:27]
	s_cbranch_execz .LBB299_42
; %bb.68:                               ;   in Loop: Header=BB299_43 Depth=1
	v_ashrrev_i32_e32 v0, 5, v1
	v_lshl_add_u32 v0, v0, 2, v28
	scratch_store_dword v0, v29, off
	s_branch .LBB299_42
.LBB299_69:
	v_mov_b32_e32 v12, 0
.LBB299_70:
	v_cmp_eq_u32_e32 vcc, 0, v18
	s_and_b64 exec, exec, vcc
	s_cbranch_execz .LBB299_83
; %bb.71:
	s_andn2_b64 vcc, exec, s[4:5]
	v_cvt_f32_f64_e32 v0, s[8:9]
	s_cbranch_vccnz .LBB299_73
; %bb.72:
	v_cmp_lt_f32_e32 vcc, 0, v12
	s_nop 1
	v_cndmask_b32_e32 v1, 1.0, v12, vcc
	v_div_scale_f32 v2, s[0:1], v1, v1, v0
	v_rcp_f32_e32 v3, v2
	s_nop 0
	v_fma_f32 v4, -v2, v3, 1.0
	v_fmac_f32_e32 v3, v4, v3
	v_div_scale_f32 v4, vcc, v0, v1, v0
	v_mul_f32_e32 v5, v4, v3
	v_fma_f32 v6, -v2, v5, v4
	v_fmac_f32_e32 v5, v6, v3
	v_fma_f32 v2, -v2, v5, v4
	v_div_fmas_f32 v2, v2, v3, v5
	v_div_fixup_f32 v0, v2, v1, v0
.LBB299_73:
	s_andn2_b64 vcc, exec, s[24:25]
	s_cbranch_vccnz .LBB299_83
; %bb.74:
	v_mul_lo_u32 v2, v16, s12
	s_cmp_gt_u32 s12, 3
	v_ashrrev_i32_e32 v3, 31, v2
	s_cbranch_scc0 .LBB299_78
; %bb.75:
	s_and_b32 s0, s12, 0x7ffffffc
	v_lshl_add_u64 v[4:5], v[2:3], 2, s[20:21]
	v_mov_b32_e32 v1, v0
	v_lshl_add_u64 v[4:5], v[4:5], 0, 8
	s_mov_b32 s1, s0
.LBB299_76:                             ; =>This Inner Loop Header: Depth=1
	global_load_dwordx4 v[6:9], v[4:5], off offset:-8
	s_add_i32 s1, s1, -4
	s_cmp_lg_u32 s1, 0
	s_waitcnt vmcnt(0)
	v_pk_mul_f32 v[6:7], v[0:1], v[6:7]
	v_pk_mul_f32 v[8:9], v[0:1], v[8:9]
	global_store_dwordx4 v[4:5], v[6:9], off offset:-8
	v_lshl_add_u64 v[4:5], v[4:5], 0, 16
	s_cbranch_scc1 .LBB299_76
; %bb.77:
	s_cmp_lg_u32 s0, s12
	s_cselect_b64 s[2:3], -1, 0
	s_branch .LBB299_80
.LBB299_78:
	s_mov_b64 s[2:3], 0
                                        ; implicit-def: $sgpr0
	s_cbranch_execz .LBB299_80
; %bb.79:
	s_mov_b64 s[2:3], -1
	s_mov_b32 s0, 0
.LBB299_80:
	s_andn2_b64 vcc, exec, s[2:3]
	s_cbranch_vccnz .LBB299_83
; %bb.81:
	s_mov_b32 s1, 0
	v_lshl_add_u64 v[2:3], v[2:3], 0, s[0:1]
	s_sub_i32 s2, s12, s0
	v_lshl_add_u64 v[2:3], v[2:3], 2, s[20:21]
.LBB299_82:                             ; =>This Inner Loop Header: Depth=1
	global_load_dword v1, v[2:3], off
	s_add_i32 s2, s2, -1
	s_cmp_lg_u32 s2, 0
	s_waitcnt vmcnt(0)
	v_mul_f32_e32 v1, v0, v1
	global_store_dword v[2:3], v1, off
	v_lshl_add_u64 v[2:3], v[2:3], 0, 4
	s_cbranch_scc1 .LBB299_82
.LBB299_83:
	s_endpgm
	.section	.rodata,"a",@progbits
	.p2align	6, 0x0
	.amdhsa_kernel _ZN4vllm3moe22topkGatingSoftplusSqrtILi18ELi576ELi4ELi2ELi32ELb0Ej6__halfEEvPKT6_PKbPfiPT5_PiiiibdPKfPKS9_SF_
		.amdhsa_group_segment_fixed_size 0
		.amdhsa_private_segment_fixed_size 80
		.amdhsa_kernarg_size 96
		.amdhsa_user_sgpr_count 2
		.amdhsa_user_sgpr_dispatch_ptr 0
		.amdhsa_user_sgpr_queue_ptr 0
		.amdhsa_user_sgpr_kernarg_segment_ptr 1
		.amdhsa_user_sgpr_dispatch_id 0
		.amdhsa_user_sgpr_kernarg_preload_length 0
		.amdhsa_user_sgpr_kernarg_preload_offset 0
		.amdhsa_user_sgpr_private_segment_size 0
		.amdhsa_uses_dynamic_stack 0
		.amdhsa_enable_private_segment 1
		.amdhsa_system_sgpr_workgroup_id_x 1
		.amdhsa_system_sgpr_workgroup_id_y 0
		.amdhsa_system_sgpr_workgroup_id_z 0
		.amdhsa_system_sgpr_workgroup_info 0
		.amdhsa_system_vgpr_workitem_id 1
		.amdhsa_next_free_vgpr 49
		.amdhsa_next_free_sgpr 32
		.amdhsa_accum_offset 52
		.amdhsa_reserve_vcc 1
		.amdhsa_float_round_mode_32 0
		.amdhsa_float_round_mode_16_64 0
		.amdhsa_float_denorm_mode_32 3
		.amdhsa_float_denorm_mode_16_64 3
		.amdhsa_dx10_clamp 1
		.amdhsa_ieee_mode 1
		.amdhsa_fp16_overflow 0
		.amdhsa_tg_split 0
		.amdhsa_exception_fp_ieee_invalid_op 0
		.amdhsa_exception_fp_denorm_src 0
		.amdhsa_exception_fp_ieee_div_zero 0
		.amdhsa_exception_fp_ieee_overflow 0
		.amdhsa_exception_fp_ieee_underflow 0
		.amdhsa_exception_fp_ieee_inexact 0
		.amdhsa_exception_int_div_zero 0
	.end_amdhsa_kernel
	.section	.text._ZN4vllm3moe22topkGatingSoftplusSqrtILi18ELi576ELi4ELi2ELi32ELb0Ej6__halfEEvPKT6_PKbPfiPT5_PiiiibdPKfPKS9_SF_,"axG",@progbits,_ZN4vllm3moe22topkGatingSoftplusSqrtILi18ELi576ELi4ELi2ELi32ELb0Ej6__halfEEvPKT6_PKbPfiPT5_PiiiibdPKfPKS9_SF_,comdat
.Lfunc_end299:
	.size	_ZN4vllm3moe22topkGatingSoftplusSqrtILi18ELi576ELi4ELi2ELi32ELb0Ej6__halfEEvPKT6_PKbPfiPT5_PiiiibdPKfPKS9_SF_, .Lfunc_end299-_ZN4vllm3moe22topkGatingSoftplusSqrtILi18ELi576ELi4ELi2ELi32ELb0Ej6__halfEEvPKT6_PKbPfiPT5_PiiiibdPKfPKS9_SF_
                                        ; -- End function
	.section	.AMDGPU.csdata,"",@progbits
; Kernel info:
; codeLenInByte = 7360
; NumSgprs: 38
; NumVgprs: 49
; NumAgprs: 0
; TotalNumVgprs: 49
; ScratchSize: 80
; MemoryBound: 0
; FloatMode: 240
; IeeeMode: 1
; LDSByteSize: 0 bytes/workgroup (compile time only)
; SGPRBlocks: 4
; VGPRBlocks: 6
; NumSGPRsForWavesPerEU: 38
; NumVGPRsForWavesPerEU: 49
; AccumOffset: 52
; Occupancy: 8
; WaveLimiterHint : 0
; COMPUTE_PGM_RSRC2:SCRATCH_EN: 1
; COMPUTE_PGM_RSRC2:USER_SGPR: 2
; COMPUTE_PGM_RSRC2:TRAP_HANDLER: 0
; COMPUTE_PGM_RSRC2:TGID_X_EN: 1
; COMPUTE_PGM_RSRC2:TGID_Y_EN: 0
; COMPUTE_PGM_RSRC2:TGID_Z_EN: 0
; COMPUTE_PGM_RSRC2:TIDIG_COMP_CNT: 1
; COMPUTE_PGM_RSRC3_GFX90A:ACCUM_OFFSET: 12
; COMPUTE_PGM_RSRC3_GFX90A:TG_SPLIT: 0
	.section	.text._ZN4vllm3moe22topkGatingSoftplusSqrtILi1ELi1ELi4ELi2ELi64ELb1El6__halfEEvPKT6_PKbPfiPT5_PiiiibdPKfPKS9_SF_,"axG",@progbits,_ZN4vllm3moe22topkGatingSoftplusSqrtILi1ELi1ELi4ELi2ELi64ELb1El6__halfEEvPKT6_PKbPfiPT5_PiiiibdPKfPKS9_SF_,comdat
	.protected	_ZN4vllm3moe22topkGatingSoftplusSqrtILi1ELi1ELi4ELi2ELi64ELb1El6__halfEEvPKT6_PKbPfiPT5_PiiiibdPKfPKS9_SF_ ; -- Begin function _ZN4vllm3moe22topkGatingSoftplusSqrtILi1ELi1ELi4ELi2ELi64ELb1El6__halfEEvPKT6_PKbPfiPT5_PiiiibdPKfPKS9_SF_
	.globl	_ZN4vllm3moe22topkGatingSoftplusSqrtILi1ELi1ELi4ELi2ELi64ELb1El6__halfEEvPKT6_PKbPfiPT5_PiiiibdPKfPKS9_SF_
	.p2align	8
	.type	_ZN4vllm3moe22topkGatingSoftplusSqrtILi1ELi1ELi4ELi2ELi64ELb1El6__halfEEvPKT6_PKbPfiPT5_PiiiibdPKfPKS9_SF_,@function
_ZN4vllm3moe22topkGatingSoftplusSqrtILi1ELi1ELi4ELi2ELi64ELb1El6__halfEEvPKT6_PKbPfiPT5_PiiiibdPKfPKS9_SF_: ; @_ZN4vllm3moe22topkGatingSoftplusSqrtILi1ELi1ELi4ELi2ELi64ELb1El6__halfEEvPKT6_PKbPfiPT5_PiiiibdPKfPKS9_SF_
; %bb.0:
	s_load_dword s3, s[0:1], 0x18
	v_bfe_u32 v1, v0, 10, 10
	s_lshl_b32 s2, s2, 8
	v_lshlrev_b32_e32 v1, 6, v1
	v_and_b32_e32 v0, 0x3ff, v0
	v_add3_u32 v0, v1, v0, s2
	s_waitcnt lgkmcnt(0)
	v_cmp_gt_i32_e32 vcc, s3, v0
	s_and_saveexec_b64 s[2:3], vcc
	s_cbranch_execz .LBB300_54
; %bb.1:
	s_load_dwordx2 s[2:3], s[0:1], 0x0
	s_load_dword s8, s[0:1], 0x30
	v_ashrrev_i32_e32 v1, 31, v0
	s_load_dwordx4 s[4:7], s[0:1], 0x50
	v_mov_b32_e32 v5, 0x4f800000
	s_waitcnt lgkmcnt(0)
	v_lshl_add_u64 v[2:3], v[0:1], 1, s[2:3]
	global_load_ushort v4, v[2:3], off
	s_ashr_i32 s9, s8, 31
	v_mov_b32_e32 v2, s4
	v_mov_b32_e32 v3, s5
	v_lshl_add_u64 v[2:3], v[0:1], 3, v[2:3]
	global_load_dwordx2 v[2:3], v[2:3], off
	s_mov_b32 s5, 0x800000
	v_cmp_lt_i64_e64 s[2:3], s[8:9], 1
	s_and_b64 vcc, exec, s[2:3]
	v_mov_b32_e32 v6, 0x41b17218
	s_mov_b32 s13, 0x3f317217
	s_mov_b32 s14, 0x7f800000
	s_movk_i32 s4, 0x4d00
	s_mov_b32 s15, 0xf800000
	v_mov_b32_e32 v8, 0x260
	s_mov_b32 s12, 0
	v_mov_b32_e32 v1, 0
	v_mul_lo_u32 v0, v0, s8
	v_cmp_gt_i64_e64 s[10:11], s[8:9], 0
	s_waitcnt vmcnt(1)
	v_cvt_f32_f16_e32 v7, v4
	v_mul_f32_e32 v9, 0x3fb8aa3b, v7
	v_exp_f32_e32 v9, v9
	s_waitcnt vmcnt(0)
	v_mul_lo_u32 v10, v2, s9
	v_add_f32_e32 v9, 1.0, v9
	v_cmp_gt_f32_e64 s[2:3], s5, v9
	s_nop 1
	v_cndmask_b32_e64 v5, 1.0, v5, s[2:3]
	v_mul_f32_e32 v5, v9, v5
	v_log_f32_e32 v5, v5
	v_mul_lo_u32 v9, v3, s8
	v_cndmask_b32_e64 v3, 0, v6, s[2:3]
	v_mul_f32_e32 v6, 0x3f317217, v5
	v_fma_f32 v6, v5, s13, -v6
	v_fmamk_f32 v6, v5, 0x3377d1cf, v6
	v_fmac_f32_e32 v6, 0x3f317217, v5
	v_cmp_lt_f32_e64 s[2:3], |v5|, s14
	s_nop 1
	v_cndmask_b32_e64 v5, v5, v6, s[2:3]
	v_sub_f32_e32 v3, v5, v3
	v_cmp_lt_f16_e64 s[2:3], s4, v4
	s_nop 1
	v_cndmask_b32_e64 v3, v3, v7, s[2:3]
	v_mul_f32_e32 v4, 0x4f800000, v3
	v_cmp_gt_f32_e64 s[2:3], s15, v3
	s_nop 1
	v_cndmask_b32_e64 v4, v3, v4, s[2:3]
	v_sqrt_f32_e32 v5, v4
	v_mad_u64_u32 v[2:3], s[4:5], v2, s8, 0
	v_add3_u32 v3, v3, v10, v9
	v_add_u32_e32 v6, -1, v5
	v_add_u32_e32 v7, 1, v5
	v_fma_f32 v9, -v6, v5, v4
	v_fma_f32 v10, -v7, v5, v4
	v_cmp_ge_f32_e64 s[4:5], 0, v9
	s_nop 1
	v_cndmask_b32_e64 v5, v5, v6, s[4:5]
	v_cmp_lt_f32_e64 s[4:5], 0, v10
	s_nop 1
	v_cndmask_b32_e64 v5, v5, v7, s[4:5]
	v_mul_f32_e32 v6, 0x37800000, v5
	v_cndmask_b32_e64 v5, v5, v6, s[2:3]
	v_cmp_class_f32_e64 s[2:3], v4, v8
	s_nop 1
	v_cndmask_b32_e64 v12, v5, v4, s[2:3]
	s_cbranch_vccnz .LBB300_27
; %bb.2:
	s_load_dwordx2 s[2:3], s[0:1], 0x20
	s_cmp_lt_u32 s8, 8
	s_cbranch_scc1 .LBB300_21
; %bb.3:
	v_ashrrev_i32_e32 v1, 31, v0
	v_lshl_add_u64 v[4:5], v[2:3], 3, s[6:7]
	s_and_b32 s12, s8, 0x7ffffff8
	s_waitcnt lgkmcnt(0)
	v_lshl_add_u64 v[6:7], v[0:1], 3, s[2:3]
	s_mov_b32 s9, 0
	s_mov_b64 s[4:5], 0
	v_mov_b32_e32 v8, 0
	v_mov_b32_e32 v1, 0
	s_branch .LBB300_5
.LBB300_4:                              ;   in Loop: Header=BB300_5 Depth=1
	s_or_b64 exec, exec, s[14:15]
	s_add_i32 s9, s9, 8
	s_add_u32 s4, s4, 64
	s_addc_u32 s5, s5, 0
	s_cmp_eq_u32 s12, s9
	s_cbranch_scc1 .LBB300_22
.LBB300_5:                              ; =>This Inner Loop Header: Depth=1
	v_lshl_add_u64 v[10:11], v[4:5], 0, s[4:5]
	global_load_dword v9, v[10:11], off
	s_waitcnt vmcnt(0)
	v_cmp_eq_u32_e32 vcc, 0, v9
	s_and_saveexec_b64 s[14:15], vcc
	s_cbranch_execz .LBB300_7
; %bb.6:                                ;   in Loop: Header=BB300_5 Depth=1
	v_add_u32_e32 v14, s9, v0
	v_ashrrev_i32_e32 v15, 31, v14
	v_lshl_add_u64 v[14:15], v[14:15], 3, s[2:3]
	v_add_f32_e32 v1, v12, v1
	v_mov_b32_e32 v9, v8
	global_store_dwordx2 v[14:15], v[8:9], off
.LBB300_7:                              ;   in Loop: Header=BB300_5 Depth=1
	s_or_b64 exec, exec, s[14:15]
	global_load_dword v9, v[10:11], off offset:8
	s_waitcnt vmcnt(0)
	v_cmp_eq_u32_e32 vcc, 0, v9
	s_and_saveexec_b64 s[14:15], vcc
	s_cbranch_execz .LBB300_9
; %bb.8:                                ;   in Loop: Header=BB300_5 Depth=1
	v_lshl_add_u64 v[14:15], v[6:7], 0, s[4:5]
	v_add_f32_e32 v1, v12, v1
	v_mov_b32_e32 v9, v8
	global_store_dwordx2 v[14:15], v[8:9], off offset:8
.LBB300_9:                              ;   in Loop: Header=BB300_5 Depth=1
	s_or_b64 exec, exec, s[14:15]
	global_load_dword v9, v[10:11], off offset:16
	s_waitcnt vmcnt(0)
	v_cmp_eq_u32_e32 vcc, 0, v9
	s_and_saveexec_b64 s[14:15], vcc
	s_cbranch_execz .LBB300_11
; %bb.10:                               ;   in Loop: Header=BB300_5 Depth=1
	v_lshl_add_u64 v[14:15], v[6:7], 0, s[4:5]
	v_add_f32_e32 v1, v12, v1
	v_mov_b32_e32 v9, v8
	global_store_dwordx2 v[14:15], v[8:9], off offset:16
.LBB300_11:                             ;   in Loop: Header=BB300_5 Depth=1
	s_or_b64 exec, exec, s[14:15]
	global_load_dword v9, v[10:11], off offset:24
	s_waitcnt vmcnt(0)
	v_cmp_eq_u32_e32 vcc, 0, v9
	s_and_saveexec_b64 s[14:15], vcc
	s_cbranch_execz .LBB300_13
; %bb.12:                               ;   in Loop: Header=BB300_5 Depth=1
	v_lshl_add_u64 v[14:15], v[6:7], 0, s[4:5]
	v_add_f32_e32 v1, v12, v1
	v_mov_b32_e32 v9, v8
	global_store_dwordx2 v[14:15], v[8:9], off offset:24
.LBB300_13:                             ;   in Loop: Header=BB300_5 Depth=1
	;; [unrolled: 12-line block ×5, first 2 shown]
	s_or_b64 exec, exec, s[14:15]
	global_load_dword v9, v[10:11], off offset:56
	s_waitcnt vmcnt(0)
	v_cmp_eq_u32_e32 vcc, 0, v9
	s_and_saveexec_b64 s[14:15], vcc
	s_cbranch_execz .LBB300_4
; %bb.20:                               ;   in Loop: Header=BB300_5 Depth=1
	v_lshl_add_u64 v[10:11], v[6:7], 0, s[4:5]
	v_add_f32_e32 v1, v12, v1
	v_mov_b32_e32 v9, v8
	global_store_dwordx2 v[10:11], v[8:9], off offset:56
	s_branch .LBB300_4
.LBB300_21:
	v_mov_b32_e32 v1, 0
.LBB300_22:
	s_and_b32 s9, s8, 7
	s_cmp_eq_u32 s9, 0
	s_mov_b32 s13, 0
	s_cbranch_scc1 .LBB300_27
; %bb.23:
	s_lshl_b64 s[4:5], s[12:13], 3
	s_add_u32 s4, s6, s4
	s_addc_u32 s5, s7, s5
	v_add_u32_e32 v4, s12, v0
	v_lshl_add_u64 v[6:7], v[2:3], 3, s[4:5]
	v_mov_b32_e32 v8, 0
	s_branch .LBB300_25
.LBB300_24:                             ;   in Loop: Header=BB300_25 Depth=1
	s_or_b64 exec, exec, s[4:5]
	s_add_i32 s9, s9, -1
	v_add_u32_e32 v4, 1, v4
	s_cmp_lg_u32 s9, 0
	v_lshl_add_u64 v[6:7], v[6:7], 0, 8
	s_cbranch_scc0 .LBB300_27
.LBB300_25:                             ; =>This Inner Loop Header: Depth=1
	global_load_dword v5, v[6:7], off
	s_waitcnt vmcnt(0)
	v_cmp_eq_u32_e32 vcc, 0, v5
	s_and_saveexec_b64 s[4:5], vcc
	s_cbranch_execz .LBB300_24
; %bb.26:                               ;   in Loop: Header=BB300_25 Depth=1
	v_ashrrev_i32_e32 v5, 31, v4
	s_waitcnt lgkmcnt(0)
	v_lshl_add_u64 v[10:11], v[4:5], 3, s[2:3]
	v_add_f32_e32 v1, v12, v1
	v_mov_b32_e32 v9, v8
	global_store_dwordx2 v[10:11], v[8:9], off
	s_branch .LBB300_24
.LBB300_27:
	s_load_dword s4, s[0:1], 0x3c
	s_waitcnt lgkmcnt(0)
	s_load_dwordx2 s[2:3], s[0:1], 0x40
	s_bitcmp1_b32 s4, 0
	s_cselect_b64 s[4:5], -1, 0
	s_waitcnt lgkmcnt(0)
	v_cvt_f32_f64_e32 v4, s[2:3]
	s_and_b64 vcc, exec, s[4:5]
	s_cbranch_vccz .LBB300_29
; %bb.28:
	v_cmp_lt_f32_e32 vcc, 0, v1
	s_nop 1
	v_cndmask_b32_e32 v1, 1.0, v1, vcc
	v_div_scale_f32 v5, s[2:3], v1, v1, v4
	v_rcp_f32_e32 v6, v5
	s_nop 0
	v_fma_f32 v7, -v5, v6, 1.0
	v_fmac_f32_e32 v6, v7, v6
	v_div_scale_f32 v7, vcc, v4, v1, v4
	v_mul_f32_e32 v8, v7, v6
	v_fma_f32 v9, -v5, v8, v7
	v_fmac_f32_e32 v8, v9, v6
	v_fma_f32 v5, -v5, v8, v7
	v_div_fmas_f32 v5, v5, v6, v8
	v_div_fixup_f32 v4, v5, v1, v4
.LBB300_29:
	s_andn2_b64 vcc, exec, s[10:11]
	s_cbranch_vccnz .LBB300_54
; %bb.30:
	s_load_dwordx2 s[0:1], s[0:1], 0x10
	v_mul_f32_e32 v8, v12, v4
	s_cmp_lt_u32 s8, 8
	s_mov_b32 s2, 0
	s_cbranch_scc1 .LBB300_49
; %bb.31:
	v_ashrrev_i32_e32 v1, 31, v0
	s_waitcnt lgkmcnt(0)
	v_lshl_add_u64 v[4:5], v[0:1], 2, s[0:1]
	v_lshl_add_u64 v[6:7], v[2:3], 3, s[6:7]
	s_and_b32 s2, s8, 0x7ffffff8
	v_lshl_add_u64 v[4:5], v[4:5], 0, 28
	v_lshl_add_u64 v[6:7], v[6:7], 0, 56
	s_mov_b32 s3, 0
	s_branch .LBB300_33
.LBB300_32:                             ;   in Loop: Header=BB300_33 Depth=1
	s_or_b64 exec, exec, s[4:5]
	s_add_i32 s3, s3, 8
	v_lshl_add_u64 v[4:5], v[4:5], 0, 32
	s_cmp_lg_u32 s2, s3
	v_lshl_add_u64 v[6:7], v[6:7], 0, 64
	s_cbranch_scc0 .LBB300_49
.LBB300_33:                             ; =>This Inner Loop Header: Depth=1
	global_load_dword v1, v[6:7], off offset:-56
	s_waitcnt vmcnt(0)
	v_cmp_eq_u32_e32 vcc, 0, v1
	s_and_saveexec_b64 s[4:5], vcc
	s_cbranch_execz .LBB300_35
; %bb.34:                               ;   in Loop: Header=BB300_33 Depth=1
	v_add_u32_e32 v10, s3, v0
	v_ashrrev_i32_e32 v11, 31, v10
	v_lshl_add_u64 v[10:11], v[10:11], 2, s[0:1]
	global_store_dword v[10:11], v8, off
.LBB300_35:                             ;   in Loop: Header=BB300_33 Depth=1
	s_or_b64 exec, exec, s[4:5]
	global_load_dword v1, v[6:7], off offset:-48
	s_waitcnt vmcnt(0)
	v_cmp_eq_u32_e32 vcc, 0, v1
	s_and_saveexec_b64 s[4:5], vcc
	s_cbranch_execz .LBB300_37
; %bb.36:                               ;   in Loop: Header=BB300_33 Depth=1
	global_store_dword v[4:5], v8, off offset:-24
.LBB300_37:                             ;   in Loop: Header=BB300_33 Depth=1
	s_or_b64 exec, exec, s[4:5]
	global_load_dword v1, v[6:7], off offset:-40
	s_waitcnt vmcnt(0)
	v_cmp_eq_u32_e32 vcc, 0, v1
	s_and_saveexec_b64 s[4:5], vcc
	s_cbranch_execz .LBB300_39
; %bb.38:                               ;   in Loop: Header=BB300_33 Depth=1
	global_store_dword v[4:5], v8, off offset:-20
.LBB300_39:                             ;   in Loop: Header=BB300_33 Depth=1
	;; [unrolled: 9-line block ×6, first 2 shown]
	s_or_b64 exec, exec, s[4:5]
	global_load_dword v1, v[6:7], off
	s_waitcnt vmcnt(0)
	v_cmp_eq_u32_e32 vcc, 0, v1
	s_and_saveexec_b64 s[4:5], vcc
	s_cbranch_execz .LBB300_32
; %bb.48:                               ;   in Loop: Header=BB300_33 Depth=1
	global_store_dword v[4:5], v8, off
	s_branch .LBB300_32
.LBB300_49:
	s_and_b32 s4, s8, 7
	s_cmp_eq_u32 s4, 0
	s_mov_b32 s3, 0
	s_cbranch_scc1 .LBB300_54
; %bb.50:
	v_add_u32_e32 v0, s2, v0
	s_lshl_b64 s[2:3], s[2:3], 3
	s_add_u32 s2, s6, s2
	s_addc_u32 s3, s7, s3
	v_lshl_add_u64 v[2:3], v[2:3], 3, s[2:3]
	s_branch .LBB300_52
.LBB300_51:                             ;   in Loop: Header=BB300_52 Depth=1
	s_or_b64 exec, exec, s[2:3]
	s_add_i32 s4, s4, -1
	v_add_u32_e32 v0, 1, v0
	s_cmp_lg_u32 s4, 0
	v_lshl_add_u64 v[2:3], v[2:3], 0, 8
	s_cbranch_scc0 .LBB300_54
.LBB300_52:                             ; =>This Inner Loop Header: Depth=1
	global_load_dword v1, v[2:3], off
	s_waitcnt vmcnt(0)
	v_cmp_eq_u32_e32 vcc, 0, v1
	s_and_saveexec_b64 s[2:3], vcc
	s_cbranch_execz .LBB300_51
; %bb.53:                               ;   in Loop: Header=BB300_52 Depth=1
	v_ashrrev_i32_e32 v1, 31, v0
	s_waitcnt lgkmcnt(0)
	v_lshl_add_u64 v[4:5], v[0:1], 2, s[0:1]
	global_store_dword v[4:5], v8, off
	s_branch .LBB300_51
.LBB300_54:
	s_endpgm
	.section	.rodata,"a",@progbits
	.p2align	6, 0x0
	.amdhsa_kernel _ZN4vllm3moe22topkGatingSoftplusSqrtILi1ELi1ELi4ELi2ELi64ELb1El6__halfEEvPKT6_PKbPfiPT5_PiiiibdPKfPKS9_SF_
		.amdhsa_group_segment_fixed_size 0
		.amdhsa_private_segment_fixed_size 0
		.amdhsa_kernarg_size 96
		.amdhsa_user_sgpr_count 2
		.amdhsa_user_sgpr_dispatch_ptr 0
		.amdhsa_user_sgpr_queue_ptr 0
		.amdhsa_user_sgpr_kernarg_segment_ptr 1
		.amdhsa_user_sgpr_dispatch_id 0
		.amdhsa_user_sgpr_kernarg_preload_length 0
		.amdhsa_user_sgpr_kernarg_preload_offset 0
		.amdhsa_user_sgpr_private_segment_size 0
		.amdhsa_uses_dynamic_stack 0
		.amdhsa_enable_private_segment 0
		.amdhsa_system_sgpr_workgroup_id_x 1
		.amdhsa_system_sgpr_workgroup_id_y 0
		.amdhsa_system_sgpr_workgroup_id_z 0
		.amdhsa_system_sgpr_workgroup_info 0
		.amdhsa_system_vgpr_workitem_id 1
		.amdhsa_next_free_vgpr 16
		.amdhsa_next_free_sgpr 16
		.amdhsa_accum_offset 16
		.amdhsa_reserve_vcc 1
		.amdhsa_float_round_mode_32 0
		.amdhsa_float_round_mode_16_64 0
		.amdhsa_float_denorm_mode_32 3
		.amdhsa_float_denorm_mode_16_64 3
		.amdhsa_dx10_clamp 1
		.amdhsa_ieee_mode 1
		.amdhsa_fp16_overflow 0
		.amdhsa_tg_split 0
		.amdhsa_exception_fp_ieee_invalid_op 0
		.amdhsa_exception_fp_denorm_src 0
		.amdhsa_exception_fp_ieee_div_zero 0
		.amdhsa_exception_fp_ieee_overflow 0
		.amdhsa_exception_fp_ieee_underflow 0
		.amdhsa_exception_fp_ieee_inexact 0
		.amdhsa_exception_int_div_zero 0
	.end_amdhsa_kernel
	.section	.text._ZN4vllm3moe22topkGatingSoftplusSqrtILi1ELi1ELi4ELi2ELi64ELb1El6__halfEEvPKT6_PKbPfiPT5_PiiiibdPKfPKS9_SF_,"axG",@progbits,_ZN4vllm3moe22topkGatingSoftplusSqrtILi1ELi1ELi4ELi2ELi64ELb1El6__halfEEvPKT6_PKbPfiPT5_PiiiibdPKfPKS9_SF_,comdat
.Lfunc_end300:
	.size	_ZN4vllm3moe22topkGatingSoftplusSqrtILi1ELi1ELi4ELi2ELi64ELb1El6__halfEEvPKT6_PKbPfiPT5_PiiiibdPKfPKS9_SF_, .Lfunc_end300-_ZN4vllm3moe22topkGatingSoftplusSqrtILi1ELi1ELi4ELi2ELi64ELb1El6__halfEEvPKT6_PKbPfiPT5_PiiiibdPKfPKS9_SF_
                                        ; -- End function
	.section	.AMDGPU.csdata,"",@progbits
; Kernel info:
; codeLenInByte = 1884
; NumSgprs: 22
; NumVgprs: 16
; NumAgprs: 0
; TotalNumVgprs: 16
; ScratchSize: 0
; MemoryBound: 0
; FloatMode: 240
; IeeeMode: 1
; LDSByteSize: 0 bytes/workgroup (compile time only)
; SGPRBlocks: 2
; VGPRBlocks: 1
; NumSGPRsForWavesPerEU: 22
; NumVGPRsForWavesPerEU: 16
; AccumOffset: 16
; Occupancy: 8
; WaveLimiterHint : 1
; COMPUTE_PGM_RSRC2:SCRATCH_EN: 0
; COMPUTE_PGM_RSRC2:USER_SGPR: 2
; COMPUTE_PGM_RSRC2:TRAP_HANDLER: 0
; COMPUTE_PGM_RSRC2:TGID_X_EN: 1
; COMPUTE_PGM_RSRC2:TGID_Y_EN: 0
; COMPUTE_PGM_RSRC2:TGID_Z_EN: 0
; COMPUTE_PGM_RSRC2:TIDIG_COMP_CNT: 1
; COMPUTE_PGM_RSRC3_GFX90A:ACCUM_OFFSET: 3
; COMPUTE_PGM_RSRC3_GFX90A:TG_SPLIT: 0
	.section	.text._ZN4vllm3moe22topkGatingSoftplusSqrtILi1ELi1ELi4ELi2ELi64ELb0El6__halfEEvPKT6_PKbPfiPT5_PiiiibdPKfPKS9_SF_,"axG",@progbits,_ZN4vllm3moe22topkGatingSoftplusSqrtILi1ELi1ELi4ELi2ELi64ELb0El6__halfEEvPKT6_PKbPfiPT5_PiiiibdPKfPKS9_SF_,comdat
	.protected	_ZN4vllm3moe22topkGatingSoftplusSqrtILi1ELi1ELi4ELi2ELi64ELb0El6__halfEEvPKT6_PKbPfiPT5_PiiiibdPKfPKS9_SF_ ; -- Begin function _ZN4vllm3moe22topkGatingSoftplusSqrtILi1ELi1ELi4ELi2ELi64ELb0El6__halfEEvPKT6_PKbPfiPT5_PiiiibdPKfPKS9_SF_
	.globl	_ZN4vllm3moe22topkGatingSoftplusSqrtILi1ELi1ELi4ELi2ELi64ELb0El6__halfEEvPKT6_PKbPfiPT5_PiiiibdPKfPKS9_SF_
	.p2align	8
	.type	_ZN4vllm3moe22topkGatingSoftplusSqrtILi1ELi1ELi4ELi2ELi64ELb0El6__halfEEvPKT6_PKbPfiPT5_PiiiibdPKfPKS9_SF_,@function
_ZN4vllm3moe22topkGatingSoftplusSqrtILi1ELi1ELi4ELi2ELi64ELb0El6__halfEEvPKT6_PKbPfiPT5_PiiiibdPKfPKS9_SF_: ; @_ZN4vllm3moe22topkGatingSoftplusSqrtILi1ELi1ELi4ELi2ELi64ELb0El6__halfEEvPKT6_PKbPfiPT5_PiiiibdPKfPKS9_SF_
; %bb.0:
	s_load_dword s24, s[0:1], 0x18
	v_bfe_u32 v1, v0, 10, 10
	s_lshl_b32 s2, s2, 8
	v_lshlrev_b32_e32 v1, 6, v1
	v_and_b32_e32 v0, 0x3ff, v0
	v_add3_u32 v2, v1, v0, s2
	s_waitcnt lgkmcnt(0)
	v_cmp_gt_i32_e32 vcc, s24, v2
	s_and_saveexec_b64 s[2:3], vcc
	s_cbranch_execz .LBB301_24
; %bb.1:
	s_load_dwordx4 s[4:7], s[0:1], 0x0
	s_load_dwordx2 s[16:17], s[0:1], 0x10
	v_ashrrev_i32_e32 v3, 31, v2
	s_waitcnt lgkmcnt(0)
	s_cmp_eq_u64 s[6:7], 0
	s_cbranch_scc1 .LBB301_3
; %bb.2:
	v_lshl_add_u64 v[0:1], s[6:7], 0, v[2:3]
	global_load_ubyte v0, v[0:1], off
	s_waitcnt vmcnt(0)
	v_and_b32_e32 v0, 1, v0
	v_cmp_eq_u32_e32 vcc, 1, v0
	s_xor_b64 s[2:3], vcc, -1
	s_orn2_b64 s[18:19], s[2:3], exec
	s_branch .LBB301_4
.LBB301_3:
	s_mov_b64 s[18:19], -1
.LBB301_4:
	v_mov_b32_e32 v0, s4
	v_mov_b32_e32 v1, s5
	v_lshl_add_u64 v[0:1], v[2:3], 1, v[0:1]
	global_load_ushort v0, v[0:1], off
	s_mov_b32 s3, 0x800000
	v_mov_b32_e32 v3, 0x4f800000
	s_mov_b32 s4, 0x3f317217
	s_mov_b32 s5, 0x7f800000
	v_mov_b32_e32 v5, 0x41b17218
	s_movk_i32 s2, 0x4d00
	s_load_dwordx4 s[8:11], s[0:1], 0x40
	s_waitcnt lgkmcnt(0)
	s_cmp_lg_u64 s[10:11], 0
	s_cselect_b64 s[22:23], -1, 0
	s_cmp_eq_u64 s[10:11], 0
	s_waitcnt vmcnt(0)
	v_cvt_f32_f16_e32 v1, v0
	v_mul_f32_e32 v4, 0x3fb8aa3b, v1
	v_exp_f32_e32 v4, v4
	s_nop 0
	v_add_f32_e32 v4, 1.0, v4
	v_cmp_gt_f32_e32 vcc, s3, v4
	s_mov_b32 s3, 0xf800000
	s_nop 0
	v_cndmask_b32_e32 v3, 1.0, v3, vcc
	v_mul_f32_e32 v3, v4, v3
	v_log_f32_e32 v3, v3
	v_cndmask_b32_e32 v5, 0, v5, vcc
	v_mov_b32_e32 v4, 0x260
	v_mul_f32_e32 v6, 0x3f317217, v3
	v_fma_f32 v6, v3, s4, -v6
	v_fmamk_f32 v6, v3, 0x3377d1cf, v6
	v_fmac_f32_e32 v6, 0x3f317217, v3
	v_cmp_lt_f32_e64 vcc, |v3|, s5
	s_nop 1
	v_cndmask_b32_e32 v3, v3, v6, vcc
	v_sub_f32_e32 v3, v3, v5
	v_cmp_lt_f16_e32 vcc, s2, v0
	s_nop 1
	v_cndmask_b32_e32 v0, v3, v1, vcc
	v_mul_f32_e32 v1, 0x4f800000, v0
	v_cmp_gt_f32_e32 vcc, s3, v0
	s_nop 1
	v_cndmask_b32_e32 v0, v0, v1, vcc
	v_sqrt_f32_e32 v1, v0
	s_nop 0
	v_add_u32_e32 v3, -1, v1
	v_add_u32_e32 v5, 1, v1
	v_fma_f32 v6, -v3, v1, v0
	v_fma_f32 v7, -v5, v1, v0
	v_cmp_ge_f32_e64 s[2:3], 0, v6
	s_nop 1
	v_cndmask_b32_e64 v1, v1, v3, s[2:3]
	v_cmp_lt_f32_e64 s[2:3], 0, v7
	s_nop 1
	v_cndmask_b32_e64 v1, v1, v5, s[2:3]
	v_mul_f32_e32 v3, 0x37800000, v1
	v_cndmask_b32_e32 v1, v1, v3, vcc
	v_cmp_class_f32_e32 vcc, v0, v4
	s_nop 1
	v_cndmask_b32_e32 v1, v1, v0, vcc
	s_cbranch_scc1 .LBB301_6
; %bb.5:
	s_load_dword s2, s[10:11], 0x0
	s_waitcnt lgkmcnt(0)
	v_add_f32_e32 v1, s2, v1
.LBB301_6:
	s_load_dwordx4 s[4:7], s[0:1], 0x30
	s_waitcnt lgkmcnt(0)
	s_bitcmp1_b32 s7, 0
	s_cselect_b64 s[2:3], -1, 0
	s_cmp_gt_i32 s4, 0
	s_cselect_b64 s[20:21], -1, 0
	s_cmp_lt_i32 s4, 1
	v_mul_lo_u32 v0, v2, s4
	s_cbranch_scc1 .LBB301_11
; %bb.7:
	s_cmp_lt_i32 s5, 1
	s_load_dwordx4 s[12:15], s[0:1], 0x20
	s_cselect_b64 s[0:1], -1, 0
	s_cmp_gt_i32 s6, 0
	s_cselect_b64 s[26:27], -1, 0
	s_sub_i32 s5, 0, s5
	s_and_b64 s[0:1], s[0:1], s[26:27]
	s_ashr_i32 s6, s5, 31
	v_mov_b32_e32 v3, s6
	s_and_b64 vcc, s[18:19], s[0:1]
	v_cndmask_b32_e32 v5, 0, v3, vcc
	v_mov_b32_e32 v3, s5
	v_cndmask_b32_e32 v4, 1, v3, vcc
	v_cndmask_b32_e64 v3, 0, 1, s[22:23]
	s_mov_b32 s7, 0
	v_mov_b32_e32 v6, 0
	v_cmp_ne_u32_e64 s[0:1], 1, v3
	v_mov_b32_e32 v7, 0xc61c4000
	v_mov_b32_e32 v3, 0
	s_branch .LBB301_9
.LBB301_8:                              ;   in Loop: Header=BB301_9 Depth=1
	v_add_u32_e32 v10, s7, v0
	v_ashrrev_i32_e32 v11, 31, v10
	v_lshlrev_b64 v[12:13], 2, v[10:11]
	s_add_i32 s7, s7, 1
	v_lshl_add_u64 v[14:15], s[16:17], 0, v[12:13]
	s_waitcnt lgkmcnt(0)
	v_lshl_add_u64 v[10:11], v[10:11], 3, s[12:13]
	s_cmp_ge_i32 s7, s4
	global_store_dword v[14:15], v8, off
	global_store_dwordx2 v[10:11], v[4:5], off
	v_lshl_add_u64 v[10:11], s[14:15], 0, v[12:13]
	v_add_f32_e32 v8, v3, v8
	s_cselect_b64 vcc, -1, 0
	global_store_dword v[10:11], v2, off
	v_cndmask_b32_e64 v3, v3, v8, s[2:3]
	v_cndmask_b32_e32 v1, v7, v1, vcc
	s_cmp_lg_u32 s4, s7
	v_add_u32_e32 v2, s24, v2
	s_cbranch_scc0 .LBB301_12
.LBB301_9:                              ; =>This Inner Loop Header: Depth=1
	s_and_b64 vcc, exec, s[0:1]
	v_mov_b32_e32 v8, v1
	s_cbranch_vccnz .LBB301_8
; %bb.10:                               ;   in Loop: Header=BB301_9 Depth=1
	global_load_dword v8, v6, s[10:11]
	s_waitcnt vmcnt(0)
	v_sub_f32_e32 v8, v1, v8
	s_branch .LBB301_8
.LBB301_11:
	v_mov_b32_e32 v3, 0
.LBB301_12:
	s_andn2_b64 vcc, exec, s[2:3]
	v_cvt_f32_f64_e32 v2, s[8:9]
	s_cbranch_vccnz .LBB301_14
; %bb.13:
	v_cmp_lt_f32_e32 vcc, 0, v3
	s_nop 1
	v_cndmask_b32_e32 v1, 1.0, v3, vcc
	v_div_scale_f32 v3, s[0:1], v1, v1, v2
	v_rcp_f32_e32 v4, v3
	s_nop 0
	v_fma_f32 v5, -v3, v4, 1.0
	v_fmac_f32_e32 v4, v5, v4
	v_div_scale_f32 v5, vcc, v2, v1, v2
	v_mul_f32_e32 v6, v5, v4
	v_fma_f32 v7, -v3, v6, v5
	v_fmac_f32_e32 v6, v7, v4
	v_fma_f32 v3, -v3, v6, v5
	v_div_fmas_f32 v3, v3, v4, v6
	v_div_fixup_f32 v2, v3, v1, v2
.LBB301_14:
	s_andn2_b64 vcc, exec, s[20:21]
	s_cbranch_vccnz .LBB301_24
; %bb.15:
	s_cmp_gt_u32 s4, 3
	v_ashrrev_i32_e32 v1, 31, v0
	s_cbranch_scc0 .LBB301_19
; %bb.16:
	s_and_b32 s0, s4, 0x7ffffffc
	v_lshl_add_u64 v[4:5], v[0:1], 2, s[16:17]
	v_mov_b32_e32 v3, v2
	v_lshl_add_u64 v[4:5], v[4:5], 0, 8
	s_mov_b32 s1, s0
.LBB301_17:                             ; =>This Inner Loop Header: Depth=1
	global_load_dwordx4 v[6:9], v[4:5], off offset:-8
	s_add_i32 s1, s1, -4
	s_cmp_lg_u32 s1, 0
	s_waitcnt vmcnt(0)
	v_pk_mul_f32 v[6:7], v[2:3], v[6:7]
	v_pk_mul_f32 v[8:9], v[2:3], v[8:9]
	global_store_dwordx4 v[4:5], v[6:9], off offset:-8
	v_lshl_add_u64 v[4:5], v[4:5], 0, 16
	s_cbranch_scc1 .LBB301_17
; %bb.18:
	s_cmp_lg_u32 s0, s4
	s_cselect_b64 s[2:3], -1, 0
	s_branch .LBB301_21
.LBB301_19:
	s_mov_b64 s[2:3], 0
                                        ; implicit-def: $sgpr0
	s_cbranch_execz .LBB301_21
; %bb.20:
	s_mov_b64 s[2:3], -1
	s_mov_b32 s0, 0
.LBB301_21:
	s_andn2_b64 vcc, exec, s[2:3]
	s_cbranch_vccnz .LBB301_24
; %bb.22:
	s_mov_b32 s1, 0
	v_lshl_add_u64 v[0:1], v[0:1], 0, s[0:1]
	s_sub_i32 s2, s4, s0
	v_lshl_add_u64 v[0:1], v[0:1], 2, s[16:17]
.LBB301_23:                             ; =>This Inner Loop Header: Depth=1
	global_load_dword v3, v[0:1], off
	s_add_i32 s2, s2, -1
	s_cmp_lg_u32 s2, 0
	s_waitcnt vmcnt(0)
	v_mul_f32_e32 v3, v2, v3
	global_store_dword v[0:1], v3, off
	v_lshl_add_u64 v[0:1], v[0:1], 0, 4
	s_cbranch_scc1 .LBB301_23
.LBB301_24:
	s_endpgm
	.section	.rodata,"a",@progbits
	.p2align	6, 0x0
	.amdhsa_kernel _ZN4vllm3moe22topkGatingSoftplusSqrtILi1ELi1ELi4ELi2ELi64ELb0El6__halfEEvPKT6_PKbPfiPT5_PiiiibdPKfPKS9_SF_
		.amdhsa_group_segment_fixed_size 0
		.amdhsa_private_segment_fixed_size 0
		.amdhsa_kernarg_size 96
		.amdhsa_user_sgpr_count 2
		.amdhsa_user_sgpr_dispatch_ptr 0
		.amdhsa_user_sgpr_queue_ptr 0
		.amdhsa_user_sgpr_kernarg_segment_ptr 1
		.amdhsa_user_sgpr_dispatch_id 0
		.amdhsa_user_sgpr_kernarg_preload_length 0
		.amdhsa_user_sgpr_kernarg_preload_offset 0
		.amdhsa_user_sgpr_private_segment_size 0
		.amdhsa_uses_dynamic_stack 0
		.amdhsa_enable_private_segment 0
		.amdhsa_system_sgpr_workgroup_id_x 1
		.amdhsa_system_sgpr_workgroup_id_y 0
		.amdhsa_system_sgpr_workgroup_id_z 0
		.amdhsa_system_sgpr_workgroup_info 0
		.amdhsa_system_vgpr_workitem_id 1
		.amdhsa_next_free_vgpr 16
		.amdhsa_next_free_sgpr 28
		.amdhsa_accum_offset 16
		.amdhsa_reserve_vcc 1
		.amdhsa_float_round_mode_32 0
		.amdhsa_float_round_mode_16_64 0
		.amdhsa_float_denorm_mode_32 3
		.amdhsa_float_denorm_mode_16_64 3
		.amdhsa_dx10_clamp 1
		.amdhsa_ieee_mode 1
		.amdhsa_fp16_overflow 0
		.amdhsa_tg_split 0
		.amdhsa_exception_fp_ieee_invalid_op 0
		.amdhsa_exception_fp_denorm_src 0
		.amdhsa_exception_fp_ieee_div_zero 0
		.amdhsa_exception_fp_ieee_overflow 0
		.amdhsa_exception_fp_ieee_underflow 0
		.amdhsa_exception_fp_ieee_inexact 0
		.amdhsa_exception_int_div_zero 0
	.end_amdhsa_kernel
	.section	.text._ZN4vllm3moe22topkGatingSoftplusSqrtILi1ELi1ELi4ELi2ELi64ELb0El6__halfEEvPKT6_PKbPfiPT5_PiiiibdPKfPKS9_SF_,"axG",@progbits,_ZN4vllm3moe22topkGatingSoftplusSqrtILi1ELi1ELi4ELi2ELi64ELb0El6__halfEEvPKT6_PKbPfiPT5_PiiiibdPKfPKS9_SF_,comdat
.Lfunc_end301:
	.size	_ZN4vllm3moe22topkGatingSoftplusSqrtILi1ELi1ELi4ELi2ELi64ELb0El6__halfEEvPKT6_PKbPfiPT5_PiiiibdPKfPKS9_SF_, .Lfunc_end301-_ZN4vllm3moe22topkGatingSoftplusSqrtILi1ELi1ELi4ELi2ELi64ELb0El6__halfEEvPKT6_PKbPfiPT5_PiiiibdPKfPKS9_SF_
                                        ; -- End function
	.section	.AMDGPU.csdata,"",@progbits
; Kernel info:
; codeLenInByte = 1092
; NumSgprs: 34
; NumVgprs: 16
; NumAgprs: 0
; TotalNumVgprs: 16
; ScratchSize: 0
; MemoryBound: 0
; FloatMode: 240
; IeeeMode: 1
; LDSByteSize: 0 bytes/workgroup (compile time only)
; SGPRBlocks: 4
; VGPRBlocks: 1
; NumSGPRsForWavesPerEU: 34
; NumVGPRsForWavesPerEU: 16
; AccumOffset: 16
; Occupancy: 8
; WaveLimiterHint : 0
; COMPUTE_PGM_RSRC2:SCRATCH_EN: 0
; COMPUTE_PGM_RSRC2:USER_SGPR: 2
; COMPUTE_PGM_RSRC2:TRAP_HANDLER: 0
; COMPUTE_PGM_RSRC2:TGID_X_EN: 1
; COMPUTE_PGM_RSRC2:TGID_Y_EN: 0
; COMPUTE_PGM_RSRC2:TGID_Z_EN: 0
; COMPUTE_PGM_RSRC2:TIDIG_COMP_CNT: 1
; COMPUTE_PGM_RSRC3_GFX90A:ACCUM_OFFSET: 3
; COMPUTE_PGM_RSRC3_GFX90A:TG_SPLIT: 0
	.section	.text._ZN4vllm3moe22topkGatingSoftplusSqrtILi1ELi1ELi4ELi2ELi32ELb1El6__halfEEvPKT6_PKbPfiPT5_PiiiibdPKfPKS9_SF_,"axG",@progbits,_ZN4vllm3moe22topkGatingSoftplusSqrtILi1ELi1ELi4ELi2ELi32ELb1El6__halfEEvPKT6_PKbPfiPT5_PiiiibdPKfPKS9_SF_,comdat
	.protected	_ZN4vllm3moe22topkGatingSoftplusSqrtILi1ELi1ELi4ELi2ELi32ELb1El6__halfEEvPKT6_PKbPfiPT5_PiiiibdPKfPKS9_SF_ ; -- Begin function _ZN4vllm3moe22topkGatingSoftplusSqrtILi1ELi1ELi4ELi2ELi32ELb1El6__halfEEvPKT6_PKbPfiPT5_PiiiibdPKfPKS9_SF_
	.globl	_ZN4vllm3moe22topkGatingSoftplusSqrtILi1ELi1ELi4ELi2ELi32ELb1El6__halfEEvPKT6_PKbPfiPT5_PiiiibdPKfPKS9_SF_
	.p2align	8
	.type	_ZN4vllm3moe22topkGatingSoftplusSqrtILi1ELi1ELi4ELi2ELi32ELb1El6__halfEEvPKT6_PKbPfiPT5_PiiiibdPKfPKS9_SF_,@function
_ZN4vllm3moe22topkGatingSoftplusSqrtILi1ELi1ELi4ELi2ELi32ELb1El6__halfEEvPKT6_PKbPfiPT5_PiiiibdPKfPKS9_SF_: ; @_ZN4vllm3moe22topkGatingSoftplusSqrtILi1ELi1ELi4ELi2ELi32ELb1El6__halfEEvPKT6_PKbPfiPT5_PiiiibdPKfPKS9_SF_
; %bb.0:
	s_load_dword s3, s[0:1], 0x18
	v_bfe_u32 v1, v0, 10, 10
	s_lshl_b32 s2, s2, 7
	v_lshlrev_b32_e32 v1, 5, v1
	v_and_b32_e32 v0, 0x3ff, v0
	v_add3_u32 v0, v1, v0, s2
	s_waitcnt lgkmcnt(0)
	v_cmp_gt_i32_e32 vcc, s3, v0
	s_and_saveexec_b64 s[2:3], vcc
	s_cbranch_execz .LBB302_54
; %bb.1:
	s_load_dwordx2 s[2:3], s[0:1], 0x0
	s_load_dword s8, s[0:1], 0x30
	v_ashrrev_i32_e32 v1, 31, v0
	s_load_dwordx4 s[4:7], s[0:1], 0x50
	v_mov_b32_e32 v5, 0x4f800000
	s_waitcnt lgkmcnt(0)
	v_lshl_add_u64 v[2:3], v[0:1], 1, s[2:3]
	global_load_ushort v4, v[2:3], off
	s_ashr_i32 s9, s8, 31
	v_mov_b32_e32 v2, s4
	v_mov_b32_e32 v3, s5
	v_lshl_add_u64 v[2:3], v[0:1], 3, v[2:3]
	global_load_dwordx2 v[2:3], v[2:3], off
	s_mov_b32 s5, 0x800000
	v_cmp_lt_i64_e64 s[2:3], s[8:9], 1
	s_and_b64 vcc, exec, s[2:3]
	v_mov_b32_e32 v6, 0x41b17218
	s_mov_b32 s13, 0x3f317217
	s_mov_b32 s14, 0x7f800000
	s_movk_i32 s4, 0x4d00
	s_mov_b32 s15, 0xf800000
	v_mov_b32_e32 v8, 0x260
	s_mov_b32 s12, 0
	v_mov_b32_e32 v1, 0
	v_mul_lo_u32 v0, v0, s8
	v_cmp_gt_i64_e64 s[10:11], s[8:9], 0
	s_waitcnt vmcnt(1)
	v_cvt_f32_f16_e32 v7, v4
	v_mul_f32_e32 v9, 0x3fb8aa3b, v7
	v_exp_f32_e32 v9, v9
	s_waitcnt vmcnt(0)
	v_mul_lo_u32 v10, v2, s9
	v_add_f32_e32 v9, 1.0, v9
	v_cmp_gt_f32_e64 s[2:3], s5, v9
	s_nop 1
	v_cndmask_b32_e64 v5, 1.0, v5, s[2:3]
	v_mul_f32_e32 v5, v9, v5
	v_log_f32_e32 v5, v5
	v_mul_lo_u32 v9, v3, s8
	v_cndmask_b32_e64 v3, 0, v6, s[2:3]
	v_mul_f32_e32 v6, 0x3f317217, v5
	v_fma_f32 v6, v5, s13, -v6
	v_fmamk_f32 v6, v5, 0x3377d1cf, v6
	v_fmac_f32_e32 v6, 0x3f317217, v5
	v_cmp_lt_f32_e64 s[2:3], |v5|, s14
	s_nop 1
	v_cndmask_b32_e64 v5, v5, v6, s[2:3]
	v_sub_f32_e32 v3, v5, v3
	v_cmp_lt_f16_e64 s[2:3], s4, v4
	s_nop 1
	v_cndmask_b32_e64 v3, v3, v7, s[2:3]
	v_mul_f32_e32 v4, 0x4f800000, v3
	v_cmp_gt_f32_e64 s[2:3], s15, v3
	s_nop 1
	v_cndmask_b32_e64 v4, v3, v4, s[2:3]
	v_sqrt_f32_e32 v5, v4
	v_mad_u64_u32 v[2:3], s[4:5], v2, s8, 0
	v_add3_u32 v3, v3, v10, v9
	v_add_u32_e32 v6, -1, v5
	v_add_u32_e32 v7, 1, v5
	v_fma_f32 v9, -v6, v5, v4
	v_fma_f32 v10, -v7, v5, v4
	v_cmp_ge_f32_e64 s[4:5], 0, v9
	s_nop 1
	v_cndmask_b32_e64 v5, v5, v6, s[4:5]
	v_cmp_lt_f32_e64 s[4:5], 0, v10
	s_nop 1
	v_cndmask_b32_e64 v5, v5, v7, s[4:5]
	v_mul_f32_e32 v6, 0x37800000, v5
	v_cndmask_b32_e64 v5, v5, v6, s[2:3]
	v_cmp_class_f32_e64 s[2:3], v4, v8
	s_nop 1
	v_cndmask_b32_e64 v12, v5, v4, s[2:3]
	s_cbranch_vccnz .LBB302_27
; %bb.2:
	s_load_dwordx2 s[2:3], s[0:1], 0x20
	s_cmp_lt_u32 s8, 8
	s_cbranch_scc1 .LBB302_21
; %bb.3:
	v_ashrrev_i32_e32 v1, 31, v0
	v_lshl_add_u64 v[4:5], v[2:3], 3, s[6:7]
	s_and_b32 s12, s8, 0x7ffffff8
	s_waitcnt lgkmcnt(0)
	v_lshl_add_u64 v[6:7], v[0:1], 3, s[2:3]
	s_mov_b32 s9, 0
	s_mov_b64 s[4:5], 0
	v_mov_b32_e32 v8, 0
	v_mov_b32_e32 v1, 0
	s_branch .LBB302_5
.LBB302_4:                              ;   in Loop: Header=BB302_5 Depth=1
	s_or_b64 exec, exec, s[14:15]
	s_add_i32 s9, s9, 8
	s_add_u32 s4, s4, 64
	s_addc_u32 s5, s5, 0
	s_cmp_eq_u32 s12, s9
	s_cbranch_scc1 .LBB302_22
.LBB302_5:                              ; =>This Inner Loop Header: Depth=1
	v_lshl_add_u64 v[10:11], v[4:5], 0, s[4:5]
	global_load_dword v9, v[10:11], off
	s_waitcnt vmcnt(0)
	v_cmp_eq_u32_e32 vcc, 0, v9
	s_and_saveexec_b64 s[14:15], vcc
	s_cbranch_execz .LBB302_7
; %bb.6:                                ;   in Loop: Header=BB302_5 Depth=1
	v_add_u32_e32 v14, s9, v0
	v_ashrrev_i32_e32 v15, 31, v14
	v_lshl_add_u64 v[14:15], v[14:15], 3, s[2:3]
	v_add_f32_e32 v1, v12, v1
	v_mov_b32_e32 v9, v8
	global_store_dwordx2 v[14:15], v[8:9], off
.LBB302_7:                              ;   in Loop: Header=BB302_5 Depth=1
	s_or_b64 exec, exec, s[14:15]
	global_load_dword v9, v[10:11], off offset:8
	s_waitcnt vmcnt(0)
	v_cmp_eq_u32_e32 vcc, 0, v9
	s_and_saveexec_b64 s[14:15], vcc
	s_cbranch_execz .LBB302_9
; %bb.8:                                ;   in Loop: Header=BB302_5 Depth=1
	v_lshl_add_u64 v[14:15], v[6:7], 0, s[4:5]
	v_add_f32_e32 v1, v12, v1
	v_mov_b32_e32 v9, v8
	global_store_dwordx2 v[14:15], v[8:9], off offset:8
.LBB302_9:                              ;   in Loop: Header=BB302_5 Depth=1
	s_or_b64 exec, exec, s[14:15]
	global_load_dword v9, v[10:11], off offset:16
	s_waitcnt vmcnt(0)
	v_cmp_eq_u32_e32 vcc, 0, v9
	s_and_saveexec_b64 s[14:15], vcc
	s_cbranch_execz .LBB302_11
; %bb.10:                               ;   in Loop: Header=BB302_5 Depth=1
	v_lshl_add_u64 v[14:15], v[6:7], 0, s[4:5]
	v_add_f32_e32 v1, v12, v1
	v_mov_b32_e32 v9, v8
	global_store_dwordx2 v[14:15], v[8:9], off offset:16
.LBB302_11:                             ;   in Loop: Header=BB302_5 Depth=1
	s_or_b64 exec, exec, s[14:15]
	global_load_dword v9, v[10:11], off offset:24
	s_waitcnt vmcnt(0)
	v_cmp_eq_u32_e32 vcc, 0, v9
	s_and_saveexec_b64 s[14:15], vcc
	s_cbranch_execz .LBB302_13
; %bb.12:                               ;   in Loop: Header=BB302_5 Depth=1
	v_lshl_add_u64 v[14:15], v[6:7], 0, s[4:5]
	v_add_f32_e32 v1, v12, v1
	v_mov_b32_e32 v9, v8
	global_store_dwordx2 v[14:15], v[8:9], off offset:24
.LBB302_13:                             ;   in Loop: Header=BB302_5 Depth=1
	;; [unrolled: 12-line block ×5, first 2 shown]
	s_or_b64 exec, exec, s[14:15]
	global_load_dword v9, v[10:11], off offset:56
	s_waitcnt vmcnt(0)
	v_cmp_eq_u32_e32 vcc, 0, v9
	s_and_saveexec_b64 s[14:15], vcc
	s_cbranch_execz .LBB302_4
; %bb.20:                               ;   in Loop: Header=BB302_5 Depth=1
	v_lshl_add_u64 v[10:11], v[6:7], 0, s[4:5]
	v_add_f32_e32 v1, v12, v1
	v_mov_b32_e32 v9, v8
	global_store_dwordx2 v[10:11], v[8:9], off offset:56
	s_branch .LBB302_4
.LBB302_21:
	v_mov_b32_e32 v1, 0
.LBB302_22:
	s_and_b32 s9, s8, 7
	s_cmp_eq_u32 s9, 0
	s_mov_b32 s13, 0
	s_cbranch_scc1 .LBB302_27
; %bb.23:
	s_lshl_b64 s[4:5], s[12:13], 3
	s_add_u32 s4, s6, s4
	s_addc_u32 s5, s7, s5
	v_add_u32_e32 v4, s12, v0
	v_lshl_add_u64 v[6:7], v[2:3], 3, s[4:5]
	v_mov_b32_e32 v8, 0
	s_branch .LBB302_25
.LBB302_24:                             ;   in Loop: Header=BB302_25 Depth=1
	s_or_b64 exec, exec, s[4:5]
	s_add_i32 s9, s9, -1
	v_add_u32_e32 v4, 1, v4
	s_cmp_lg_u32 s9, 0
	v_lshl_add_u64 v[6:7], v[6:7], 0, 8
	s_cbranch_scc0 .LBB302_27
.LBB302_25:                             ; =>This Inner Loop Header: Depth=1
	global_load_dword v5, v[6:7], off
	s_waitcnt vmcnt(0)
	v_cmp_eq_u32_e32 vcc, 0, v5
	s_and_saveexec_b64 s[4:5], vcc
	s_cbranch_execz .LBB302_24
; %bb.26:                               ;   in Loop: Header=BB302_25 Depth=1
	v_ashrrev_i32_e32 v5, 31, v4
	s_waitcnt lgkmcnt(0)
	v_lshl_add_u64 v[10:11], v[4:5], 3, s[2:3]
	v_add_f32_e32 v1, v12, v1
	v_mov_b32_e32 v9, v8
	global_store_dwordx2 v[10:11], v[8:9], off
	s_branch .LBB302_24
.LBB302_27:
	s_load_dword s4, s[0:1], 0x3c
	s_waitcnt lgkmcnt(0)
	s_load_dwordx2 s[2:3], s[0:1], 0x40
	s_bitcmp1_b32 s4, 0
	s_cselect_b64 s[4:5], -1, 0
	s_waitcnt lgkmcnt(0)
	v_cvt_f32_f64_e32 v4, s[2:3]
	s_and_b64 vcc, exec, s[4:5]
	s_cbranch_vccz .LBB302_29
; %bb.28:
	v_cmp_lt_f32_e32 vcc, 0, v1
	s_nop 1
	v_cndmask_b32_e32 v1, 1.0, v1, vcc
	v_div_scale_f32 v5, s[2:3], v1, v1, v4
	v_rcp_f32_e32 v6, v5
	s_nop 0
	v_fma_f32 v7, -v5, v6, 1.0
	v_fmac_f32_e32 v6, v7, v6
	v_div_scale_f32 v7, vcc, v4, v1, v4
	v_mul_f32_e32 v8, v7, v6
	v_fma_f32 v9, -v5, v8, v7
	v_fmac_f32_e32 v8, v9, v6
	v_fma_f32 v5, -v5, v8, v7
	v_div_fmas_f32 v5, v5, v6, v8
	v_div_fixup_f32 v4, v5, v1, v4
.LBB302_29:
	s_andn2_b64 vcc, exec, s[10:11]
	s_cbranch_vccnz .LBB302_54
; %bb.30:
	s_load_dwordx2 s[0:1], s[0:1], 0x10
	v_mul_f32_e32 v8, v12, v4
	s_cmp_lt_u32 s8, 8
	s_mov_b32 s2, 0
	s_cbranch_scc1 .LBB302_49
; %bb.31:
	v_ashrrev_i32_e32 v1, 31, v0
	s_waitcnt lgkmcnt(0)
	v_lshl_add_u64 v[4:5], v[0:1], 2, s[0:1]
	v_lshl_add_u64 v[6:7], v[2:3], 3, s[6:7]
	s_and_b32 s2, s8, 0x7ffffff8
	v_lshl_add_u64 v[4:5], v[4:5], 0, 28
	v_lshl_add_u64 v[6:7], v[6:7], 0, 56
	s_mov_b32 s3, 0
	s_branch .LBB302_33
.LBB302_32:                             ;   in Loop: Header=BB302_33 Depth=1
	s_or_b64 exec, exec, s[4:5]
	s_add_i32 s3, s3, 8
	v_lshl_add_u64 v[4:5], v[4:5], 0, 32
	s_cmp_lg_u32 s2, s3
	v_lshl_add_u64 v[6:7], v[6:7], 0, 64
	s_cbranch_scc0 .LBB302_49
.LBB302_33:                             ; =>This Inner Loop Header: Depth=1
	global_load_dword v1, v[6:7], off offset:-56
	s_waitcnt vmcnt(0)
	v_cmp_eq_u32_e32 vcc, 0, v1
	s_and_saveexec_b64 s[4:5], vcc
	s_cbranch_execz .LBB302_35
; %bb.34:                               ;   in Loop: Header=BB302_33 Depth=1
	v_add_u32_e32 v10, s3, v0
	v_ashrrev_i32_e32 v11, 31, v10
	v_lshl_add_u64 v[10:11], v[10:11], 2, s[0:1]
	global_store_dword v[10:11], v8, off
.LBB302_35:                             ;   in Loop: Header=BB302_33 Depth=1
	s_or_b64 exec, exec, s[4:5]
	global_load_dword v1, v[6:7], off offset:-48
	s_waitcnt vmcnt(0)
	v_cmp_eq_u32_e32 vcc, 0, v1
	s_and_saveexec_b64 s[4:5], vcc
	s_cbranch_execz .LBB302_37
; %bb.36:                               ;   in Loop: Header=BB302_33 Depth=1
	global_store_dword v[4:5], v8, off offset:-24
.LBB302_37:                             ;   in Loop: Header=BB302_33 Depth=1
	s_or_b64 exec, exec, s[4:5]
	global_load_dword v1, v[6:7], off offset:-40
	s_waitcnt vmcnt(0)
	v_cmp_eq_u32_e32 vcc, 0, v1
	s_and_saveexec_b64 s[4:5], vcc
	s_cbranch_execz .LBB302_39
; %bb.38:                               ;   in Loop: Header=BB302_33 Depth=1
	global_store_dword v[4:5], v8, off offset:-20
.LBB302_39:                             ;   in Loop: Header=BB302_33 Depth=1
	;; [unrolled: 9-line block ×6, first 2 shown]
	s_or_b64 exec, exec, s[4:5]
	global_load_dword v1, v[6:7], off
	s_waitcnt vmcnt(0)
	v_cmp_eq_u32_e32 vcc, 0, v1
	s_and_saveexec_b64 s[4:5], vcc
	s_cbranch_execz .LBB302_32
; %bb.48:                               ;   in Loop: Header=BB302_33 Depth=1
	global_store_dword v[4:5], v8, off
	s_branch .LBB302_32
.LBB302_49:
	s_and_b32 s4, s8, 7
	s_cmp_eq_u32 s4, 0
	s_mov_b32 s3, 0
	s_cbranch_scc1 .LBB302_54
; %bb.50:
	v_add_u32_e32 v0, s2, v0
	s_lshl_b64 s[2:3], s[2:3], 3
	s_add_u32 s2, s6, s2
	s_addc_u32 s3, s7, s3
	v_lshl_add_u64 v[2:3], v[2:3], 3, s[2:3]
	s_branch .LBB302_52
.LBB302_51:                             ;   in Loop: Header=BB302_52 Depth=1
	s_or_b64 exec, exec, s[2:3]
	s_add_i32 s4, s4, -1
	v_add_u32_e32 v0, 1, v0
	s_cmp_lg_u32 s4, 0
	v_lshl_add_u64 v[2:3], v[2:3], 0, 8
	s_cbranch_scc0 .LBB302_54
.LBB302_52:                             ; =>This Inner Loop Header: Depth=1
	global_load_dword v1, v[2:3], off
	s_waitcnt vmcnt(0)
	v_cmp_eq_u32_e32 vcc, 0, v1
	s_and_saveexec_b64 s[2:3], vcc
	s_cbranch_execz .LBB302_51
; %bb.53:                               ;   in Loop: Header=BB302_52 Depth=1
	v_ashrrev_i32_e32 v1, 31, v0
	s_waitcnt lgkmcnt(0)
	v_lshl_add_u64 v[4:5], v[0:1], 2, s[0:1]
	global_store_dword v[4:5], v8, off
	s_branch .LBB302_51
.LBB302_54:
	s_endpgm
	.section	.rodata,"a",@progbits
	.p2align	6, 0x0
	.amdhsa_kernel _ZN4vllm3moe22topkGatingSoftplusSqrtILi1ELi1ELi4ELi2ELi32ELb1El6__halfEEvPKT6_PKbPfiPT5_PiiiibdPKfPKS9_SF_
		.amdhsa_group_segment_fixed_size 0
		.amdhsa_private_segment_fixed_size 0
		.amdhsa_kernarg_size 96
		.amdhsa_user_sgpr_count 2
		.amdhsa_user_sgpr_dispatch_ptr 0
		.amdhsa_user_sgpr_queue_ptr 0
		.amdhsa_user_sgpr_kernarg_segment_ptr 1
		.amdhsa_user_sgpr_dispatch_id 0
		.amdhsa_user_sgpr_kernarg_preload_length 0
		.amdhsa_user_sgpr_kernarg_preload_offset 0
		.amdhsa_user_sgpr_private_segment_size 0
		.amdhsa_uses_dynamic_stack 0
		.amdhsa_enable_private_segment 0
		.amdhsa_system_sgpr_workgroup_id_x 1
		.amdhsa_system_sgpr_workgroup_id_y 0
		.amdhsa_system_sgpr_workgroup_id_z 0
		.amdhsa_system_sgpr_workgroup_info 0
		.amdhsa_system_vgpr_workitem_id 1
		.amdhsa_next_free_vgpr 16
		.amdhsa_next_free_sgpr 16
		.amdhsa_accum_offset 16
		.amdhsa_reserve_vcc 1
		.amdhsa_float_round_mode_32 0
		.amdhsa_float_round_mode_16_64 0
		.amdhsa_float_denorm_mode_32 3
		.amdhsa_float_denorm_mode_16_64 3
		.amdhsa_dx10_clamp 1
		.amdhsa_ieee_mode 1
		.amdhsa_fp16_overflow 0
		.amdhsa_tg_split 0
		.amdhsa_exception_fp_ieee_invalid_op 0
		.amdhsa_exception_fp_denorm_src 0
		.amdhsa_exception_fp_ieee_div_zero 0
		.amdhsa_exception_fp_ieee_overflow 0
		.amdhsa_exception_fp_ieee_underflow 0
		.amdhsa_exception_fp_ieee_inexact 0
		.amdhsa_exception_int_div_zero 0
	.end_amdhsa_kernel
	.section	.text._ZN4vllm3moe22topkGatingSoftplusSqrtILi1ELi1ELi4ELi2ELi32ELb1El6__halfEEvPKT6_PKbPfiPT5_PiiiibdPKfPKS9_SF_,"axG",@progbits,_ZN4vllm3moe22topkGatingSoftplusSqrtILi1ELi1ELi4ELi2ELi32ELb1El6__halfEEvPKT6_PKbPfiPT5_PiiiibdPKfPKS9_SF_,comdat
.Lfunc_end302:
	.size	_ZN4vllm3moe22topkGatingSoftplusSqrtILi1ELi1ELi4ELi2ELi32ELb1El6__halfEEvPKT6_PKbPfiPT5_PiiiibdPKfPKS9_SF_, .Lfunc_end302-_ZN4vllm3moe22topkGatingSoftplusSqrtILi1ELi1ELi4ELi2ELi32ELb1El6__halfEEvPKT6_PKbPfiPT5_PiiiibdPKfPKS9_SF_
                                        ; -- End function
	.section	.AMDGPU.csdata,"",@progbits
; Kernel info:
; codeLenInByte = 1884
; NumSgprs: 22
; NumVgprs: 16
; NumAgprs: 0
; TotalNumVgprs: 16
; ScratchSize: 0
; MemoryBound: 0
; FloatMode: 240
; IeeeMode: 1
; LDSByteSize: 0 bytes/workgroup (compile time only)
; SGPRBlocks: 2
; VGPRBlocks: 1
; NumSGPRsForWavesPerEU: 22
; NumVGPRsForWavesPerEU: 16
; AccumOffset: 16
; Occupancy: 8
; WaveLimiterHint : 1
; COMPUTE_PGM_RSRC2:SCRATCH_EN: 0
; COMPUTE_PGM_RSRC2:USER_SGPR: 2
; COMPUTE_PGM_RSRC2:TRAP_HANDLER: 0
; COMPUTE_PGM_RSRC2:TGID_X_EN: 1
; COMPUTE_PGM_RSRC2:TGID_Y_EN: 0
; COMPUTE_PGM_RSRC2:TGID_Z_EN: 0
; COMPUTE_PGM_RSRC2:TIDIG_COMP_CNT: 1
; COMPUTE_PGM_RSRC3_GFX90A:ACCUM_OFFSET: 3
; COMPUTE_PGM_RSRC3_GFX90A:TG_SPLIT: 0
	.section	.text._ZN4vllm3moe22topkGatingSoftplusSqrtILi1ELi1ELi4ELi2ELi32ELb0El6__halfEEvPKT6_PKbPfiPT5_PiiiibdPKfPKS9_SF_,"axG",@progbits,_ZN4vllm3moe22topkGatingSoftplusSqrtILi1ELi1ELi4ELi2ELi32ELb0El6__halfEEvPKT6_PKbPfiPT5_PiiiibdPKfPKS9_SF_,comdat
	.protected	_ZN4vllm3moe22topkGatingSoftplusSqrtILi1ELi1ELi4ELi2ELi32ELb0El6__halfEEvPKT6_PKbPfiPT5_PiiiibdPKfPKS9_SF_ ; -- Begin function _ZN4vllm3moe22topkGatingSoftplusSqrtILi1ELi1ELi4ELi2ELi32ELb0El6__halfEEvPKT6_PKbPfiPT5_PiiiibdPKfPKS9_SF_
	.globl	_ZN4vllm3moe22topkGatingSoftplusSqrtILi1ELi1ELi4ELi2ELi32ELb0El6__halfEEvPKT6_PKbPfiPT5_PiiiibdPKfPKS9_SF_
	.p2align	8
	.type	_ZN4vllm3moe22topkGatingSoftplusSqrtILi1ELi1ELi4ELi2ELi32ELb0El6__halfEEvPKT6_PKbPfiPT5_PiiiibdPKfPKS9_SF_,@function
_ZN4vllm3moe22topkGatingSoftplusSqrtILi1ELi1ELi4ELi2ELi32ELb0El6__halfEEvPKT6_PKbPfiPT5_PiiiibdPKfPKS9_SF_: ; @_ZN4vllm3moe22topkGatingSoftplusSqrtILi1ELi1ELi4ELi2ELi32ELb0El6__halfEEvPKT6_PKbPfiPT5_PiiiibdPKfPKS9_SF_
; %bb.0:
	s_load_dword s24, s[0:1], 0x18
	v_bfe_u32 v1, v0, 10, 10
	s_lshl_b32 s2, s2, 7
	v_lshlrev_b32_e32 v1, 5, v1
	v_and_b32_e32 v0, 0x3ff, v0
	v_add3_u32 v2, v1, v0, s2
	s_waitcnt lgkmcnt(0)
	v_cmp_gt_i32_e32 vcc, s24, v2
	s_and_saveexec_b64 s[2:3], vcc
	s_cbranch_execz .LBB303_24
; %bb.1:
	s_load_dwordx4 s[4:7], s[0:1], 0x0
	s_load_dwordx2 s[16:17], s[0:1], 0x10
	v_ashrrev_i32_e32 v3, 31, v2
	s_waitcnt lgkmcnt(0)
	s_cmp_eq_u64 s[6:7], 0
	s_cbranch_scc1 .LBB303_3
; %bb.2:
	v_lshl_add_u64 v[0:1], s[6:7], 0, v[2:3]
	global_load_ubyte v0, v[0:1], off
	s_waitcnt vmcnt(0)
	v_and_b32_e32 v0, 1, v0
	v_cmp_eq_u32_e32 vcc, 1, v0
	s_xor_b64 s[2:3], vcc, -1
	s_orn2_b64 s[18:19], s[2:3], exec
	s_branch .LBB303_4
.LBB303_3:
	s_mov_b64 s[18:19], -1
.LBB303_4:
	v_mov_b32_e32 v0, s4
	v_mov_b32_e32 v1, s5
	v_lshl_add_u64 v[0:1], v[2:3], 1, v[0:1]
	global_load_ushort v0, v[0:1], off
	s_mov_b32 s3, 0x800000
	v_mov_b32_e32 v3, 0x4f800000
	s_mov_b32 s4, 0x3f317217
	s_mov_b32 s5, 0x7f800000
	v_mov_b32_e32 v5, 0x41b17218
	s_movk_i32 s2, 0x4d00
	s_load_dwordx4 s[8:11], s[0:1], 0x40
	s_waitcnt lgkmcnt(0)
	s_cmp_lg_u64 s[10:11], 0
	s_cselect_b64 s[22:23], -1, 0
	s_cmp_eq_u64 s[10:11], 0
	s_waitcnt vmcnt(0)
	v_cvt_f32_f16_e32 v1, v0
	v_mul_f32_e32 v4, 0x3fb8aa3b, v1
	v_exp_f32_e32 v4, v4
	s_nop 0
	v_add_f32_e32 v4, 1.0, v4
	v_cmp_gt_f32_e32 vcc, s3, v4
	s_mov_b32 s3, 0xf800000
	s_nop 0
	v_cndmask_b32_e32 v3, 1.0, v3, vcc
	v_mul_f32_e32 v3, v4, v3
	v_log_f32_e32 v3, v3
	v_cndmask_b32_e32 v5, 0, v5, vcc
	v_mov_b32_e32 v4, 0x260
	v_mul_f32_e32 v6, 0x3f317217, v3
	v_fma_f32 v6, v3, s4, -v6
	v_fmamk_f32 v6, v3, 0x3377d1cf, v6
	v_fmac_f32_e32 v6, 0x3f317217, v3
	v_cmp_lt_f32_e64 vcc, |v3|, s5
	s_nop 1
	v_cndmask_b32_e32 v3, v3, v6, vcc
	v_sub_f32_e32 v3, v3, v5
	v_cmp_lt_f16_e32 vcc, s2, v0
	s_nop 1
	v_cndmask_b32_e32 v0, v3, v1, vcc
	v_mul_f32_e32 v1, 0x4f800000, v0
	v_cmp_gt_f32_e32 vcc, s3, v0
	s_nop 1
	v_cndmask_b32_e32 v0, v0, v1, vcc
	v_sqrt_f32_e32 v1, v0
	s_nop 0
	v_add_u32_e32 v3, -1, v1
	v_add_u32_e32 v5, 1, v1
	v_fma_f32 v6, -v3, v1, v0
	v_fma_f32 v7, -v5, v1, v0
	v_cmp_ge_f32_e64 s[2:3], 0, v6
	s_nop 1
	v_cndmask_b32_e64 v1, v1, v3, s[2:3]
	v_cmp_lt_f32_e64 s[2:3], 0, v7
	s_nop 1
	v_cndmask_b32_e64 v1, v1, v5, s[2:3]
	v_mul_f32_e32 v3, 0x37800000, v1
	v_cndmask_b32_e32 v1, v1, v3, vcc
	v_cmp_class_f32_e32 vcc, v0, v4
	s_nop 1
	v_cndmask_b32_e32 v1, v1, v0, vcc
	s_cbranch_scc1 .LBB303_6
; %bb.5:
	s_load_dword s2, s[10:11], 0x0
	s_waitcnt lgkmcnt(0)
	v_add_f32_e32 v1, s2, v1
.LBB303_6:
	s_load_dwordx4 s[4:7], s[0:1], 0x30
	s_waitcnt lgkmcnt(0)
	s_bitcmp1_b32 s7, 0
	s_cselect_b64 s[2:3], -1, 0
	s_cmp_gt_i32 s4, 0
	s_cselect_b64 s[20:21], -1, 0
	s_cmp_lt_i32 s4, 1
	v_mul_lo_u32 v0, v2, s4
	s_cbranch_scc1 .LBB303_11
; %bb.7:
	s_cmp_lt_i32 s5, 1
	s_load_dwordx4 s[12:15], s[0:1], 0x20
	s_cselect_b64 s[0:1], -1, 0
	s_cmp_gt_i32 s6, 0
	s_cselect_b64 s[26:27], -1, 0
	s_sub_i32 s5, 0, s5
	s_and_b64 s[0:1], s[0:1], s[26:27]
	s_ashr_i32 s6, s5, 31
	v_mov_b32_e32 v3, s6
	s_and_b64 vcc, s[18:19], s[0:1]
	v_cndmask_b32_e32 v5, 0, v3, vcc
	v_mov_b32_e32 v3, s5
	v_cndmask_b32_e32 v4, 1, v3, vcc
	v_cndmask_b32_e64 v3, 0, 1, s[22:23]
	s_mov_b32 s7, 0
	v_mov_b32_e32 v6, 0
	v_cmp_ne_u32_e64 s[0:1], 1, v3
	v_mov_b32_e32 v7, 0xc61c4000
	v_mov_b32_e32 v3, 0
	s_branch .LBB303_9
.LBB303_8:                              ;   in Loop: Header=BB303_9 Depth=1
	v_add_u32_e32 v10, s7, v0
	v_ashrrev_i32_e32 v11, 31, v10
	v_lshlrev_b64 v[12:13], 2, v[10:11]
	s_add_i32 s7, s7, 1
	v_lshl_add_u64 v[14:15], s[16:17], 0, v[12:13]
	s_waitcnt lgkmcnt(0)
	v_lshl_add_u64 v[10:11], v[10:11], 3, s[12:13]
	s_cmp_ge_i32 s7, s4
	global_store_dword v[14:15], v8, off
	global_store_dwordx2 v[10:11], v[4:5], off
	v_lshl_add_u64 v[10:11], s[14:15], 0, v[12:13]
	v_add_f32_e32 v8, v3, v8
	s_cselect_b64 vcc, -1, 0
	global_store_dword v[10:11], v2, off
	v_cndmask_b32_e64 v3, v3, v8, s[2:3]
	v_cndmask_b32_e32 v1, v7, v1, vcc
	s_cmp_lg_u32 s4, s7
	v_add_u32_e32 v2, s24, v2
	s_cbranch_scc0 .LBB303_12
.LBB303_9:                              ; =>This Inner Loop Header: Depth=1
	s_and_b64 vcc, exec, s[0:1]
	v_mov_b32_e32 v8, v1
	s_cbranch_vccnz .LBB303_8
; %bb.10:                               ;   in Loop: Header=BB303_9 Depth=1
	global_load_dword v8, v6, s[10:11]
	s_waitcnt vmcnt(0)
	v_sub_f32_e32 v8, v1, v8
	s_branch .LBB303_8
.LBB303_11:
	v_mov_b32_e32 v3, 0
.LBB303_12:
	s_andn2_b64 vcc, exec, s[2:3]
	v_cvt_f32_f64_e32 v2, s[8:9]
	s_cbranch_vccnz .LBB303_14
; %bb.13:
	v_cmp_lt_f32_e32 vcc, 0, v3
	s_nop 1
	v_cndmask_b32_e32 v1, 1.0, v3, vcc
	v_div_scale_f32 v3, s[0:1], v1, v1, v2
	v_rcp_f32_e32 v4, v3
	s_nop 0
	v_fma_f32 v5, -v3, v4, 1.0
	v_fmac_f32_e32 v4, v5, v4
	v_div_scale_f32 v5, vcc, v2, v1, v2
	v_mul_f32_e32 v6, v5, v4
	v_fma_f32 v7, -v3, v6, v5
	v_fmac_f32_e32 v6, v7, v4
	v_fma_f32 v3, -v3, v6, v5
	v_div_fmas_f32 v3, v3, v4, v6
	v_div_fixup_f32 v2, v3, v1, v2
.LBB303_14:
	s_andn2_b64 vcc, exec, s[20:21]
	s_cbranch_vccnz .LBB303_24
; %bb.15:
	s_cmp_gt_u32 s4, 3
	v_ashrrev_i32_e32 v1, 31, v0
	s_cbranch_scc0 .LBB303_19
; %bb.16:
	s_and_b32 s0, s4, 0x7ffffffc
	v_lshl_add_u64 v[4:5], v[0:1], 2, s[16:17]
	v_mov_b32_e32 v3, v2
	v_lshl_add_u64 v[4:5], v[4:5], 0, 8
	s_mov_b32 s1, s0
.LBB303_17:                             ; =>This Inner Loop Header: Depth=1
	global_load_dwordx4 v[6:9], v[4:5], off offset:-8
	s_add_i32 s1, s1, -4
	s_cmp_lg_u32 s1, 0
	s_waitcnt vmcnt(0)
	v_pk_mul_f32 v[6:7], v[2:3], v[6:7]
	v_pk_mul_f32 v[8:9], v[2:3], v[8:9]
	global_store_dwordx4 v[4:5], v[6:9], off offset:-8
	v_lshl_add_u64 v[4:5], v[4:5], 0, 16
	s_cbranch_scc1 .LBB303_17
; %bb.18:
	s_cmp_lg_u32 s0, s4
	s_cselect_b64 s[2:3], -1, 0
	s_branch .LBB303_21
.LBB303_19:
	s_mov_b64 s[2:3], 0
                                        ; implicit-def: $sgpr0
	s_cbranch_execz .LBB303_21
; %bb.20:
	s_mov_b64 s[2:3], -1
	s_mov_b32 s0, 0
.LBB303_21:
	s_andn2_b64 vcc, exec, s[2:3]
	s_cbranch_vccnz .LBB303_24
; %bb.22:
	s_mov_b32 s1, 0
	v_lshl_add_u64 v[0:1], v[0:1], 0, s[0:1]
	s_sub_i32 s2, s4, s0
	v_lshl_add_u64 v[0:1], v[0:1], 2, s[16:17]
.LBB303_23:                             ; =>This Inner Loop Header: Depth=1
	global_load_dword v3, v[0:1], off
	s_add_i32 s2, s2, -1
	s_cmp_lg_u32 s2, 0
	s_waitcnt vmcnt(0)
	v_mul_f32_e32 v3, v2, v3
	global_store_dword v[0:1], v3, off
	v_lshl_add_u64 v[0:1], v[0:1], 0, 4
	s_cbranch_scc1 .LBB303_23
.LBB303_24:
	s_endpgm
	.section	.rodata,"a",@progbits
	.p2align	6, 0x0
	.amdhsa_kernel _ZN4vllm3moe22topkGatingSoftplusSqrtILi1ELi1ELi4ELi2ELi32ELb0El6__halfEEvPKT6_PKbPfiPT5_PiiiibdPKfPKS9_SF_
		.amdhsa_group_segment_fixed_size 0
		.amdhsa_private_segment_fixed_size 0
		.amdhsa_kernarg_size 96
		.amdhsa_user_sgpr_count 2
		.amdhsa_user_sgpr_dispatch_ptr 0
		.amdhsa_user_sgpr_queue_ptr 0
		.amdhsa_user_sgpr_kernarg_segment_ptr 1
		.amdhsa_user_sgpr_dispatch_id 0
		.amdhsa_user_sgpr_kernarg_preload_length 0
		.amdhsa_user_sgpr_kernarg_preload_offset 0
		.amdhsa_user_sgpr_private_segment_size 0
		.amdhsa_uses_dynamic_stack 0
		.amdhsa_enable_private_segment 0
		.amdhsa_system_sgpr_workgroup_id_x 1
		.amdhsa_system_sgpr_workgroup_id_y 0
		.amdhsa_system_sgpr_workgroup_id_z 0
		.amdhsa_system_sgpr_workgroup_info 0
		.amdhsa_system_vgpr_workitem_id 1
		.amdhsa_next_free_vgpr 16
		.amdhsa_next_free_sgpr 28
		.amdhsa_accum_offset 16
		.amdhsa_reserve_vcc 1
		.amdhsa_float_round_mode_32 0
		.amdhsa_float_round_mode_16_64 0
		.amdhsa_float_denorm_mode_32 3
		.amdhsa_float_denorm_mode_16_64 3
		.amdhsa_dx10_clamp 1
		.amdhsa_ieee_mode 1
		.amdhsa_fp16_overflow 0
		.amdhsa_tg_split 0
		.amdhsa_exception_fp_ieee_invalid_op 0
		.amdhsa_exception_fp_denorm_src 0
		.amdhsa_exception_fp_ieee_div_zero 0
		.amdhsa_exception_fp_ieee_overflow 0
		.amdhsa_exception_fp_ieee_underflow 0
		.amdhsa_exception_fp_ieee_inexact 0
		.amdhsa_exception_int_div_zero 0
	.end_amdhsa_kernel
	.section	.text._ZN4vllm3moe22topkGatingSoftplusSqrtILi1ELi1ELi4ELi2ELi32ELb0El6__halfEEvPKT6_PKbPfiPT5_PiiiibdPKfPKS9_SF_,"axG",@progbits,_ZN4vllm3moe22topkGatingSoftplusSqrtILi1ELi1ELi4ELi2ELi32ELb0El6__halfEEvPKT6_PKbPfiPT5_PiiiibdPKfPKS9_SF_,comdat
.Lfunc_end303:
	.size	_ZN4vllm3moe22topkGatingSoftplusSqrtILi1ELi1ELi4ELi2ELi32ELb0El6__halfEEvPKT6_PKbPfiPT5_PiiiibdPKfPKS9_SF_, .Lfunc_end303-_ZN4vllm3moe22topkGatingSoftplusSqrtILi1ELi1ELi4ELi2ELi32ELb0El6__halfEEvPKT6_PKbPfiPT5_PiiiibdPKfPKS9_SF_
                                        ; -- End function
	.section	.AMDGPU.csdata,"",@progbits
; Kernel info:
; codeLenInByte = 1092
; NumSgprs: 34
; NumVgprs: 16
; NumAgprs: 0
; TotalNumVgprs: 16
; ScratchSize: 0
; MemoryBound: 0
; FloatMode: 240
; IeeeMode: 1
; LDSByteSize: 0 bytes/workgroup (compile time only)
; SGPRBlocks: 4
; VGPRBlocks: 1
; NumSGPRsForWavesPerEU: 34
; NumVGPRsForWavesPerEU: 16
; AccumOffset: 16
; Occupancy: 8
; WaveLimiterHint : 0
; COMPUTE_PGM_RSRC2:SCRATCH_EN: 0
; COMPUTE_PGM_RSRC2:USER_SGPR: 2
; COMPUTE_PGM_RSRC2:TRAP_HANDLER: 0
; COMPUTE_PGM_RSRC2:TGID_X_EN: 1
; COMPUTE_PGM_RSRC2:TGID_Y_EN: 0
; COMPUTE_PGM_RSRC2:TGID_Z_EN: 0
; COMPUTE_PGM_RSRC2:TIDIG_COMP_CNT: 1
; COMPUTE_PGM_RSRC3_GFX90A:ACCUM_OFFSET: 3
; COMPUTE_PGM_RSRC3_GFX90A:TG_SPLIT: 0
	.section	.text._ZN4vllm3moe22topkGatingSoftplusSqrtILi2ELi2ELi4ELi4ELi64ELb1El6__halfEEvPKT6_PKbPfiPT5_PiiiibdPKfPKS9_SF_,"axG",@progbits,_ZN4vllm3moe22topkGatingSoftplusSqrtILi2ELi2ELi4ELi4ELi64ELb1El6__halfEEvPKT6_PKbPfiPT5_PiiiibdPKfPKS9_SF_,comdat
	.protected	_ZN4vllm3moe22topkGatingSoftplusSqrtILi2ELi2ELi4ELi4ELi64ELb1El6__halfEEvPKT6_PKbPfiPT5_PiiiibdPKfPKS9_SF_ ; -- Begin function _ZN4vllm3moe22topkGatingSoftplusSqrtILi2ELi2ELi4ELi4ELi64ELb1El6__halfEEvPKT6_PKbPfiPT5_PiiiibdPKfPKS9_SF_
	.globl	_ZN4vllm3moe22topkGatingSoftplusSqrtILi2ELi2ELi4ELi4ELi64ELb1El6__halfEEvPKT6_PKbPfiPT5_PiiiibdPKfPKS9_SF_
	.p2align	8
	.type	_ZN4vllm3moe22topkGatingSoftplusSqrtILi2ELi2ELi4ELi4ELi64ELb1El6__halfEEvPKT6_PKbPfiPT5_PiiiibdPKfPKS9_SF_,@function
_ZN4vllm3moe22topkGatingSoftplusSqrtILi2ELi2ELi4ELi4ELi64ELb1El6__halfEEvPKT6_PKbPfiPT5_PiiiibdPKfPKS9_SF_: ; @_ZN4vllm3moe22topkGatingSoftplusSqrtILi2ELi2ELi4ELi4ELi64ELb1El6__halfEEvPKT6_PKbPfiPT5_PiiiibdPKfPKS9_SF_
; %bb.0:
	s_load_dword s3, s[0:1], 0x18
	v_bfe_u32 v1, v0, 10, 10
	s_lshl_b32 s2, s2, 8
	v_lshlrev_b32_e32 v1, 6, v1
	v_and_b32_e32 v0, 0x3ff, v0
	v_add3_u32 v0, v1, v0, s2
	s_waitcnt lgkmcnt(0)
	v_cmp_gt_i32_e32 vcc, s3, v0
	s_and_saveexec_b64 s[2:3], vcc
	s_cbranch_execz .LBB304_48
; %bb.1:
	s_load_dwordx4 s[8:11], s[0:1], 0x50
	s_load_dwordx2 s[2:3], s[0:1], 0x0
	s_load_dword s12, s[0:1], 0x30
	v_lshlrev_b32_e32 v2, 1, v0
	v_ashrrev_i32_e32 v3, 31, v2
	s_waitcnt lgkmcnt(0)
	v_mov_b32_e32 v4, s8
	v_lshl_add_u64 v[2:3], v[2:3], 1, s[2:3]
	global_load_dword v6, v[2:3], off
	v_mov_b32_e32 v5, s9
	v_ashrrev_i32_e32 v1, 31, v0
	v_lshl_add_u64 v[2:3], v[0:1], 3, v[4:5]
	global_load_dwordx2 v[2:3], v[2:3], off
	s_ashr_i32 s13, s12, 31
	v_cmp_lt_i64_e64 s[2:3], s[12:13], 1
	s_mov_b32 s4, 0x800000
	s_and_b64 vcc, exec, s[2:3]
	v_mov_b32_e32 v1, 0x4f800000
	s_mov_b32 s7, 0x3f317217
	s_mov_b32 s9, 0x7f800000
	v_mov_b32_e32 v7, 0x41b17218
	s_movk_i32 s6, 0x4d00
	s_mov_b32 s16, 0xf800000
	v_mov_b32_e32 v8, 0x260
	s_mov_b32 s8, 0
	v_mov_b32_e32 v14, 0
	v_mul_lo_u32 v0, v0, s12
	v_cmp_gt_i64_e64 s[14:15], s[12:13], 0
	s_waitcnt vmcnt(1)
	v_cvt_f32_f16_e32 v9, v6
	v_cvt_f32_f16_sdwa v10, v6 dst_sel:DWORD dst_unused:UNUSED_PAD src0_sel:WORD_1
	s_waitcnt vmcnt(0)
	v_mul_lo_u32 v11, v3, s12
	v_mul_f32_e32 v3, 0x3fb8aa3b, v9
	v_mul_f32_e32 v5, 0x3fb8aa3b, v10
	v_exp_f32_e32 v4, v3
	v_exp_f32_e32 v5, v5
	v_mul_lo_u32 v12, v2, s13
	v_mad_u64_u32 v[2:3], s[2:3], v2, s12, 0
	v_pk_add_f32 v[4:5], v[4:5], 1.0 op_sel_hi:[1,0]
	v_add3_u32 v3, v3, v12, v11
	v_cmp_gt_f32_e64 s[2:3], s4, v5
	v_cmp_gt_f32_e64 s[4:5], s4, v4
	s_nop 0
	v_cndmask_b32_e64 v13, 1.0, v1, s[2:3]
	v_cndmask_b32_e64 v1, 1.0, v1, s[4:5]
	v_mul_f32_e32 v5, v5, v13
	v_mul_f32_e32 v1, v4, v1
	v_log_f32_e32 v4, v5
	v_log_f32_e32 v1, v1
	v_cndmask_b32_e64 v5, 0, v7, s[2:3]
	v_cndmask_b32_e64 v7, 0, v7, s[4:5]
	v_mul_f32_e32 v13, 0x3f317217, v4
	v_mul_f32_e32 v15, 0x3f317217, v1
	v_fma_f32 v13, v4, s7, -v13
	v_fma_f32 v15, v1, s7, -v15
	v_fmac_f32_e32 v13, 0x3377d1cf, v4
	v_fmac_f32_e32 v15, 0x3377d1cf, v1
	;; [unrolled: 1-line block ×3, first 2 shown]
	v_cmp_lt_f32_e64 s[2:3], |v4|, s9
	v_fmac_f32_e32 v15, 0x3f317217, v1
	s_nop 0
	v_cndmask_b32_e64 v4, v4, v13, s[2:3]
	v_cmp_lt_f32_e64 s[2:3], |v1|, s9
	v_sub_f32_e32 v4, v4, v5
	s_nop 0
	v_cndmask_b32_e64 v1, v1, v15, s[2:3]
	v_sub_f32_e32 v1, v1, v7
	v_cmp_lt_f16_e64 s[2:3], s6, v6
	s_nop 1
	v_cndmask_b32_e64 v1, v1, v9, s[2:3]
	v_cmp_gt_f16_sdwa s[2:3], v6, s6 src0_sel:WORD_1 src1_sel:DWORD
	v_mul_f32_e32 v6, 0x4f800000, v1
	v_cmp_gt_f32_e64 s[4:5], s16, v1
	v_cndmask_b32_e64 v4, v4, v10, s[2:3]
	v_mul_f32_e32 v5, 0x4f800000, v4
	v_cmp_gt_f32_e64 s[2:3], s16, v4
	v_cndmask_b32_e64 v1, v1, v6, s[4:5]
	v_sqrt_f32_e32 v6, v1
	v_cndmask_b32_e64 v4, v4, v5, s[2:3]
	v_sqrt_f32_e32 v5, v4
	v_add_u32_e32 v10, -1, v6
	v_fma_f32 v15, -v10, v6, v1
	v_add_u32_e32 v7, -1, v5
	v_fma_f32 v12, -v7, v5, v4
	v_add_u32_e32 v9, 1, v5
	v_cmp_ge_f32_e64 s[6:7], 0, v12
	v_add_u32_e32 v11, 1, v6
	v_fma_f32 v13, -v9, v5, v4
	v_cndmask_b32_e64 v5, v5, v7, s[6:7]
	v_cmp_ge_f32_e64 s[6:7], 0, v15
	v_fma_f32 v16, -v11, v6, v1
	s_nop 0
	v_cndmask_b32_e64 v6, v6, v10, s[6:7]
	v_cmp_lt_f32_e64 s[6:7], 0, v13
	s_nop 1
	v_cndmask_b32_e64 v5, v5, v9, s[6:7]
	v_cmp_lt_f32_e64 s[6:7], 0, v16
	v_mul_f32_e32 v7, 0x37800000, v5
	v_cndmask_b32_e64 v5, v5, v7, s[2:3]
	v_cndmask_b32_e64 v6, v6, v11, s[6:7]
	v_mul_f32_e32 v9, 0x37800000, v6
	v_cmp_class_f32_e64 s[2:3], v4, v8
	v_cndmask_b32_e64 v6, v6, v9, s[4:5]
	s_nop 0
	v_cndmask_b32_e64 v12, v5, v4, s[2:3]
	v_cmp_class_f32_e64 s[2:3], v1, v8
	s_nop 1
	v_cndmask_b32_e64 v13, v6, v1, s[2:3]
	s_cbranch_vccnz .LBB304_29
; %bb.2:
	s_load_dwordx2 s[2:3], s[0:1], 0x20
	s_cmp_lt_u32 s12, 4
	v_lshl_add_u64 v[4:5], v[2:3], 3, s[10:11]
	s_cbranch_scc1 .LBB304_21
; %bb.3:
	s_mov_b32 s5, 0
	s_and_b32 s8, s12, 0x7ffffffc
	v_ashrrev_i32_e32 v1, 31, v0
	v_mov_b32_e32 v7, 0
	v_mov_b32_e32 v14, 0
	s_mov_b32 s4, s5
	s_branch .LBB304_5
.LBB304_4:                              ;   in Loop: Header=BB304_5 Depth=1
	s_or_b64 exec, exec, s[6:7]
	s_add_i32 s4, s4, 4
	s_cmp_eq_u32 s4, s8
	s_cbranch_scc1 .LBB304_22
.LBB304_5:                              ; =>This Loop Header: Depth=1
                                        ;     Child Loop BB304_7 Depth 2
                                        ;     Child Loop BB304_11 Depth 2
	;; [unrolled: 1-line block ×4, first 2 shown]
	v_lshl_add_u64 v[8:9], s[4:5], 3, v[4:5]
	global_load_dword v6, v[8:9], off
	v_add_u32_e32 v10, s4, v0
	v_ashrrev_i32_e32 v11, 31, v10
	s_mov_b64 s[6:7], 0
	s_waitcnt lgkmcnt(0)
	v_lshl_add_u64 v[10:11], v[10:11], 3, s[2:3]
	s_waitcnt vmcnt(0)
	v_cmp_eq_u32_e32 vcc, 0, v6
	s_nop 1
	v_cndmask_b32_e64 v15, 2, 1, vcc
	v_cmp_eq_u32_e32 vcc, 1, v6
	v_mov_b32_e32 v17, v6
	s_nop 0
	v_cndmask_b32_e32 v16, v13, v12, vcc
	s_branch .LBB304_7
.LBB304_6:                              ;   in Loop: Header=BB304_7 Depth=2
	s_or_b64 exec, exec, s[16:17]
	v_add_u32_e32 v15, -1, v15
	v_cmp_eq_u32_e32 vcc, 0, v15
	s_or_b64 s[6:7], vcc, s[6:7]
	v_add_u32_e32 v17, -1, v17
	s_andn2_b64 exec, exec, s[6:7]
	s_cbranch_execz .LBB304_9
.LBB304_7:                              ;   Parent Loop BB304_5 Depth=1
                                        ; =>  This Inner Loop Header: Depth=2
	v_cmp_eq_u32_e32 vcc, 0, v17
	s_and_saveexec_b64 s[16:17], vcc
	s_cbranch_execz .LBB304_6
; %bb.8:                                ;   in Loop: Header=BB304_7 Depth=2
	v_add_f32_e32 v14, v14, v16
	global_store_dwordx2 v[10:11], v[6:7], off
	s_branch .LBB304_6
.LBB304_9:                              ;   in Loop: Header=BB304_5 Depth=1
	s_or_b64 exec, exec, s[6:7]
	global_load_dword v6, v[8:9], off offset:8
	s_ashr_i32 s17, s4, 31
	s_mov_b32 s16, s4
	v_lshl_add_u64 v[10:11], s[16:17], 0, v[0:1]
	s_mov_b64 s[6:7], 0
	v_lshl_add_u64 v[10:11], v[10:11], 3, s[2:3]
	s_waitcnt vmcnt(0)
	v_cmp_eq_u32_e32 vcc, 0, v6
	s_nop 1
	v_cndmask_b32_e64 v15, 2, 1, vcc
	v_cmp_eq_u32_e32 vcc, 1, v6
	v_mov_b32_e32 v17, v6
	s_nop 0
	v_cndmask_b32_e32 v16, v13, v12, vcc
	s_branch .LBB304_11
.LBB304_10:                             ;   in Loop: Header=BB304_11 Depth=2
	s_or_b64 exec, exec, s[16:17]
	v_add_u32_e32 v15, -1, v15
	v_cmp_eq_u32_e32 vcc, 0, v15
	s_or_b64 s[6:7], vcc, s[6:7]
	v_add_u32_e32 v17, -1, v17
	s_andn2_b64 exec, exec, s[6:7]
	s_cbranch_execz .LBB304_13
.LBB304_11:                             ;   Parent Loop BB304_5 Depth=1
                                        ; =>  This Inner Loop Header: Depth=2
	v_cmp_eq_u32_e32 vcc, 0, v17
	s_and_saveexec_b64 s[16:17], vcc
	s_cbranch_execz .LBB304_10
; %bb.12:                               ;   in Loop: Header=BB304_11 Depth=2
	v_add_f32_e32 v14, v14, v16
	global_store_dwordx2 v[10:11], v[6:7], off offset:8
	s_branch .LBB304_10
.LBB304_13:                             ;   in Loop: Header=BB304_5 Depth=1
	s_or_b64 exec, exec, s[6:7]
	global_load_dword v6, v[8:9], off offset:16
	s_mov_b64 s[6:7], 0
	s_waitcnt vmcnt(0)
	v_cmp_eq_u32_e32 vcc, 0, v6
	s_nop 1
	v_cndmask_b32_e64 v15, 2, 1, vcc
	v_cmp_eq_u32_e32 vcc, 1, v6
	v_mov_b32_e32 v17, v6
	s_nop 0
	v_cndmask_b32_e32 v16, v13, v12, vcc
	s_branch .LBB304_15
.LBB304_14:                             ;   in Loop: Header=BB304_15 Depth=2
	s_or_b64 exec, exec, s[16:17]
	v_add_u32_e32 v15, -1, v15
	v_cmp_eq_u32_e32 vcc, 0, v15
	s_or_b64 s[6:7], vcc, s[6:7]
	v_add_u32_e32 v17, -1, v17
	s_andn2_b64 exec, exec, s[6:7]
	s_cbranch_execz .LBB304_17
.LBB304_15:                             ;   Parent Loop BB304_5 Depth=1
                                        ; =>  This Inner Loop Header: Depth=2
	v_cmp_eq_u32_e32 vcc, 0, v17
	s_and_saveexec_b64 s[16:17], vcc
	s_cbranch_execz .LBB304_14
; %bb.16:                               ;   in Loop: Header=BB304_15 Depth=2
	v_add_f32_e32 v14, v14, v16
	global_store_dwordx2 v[10:11], v[6:7], off offset:16
	s_branch .LBB304_14
.LBB304_17:                             ;   in Loop: Header=BB304_5 Depth=1
	s_or_b64 exec, exec, s[6:7]
	global_load_dword v6, v[8:9], off offset:24
	s_mov_b64 s[6:7], 0
	s_waitcnt vmcnt(0)
	v_cmp_eq_u32_e32 vcc, 0, v6
	s_nop 1
	v_cndmask_b32_e64 v8, 2, 1, vcc
	v_cmp_eq_u32_e32 vcc, 1, v6
	v_mov_b32_e32 v15, v6
	s_nop 0
	v_cndmask_b32_e32 v9, v13, v12, vcc
	s_branch .LBB304_19
.LBB304_18:                             ;   in Loop: Header=BB304_19 Depth=2
	s_or_b64 exec, exec, s[16:17]
	v_add_u32_e32 v8, -1, v8
	v_cmp_eq_u32_e32 vcc, 0, v8
	s_or_b64 s[6:7], vcc, s[6:7]
	v_add_u32_e32 v15, -1, v15
	s_andn2_b64 exec, exec, s[6:7]
	s_cbranch_execz .LBB304_4
.LBB304_19:                             ;   Parent Loop BB304_5 Depth=1
                                        ; =>  This Inner Loop Header: Depth=2
	v_cmp_eq_u32_e32 vcc, 0, v15
	s_and_saveexec_b64 s[16:17], vcc
	s_cbranch_execz .LBB304_18
; %bb.20:                               ;   in Loop: Header=BB304_19 Depth=2
	v_add_f32_e32 v14, v14, v9
	global_store_dwordx2 v[10:11], v[6:7], off offset:24
	s_branch .LBB304_18
.LBB304_21:
	v_mov_b32_e32 v14, 0
.LBB304_22:
	s_and_b32 s13, s12, 3
	s_cmp_eq_u32 s13, 0
	s_mov_b32 s9, 0
	s_cbranch_scc1 .LBB304_29
; %bb.23:
	v_mov_b32_e32 v7, 0
	s_mov_b32 s16, s9
	s_branch .LBB304_25
.LBB304_24:                             ;   in Loop: Header=BB304_25 Depth=1
	s_or_b64 exec, exec, s[4:5]
	s_add_i32 s8, s8, 1
	s_add_i32 s16, s16, 1
	s_cmp_lg_u32 s16, s13
	s_cbranch_scc0 .LBB304_29
.LBB304_25:                             ; =>This Loop Header: Depth=1
                                        ;     Child Loop BB304_27 Depth 2
	v_lshl_add_u64 v[8:9], s[8:9], 3, v[4:5]
	global_load_dword v6, v[8:9], off
	v_add_u32_e32 v8, s8, v0
	v_ashrrev_i32_e32 v9, 31, v8
	s_mov_b64 s[4:5], 0
	s_waitcnt lgkmcnt(0)
	v_lshl_add_u64 v[8:9], v[8:9], 3, s[2:3]
	s_waitcnt vmcnt(0)
	v_cmp_eq_u32_e32 vcc, 0, v6
	s_nop 1
	v_cndmask_b32_e64 v1, 2, 1, vcc
	v_cmp_eq_u32_e32 vcc, 1, v6
	v_mov_b32_e32 v11, v6
	s_nop 0
	v_cndmask_b32_e32 v10, v13, v12, vcc
	s_branch .LBB304_27
.LBB304_26:                             ;   in Loop: Header=BB304_27 Depth=2
	s_or_b64 exec, exec, s[6:7]
	v_add_u32_e32 v1, -1, v1
	v_cmp_eq_u32_e32 vcc, 0, v1
	s_or_b64 s[4:5], vcc, s[4:5]
	v_add_u32_e32 v11, -1, v11
	s_andn2_b64 exec, exec, s[4:5]
	s_cbranch_execz .LBB304_24
.LBB304_27:                             ;   Parent Loop BB304_25 Depth=1
                                        ; =>  This Inner Loop Header: Depth=2
	v_cmp_eq_u32_e32 vcc, 0, v11
	s_and_saveexec_b64 s[6:7], vcc
	s_cbranch_execz .LBB304_26
; %bb.28:                               ;   in Loop: Header=BB304_27 Depth=2
	v_add_f32_e32 v14, v14, v10
	global_store_dwordx2 v[8:9], v[6:7], off
	s_branch .LBB304_26
.LBB304_29:
	s_load_dword s4, s[0:1], 0x3c
	s_waitcnt lgkmcnt(0)
	s_load_dwordx2 s[2:3], s[0:1], 0x40
	s_bitcmp1_b32 s4, 0
	s_cselect_b64 s[4:5], -1, 0
	s_waitcnt lgkmcnt(0)
	v_cvt_f32_f64_e32 v15, s[2:3]
	s_and_b64 vcc, exec, s[4:5]
	s_cbranch_vccz .LBB304_31
; %bb.30:
	v_cmp_lt_f32_e32 vcc, 0, v14
	s_nop 1
	v_cndmask_b32_e32 v1, 1.0, v14, vcc
	v_div_scale_f32 v4, s[2:3], v1, v1, v15
	v_rcp_f32_e32 v5, v4
	s_nop 0
	v_fma_f32 v6, -v4, v5, 1.0
	v_fmac_f32_e32 v5, v6, v5
	v_div_scale_f32 v6, vcc, v15, v1, v15
	v_mul_f32_e32 v7, v6, v5
	v_fma_f32 v8, -v4, v7, v6
	v_fmac_f32_e32 v7, v8, v5
	v_fma_f32 v4, -v4, v7, v6
	v_div_fmas_f32 v4, v4, v5, v7
	v_div_fixup_f32 v15, v4, v1, v15
.LBB304_31:
	s_andn2_b64 vcc, exec, s[14:15]
	s_cbranch_vccnz .LBB304_48
; %bb.32:
	s_load_dwordx2 s[0:1], s[0:1], 0x10
	s_cmp_lt_u32 s12, 4
	s_mov_b32 s2, 0
	s_cbranch_scc1 .LBB304_43
; %bb.33:
	v_ashrrev_i32_e32 v1, 31, v0
	s_waitcnt lgkmcnt(0)
	v_lshl_add_u64 v[4:5], v[0:1], 2, s[0:1]
	v_lshl_add_u64 v[6:7], v[2:3], 3, s[10:11]
	s_and_b32 s2, s12, 0x7ffffffc
	v_lshl_add_u64 v[4:5], v[4:5], 0, 12
	v_lshl_add_u64 v[6:7], v[6:7], 0, 16
	s_mov_b32 s3, 0
	v_mov_b32_e32 v9, 0
	s_branch .LBB304_35
.LBB304_34:                             ;   in Loop: Header=BB304_35 Depth=1
	s_or_b64 exec, exec, s[4:5]
	s_add_i32 s3, s3, 4
	v_lshl_add_u64 v[4:5], v[4:5], 0, 16
	s_cmp_lg_u32 s2, s3
	v_lshl_add_u64 v[6:7], v[6:7], 0, 32
	s_cbranch_scc0 .LBB304_43
.LBB304_35:                             ; =>This Inner Loop Header: Depth=1
	global_load_dwordx2 v[10:11], v[6:7], off offset:-16
	s_waitcnt vmcnt(0)
	v_and_b32_e32 v8, -2, v10
	v_cmp_eq_u64_e32 vcc, 0, v[8:9]
	s_and_saveexec_b64 s[4:5], vcc
	s_cbranch_execz .LBB304_37
; %bb.36:                               ;   in Loop: Header=BB304_35 Depth=1
	v_and_b32_e32 v1, 1, v10
	v_add_u32_e32 v16, s3, v0
	v_cmp_eq_u32_e32 vcc, 1, v1
	v_ashrrev_i32_e32 v17, 31, v16
	v_lshl_add_u64 v[10:11], v[16:17], 2, s[0:1]
	v_cndmask_b32_e32 v1, v13, v12, vcc
	v_mul_f32_e32 v1, v15, v1
	global_store_dword v[10:11], v1, off
.LBB304_37:                             ;   in Loop: Header=BB304_35 Depth=1
	s_or_b64 exec, exec, s[4:5]
	global_load_dwordx2 v[10:11], v[6:7], off offset:-8
	s_waitcnt vmcnt(0)
	v_and_b32_e32 v8, -2, v10
	v_cmp_eq_u64_e32 vcc, 0, v[8:9]
	s_and_saveexec_b64 s[4:5], vcc
	s_cbranch_execz .LBB304_39
; %bb.38:                               ;   in Loop: Header=BB304_35 Depth=1
	v_and_b32_e32 v1, 1, v10
	v_cmp_eq_u32_e32 vcc, 1, v1
	s_nop 1
	v_cndmask_b32_e32 v1, v13, v12, vcc
	v_mul_f32_e32 v1, v15, v1
	global_store_dword v[4:5], v1, off offset:-8
.LBB304_39:                             ;   in Loop: Header=BB304_35 Depth=1
	s_or_b64 exec, exec, s[4:5]
	global_load_dwordx2 v[10:11], v[6:7], off
	s_waitcnt vmcnt(0)
	v_and_b32_e32 v8, -2, v10
	v_cmp_eq_u64_e32 vcc, 0, v[8:9]
	s_and_saveexec_b64 s[4:5], vcc
	s_cbranch_execz .LBB304_41
; %bb.40:                               ;   in Loop: Header=BB304_35 Depth=1
	v_and_b32_e32 v1, 1, v10
	v_cmp_eq_u32_e32 vcc, 1, v1
	s_nop 1
	v_cndmask_b32_e32 v1, v13, v12, vcc
	v_mul_f32_e32 v1, v15, v1
	global_store_dword v[4:5], v1, off offset:-4
.LBB304_41:                             ;   in Loop: Header=BB304_35 Depth=1
	s_or_b64 exec, exec, s[4:5]
	global_load_dwordx2 v[10:11], v[6:7], off offset:8
	s_waitcnt vmcnt(0)
	v_and_b32_e32 v8, -2, v10
	v_cmp_eq_u64_e32 vcc, 0, v[8:9]
	s_and_saveexec_b64 s[4:5], vcc
	s_cbranch_execz .LBB304_34
; %bb.42:                               ;   in Loop: Header=BB304_35 Depth=1
	v_and_b32_e32 v1, 1, v10
	v_cmp_eq_u32_e32 vcc, 1, v1
	s_nop 1
	v_cndmask_b32_e32 v1, v13, v12, vcc
	v_mul_f32_e32 v1, v15, v1
	global_store_dword v[4:5], v1, off
	s_branch .LBB304_34
.LBB304_43:
	s_and_b32 s4, s12, 3
	s_cmp_eq_u32 s4, 0
	s_mov_b32 s3, 0
	s_cbranch_scc1 .LBB304_48
; %bb.44:
	v_add_u32_e32 v0, s2, v0
	s_lshl_b64 s[2:3], s[2:3], 3
	s_add_u32 s2, s10, s2
	s_addc_u32 s3, s11, s3
	v_lshl_add_u64 v[2:3], v[2:3], 3, s[2:3]
	v_mov_b32_e32 v5, 0
	s_branch .LBB304_46
.LBB304_45:                             ;   in Loop: Header=BB304_46 Depth=1
	s_or_b64 exec, exec, s[2:3]
	s_add_i32 s4, s4, -1
	v_add_u32_e32 v0, 1, v0
	s_cmp_lg_u32 s4, 0
	v_lshl_add_u64 v[2:3], v[2:3], 0, 8
	s_cbranch_scc0 .LBB304_48
.LBB304_46:                             ; =>This Inner Loop Header: Depth=1
	global_load_dwordx2 v[6:7], v[2:3], off
	s_waitcnt vmcnt(0)
	v_and_b32_e32 v4, -2, v6
	v_cmp_eq_u64_e32 vcc, 0, v[4:5]
	s_and_saveexec_b64 s[2:3], vcc
	s_cbranch_execz .LBB304_45
; %bb.47:                               ;   in Loop: Header=BB304_46 Depth=1
	v_and_b32_e32 v1, 1, v6
	v_cmp_eq_u32_e32 vcc, 1, v1
	s_nop 1
	v_cndmask_b32_e32 v1, v13, v12, vcc
	v_mul_f32_e32 v4, v15, v1
	v_ashrrev_i32_e32 v1, 31, v0
	s_waitcnt lgkmcnt(0)
	v_lshl_add_u64 v[6:7], v[0:1], 2, s[0:1]
	global_store_dword v[6:7], v4, off
	s_branch .LBB304_45
.LBB304_48:
	s_endpgm
	.section	.rodata,"a",@progbits
	.p2align	6, 0x0
	.amdhsa_kernel _ZN4vllm3moe22topkGatingSoftplusSqrtILi2ELi2ELi4ELi4ELi64ELb1El6__halfEEvPKT6_PKbPfiPT5_PiiiibdPKfPKS9_SF_
		.amdhsa_group_segment_fixed_size 0
		.amdhsa_private_segment_fixed_size 0
		.amdhsa_kernarg_size 96
		.amdhsa_user_sgpr_count 2
		.amdhsa_user_sgpr_dispatch_ptr 0
		.amdhsa_user_sgpr_queue_ptr 0
		.amdhsa_user_sgpr_kernarg_segment_ptr 1
		.amdhsa_user_sgpr_dispatch_id 0
		.amdhsa_user_sgpr_kernarg_preload_length 0
		.amdhsa_user_sgpr_kernarg_preload_offset 0
		.amdhsa_user_sgpr_private_segment_size 0
		.amdhsa_uses_dynamic_stack 0
		.amdhsa_enable_private_segment 0
		.amdhsa_system_sgpr_workgroup_id_x 1
		.amdhsa_system_sgpr_workgroup_id_y 0
		.amdhsa_system_sgpr_workgroup_id_z 0
		.amdhsa_system_sgpr_workgroup_info 0
		.amdhsa_system_vgpr_workitem_id 1
		.amdhsa_next_free_vgpr 18
		.amdhsa_next_free_sgpr 18
		.amdhsa_accum_offset 20
		.amdhsa_reserve_vcc 1
		.amdhsa_float_round_mode_32 0
		.amdhsa_float_round_mode_16_64 0
		.amdhsa_float_denorm_mode_32 3
		.amdhsa_float_denorm_mode_16_64 3
		.amdhsa_dx10_clamp 1
		.amdhsa_ieee_mode 1
		.amdhsa_fp16_overflow 0
		.amdhsa_tg_split 0
		.amdhsa_exception_fp_ieee_invalid_op 0
		.amdhsa_exception_fp_denorm_src 0
		.amdhsa_exception_fp_ieee_div_zero 0
		.amdhsa_exception_fp_ieee_overflow 0
		.amdhsa_exception_fp_ieee_underflow 0
		.amdhsa_exception_fp_ieee_inexact 0
		.amdhsa_exception_int_div_zero 0
	.end_amdhsa_kernel
	.section	.text._ZN4vllm3moe22topkGatingSoftplusSqrtILi2ELi2ELi4ELi4ELi64ELb1El6__halfEEvPKT6_PKbPfiPT5_PiiiibdPKfPKS9_SF_,"axG",@progbits,_ZN4vllm3moe22topkGatingSoftplusSqrtILi2ELi2ELi4ELi4ELi64ELb1El6__halfEEvPKT6_PKbPfiPT5_PiiiibdPKfPKS9_SF_,comdat
.Lfunc_end304:
	.size	_ZN4vllm3moe22topkGatingSoftplusSqrtILi2ELi2ELi4ELi4ELi64ELb1El6__halfEEvPKT6_PKbPfiPT5_PiiiibdPKfPKS9_SF_, .Lfunc_end304-_ZN4vllm3moe22topkGatingSoftplusSqrtILi2ELi2ELi4ELi4ELi64ELb1El6__halfEEvPKT6_PKbPfiPT5_PiiiibdPKfPKS9_SF_
                                        ; -- End function
	.section	.AMDGPU.csdata,"",@progbits
; Kernel info:
; codeLenInByte = 2204
; NumSgprs: 24
; NumVgprs: 18
; NumAgprs: 0
; TotalNumVgprs: 18
; ScratchSize: 0
; MemoryBound: 0
; FloatMode: 240
; IeeeMode: 1
; LDSByteSize: 0 bytes/workgroup (compile time only)
; SGPRBlocks: 2
; VGPRBlocks: 2
; NumSGPRsForWavesPerEU: 24
; NumVGPRsForWavesPerEU: 18
; AccumOffset: 20
; Occupancy: 8
; WaveLimiterHint : 1
; COMPUTE_PGM_RSRC2:SCRATCH_EN: 0
; COMPUTE_PGM_RSRC2:USER_SGPR: 2
; COMPUTE_PGM_RSRC2:TRAP_HANDLER: 0
; COMPUTE_PGM_RSRC2:TGID_X_EN: 1
; COMPUTE_PGM_RSRC2:TGID_Y_EN: 0
; COMPUTE_PGM_RSRC2:TGID_Z_EN: 0
; COMPUTE_PGM_RSRC2:TIDIG_COMP_CNT: 1
; COMPUTE_PGM_RSRC3_GFX90A:ACCUM_OFFSET: 4
; COMPUTE_PGM_RSRC3_GFX90A:TG_SPLIT: 0
	.section	.text._ZN4vllm3moe22topkGatingSoftplusSqrtILi2ELi2ELi4ELi4ELi64ELb0El6__halfEEvPKT6_PKbPfiPT5_PiiiibdPKfPKS9_SF_,"axG",@progbits,_ZN4vllm3moe22topkGatingSoftplusSqrtILi2ELi2ELi4ELi4ELi64ELb0El6__halfEEvPKT6_PKbPfiPT5_PiiiibdPKfPKS9_SF_,comdat
	.protected	_ZN4vllm3moe22topkGatingSoftplusSqrtILi2ELi2ELi4ELi4ELi64ELb0El6__halfEEvPKT6_PKbPfiPT5_PiiiibdPKfPKS9_SF_ ; -- Begin function _ZN4vllm3moe22topkGatingSoftplusSqrtILi2ELi2ELi4ELi4ELi64ELb0El6__halfEEvPKT6_PKbPfiPT5_PiiiibdPKfPKS9_SF_
	.globl	_ZN4vllm3moe22topkGatingSoftplusSqrtILi2ELi2ELi4ELi4ELi64ELb0El6__halfEEvPKT6_PKbPfiPT5_PiiiibdPKfPKS9_SF_
	.p2align	8
	.type	_ZN4vllm3moe22topkGatingSoftplusSqrtILi2ELi2ELi4ELi4ELi64ELb0El6__halfEEvPKT6_PKbPfiPT5_PiiiibdPKfPKS9_SF_,@function
_ZN4vllm3moe22topkGatingSoftplusSqrtILi2ELi2ELi4ELi4ELi64ELb0El6__halfEEvPKT6_PKbPfiPT5_PiiiibdPKfPKS9_SF_: ; @_ZN4vllm3moe22topkGatingSoftplusSqrtILi2ELi2ELi4ELi4ELi64ELb0El6__halfEEvPKT6_PKbPfiPT5_PiiiibdPKfPKS9_SF_
; %bb.0:
	s_load_dword s24, s[0:1], 0x18
	v_bfe_u32 v1, v0, 10, 10
	s_lshl_b32 s2, s2, 8
	v_lshlrev_b32_e32 v1, 6, v1
	v_and_b32_e32 v0, 0x3ff, v0
	v_add3_u32 v0, v1, v0, s2
	s_waitcnt lgkmcnt(0)
	v_cmp_gt_i32_e32 vcc, s24, v0
	s_and_saveexec_b64 s[2:3], vcc
	s_cbranch_execz .LBB305_28
; %bb.1:
	s_load_dwordx4 s[4:7], s[0:1], 0x0
	s_load_dwordx2 s[16:17], s[0:1], 0x10
	s_waitcnt lgkmcnt(0)
	s_cmp_eq_u64 s[6:7], 0
	s_cbranch_scc1 .LBB305_3
; %bb.2:
	v_ashrrev_i32_e32 v1, 31, v0
	v_lshl_add_u64 v[2:3], s[6:7], 0, v[0:1]
	global_load_ubyte v1, v[2:3], off
	s_waitcnt vmcnt(0)
	v_and_b32_e32 v1, 1, v1
	v_cmp_eq_u32_e32 vcc, 1, v1
	s_xor_b64 s[2:3], vcc, -1
	s_orn2_b64 s[18:19], s[2:3], exec
	s_branch .LBB305_4
.LBB305_3:
	s_mov_b64 s[18:19], -1
.LBB305_4:
	v_lshlrev_b32_e32 v4, 1, v0
	v_mov_b32_e32 v2, s4
	v_mov_b32_e32 v3, s5
	v_ashrrev_i32_e32 v5, 31, v4
	v_lshl_add_u64 v[2:3], v[4:5], 1, v[2:3]
	global_load_dword v1, v[2:3], off
	s_mov_b32 s13, 0x800000
	v_mov_b32_e32 v3, 0x4f800000
	s_mov_b32 s7, 0x3f317217
	s_mov_b32 s12, 0x7f800000
	v_mov_b32_e32 v5, 0x41b17218
	s_movk_i32 s6, 0x4d00
	s_mov_b32 s14, 0xf800000
	s_load_dwordx4 s[8:11], s[0:1], 0x40
	s_waitcnt lgkmcnt(0)
	s_cmp_lg_u64 s[10:11], 0
	s_cselect_b64 s[20:21], -1, 0
	s_and_b64 s[2:3], exec, s[20:21]
	s_waitcnt vmcnt(0)
	v_cvt_f32_f16_e32 v4, v1
	v_mul_f32_e32 v2, 0x3fb8aa3b, v4
	v_exp_f32_e32 v2, v2
	s_nop 0
	v_add_f32_e32 v2, 1.0, v2
	v_cmp_gt_f32_e32 vcc, s13, v2
	s_nop 1
	v_cndmask_b32_e32 v6, 1.0, v3, vcc
	v_mul_f32_e32 v2, v2, v6
	v_log_f32_e32 v6, v2
	v_cndmask_b32_e32 v7, 0, v5, vcc
	v_mov_b32_e32 v2, 0x260
	v_mul_f32_e32 v8, 0x3f317217, v6
	v_fma_f32 v8, v6, s7, -v8
	v_fmac_f32_e32 v8, 0x3377d1cf, v6
	v_fmac_f32_e32 v8, 0x3f317217, v6
	v_cmp_lt_f32_e64 vcc, |v6|, s12
	s_nop 1
	v_cndmask_b32_e32 v6, v6, v8, vcc
	v_sub_f32_e32 v6, v6, v7
	v_cmp_lt_f16_e32 vcc, s6, v1
	s_nop 1
	v_cndmask_b32_e32 v4, v6, v4, vcc
	v_mul_f32_e32 v6, 0x4f800000, v4
	v_cmp_gt_f32_e32 vcc, s14, v4
	s_nop 1
	v_cndmask_b32_e32 v4, v4, v6, vcc
	v_sqrt_f32_e32 v6, v4
	s_nop 0
	v_add_u32_e32 v7, -1, v6
	v_add_u32_e32 v8, 1, v6
	v_fma_f32 v9, -v7, v6, v4
	v_fma_f32 v10, -v8, v6, v4
	v_cmp_ge_f32_e64 s[4:5], 0, v9
	s_nop 1
	v_cndmask_b32_e64 v6, v6, v7, s[4:5]
	v_cmp_lt_f32_e64 s[4:5], 0, v10
	s_nop 1
	v_cndmask_b32_e64 v6, v6, v8, s[4:5]
	v_mul_f32_e32 v7, 0x37800000, v6
	v_cndmask_b32_e32 v6, v6, v7, vcc
	v_cmp_class_f32_e32 vcc, v4, v2
	s_nop 1
	v_cndmask_b32_e32 v4, v6, v4, vcc
	s_mov_b64 vcc, s[2:3]
	s_cbranch_vccz .LBB305_6
; %bb.5:
	s_load_dword s2, s[10:11], 0x0
	s_waitcnt lgkmcnt(0)
	v_add_f32_e32 v4, s2, v4
.LBB305_6:
	v_cvt_f32_f16_sdwa v6, v1 dst_sel:DWORD dst_unused:UNUSED_PAD src0_sel:WORD_1
	v_mul_f32_e32 v7, 0x3fb8aa3b, v6
	v_exp_f32_e32 v7, v7
	s_nop 0
	v_add_f32_e32 v7, 1.0, v7
	v_cmp_gt_f32_e32 vcc, s13, v7
	s_nop 1
	v_cndmask_b32_e32 v3, 1.0, v3, vcc
	v_mul_f32_e32 v3, v7, v3
	v_log_f32_e32 v3, v3
	v_cndmask_b32_e32 v5, 0, v5, vcc
	v_mul_f32_e32 v7, 0x3f317217, v3
	v_fma_f32 v7, v3, s7, -v7
	v_fmac_f32_e32 v7, 0x3377d1cf, v3
	v_fmac_f32_e32 v7, 0x3f317217, v3
	v_cmp_lt_f32_e64 vcc, |v3|, s12
	s_nop 1
	v_cndmask_b32_e32 v3, v3, v7, vcc
	v_sub_f32_e32 v3, v3, v5
	v_cmp_gt_f16_sdwa vcc, v1, s6 src0_sel:WORD_1 src1_sel:DWORD
	s_nop 1
	v_cndmask_b32_e32 v1, v3, v6, vcc
	v_mul_f32_e32 v3, 0x4f800000, v1
	v_cmp_gt_f32_e64 s[2:3], s14, v1
	s_andn2_b64 vcc, exec, s[20:21]
	s_nop 0
	v_cndmask_b32_e64 v1, v1, v3, s[2:3]
	v_sqrt_f32_e32 v3, v1
	s_nop 0
	v_add_u32_e32 v5, -1, v3
	v_add_u32_e32 v6, 1, v3
	v_fma_f32 v7, -v5, v3, v1
	v_fma_f32 v8, -v6, v3, v1
	v_cmp_ge_f32_e64 s[4:5], 0, v7
	s_nop 1
	v_cndmask_b32_e64 v3, v3, v5, s[4:5]
	v_cmp_lt_f32_e64 s[4:5], 0, v8
	s_nop 1
	v_cndmask_b32_e64 v3, v3, v6, s[4:5]
	v_mul_f32_e32 v5, 0x37800000, v3
	v_cndmask_b32_e64 v3, v3, v5, s[2:3]
	v_cmp_class_f32_e64 s[2:3], v1, v2
	s_nop 1
	v_cndmask_b32_e64 v1, v3, v1, s[2:3]
	s_cbranch_vccnz .LBB305_8
; %bb.7:
	s_load_dword s2, s[10:11], 0x4
	s_waitcnt lgkmcnt(0)
	v_add_f32_e32 v1, s2, v1
.LBB305_8:
	s_load_dwordx4 s[4:7], s[0:1], 0x30
	s_mov_b32 s25, 0
	s_waitcnt lgkmcnt(0)
	s_bitcmp1_b32 s7, 0
	s_cselect_b64 s[2:3], -1, 0
	s_cmp_gt_i32 s4, 0
	s_cselect_b64 s[22:23], -1, 0
	s_and_b64 vcc, exec, s[22:23]
	v_mul_lo_u32 v2, v0, s4
	s_cbranch_vccz .LBB305_15
; %bb.9:
	s_load_dwordx4 s[12:15], s[0:1], 0x20
	v_mov_b32_e32 v3, 0
	v_mov_b32_e32 v5, 0xc61c4000
	s_branch .LBB305_11
.LBB305_10:                             ;   in Loop: Header=BB305_11 Depth=1
	v_add_u32_e32 v8, s25, v2
	v_ashrrev_i32_e32 v9, 31, v8
	v_lshlrev_b64 v[10:11], 2, v[8:9]
	v_cmp_le_i32_e32 vcc, s5, v6
	v_cmp_gt_i32_e64 s[0:1], s6, v6
	v_lshl_add_u64 v[12:13], s[16:17], 0, v[10:11]
	s_and_b64 s[0:1], vcc, s[0:1]
	global_store_dword v[12:13], v7, off
	v_subrev_u32_e32 v12, s5, v6
	v_ashrrev_i32_e32 v13, 31, v12
	s_and_b64 vcc, s[18:19], s[0:1]
	v_cndmask_b32_e32 v13, 0, v13, vcc
	v_cndmask_b32_e32 v12, 2, v12, vcc
	v_add_f32_e32 v7, v3, v7
	s_add_i32 s25, s25, 1
	v_cmp_ne_u32_e32 vcc, 0, v6
	s_waitcnt lgkmcnt(0)
	v_lshl_add_u64 v[8:9], v[8:9], 3, s[12:13]
	v_cndmask_b32_e64 v3, v3, v7, s[2:3]
	s_cmp_lt_i32 s25, s4
	v_cndmask_b32_e32 v7, v5, v4, vcc
	v_cmp_ne_u32_e32 vcc, 1, v6
	global_store_dwordx2 v[8:9], v[12:13], off
	v_lshl_add_u64 v[8:9], s[14:15], 0, v[10:11]
	v_cndmask_b32_e32 v6, v5, v1, vcc
	s_cselect_b64 vcc, -1, 0
	global_store_dword v[8:9], v0, off
	v_cndmask_b32_e32 v1, v1, v6, vcc
	v_cndmask_b32_e32 v4, v4, v7, vcc
	s_cmp_lg_u32 s4, s25
	v_add_u32_e32 v0, s24, v0
	s_cbranch_scc0 .LBB305_16
.LBB305_11:                             ; =>This Inner Loop Header: Depth=1
	v_cmp_gt_f32_e32 vcc, v1, v4
	s_and_b64 s[0:1], exec, s[20:21]
	s_nop 0
	v_cndmask_b32_e32 v8, v4, v1, vcc
	v_cndmask_b32_e64 v6, 0, 1, vcc
	s_mov_b64 vcc, s[0:1]
	s_cbranch_vccz .LBB305_13
; %bb.12:                               ;   in Loop: Header=BB305_11 Depth=1
	v_lshlrev_b32_e32 v7, 2, v6
	global_load_dword v7, v7, s[10:11]
	s_waitcnt vmcnt(0)
	v_sub_f32_e32 v7, v8, v7
	s_cbranch_execnz .LBB305_10
	s_branch .LBB305_14
.LBB305_13:                             ;   in Loop: Header=BB305_11 Depth=1
                                        ; implicit-def: $vgpr7
.LBB305_14:                             ;   in Loop: Header=BB305_11 Depth=1
	v_mov_b32_e32 v7, v8
	s_branch .LBB305_10
.LBB305_15:
	v_mov_b32_e32 v3, 0
.LBB305_16:
	s_andn2_b64 vcc, exec, s[2:3]
	v_cvt_f32_f64_e32 v0, s[8:9]
	s_cbranch_vccnz .LBB305_18
; %bb.17:
	v_cmp_lt_f32_e32 vcc, 0, v3
	s_nop 1
	v_cndmask_b32_e32 v1, 1.0, v3, vcc
	v_div_scale_f32 v3, s[0:1], v1, v1, v0
	v_rcp_f32_e32 v4, v3
	s_nop 0
	v_fma_f32 v5, -v3, v4, 1.0
	v_fmac_f32_e32 v4, v5, v4
	v_div_scale_f32 v5, vcc, v0, v1, v0
	v_mul_f32_e32 v6, v5, v4
	v_fma_f32 v7, -v3, v6, v5
	v_fmac_f32_e32 v6, v7, v4
	v_fma_f32 v3, -v3, v6, v5
	v_div_fmas_f32 v3, v3, v4, v6
	v_div_fixup_f32 v0, v3, v1, v0
.LBB305_18:
	s_andn2_b64 vcc, exec, s[22:23]
	s_cbranch_vccnz .LBB305_28
; %bb.19:
	s_cmp_gt_u32 s4, 3
	v_ashrrev_i32_e32 v3, 31, v2
	s_cbranch_scc0 .LBB305_23
; %bb.20:
	s_and_b32 s0, s4, 0x7ffffffc
	v_lshl_add_u64 v[4:5], v[2:3], 2, s[16:17]
	v_mov_b32_e32 v1, v0
	v_lshl_add_u64 v[4:5], v[4:5], 0, 8
	s_mov_b32 s1, s0
.LBB305_21:                             ; =>This Inner Loop Header: Depth=1
	global_load_dwordx4 v[6:9], v[4:5], off offset:-8
	s_add_i32 s1, s1, -4
	s_cmp_lg_u32 s1, 0
	s_waitcnt vmcnt(0)
	v_pk_mul_f32 v[6:7], v[0:1], v[6:7]
	v_pk_mul_f32 v[8:9], v[0:1], v[8:9]
	global_store_dwordx4 v[4:5], v[6:9], off offset:-8
	v_lshl_add_u64 v[4:5], v[4:5], 0, 16
	s_cbranch_scc1 .LBB305_21
; %bb.22:
	s_cmp_lg_u32 s0, s4
	s_cselect_b64 s[2:3], -1, 0
	s_branch .LBB305_25
.LBB305_23:
	s_mov_b64 s[2:3], 0
                                        ; implicit-def: $sgpr0
	s_cbranch_execz .LBB305_25
; %bb.24:
	s_mov_b64 s[2:3], -1
	s_mov_b32 s0, 0
.LBB305_25:
	s_andn2_b64 vcc, exec, s[2:3]
	s_cbranch_vccnz .LBB305_28
; %bb.26:
	s_mov_b32 s1, 0
	v_lshl_add_u64 v[2:3], v[2:3], 0, s[0:1]
	s_sub_i32 s2, s4, s0
	v_lshl_add_u64 v[2:3], v[2:3], 2, s[16:17]
.LBB305_27:                             ; =>This Inner Loop Header: Depth=1
	global_load_dword v1, v[2:3], off
	s_add_i32 s2, s2, -1
	s_cmp_lg_u32 s2, 0
	s_waitcnt vmcnt(0)
	v_mul_f32_e32 v1, v0, v1
	global_store_dword v[2:3], v1, off
	v_lshl_add_u64 v[2:3], v[2:3], 0, 4
	s_cbranch_scc1 .LBB305_27
.LBB305_28:
	s_endpgm
	.section	.rodata,"a",@progbits
	.p2align	6, 0x0
	.amdhsa_kernel _ZN4vllm3moe22topkGatingSoftplusSqrtILi2ELi2ELi4ELi4ELi64ELb0El6__halfEEvPKT6_PKbPfiPT5_PiiiibdPKfPKS9_SF_
		.amdhsa_group_segment_fixed_size 0
		.amdhsa_private_segment_fixed_size 0
		.amdhsa_kernarg_size 96
		.amdhsa_user_sgpr_count 2
		.amdhsa_user_sgpr_dispatch_ptr 0
		.amdhsa_user_sgpr_queue_ptr 0
		.amdhsa_user_sgpr_kernarg_segment_ptr 1
		.amdhsa_user_sgpr_dispatch_id 0
		.amdhsa_user_sgpr_kernarg_preload_length 0
		.amdhsa_user_sgpr_kernarg_preload_offset 0
		.amdhsa_user_sgpr_private_segment_size 0
		.amdhsa_uses_dynamic_stack 0
		.amdhsa_enable_private_segment 0
		.amdhsa_system_sgpr_workgroup_id_x 1
		.amdhsa_system_sgpr_workgroup_id_y 0
		.amdhsa_system_sgpr_workgroup_id_z 0
		.amdhsa_system_sgpr_workgroup_info 0
		.amdhsa_system_vgpr_workitem_id 1
		.amdhsa_next_free_vgpr 14
		.amdhsa_next_free_sgpr 26
		.amdhsa_accum_offset 16
		.amdhsa_reserve_vcc 1
		.amdhsa_float_round_mode_32 0
		.amdhsa_float_round_mode_16_64 0
		.amdhsa_float_denorm_mode_32 3
		.amdhsa_float_denorm_mode_16_64 3
		.amdhsa_dx10_clamp 1
		.amdhsa_ieee_mode 1
		.amdhsa_fp16_overflow 0
		.amdhsa_tg_split 0
		.amdhsa_exception_fp_ieee_invalid_op 0
		.amdhsa_exception_fp_denorm_src 0
		.amdhsa_exception_fp_ieee_div_zero 0
		.amdhsa_exception_fp_ieee_overflow 0
		.amdhsa_exception_fp_ieee_underflow 0
		.amdhsa_exception_fp_ieee_inexact 0
		.amdhsa_exception_int_div_zero 0
	.end_amdhsa_kernel
	.section	.text._ZN4vllm3moe22topkGatingSoftplusSqrtILi2ELi2ELi4ELi4ELi64ELb0El6__halfEEvPKT6_PKbPfiPT5_PiiiibdPKfPKS9_SF_,"axG",@progbits,_ZN4vllm3moe22topkGatingSoftplusSqrtILi2ELi2ELi4ELi4ELi64ELb0El6__halfEEvPKT6_PKbPfiPT5_PiiiibdPKfPKS9_SF_,comdat
.Lfunc_end305:
	.size	_ZN4vllm3moe22topkGatingSoftplusSqrtILi2ELi2ELi4ELi4ELi64ELb0El6__halfEEvPKT6_PKbPfiPT5_PiiiibdPKfPKS9_SF_, .Lfunc_end305-_ZN4vllm3moe22topkGatingSoftplusSqrtILi2ELi2ELi4ELi4ELi64ELb0El6__halfEEvPKT6_PKbPfiPT5_PiiiibdPKfPKS9_SF_
                                        ; -- End function
	.section	.AMDGPU.csdata,"",@progbits
; Kernel info:
; codeLenInByte = 1408
; NumSgprs: 32
; NumVgprs: 14
; NumAgprs: 0
; TotalNumVgprs: 14
; ScratchSize: 0
; MemoryBound: 0
; FloatMode: 240
; IeeeMode: 1
; LDSByteSize: 0 bytes/workgroup (compile time only)
; SGPRBlocks: 3
; VGPRBlocks: 1
; NumSGPRsForWavesPerEU: 32
; NumVGPRsForWavesPerEU: 14
; AccumOffset: 16
; Occupancy: 8
; WaveLimiterHint : 0
; COMPUTE_PGM_RSRC2:SCRATCH_EN: 0
; COMPUTE_PGM_RSRC2:USER_SGPR: 2
; COMPUTE_PGM_RSRC2:TRAP_HANDLER: 0
; COMPUTE_PGM_RSRC2:TGID_X_EN: 1
; COMPUTE_PGM_RSRC2:TGID_Y_EN: 0
; COMPUTE_PGM_RSRC2:TGID_Z_EN: 0
; COMPUTE_PGM_RSRC2:TIDIG_COMP_CNT: 1
; COMPUTE_PGM_RSRC3_GFX90A:ACCUM_OFFSET: 3
; COMPUTE_PGM_RSRC3_GFX90A:TG_SPLIT: 0
	.section	.text._ZN4vllm3moe22topkGatingSoftplusSqrtILi2ELi2ELi4ELi4ELi32ELb1El6__halfEEvPKT6_PKbPfiPT5_PiiiibdPKfPKS9_SF_,"axG",@progbits,_ZN4vllm3moe22topkGatingSoftplusSqrtILi2ELi2ELi4ELi4ELi32ELb1El6__halfEEvPKT6_PKbPfiPT5_PiiiibdPKfPKS9_SF_,comdat
	.protected	_ZN4vllm3moe22topkGatingSoftplusSqrtILi2ELi2ELi4ELi4ELi32ELb1El6__halfEEvPKT6_PKbPfiPT5_PiiiibdPKfPKS9_SF_ ; -- Begin function _ZN4vllm3moe22topkGatingSoftplusSqrtILi2ELi2ELi4ELi4ELi32ELb1El6__halfEEvPKT6_PKbPfiPT5_PiiiibdPKfPKS9_SF_
	.globl	_ZN4vllm3moe22topkGatingSoftplusSqrtILi2ELi2ELi4ELi4ELi32ELb1El6__halfEEvPKT6_PKbPfiPT5_PiiiibdPKfPKS9_SF_
	.p2align	8
	.type	_ZN4vllm3moe22topkGatingSoftplusSqrtILi2ELi2ELi4ELi4ELi32ELb1El6__halfEEvPKT6_PKbPfiPT5_PiiiibdPKfPKS9_SF_,@function
_ZN4vllm3moe22topkGatingSoftplusSqrtILi2ELi2ELi4ELi4ELi32ELb1El6__halfEEvPKT6_PKbPfiPT5_PiiiibdPKfPKS9_SF_: ; @_ZN4vllm3moe22topkGatingSoftplusSqrtILi2ELi2ELi4ELi4ELi32ELb1El6__halfEEvPKT6_PKbPfiPT5_PiiiibdPKfPKS9_SF_
; %bb.0:
	s_load_dword s3, s[0:1], 0x18
	v_bfe_u32 v1, v0, 10, 10
	s_lshl_b32 s2, s2, 7
	v_lshlrev_b32_e32 v1, 5, v1
	v_and_b32_e32 v0, 0x3ff, v0
	v_add3_u32 v0, v1, v0, s2
	s_waitcnt lgkmcnt(0)
	v_cmp_gt_i32_e32 vcc, s3, v0
	s_and_saveexec_b64 s[2:3], vcc
	s_cbranch_execz .LBB306_48
; %bb.1:
	s_load_dwordx4 s[8:11], s[0:1], 0x50
	s_load_dwordx2 s[2:3], s[0:1], 0x0
	s_load_dword s12, s[0:1], 0x30
	v_lshlrev_b32_e32 v2, 1, v0
	v_ashrrev_i32_e32 v3, 31, v2
	s_waitcnt lgkmcnt(0)
	v_mov_b32_e32 v4, s8
	v_lshl_add_u64 v[2:3], v[2:3], 1, s[2:3]
	global_load_dword v6, v[2:3], off
	v_mov_b32_e32 v5, s9
	v_ashrrev_i32_e32 v1, 31, v0
	v_lshl_add_u64 v[2:3], v[0:1], 3, v[4:5]
	global_load_dwordx2 v[2:3], v[2:3], off
	s_ashr_i32 s13, s12, 31
	v_cmp_lt_i64_e64 s[2:3], s[12:13], 1
	s_mov_b32 s4, 0x800000
	s_and_b64 vcc, exec, s[2:3]
	v_mov_b32_e32 v1, 0x4f800000
	s_mov_b32 s7, 0x3f317217
	s_mov_b32 s9, 0x7f800000
	v_mov_b32_e32 v7, 0x41b17218
	s_movk_i32 s6, 0x4d00
	s_mov_b32 s16, 0xf800000
	v_mov_b32_e32 v8, 0x260
	s_mov_b32 s8, 0
	v_mov_b32_e32 v14, 0
	v_mul_lo_u32 v0, v0, s12
	v_cmp_gt_i64_e64 s[14:15], s[12:13], 0
	s_waitcnt vmcnt(1)
	v_cvt_f32_f16_e32 v9, v6
	v_cvt_f32_f16_sdwa v10, v6 dst_sel:DWORD dst_unused:UNUSED_PAD src0_sel:WORD_1
	s_waitcnt vmcnt(0)
	v_mul_lo_u32 v11, v3, s12
	v_mul_f32_e32 v3, 0x3fb8aa3b, v9
	v_mul_f32_e32 v5, 0x3fb8aa3b, v10
	v_exp_f32_e32 v4, v3
	v_exp_f32_e32 v5, v5
	v_mul_lo_u32 v12, v2, s13
	v_mad_u64_u32 v[2:3], s[2:3], v2, s12, 0
	v_pk_add_f32 v[4:5], v[4:5], 1.0 op_sel_hi:[1,0]
	v_add3_u32 v3, v3, v12, v11
	v_cmp_gt_f32_e64 s[2:3], s4, v5
	v_cmp_gt_f32_e64 s[4:5], s4, v4
	s_nop 0
	v_cndmask_b32_e64 v13, 1.0, v1, s[2:3]
	v_cndmask_b32_e64 v1, 1.0, v1, s[4:5]
	v_mul_f32_e32 v5, v5, v13
	v_mul_f32_e32 v1, v4, v1
	v_log_f32_e32 v4, v5
	v_log_f32_e32 v1, v1
	v_cndmask_b32_e64 v5, 0, v7, s[2:3]
	v_cndmask_b32_e64 v7, 0, v7, s[4:5]
	v_mul_f32_e32 v13, 0x3f317217, v4
	v_mul_f32_e32 v15, 0x3f317217, v1
	v_fma_f32 v13, v4, s7, -v13
	v_fma_f32 v15, v1, s7, -v15
	v_fmac_f32_e32 v13, 0x3377d1cf, v4
	v_fmac_f32_e32 v15, 0x3377d1cf, v1
	;; [unrolled: 1-line block ×3, first 2 shown]
	v_cmp_lt_f32_e64 s[2:3], |v4|, s9
	v_fmac_f32_e32 v15, 0x3f317217, v1
	s_nop 0
	v_cndmask_b32_e64 v4, v4, v13, s[2:3]
	v_cmp_lt_f32_e64 s[2:3], |v1|, s9
	v_sub_f32_e32 v4, v4, v5
	s_nop 0
	v_cndmask_b32_e64 v1, v1, v15, s[2:3]
	v_sub_f32_e32 v1, v1, v7
	v_cmp_lt_f16_e64 s[2:3], s6, v6
	s_nop 1
	v_cndmask_b32_e64 v1, v1, v9, s[2:3]
	v_cmp_gt_f16_sdwa s[2:3], v6, s6 src0_sel:WORD_1 src1_sel:DWORD
	v_mul_f32_e32 v6, 0x4f800000, v1
	v_cmp_gt_f32_e64 s[4:5], s16, v1
	v_cndmask_b32_e64 v4, v4, v10, s[2:3]
	v_mul_f32_e32 v5, 0x4f800000, v4
	v_cmp_gt_f32_e64 s[2:3], s16, v4
	v_cndmask_b32_e64 v1, v1, v6, s[4:5]
	v_sqrt_f32_e32 v6, v1
	v_cndmask_b32_e64 v4, v4, v5, s[2:3]
	v_sqrt_f32_e32 v5, v4
	v_add_u32_e32 v10, -1, v6
	v_fma_f32 v15, -v10, v6, v1
	v_add_u32_e32 v7, -1, v5
	v_fma_f32 v12, -v7, v5, v4
	v_add_u32_e32 v9, 1, v5
	v_cmp_ge_f32_e64 s[6:7], 0, v12
	v_add_u32_e32 v11, 1, v6
	v_fma_f32 v13, -v9, v5, v4
	v_cndmask_b32_e64 v5, v5, v7, s[6:7]
	v_cmp_ge_f32_e64 s[6:7], 0, v15
	v_fma_f32 v16, -v11, v6, v1
	s_nop 0
	v_cndmask_b32_e64 v6, v6, v10, s[6:7]
	v_cmp_lt_f32_e64 s[6:7], 0, v13
	s_nop 1
	v_cndmask_b32_e64 v5, v5, v9, s[6:7]
	v_cmp_lt_f32_e64 s[6:7], 0, v16
	v_mul_f32_e32 v7, 0x37800000, v5
	v_cndmask_b32_e64 v5, v5, v7, s[2:3]
	v_cndmask_b32_e64 v6, v6, v11, s[6:7]
	v_mul_f32_e32 v9, 0x37800000, v6
	v_cmp_class_f32_e64 s[2:3], v4, v8
	v_cndmask_b32_e64 v6, v6, v9, s[4:5]
	s_nop 0
	v_cndmask_b32_e64 v12, v5, v4, s[2:3]
	v_cmp_class_f32_e64 s[2:3], v1, v8
	s_nop 1
	v_cndmask_b32_e64 v13, v6, v1, s[2:3]
	s_cbranch_vccnz .LBB306_29
; %bb.2:
	s_load_dwordx2 s[2:3], s[0:1], 0x20
	s_cmp_lt_u32 s12, 4
	v_lshl_add_u64 v[4:5], v[2:3], 3, s[10:11]
	s_cbranch_scc1 .LBB306_21
; %bb.3:
	s_mov_b32 s5, 0
	s_and_b32 s8, s12, 0x7ffffffc
	v_ashrrev_i32_e32 v1, 31, v0
	v_mov_b32_e32 v7, 0
	v_mov_b32_e32 v14, 0
	s_mov_b32 s4, s5
	s_branch .LBB306_5
.LBB306_4:                              ;   in Loop: Header=BB306_5 Depth=1
	s_or_b64 exec, exec, s[6:7]
	s_add_i32 s4, s4, 4
	s_cmp_eq_u32 s4, s8
	s_cbranch_scc1 .LBB306_22
.LBB306_5:                              ; =>This Loop Header: Depth=1
                                        ;     Child Loop BB306_7 Depth 2
                                        ;     Child Loop BB306_11 Depth 2
	;; [unrolled: 1-line block ×4, first 2 shown]
	v_lshl_add_u64 v[8:9], s[4:5], 3, v[4:5]
	global_load_dword v6, v[8:9], off
	v_add_u32_e32 v10, s4, v0
	v_ashrrev_i32_e32 v11, 31, v10
	s_mov_b64 s[6:7], 0
	s_waitcnt lgkmcnt(0)
	v_lshl_add_u64 v[10:11], v[10:11], 3, s[2:3]
	s_waitcnt vmcnt(0)
	v_cmp_eq_u32_e32 vcc, 0, v6
	s_nop 1
	v_cndmask_b32_e64 v15, 2, 1, vcc
	v_cmp_eq_u32_e32 vcc, 1, v6
	v_mov_b32_e32 v17, v6
	s_nop 0
	v_cndmask_b32_e32 v16, v13, v12, vcc
	s_branch .LBB306_7
.LBB306_6:                              ;   in Loop: Header=BB306_7 Depth=2
	s_or_b64 exec, exec, s[16:17]
	v_add_u32_e32 v15, -1, v15
	v_cmp_eq_u32_e32 vcc, 0, v15
	s_or_b64 s[6:7], vcc, s[6:7]
	v_add_u32_e32 v17, -1, v17
	s_andn2_b64 exec, exec, s[6:7]
	s_cbranch_execz .LBB306_9
.LBB306_7:                              ;   Parent Loop BB306_5 Depth=1
                                        ; =>  This Inner Loop Header: Depth=2
	v_cmp_eq_u32_e32 vcc, 0, v17
	s_and_saveexec_b64 s[16:17], vcc
	s_cbranch_execz .LBB306_6
; %bb.8:                                ;   in Loop: Header=BB306_7 Depth=2
	v_add_f32_e32 v14, v14, v16
	global_store_dwordx2 v[10:11], v[6:7], off
	s_branch .LBB306_6
.LBB306_9:                              ;   in Loop: Header=BB306_5 Depth=1
	s_or_b64 exec, exec, s[6:7]
	global_load_dword v6, v[8:9], off offset:8
	s_ashr_i32 s17, s4, 31
	s_mov_b32 s16, s4
	v_lshl_add_u64 v[10:11], s[16:17], 0, v[0:1]
	s_mov_b64 s[6:7], 0
	v_lshl_add_u64 v[10:11], v[10:11], 3, s[2:3]
	s_waitcnt vmcnt(0)
	v_cmp_eq_u32_e32 vcc, 0, v6
	s_nop 1
	v_cndmask_b32_e64 v15, 2, 1, vcc
	v_cmp_eq_u32_e32 vcc, 1, v6
	v_mov_b32_e32 v17, v6
	s_nop 0
	v_cndmask_b32_e32 v16, v13, v12, vcc
	s_branch .LBB306_11
.LBB306_10:                             ;   in Loop: Header=BB306_11 Depth=2
	s_or_b64 exec, exec, s[16:17]
	v_add_u32_e32 v15, -1, v15
	v_cmp_eq_u32_e32 vcc, 0, v15
	s_or_b64 s[6:7], vcc, s[6:7]
	v_add_u32_e32 v17, -1, v17
	s_andn2_b64 exec, exec, s[6:7]
	s_cbranch_execz .LBB306_13
.LBB306_11:                             ;   Parent Loop BB306_5 Depth=1
                                        ; =>  This Inner Loop Header: Depth=2
	v_cmp_eq_u32_e32 vcc, 0, v17
	s_and_saveexec_b64 s[16:17], vcc
	s_cbranch_execz .LBB306_10
; %bb.12:                               ;   in Loop: Header=BB306_11 Depth=2
	v_add_f32_e32 v14, v14, v16
	global_store_dwordx2 v[10:11], v[6:7], off offset:8
	s_branch .LBB306_10
.LBB306_13:                             ;   in Loop: Header=BB306_5 Depth=1
	s_or_b64 exec, exec, s[6:7]
	global_load_dword v6, v[8:9], off offset:16
	s_mov_b64 s[6:7], 0
	s_waitcnt vmcnt(0)
	v_cmp_eq_u32_e32 vcc, 0, v6
	s_nop 1
	v_cndmask_b32_e64 v15, 2, 1, vcc
	v_cmp_eq_u32_e32 vcc, 1, v6
	v_mov_b32_e32 v17, v6
	s_nop 0
	v_cndmask_b32_e32 v16, v13, v12, vcc
	s_branch .LBB306_15
.LBB306_14:                             ;   in Loop: Header=BB306_15 Depth=2
	s_or_b64 exec, exec, s[16:17]
	v_add_u32_e32 v15, -1, v15
	v_cmp_eq_u32_e32 vcc, 0, v15
	s_or_b64 s[6:7], vcc, s[6:7]
	v_add_u32_e32 v17, -1, v17
	s_andn2_b64 exec, exec, s[6:7]
	s_cbranch_execz .LBB306_17
.LBB306_15:                             ;   Parent Loop BB306_5 Depth=1
                                        ; =>  This Inner Loop Header: Depth=2
	v_cmp_eq_u32_e32 vcc, 0, v17
	s_and_saveexec_b64 s[16:17], vcc
	s_cbranch_execz .LBB306_14
; %bb.16:                               ;   in Loop: Header=BB306_15 Depth=2
	v_add_f32_e32 v14, v14, v16
	global_store_dwordx2 v[10:11], v[6:7], off offset:16
	s_branch .LBB306_14
.LBB306_17:                             ;   in Loop: Header=BB306_5 Depth=1
	s_or_b64 exec, exec, s[6:7]
	global_load_dword v6, v[8:9], off offset:24
	s_mov_b64 s[6:7], 0
	s_waitcnt vmcnt(0)
	v_cmp_eq_u32_e32 vcc, 0, v6
	s_nop 1
	v_cndmask_b32_e64 v8, 2, 1, vcc
	v_cmp_eq_u32_e32 vcc, 1, v6
	v_mov_b32_e32 v15, v6
	s_nop 0
	v_cndmask_b32_e32 v9, v13, v12, vcc
	s_branch .LBB306_19
.LBB306_18:                             ;   in Loop: Header=BB306_19 Depth=2
	s_or_b64 exec, exec, s[16:17]
	v_add_u32_e32 v8, -1, v8
	v_cmp_eq_u32_e32 vcc, 0, v8
	s_or_b64 s[6:7], vcc, s[6:7]
	v_add_u32_e32 v15, -1, v15
	s_andn2_b64 exec, exec, s[6:7]
	s_cbranch_execz .LBB306_4
.LBB306_19:                             ;   Parent Loop BB306_5 Depth=1
                                        ; =>  This Inner Loop Header: Depth=2
	v_cmp_eq_u32_e32 vcc, 0, v15
	s_and_saveexec_b64 s[16:17], vcc
	s_cbranch_execz .LBB306_18
; %bb.20:                               ;   in Loop: Header=BB306_19 Depth=2
	v_add_f32_e32 v14, v14, v9
	global_store_dwordx2 v[10:11], v[6:7], off offset:24
	s_branch .LBB306_18
.LBB306_21:
	v_mov_b32_e32 v14, 0
.LBB306_22:
	s_and_b32 s13, s12, 3
	s_cmp_eq_u32 s13, 0
	s_mov_b32 s9, 0
	s_cbranch_scc1 .LBB306_29
; %bb.23:
	v_mov_b32_e32 v7, 0
	s_mov_b32 s16, s9
	s_branch .LBB306_25
.LBB306_24:                             ;   in Loop: Header=BB306_25 Depth=1
	s_or_b64 exec, exec, s[4:5]
	s_add_i32 s8, s8, 1
	s_add_i32 s16, s16, 1
	s_cmp_lg_u32 s16, s13
	s_cbranch_scc0 .LBB306_29
.LBB306_25:                             ; =>This Loop Header: Depth=1
                                        ;     Child Loop BB306_27 Depth 2
	v_lshl_add_u64 v[8:9], s[8:9], 3, v[4:5]
	global_load_dword v6, v[8:9], off
	v_add_u32_e32 v8, s8, v0
	v_ashrrev_i32_e32 v9, 31, v8
	s_mov_b64 s[4:5], 0
	s_waitcnt lgkmcnt(0)
	v_lshl_add_u64 v[8:9], v[8:9], 3, s[2:3]
	s_waitcnt vmcnt(0)
	v_cmp_eq_u32_e32 vcc, 0, v6
	s_nop 1
	v_cndmask_b32_e64 v1, 2, 1, vcc
	v_cmp_eq_u32_e32 vcc, 1, v6
	v_mov_b32_e32 v11, v6
	s_nop 0
	v_cndmask_b32_e32 v10, v13, v12, vcc
	s_branch .LBB306_27
.LBB306_26:                             ;   in Loop: Header=BB306_27 Depth=2
	s_or_b64 exec, exec, s[6:7]
	v_add_u32_e32 v1, -1, v1
	v_cmp_eq_u32_e32 vcc, 0, v1
	s_or_b64 s[4:5], vcc, s[4:5]
	v_add_u32_e32 v11, -1, v11
	s_andn2_b64 exec, exec, s[4:5]
	s_cbranch_execz .LBB306_24
.LBB306_27:                             ;   Parent Loop BB306_25 Depth=1
                                        ; =>  This Inner Loop Header: Depth=2
	v_cmp_eq_u32_e32 vcc, 0, v11
	s_and_saveexec_b64 s[6:7], vcc
	s_cbranch_execz .LBB306_26
; %bb.28:                               ;   in Loop: Header=BB306_27 Depth=2
	v_add_f32_e32 v14, v14, v10
	global_store_dwordx2 v[8:9], v[6:7], off
	s_branch .LBB306_26
.LBB306_29:
	s_load_dword s4, s[0:1], 0x3c
	s_waitcnt lgkmcnt(0)
	s_load_dwordx2 s[2:3], s[0:1], 0x40
	s_bitcmp1_b32 s4, 0
	s_cselect_b64 s[4:5], -1, 0
	s_waitcnt lgkmcnt(0)
	v_cvt_f32_f64_e32 v15, s[2:3]
	s_and_b64 vcc, exec, s[4:5]
	s_cbranch_vccz .LBB306_31
; %bb.30:
	v_cmp_lt_f32_e32 vcc, 0, v14
	s_nop 1
	v_cndmask_b32_e32 v1, 1.0, v14, vcc
	v_div_scale_f32 v4, s[2:3], v1, v1, v15
	v_rcp_f32_e32 v5, v4
	s_nop 0
	v_fma_f32 v6, -v4, v5, 1.0
	v_fmac_f32_e32 v5, v6, v5
	v_div_scale_f32 v6, vcc, v15, v1, v15
	v_mul_f32_e32 v7, v6, v5
	v_fma_f32 v8, -v4, v7, v6
	v_fmac_f32_e32 v7, v8, v5
	v_fma_f32 v4, -v4, v7, v6
	v_div_fmas_f32 v4, v4, v5, v7
	v_div_fixup_f32 v15, v4, v1, v15
.LBB306_31:
	s_andn2_b64 vcc, exec, s[14:15]
	s_cbranch_vccnz .LBB306_48
; %bb.32:
	s_load_dwordx2 s[0:1], s[0:1], 0x10
	s_cmp_lt_u32 s12, 4
	s_mov_b32 s2, 0
	s_cbranch_scc1 .LBB306_43
; %bb.33:
	v_ashrrev_i32_e32 v1, 31, v0
	s_waitcnt lgkmcnt(0)
	v_lshl_add_u64 v[4:5], v[0:1], 2, s[0:1]
	v_lshl_add_u64 v[6:7], v[2:3], 3, s[10:11]
	s_and_b32 s2, s12, 0x7ffffffc
	v_lshl_add_u64 v[4:5], v[4:5], 0, 12
	v_lshl_add_u64 v[6:7], v[6:7], 0, 16
	s_mov_b32 s3, 0
	v_mov_b32_e32 v9, 0
	s_branch .LBB306_35
.LBB306_34:                             ;   in Loop: Header=BB306_35 Depth=1
	s_or_b64 exec, exec, s[4:5]
	s_add_i32 s3, s3, 4
	v_lshl_add_u64 v[4:5], v[4:5], 0, 16
	s_cmp_lg_u32 s2, s3
	v_lshl_add_u64 v[6:7], v[6:7], 0, 32
	s_cbranch_scc0 .LBB306_43
.LBB306_35:                             ; =>This Inner Loop Header: Depth=1
	global_load_dwordx2 v[10:11], v[6:7], off offset:-16
	s_waitcnt vmcnt(0)
	v_and_b32_e32 v8, -2, v10
	v_cmp_eq_u64_e32 vcc, 0, v[8:9]
	s_and_saveexec_b64 s[4:5], vcc
	s_cbranch_execz .LBB306_37
; %bb.36:                               ;   in Loop: Header=BB306_35 Depth=1
	v_and_b32_e32 v1, 1, v10
	v_add_u32_e32 v16, s3, v0
	v_cmp_eq_u32_e32 vcc, 1, v1
	v_ashrrev_i32_e32 v17, 31, v16
	v_lshl_add_u64 v[10:11], v[16:17], 2, s[0:1]
	v_cndmask_b32_e32 v1, v13, v12, vcc
	v_mul_f32_e32 v1, v15, v1
	global_store_dword v[10:11], v1, off
.LBB306_37:                             ;   in Loop: Header=BB306_35 Depth=1
	s_or_b64 exec, exec, s[4:5]
	global_load_dwordx2 v[10:11], v[6:7], off offset:-8
	s_waitcnt vmcnt(0)
	v_and_b32_e32 v8, -2, v10
	v_cmp_eq_u64_e32 vcc, 0, v[8:9]
	s_and_saveexec_b64 s[4:5], vcc
	s_cbranch_execz .LBB306_39
; %bb.38:                               ;   in Loop: Header=BB306_35 Depth=1
	v_and_b32_e32 v1, 1, v10
	v_cmp_eq_u32_e32 vcc, 1, v1
	s_nop 1
	v_cndmask_b32_e32 v1, v13, v12, vcc
	v_mul_f32_e32 v1, v15, v1
	global_store_dword v[4:5], v1, off offset:-8
.LBB306_39:                             ;   in Loop: Header=BB306_35 Depth=1
	s_or_b64 exec, exec, s[4:5]
	global_load_dwordx2 v[10:11], v[6:7], off
	s_waitcnt vmcnt(0)
	v_and_b32_e32 v8, -2, v10
	v_cmp_eq_u64_e32 vcc, 0, v[8:9]
	s_and_saveexec_b64 s[4:5], vcc
	s_cbranch_execz .LBB306_41
; %bb.40:                               ;   in Loop: Header=BB306_35 Depth=1
	v_and_b32_e32 v1, 1, v10
	v_cmp_eq_u32_e32 vcc, 1, v1
	s_nop 1
	v_cndmask_b32_e32 v1, v13, v12, vcc
	v_mul_f32_e32 v1, v15, v1
	global_store_dword v[4:5], v1, off offset:-4
.LBB306_41:                             ;   in Loop: Header=BB306_35 Depth=1
	s_or_b64 exec, exec, s[4:5]
	global_load_dwordx2 v[10:11], v[6:7], off offset:8
	s_waitcnt vmcnt(0)
	v_and_b32_e32 v8, -2, v10
	v_cmp_eq_u64_e32 vcc, 0, v[8:9]
	s_and_saveexec_b64 s[4:5], vcc
	s_cbranch_execz .LBB306_34
; %bb.42:                               ;   in Loop: Header=BB306_35 Depth=1
	v_and_b32_e32 v1, 1, v10
	v_cmp_eq_u32_e32 vcc, 1, v1
	s_nop 1
	v_cndmask_b32_e32 v1, v13, v12, vcc
	v_mul_f32_e32 v1, v15, v1
	global_store_dword v[4:5], v1, off
	s_branch .LBB306_34
.LBB306_43:
	s_and_b32 s4, s12, 3
	s_cmp_eq_u32 s4, 0
	s_mov_b32 s3, 0
	s_cbranch_scc1 .LBB306_48
; %bb.44:
	v_add_u32_e32 v0, s2, v0
	s_lshl_b64 s[2:3], s[2:3], 3
	s_add_u32 s2, s10, s2
	s_addc_u32 s3, s11, s3
	v_lshl_add_u64 v[2:3], v[2:3], 3, s[2:3]
	v_mov_b32_e32 v5, 0
	s_branch .LBB306_46
.LBB306_45:                             ;   in Loop: Header=BB306_46 Depth=1
	s_or_b64 exec, exec, s[2:3]
	s_add_i32 s4, s4, -1
	v_add_u32_e32 v0, 1, v0
	s_cmp_lg_u32 s4, 0
	v_lshl_add_u64 v[2:3], v[2:3], 0, 8
	s_cbranch_scc0 .LBB306_48
.LBB306_46:                             ; =>This Inner Loop Header: Depth=1
	global_load_dwordx2 v[6:7], v[2:3], off
	s_waitcnt vmcnt(0)
	v_and_b32_e32 v4, -2, v6
	v_cmp_eq_u64_e32 vcc, 0, v[4:5]
	s_and_saveexec_b64 s[2:3], vcc
	s_cbranch_execz .LBB306_45
; %bb.47:                               ;   in Loop: Header=BB306_46 Depth=1
	v_and_b32_e32 v1, 1, v6
	v_cmp_eq_u32_e32 vcc, 1, v1
	s_nop 1
	v_cndmask_b32_e32 v1, v13, v12, vcc
	v_mul_f32_e32 v4, v15, v1
	v_ashrrev_i32_e32 v1, 31, v0
	s_waitcnt lgkmcnt(0)
	v_lshl_add_u64 v[6:7], v[0:1], 2, s[0:1]
	global_store_dword v[6:7], v4, off
	s_branch .LBB306_45
.LBB306_48:
	s_endpgm
	.section	.rodata,"a",@progbits
	.p2align	6, 0x0
	.amdhsa_kernel _ZN4vllm3moe22topkGatingSoftplusSqrtILi2ELi2ELi4ELi4ELi32ELb1El6__halfEEvPKT6_PKbPfiPT5_PiiiibdPKfPKS9_SF_
		.amdhsa_group_segment_fixed_size 0
		.amdhsa_private_segment_fixed_size 0
		.amdhsa_kernarg_size 96
		.amdhsa_user_sgpr_count 2
		.amdhsa_user_sgpr_dispatch_ptr 0
		.amdhsa_user_sgpr_queue_ptr 0
		.amdhsa_user_sgpr_kernarg_segment_ptr 1
		.amdhsa_user_sgpr_dispatch_id 0
		.amdhsa_user_sgpr_kernarg_preload_length 0
		.amdhsa_user_sgpr_kernarg_preload_offset 0
		.amdhsa_user_sgpr_private_segment_size 0
		.amdhsa_uses_dynamic_stack 0
		.amdhsa_enable_private_segment 0
		.amdhsa_system_sgpr_workgroup_id_x 1
		.amdhsa_system_sgpr_workgroup_id_y 0
		.amdhsa_system_sgpr_workgroup_id_z 0
		.amdhsa_system_sgpr_workgroup_info 0
		.amdhsa_system_vgpr_workitem_id 1
		.amdhsa_next_free_vgpr 18
		.amdhsa_next_free_sgpr 18
		.amdhsa_accum_offset 20
		.amdhsa_reserve_vcc 1
		.amdhsa_float_round_mode_32 0
		.amdhsa_float_round_mode_16_64 0
		.amdhsa_float_denorm_mode_32 3
		.amdhsa_float_denorm_mode_16_64 3
		.amdhsa_dx10_clamp 1
		.amdhsa_ieee_mode 1
		.amdhsa_fp16_overflow 0
		.amdhsa_tg_split 0
		.amdhsa_exception_fp_ieee_invalid_op 0
		.amdhsa_exception_fp_denorm_src 0
		.amdhsa_exception_fp_ieee_div_zero 0
		.amdhsa_exception_fp_ieee_overflow 0
		.amdhsa_exception_fp_ieee_underflow 0
		.amdhsa_exception_fp_ieee_inexact 0
		.amdhsa_exception_int_div_zero 0
	.end_amdhsa_kernel
	.section	.text._ZN4vllm3moe22topkGatingSoftplusSqrtILi2ELi2ELi4ELi4ELi32ELb1El6__halfEEvPKT6_PKbPfiPT5_PiiiibdPKfPKS9_SF_,"axG",@progbits,_ZN4vllm3moe22topkGatingSoftplusSqrtILi2ELi2ELi4ELi4ELi32ELb1El6__halfEEvPKT6_PKbPfiPT5_PiiiibdPKfPKS9_SF_,comdat
.Lfunc_end306:
	.size	_ZN4vllm3moe22topkGatingSoftplusSqrtILi2ELi2ELi4ELi4ELi32ELb1El6__halfEEvPKT6_PKbPfiPT5_PiiiibdPKfPKS9_SF_, .Lfunc_end306-_ZN4vllm3moe22topkGatingSoftplusSqrtILi2ELi2ELi4ELi4ELi32ELb1El6__halfEEvPKT6_PKbPfiPT5_PiiiibdPKfPKS9_SF_
                                        ; -- End function
	.section	.AMDGPU.csdata,"",@progbits
; Kernel info:
; codeLenInByte = 2204
; NumSgprs: 24
; NumVgprs: 18
; NumAgprs: 0
; TotalNumVgprs: 18
; ScratchSize: 0
; MemoryBound: 0
; FloatMode: 240
; IeeeMode: 1
; LDSByteSize: 0 bytes/workgroup (compile time only)
; SGPRBlocks: 2
; VGPRBlocks: 2
; NumSGPRsForWavesPerEU: 24
; NumVGPRsForWavesPerEU: 18
; AccumOffset: 20
; Occupancy: 8
; WaveLimiterHint : 1
; COMPUTE_PGM_RSRC2:SCRATCH_EN: 0
; COMPUTE_PGM_RSRC2:USER_SGPR: 2
; COMPUTE_PGM_RSRC2:TRAP_HANDLER: 0
; COMPUTE_PGM_RSRC2:TGID_X_EN: 1
; COMPUTE_PGM_RSRC2:TGID_Y_EN: 0
; COMPUTE_PGM_RSRC2:TGID_Z_EN: 0
; COMPUTE_PGM_RSRC2:TIDIG_COMP_CNT: 1
; COMPUTE_PGM_RSRC3_GFX90A:ACCUM_OFFSET: 4
; COMPUTE_PGM_RSRC3_GFX90A:TG_SPLIT: 0
	.section	.text._ZN4vllm3moe22topkGatingSoftplusSqrtILi2ELi2ELi4ELi4ELi32ELb0El6__halfEEvPKT6_PKbPfiPT5_PiiiibdPKfPKS9_SF_,"axG",@progbits,_ZN4vllm3moe22topkGatingSoftplusSqrtILi2ELi2ELi4ELi4ELi32ELb0El6__halfEEvPKT6_PKbPfiPT5_PiiiibdPKfPKS9_SF_,comdat
	.protected	_ZN4vllm3moe22topkGatingSoftplusSqrtILi2ELi2ELi4ELi4ELi32ELb0El6__halfEEvPKT6_PKbPfiPT5_PiiiibdPKfPKS9_SF_ ; -- Begin function _ZN4vllm3moe22topkGatingSoftplusSqrtILi2ELi2ELi4ELi4ELi32ELb0El6__halfEEvPKT6_PKbPfiPT5_PiiiibdPKfPKS9_SF_
	.globl	_ZN4vllm3moe22topkGatingSoftplusSqrtILi2ELi2ELi4ELi4ELi32ELb0El6__halfEEvPKT6_PKbPfiPT5_PiiiibdPKfPKS9_SF_
	.p2align	8
	.type	_ZN4vllm3moe22topkGatingSoftplusSqrtILi2ELi2ELi4ELi4ELi32ELb0El6__halfEEvPKT6_PKbPfiPT5_PiiiibdPKfPKS9_SF_,@function
_ZN4vllm3moe22topkGatingSoftplusSqrtILi2ELi2ELi4ELi4ELi32ELb0El6__halfEEvPKT6_PKbPfiPT5_PiiiibdPKfPKS9_SF_: ; @_ZN4vllm3moe22topkGatingSoftplusSqrtILi2ELi2ELi4ELi4ELi32ELb0El6__halfEEvPKT6_PKbPfiPT5_PiiiibdPKfPKS9_SF_
; %bb.0:
	s_load_dword s24, s[0:1], 0x18
	v_bfe_u32 v1, v0, 10, 10
	s_lshl_b32 s2, s2, 7
	v_lshlrev_b32_e32 v1, 5, v1
	v_and_b32_e32 v0, 0x3ff, v0
	v_add3_u32 v0, v1, v0, s2
	s_waitcnt lgkmcnt(0)
	v_cmp_gt_i32_e32 vcc, s24, v0
	s_and_saveexec_b64 s[2:3], vcc
	s_cbranch_execz .LBB307_28
; %bb.1:
	s_load_dwordx4 s[4:7], s[0:1], 0x0
	s_load_dwordx2 s[16:17], s[0:1], 0x10
	s_waitcnt lgkmcnt(0)
	s_cmp_eq_u64 s[6:7], 0
	s_cbranch_scc1 .LBB307_3
; %bb.2:
	v_ashrrev_i32_e32 v1, 31, v0
	v_lshl_add_u64 v[2:3], s[6:7], 0, v[0:1]
	global_load_ubyte v1, v[2:3], off
	s_waitcnt vmcnt(0)
	v_and_b32_e32 v1, 1, v1
	v_cmp_eq_u32_e32 vcc, 1, v1
	s_xor_b64 s[2:3], vcc, -1
	s_orn2_b64 s[18:19], s[2:3], exec
	s_branch .LBB307_4
.LBB307_3:
	s_mov_b64 s[18:19], -1
.LBB307_4:
	v_lshlrev_b32_e32 v4, 1, v0
	v_mov_b32_e32 v2, s4
	v_mov_b32_e32 v3, s5
	v_ashrrev_i32_e32 v5, 31, v4
	v_lshl_add_u64 v[2:3], v[4:5], 1, v[2:3]
	global_load_dword v1, v[2:3], off
	s_mov_b32 s13, 0x800000
	v_mov_b32_e32 v3, 0x4f800000
	s_mov_b32 s7, 0x3f317217
	s_mov_b32 s12, 0x7f800000
	v_mov_b32_e32 v5, 0x41b17218
	s_movk_i32 s6, 0x4d00
	s_mov_b32 s14, 0xf800000
	s_load_dwordx4 s[8:11], s[0:1], 0x40
	s_waitcnt lgkmcnt(0)
	s_cmp_lg_u64 s[10:11], 0
	s_cselect_b64 s[20:21], -1, 0
	s_and_b64 s[2:3], exec, s[20:21]
	s_waitcnt vmcnt(0)
	v_cvt_f32_f16_e32 v4, v1
	v_mul_f32_e32 v2, 0x3fb8aa3b, v4
	v_exp_f32_e32 v2, v2
	s_nop 0
	v_add_f32_e32 v2, 1.0, v2
	v_cmp_gt_f32_e32 vcc, s13, v2
	s_nop 1
	v_cndmask_b32_e32 v6, 1.0, v3, vcc
	v_mul_f32_e32 v2, v2, v6
	v_log_f32_e32 v6, v2
	v_cndmask_b32_e32 v7, 0, v5, vcc
	v_mov_b32_e32 v2, 0x260
	v_mul_f32_e32 v8, 0x3f317217, v6
	v_fma_f32 v8, v6, s7, -v8
	v_fmac_f32_e32 v8, 0x3377d1cf, v6
	v_fmac_f32_e32 v8, 0x3f317217, v6
	v_cmp_lt_f32_e64 vcc, |v6|, s12
	s_nop 1
	v_cndmask_b32_e32 v6, v6, v8, vcc
	v_sub_f32_e32 v6, v6, v7
	v_cmp_lt_f16_e32 vcc, s6, v1
	s_nop 1
	v_cndmask_b32_e32 v4, v6, v4, vcc
	v_mul_f32_e32 v6, 0x4f800000, v4
	v_cmp_gt_f32_e32 vcc, s14, v4
	s_nop 1
	v_cndmask_b32_e32 v4, v4, v6, vcc
	v_sqrt_f32_e32 v6, v4
	s_nop 0
	v_add_u32_e32 v7, -1, v6
	v_add_u32_e32 v8, 1, v6
	v_fma_f32 v9, -v7, v6, v4
	v_fma_f32 v10, -v8, v6, v4
	v_cmp_ge_f32_e64 s[4:5], 0, v9
	s_nop 1
	v_cndmask_b32_e64 v6, v6, v7, s[4:5]
	v_cmp_lt_f32_e64 s[4:5], 0, v10
	s_nop 1
	v_cndmask_b32_e64 v6, v6, v8, s[4:5]
	v_mul_f32_e32 v7, 0x37800000, v6
	v_cndmask_b32_e32 v6, v6, v7, vcc
	v_cmp_class_f32_e32 vcc, v4, v2
	s_nop 1
	v_cndmask_b32_e32 v4, v6, v4, vcc
	s_mov_b64 vcc, s[2:3]
	s_cbranch_vccz .LBB307_6
; %bb.5:
	s_load_dword s2, s[10:11], 0x0
	s_waitcnt lgkmcnt(0)
	v_add_f32_e32 v4, s2, v4
.LBB307_6:
	v_cvt_f32_f16_sdwa v6, v1 dst_sel:DWORD dst_unused:UNUSED_PAD src0_sel:WORD_1
	v_mul_f32_e32 v7, 0x3fb8aa3b, v6
	v_exp_f32_e32 v7, v7
	s_nop 0
	v_add_f32_e32 v7, 1.0, v7
	v_cmp_gt_f32_e32 vcc, s13, v7
	s_nop 1
	v_cndmask_b32_e32 v3, 1.0, v3, vcc
	v_mul_f32_e32 v3, v7, v3
	v_log_f32_e32 v3, v3
	v_cndmask_b32_e32 v5, 0, v5, vcc
	v_mul_f32_e32 v7, 0x3f317217, v3
	v_fma_f32 v7, v3, s7, -v7
	v_fmac_f32_e32 v7, 0x3377d1cf, v3
	v_fmac_f32_e32 v7, 0x3f317217, v3
	v_cmp_lt_f32_e64 vcc, |v3|, s12
	s_nop 1
	v_cndmask_b32_e32 v3, v3, v7, vcc
	v_sub_f32_e32 v3, v3, v5
	v_cmp_gt_f16_sdwa vcc, v1, s6 src0_sel:WORD_1 src1_sel:DWORD
	s_nop 1
	v_cndmask_b32_e32 v1, v3, v6, vcc
	v_mul_f32_e32 v3, 0x4f800000, v1
	v_cmp_gt_f32_e64 s[2:3], s14, v1
	s_andn2_b64 vcc, exec, s[20:21]
	s_nop 0
	v_cndmask_b32_e64 v1, v1, v3, s[2:3]
	v_sqrt_f32_e32 v3, v1
	s_nop 0
	v_add_u32_e32 v5, -1, v3
	v_add_u32_e32 v6, 1, v3
	v_fma_f32 v7, -v5, v3, v1
	v_fma_f32 v8, -v6, v3, v1
	v_cmp_ge_f32_e64 s[4:5], 0, v7
	s_nop 1
	v_cndmask_b32_e64 v3, v3, v5, s[4:5]
	v_cmp_lt_f32_e64 s[4:5], 0, v8
	s_nop 1
	v_cndmask_b32_e64 v3, v3, v6, s[4:5]
	v_mul_f32_e32 v5, 0x37800000, v3
	v_cndmask_b32_e64 v3, v3, v5, s[2:3]
	v_cmp_class_f32_e64 s[2:3], v1, v2
	s_nop 1
	v_cndmask_b32_e64 v1, v3, v1, s[2:3]
	s_cbranch_vccnz .LBB307_8
; %bb.7:
	s_load_dword s2, s[10:11], 0x4
	s_waitcnt lgkmcnt(0)
	v_add_f32_e32 v1, s2, v1
.LBB307_8:
	s_load_dwordx4 s[4:7], s[0:1], 0x30
	s_mov_b32 s25, 0
	s_waitcnt lgkmcnt(0)
	s_bitcmp1_b32 s7, 0
	s_cselect_b64 s[2:3], -1, 0
	s_cmp_gt_i32 s4, 0
	s_cselect_b64 s[22:23], -1, 0
	s_and_b64 vcc, exec, s[22:23]
	v_mul_lo_u32 v2, v0, s4
	s_cbranch_vccz .LBB307_15
; %bb.9:
	s_load_dwordx4 s[12:15], s[0:1], 0x20
	v_mov_b32_e32 v3, 0
	v_mov_b32_e32 v5, 0xc61c4000
	s_branch .LBB307_11
.LBB307_10:                             ;   in Loop: Header=BB307_11 Depth=1
	v_add_u32_e32 v8, s25, v2
	v_ashrrev_i32_e32 v9, 31, v8
	v_lshlrev_b64 v[10:11], 2, v[8:9]
	v_cmp_le_i32_e32 vcc, s5, v6
	v_cmp_gt_i32_e64 s[0:1], s6, v6
	v_lshl_add_u64 v[12:13], s[16:17], 0, v[10:11]
	s_and_b64 s[0:1], vcc, s[0:1]
	global_store_dword v[12:13], v7, off
	v_subrev_u32_e32 v12, s5, v6
	v_ashrrev_i32_e32 v13, 31, v12
	s_and_b64 vcc, s[18:19], s[0:1]
	v_cndmask_b32_e32 v13, 0, v13, vcc
	v_cndmask_b32_e32 v12, 2, v12, vcc
	v_add_f32_e32 v7, v3, v7
	s_add_i32 s25, s25, 1
	v_cmp_ne_u32_e32 vcc, 0, v6
	s_waitcnt lgkmcnt(0)
	v_lshl_add_u64 v[8:9], v[8:9], 3, s[12:13]
	v_cndmask_b32_e64 v3, v3, v7, s[2:3]
	s_cmp_lt_i32 s25, s4
	v_cndmask_b32_e32 v7, v5, v4, vcc
	v_cmp_ne_u32_e32 vcc, 1, v6
	global_store_dwordx2 v[8:9], v[12:13], off
	v_lshl_add_u64 v[8:9], s[14:15], 0, v[10:11]
	v_cndmask_b32_e32 v6, v5, v1, vcc
	s_cselect_b64 vcc, -1, 0
	global_store_dword v[8:9], v0, off
	v_cndmask_b32_e32 v1, v1, v6, vcc
	v_cndmask_b32_e32 v4, v4, v7, vcc
	s_cmp_lg_u32 s4, s25
	v_add_u32_e32 v0, s24, v0
	s_cbranch_scc0 .LBB307_16
.LBB307_11:                             ; =>This Inner Loop Header: Depth=1
	v_cmp_gt_f32_e32 vcc, v1, v4
	s_and_b64 s[0:1], exec, s[20:21]
	s_nop 0
	v_cndmask_b32_e32 v8, v4, v1, vcc
	v_cndmask_b32_e64 v6, 0, 1, vcc
	s_mov_b64 vcc, s[0:1]
	s_cbranch_vccz .LBB307_13
; %bb.12:                               ;   in Loop: Header=BB307_11 Depth=1
	v_lshlrev_b32_e32 v7, 2, v6
	global_load_dword v7, v7, s[10:11]
	s_waitcnt vmcnt(0)
	v_sub_f32_e32 v7, v8, v7
	s_cbranch_execnz .LBB307_10
	s_branch .LBB307_14
.LBB307_13:                             ;   in Loop: Header=BB307_11 Depth=1
                                        ; implicit-def: $vgpr7
.LBB307_14:                             ;   in Loop: Header=BB307_11 Depth=1
	v_mov_b32_e32 v7, v8
	s_branch .LBB307_10
.LBB307_15:
	v_mov_b32_e32 v3, 0
.LBB307_16:
	s_andn2_b64 vcc, exec, s[2:3]
	v_cvt_f32_f64_e32 v0, s[8:9]
	s_cbranch_vccnz .LBB307_18
; %bb.17:
	v_cmp_lt_f32_e32 vcc, 0, v3
	s_nop 1
	v_cndmask_b32_e32 v1, 1.0, v3, vcc
	v_div_scale_f32 v3, s[0:1], v1, v1, v0
	v_rcp_f32_e32 v4, v3
	s_nop 0
	v_fma_f32 v5, -v3, v4, 1.0
	v_fmac_f32_e32 v4, v5, v4
	v_div_scale_f32 v5, vcc, v0, v1, v0
	v_mul_f32_e32 v6, v5, v4
	v_fma_f32 v7, -v3, v6, v5
	v_fmac_f32_e32 v6, v7, v4
	v_fma_f32 v3, -v3, v6, v5
	v_div_fmas_f32 v3, v3, v4, v6
	v_div_fixup_f32 v0, v3, v1, v0
.LBB307_18:
	s_andn2_b64 vcc, exec, s[22:23]
	s_cbranch_vccnz .LBB307_28
; %bb.19:
	s_cmp_gt_u32 s4, 3
	v_ashrrev_i32_e32 v3, 31, v2
	s_cbranch_scc0 .LBB307_23
; %bb.20:
	s_and_b32 s0, s4, 0x7ffffffc
	v_lshl_add_u64 v[4:5], v[2:3], 2, s[16:17]
	v_mov_b32_e32 v1, v0
	v_lshl_add_u64 v[4:5], v[4:5], 0, 8
	s_mov_b32 s1, s0
.LBB307_21:                             ; =>This Inner Loop Header: Depth=1
	global_load_dwordx4 v[6:9], v[4:5], off offset:-8
	s_add_i32 s1, s1, -4
	s_cmp_lg_u32 s1, 0
	s_waitcnt vmcnt(0)
	v_pk_mul_f32 v[6:7], v[0:1], v[6:7]
	v_pk_mul_f32 v[8:9], v[0:1], v[8:9]
	global_store_dwordx4 v[4:5], v[6:9], off offset:-8
	v_lshl_add_u64 v[4:5], v[4:5], 0, 16
	s_cbranch_scc1 .LBB307_21
; %bb.22:
	s_cmp_lg_u32 s0, s4
	s_cselect_b64 s[2:3], -1, 0
	s_branch .LBB307_25
.LBB307_23:
	s_mov_b64 s[2:3], 0
                                        ; implicit-def: $sgpr0
	s_cbranch_execz .LBB307_25
; %bb.24:
	s_mov_b64 s[2:3], -1
	s_mov_b32 s0, 0
.LBB307_25:
	s_andn2_b64 vcc, exec, s[2:3]
	s_cbranch_vccnz .LBB307_28
; %bb.26:
	s_mov_b32 s1, 0
	v_lshl_add_u64 v[2:3], v[2:3], 0, s[0:1]
	s_sub_i32 s2, s4, s0
	v_lshl_add_u64 v[2:3], v[2:3], 2, s[16:17]
.LBB307_27:                             ; =>This Inner Loop Header: Depth=1
	global_load_dword v1, v[2:3], off
	s_add_i32 s2, s2, -1
	s_cmp_lg_u32 s2, 0
	s_waitcnt vmcnt(0)
	v_mul_f32_e32 v1, v0, v1
	global_store_dword v[2:3], v1, off
	v_lshl_add_u64 v[2:3], v[2:3], 0, 4
	s_cbranch_scc1 .LBB307_27
.LBB307_28:
	s_endpgm
	.section	.rodata,"a",@progbits
	.p2align	6, 0x0
	.amdhsa_kernel _ZN4vllm3moe22topkGatingSoftplusSqrtILi2ELi2ELi4ELi4ELi32ELb0El6__halfEEvPKT6_PKbPfiPT5_PiiiibdPKfPKS9_SF_
		.amdhsa_group_segment_fixed_size 0
		.amdhsa_private_segment_fixed_size 0
		.amdhsa_kernarg_size 96
		.amdhsa_user_sgpr_count 2
		.amdhsa_user_sgpr_dispatch_ptr 0
		.amdhsa_user_sgpr_queue_ptr 0
		.amdhsa_user_sgpr_kernarg_segment_ptr 1
		.amdhsa_user_sgpr_dispatch_id 0
		.amdhsa_user_sgpr_kernarg_preload_length 0
		.amdhsa_user_sgpr_kernarg_preload_offset 0
		.amdhsa_user_sgpr_private_segment_size 0
		.amdhsa_uses_dynamic_stack 0
		.amdhsa_enable_private_segment 0
		.amdhsa_system_sgpr_workgroup_id_x 1
		.amdhsa_system_sgpr_workgroup_id_y 0
		.amdhsa_system_sgpr_workgroup_id_z 0
		.amdhsa_system_sgpr_workgroup_info 0
		.amdhsa_system_vgpr_workitem_id 1
		.amdhsa_next_free_vgpr 14
		.amdhsa_next_free_sgpr 26
		.amdhsa_accum_offset 16
		.amdhsa_reserve_vcc 1
		.amdhsa_float_round_mode_32 0
		.amdhsa_float_round_mode_16_64 0
		.amdhsa_float_denorm_mode_32 3
		.amdhsa_float_denorm_mode_16_64 3
		.amdhsa_dx10_clamp 1
		.amdhsa_ieee_mode 1
		.amdhsa_fp16_overflow 0
		.amdhsa_tg_split 0
		.amdhsa_exception_fp_ieee_invalid_op 0
		.amdhsa_exception_fp_denorm_src 0
		.amdhsa_exception_fp_ieee_div_zero 0
		.amdhsa_exception_fp_ieee_overflow 0
		.amdhsa_exception_fp_ieee_underflow 0
		.amdhsa_exception_fp_ieee_inexact 0
		.amdhsa_exception_int_div_zero 0
	.end_amdhsa_kernel
	.section	.text._ZN4vllm3moe22topkGatingSoftplusSqrtILi2ELi2ELi4ELi4ELi32ELb0El6__halfEEvPKT6_PKbPfiPT5_PiiiibdPKfPKS9_SF_,"axG",@progbits,_ZN4vllm3moe22topkGatingSoftplusSqrtILi2ELi2ELi4ELi4ELi32ELb0El6__halfEEvPKT6_PKbPfiPT5_PiiiibdPKfPKS9_SF_,comdat
.Lfunc_end307:
	.size	_ZN4vllm3moe22topkGatingSoftplusSqrtILi2ELi2ELi4ELi4ELi32ELb0El6__halfEEvPKT6_PKbPfiPT5_PiiiibdPKfPKS9_SF_, .Lfunc_end307-_ZN4vllm3moe22topkGatingSoftplusSqrtILi2ELi2ELi4ELi4ELi32ELb0El6__halfEEvPKT6_PKbPfiPT5_PiiiibdPKfPKS9_SF_
                                        ; -- End function
	.section	.AMDGPU.csdata,"",@progbits
; Kernel info:
; codeLenInByte = 1408
; NumSgprs: 32
; NumVgprs: 14
; NumAgprs: 0
; TotalNumVgprs: 14
; ScratchSize: 0
; MemoryBound: 0
; FloatMode: 240
; IeeeMode: 1
; LDSByteSize: 0 bytes/workgroup (compile time only)
; SGPRBlocks: 3
; VGPRBlocks: 1
; NumSGPRsForWavesPerEU: 32
; NumVGPRsForWavesPerEU: 14
; AccumOffset: 16
; Occupancy: 8
; WaveLimiterHint : 0
; COMPUTE_PGM_RSRC2:SCRATCH_EN: 0
; COMPUTE_PGM_RSRC2:USER_SGPR: 2
; COMPUTE_PGM_RSRC2:TRAP_HANDLER: 0
; COMPUTE_PGM_RSRC2:TGID_X_EN: 1
; COMPUTE_PGM_RSRC2:TGID_Y_EN: 0
; COMPUTE_PGM_RSRC2:TGID_Z_EN: 0
; COMPUTE_PGM_RSRC2:TIDIG_COMP_CNT: 1
; COMPUTE_PGM_RSRC3_GFX90A:ACCUM_OFFSET: 3
; COMPUTE_PGM_RSRC3_GFX90A:TG_SPLIT: 0
	.section	.text._ZN4vllm3moe22topkGatingSoftplusSqrtILi4ELi4ELi4ELi8ELi64ELb1El6__halfEEvPKT6_PKbPfiPT5_PiiiibdPKfPKS9_SF_,"axG",@progbits,_ZN4vllm3moe22topkGatingSoftplusSqrtILi4ELi4ELi4ELi8ELi64ELb1El6__halfEEvPKT6_PKbPfiPT5_PiiiibdPKfPKS9_SF_,comdat
	.protected	_ZN4vllm3moe22topkGatingSoftplusSqrtILi4ELi4ELi4ELi8ELi64ELb1El6__halfEEvPKT6_PKbPfiPT5_PiiiibdPKfPKS9_SF_ ; -- Begin function _ZN4vllm3moe22topkGatingSoftplusSqrtILi4ELi4ELi4ELi8ELi64ELb1El6__halfEEvPKT6_PKbPfiPT5_PiiiibdPKfPKS9_SF_
	.globl	_ZN4vllm3moe22topkGatingSoftplusSqrtILi4ELi4ELi4ELi8ELi64ELb1El6__halfEEvPKT6_PKbPfiPT5_PiiiibdPKfPKS9_SF_
	.p2align	8
	.type	_ZN4vllm3moe22topkGatingSoftplusSqrtILi4ELi4ELi4ELi8ELi64ELb1El6__halfEEvPKT6_PKbPfiPT5_PiiiibdPKfPKS9_SF_,@function
_ZN4vllm3moe22topkGatingSoftplusSqrtILi4ELi4ELi4ELi8ELi64ELb1El6__halfEEvPKT6_PKbPfiPT5_PiiiibdPKfPKS9_SF_: ; @_ZN4vllm3moe22topkGatingSoftplusSqrtILi4ELi4ELi4ELi8ELi64ELb1El6__halfEEvPKT6_PKbPfiPT5_PiiiibdPKfPKS9_SF_
; %bb.0:
	s_load_dword s3, s[0:1], 0x18
	v_bfe_u32 v1, v0, 10, 10
	s_lshl_b32 s2, s2, 8
	v_lshlrev_b32_e32 v1, 6, v1
	v_and_b32_e32 v0, 0x3ff, v0
	v_add3_u32 v2, v1, v0, s2
	s_waitcnt lgkmcnt(0)
	v_cmp_gt_i32_e32 vcc, s3, v2
	s_and_saveexec_b64 s[2:3], vcc
	s_cbranch_execz .LBB308_56
; %bb.1:
	s_load_dwordx4 s[8:11], s[0:1], 0x50
	s_load_dwordx2 s[2:3], s[0:1], 0x0
	s_load_dword s12, s[0:1], 0x30
	v_lshlrev_b32_e32 v0, 2, v2
	v_ashrrev_i32_e32 v1, 31, v0
	s_waitcnt lgkmcnt(0)
	v_mov_b32_e32 v4, s8
	v_lshl_add_u64 v[0:1], v[0:1], 1, s[2:3]
	global_load_dwordx2 v[6:7], v[0:1], off
	v_mov_b32_e32 v5, s9
	v_ashrrev_i32_e32 v3, 31, v2
	v_lshl_add_u64 v[0:1], v[2:3], 3, v[4:5]
	global_load_dwordx2 v[0:1], v[0:1], off
	s_mov_b32 s6, 0x800000
	s_ashr_i32 s13, s12, 31
	v_mov_b32_e32 v3, 0x4f800000
	s_mov_b32 s18, 0x3f317217
	s_mov_b32 s19, 0x7f800000
	v_mov_b32_e32 v10, 0x41b17218
	s_movk_i32 s15, 0x4d00
	s_mov_b32 s20, 0xf800000
	v_mov_b32_e32 v11, 0x260
	v_cmp_lt_i64_e64 s[16:17], s[12:13], 1
	s_mov_b32 s14, 0
	v_mov_b32_e32 v16, 0
	v_cmp_gt_i64_e64 s[8:9], s[12:13], 0
	v_mul_lo_u32 v2, v2, s12
	s_waitcnt vmcnt(1)
	v_cvt_f32_f16_sdwa v12, v6 dst_sel:DWORD dst_unused:UNUSED_PAD src0_sel:WORD_1
	v_cvt_f32_f16_e32 v13, v6
	v_cvt_f32_f16_sdwa v14, v7 dst_sel:DWORD dst_unused:UNUSED_PAD src0_sel:WORD_1
	v_cvt_f32_f16_e32 v15, v7
	s_waitcnt vmcnt(0)
	v_mul_lo_u32 v17, v1, s12
	v_mul_f32_e32 v1, 0x3fb8aa3b, v13
	v_mul_f32_e32 v5, 0x3fb8aa3b, v12
	v_exp_f32_e32 v4, v1
	v_exp_f32_e32 v5, v5
	v_mul_f32_e32 v8, 0x3fb8aa3b, v15
	v_mul_f32_e32 v9, 0x3fb8aa3b, v14
	v_exp_f32_e32 v8, v8
	v_exp_f32_e32 v9, v9
	v_pk_add_f32 v[4:5], v[4:5], 1.0 op_sel_hi:[1,0]
	v_mul_lo_u32 v18, v0, s13
	v_mad_u64_u32 v[0:1], s[2:3], v0, s12, 0
	v_cmp_gt_f32_e32 vcc, s6, v5
	v_add3_u32 v1, v1, v18, v17
	v_pk_add_f32 v[8:9], v[8:9], 1.0 op_sel_hi:[1,0]
	v_cndmask_b32_e32 v17, 1.0, v3, vcc
	v_cmp_gt_f32_e64 s[2:3], s6, v4
	v_cmp_gt_f32_e64 s[4:5], s6, v9
	v_mul_f32_e32 v5, v5, v17
	v_cndmask_b32_e64 v18, 1.0, v3, s[2:3]
	v_cndmask_b32_e64 v19, 1.0, v3, s[4:5]
	v_cmp_gt_f32_e64 s[6:7], s6, v8
	v_mul_f32_e32 v4, v4, v18
	v_log_f32_e32 v5, v5
	v_cndmask_b32_e64 v3, 1.0, v3, s[6:7]
	v_mul_f32_e32 v9, v9, v19
	v_log_f32_e32 v4, v4
	v_mul_f32_e32 v3, v8, v3
	v_log_f32_e32 v8, v9
	v_mul_f32_e32 v9, 0x3f317217, v5
	v_mul_f32_e32 v20, 0x3f317217, v4
	v_fma_f32 v9, v5, s18, -v9
	v_mul_f32_e32 v21, 0x3f317217, v8
	v_fma_f32 v20, v4, s18, -v20
	v_fmac_f32_e32 v9, 0x3377d1cf, v5
	v_cndmask_b32_e32 v17, 0, v10, vcc
	v_fma_f32 v21, v8, s18, -v21
	v_fmac_f32_e32 v20, 0x3377d1cf, v4
	v_fmac_f32_e32 v9, 0x3f317217, v5
	v_cmp_lt_f32_e64 vcc, |v5|, s19
	v_fmac_f32_e32 v21, 0x3377d1cf, v8
	v_fmac_f32_e32 v20, 0x3f317217, v4
	v_cndmask_b32_e32 v5, v5, v9, vcc
	v_cmp_lt_f32_e64 vcc, |v4|, s19
	v_cndmask_b32_e64 v18, 0, v10, s[2:3]
	v_fmac_f32_e32 v21, 0x3f317217, v8
	v_cndmask_b32_e32 v4, v4, v20, vcc
	v_cmp_lt_f32_e64 vcc, |v8|, s19
	v_sub_f32_e32 v4, v4, v18
	v_sub_f32_e32 v5, v5, v17
	v_cndmask_b32_e32 v8, v8, v21, vcc
	v_cmp_lt_f16_e32 vcc, s15, v6
	v_cndmask_b32_e64 v19, 0, v10, s[4:5]
	v_sub_f32_e32 v8, v8, v19
	v_cndmask_b32_e32 v4, v4, v13, vcc
	v_cmp_gt_f16_sdwa vcc, v6, s15 src0_sel:WORD_1 src1_sel:DWORD
	v_mul_f32_e32 v9, 0x4f800000, v4
	v_cmp_gt_f32_e64 s[2:3], s20, v4
	v_cndmask_b32_e32 v5, v5, v12, vcc
	v_mul_f32_e32 v6, 0x4f800000, v5
	v_cmp_gt_f32_e32 vcc, s20, v5
	v_cndmask_b32_e64 v4, v4, v9, s[2:3]
	v_sqrt_f32_e32 v9, v4
	v_cndmask_b32_e32 v5, v5, v6, vcc
	v_sqrt_f32_e32 v6, v5
	v_log_f32_e32 v3, v3
	v_add_u32_e32 v17, -1, v9
	v_fma_f32 v21, -v17, v9, v4
	v_add_u32_e32 v12, -1, v6
	v_fma_f32 v19, -v12, v6, v5
	v_add_u32_e32 v13, 1, v6
	v_cmp_ge_f32_e64 s[4:5], 0, v19
	v_add_u32_e32 v18, 1, v9
	v_fma_f32 v20, -v13, v6, v5
	v_cndmask_b32_e64 v6, v6, v12, s[4:5]
	v_cmp_ge_f32_e64 s[4:5], 0, v21
	v_fma_f32 v23, -v18, v9, v4
	v_mul_f32_e32 v22, 0x3f317217, v3
	v_cndmask_b32_e64 v9, v9, v17, s[4:5]
	v_cmp_lt_f32_e64 s[4:5], 0, v20
	v_fma_f32 v22, v3, s18, -v22
	v_fmac_f32_e32 v22, 0x3377d1cf, v3
	v_cndmask_b32_e64 v6, v6, v13, s[4:5]
	v_cmp_lt_f32_e64 s[4:5], 0, v23
	v_mul_f32_e32 v12, 0x37800000, v6
	v_cndmask_b32_e32 v6, v6, v12, vcc
	v_cndmask_b32_e64 v9, v9, v18, s[4:5]
	v_mul_f32_e32 v13, 0x37800000, v9
	v_cmp_class_f32_e32 vcc, v5, v11
	v_cndmask_b32_e64 v9, v9, v13, s[2:3]
	v_fmac_f32_e32 v22, 0x3f317217, v3
	v_cndmask_b32_e32 v12, v6, v5, vcc
	v_cmp_class_f32_e32 vcc, v4, v11
	v_cmp_lt_f16_e64 s[2:3], s15, v7
	s_nop 0
	v_cndmask_b32_e32 v13, v9, v4, vcc
	v_cmp_lt_f32_e64 vcc, |v3|, s19
	v_cndmask_b32_e64 v4, 0, v10, s[6:7]
	s_nop 0
	v_cndmask_b32_e32 v3, v3, v22, vcc
	v_cmp_gt_f16_sdwa vcc, v7, s15 src0_sel:WORD_1 src1_sel:DWORD
	v_sub_f32_e32 v3, v3, v4
	v_cndmask_b32_e64 v3, v3, v15, s[2:3]
	v_cndmask_b32_e32 v5, v8, v14, vcc
	v_mul_f32_e32 v6, 0x4f800000, v5
	v_cmp_gt_f32_e32 vcc, s20, v5
	s_nop 1
	v_cndmask_b32_e32 v5, v5, v6, vcc
	v_sqrt_f32_e32 v6, v5
	s_nop 0
	v_add_u32_e32 v4, -1, v6
	v_fma_f32 v7, -v4, v6, v5
	v_cmp_ge_f32_e64 s[2:3], 0, v7
	v_add_u32_e32 v7, 1, v6
	s_nop 0
	v_cndmask_b32_e64 v4, v6, v4, s[2:3]
	v_fma_f32 v6, -v7, v6, v5
	v_cmp_lt_f32_e64 s[2:3], 0, v6
	s_nop 1
	v_cndmask_b32_e64 v4, v4, v7, s[2:3]
	v_mul_f32_e32 v7, 0x4f800000, v3
	v_cmp_gt_f32_e64 s[2:3], s20, v3
	v_mul_f32_e32 v6, 0x37800000, v4
	v_cndmask_b32_e32 v4, v4, v6, vcc
	v_cndmask_b32_e64 v3, v3, v7, s[2:3]
	v_sqrt_f32_e32 v7, v3
	v_cmp_class_f32_e32 vcc, v5, v11
	s_nop 1
	v_cndmask_b32_e32 v14, v4, v5, vcc
	v_add_u32_e32 v4, -1, v7
	v_fma_f32 v5, -v4, v7, v3
	v_cmp_ge_f32_e32 vcc, 0, v5
	v_add_u32_e32 v5, 1, v7
	v_fma_f32 v6, -v5, v7, v3
	v_cndmask_b32_e32 v4, v7, v4, vcc
	v_cmp_lt_f32_e32 vcc, 0, v6
	s_nop 1
	v_cndmask_b32_e32 v4, v4, v5, vcc
	v_mul_f32_e32 v5, 0x37800000, v4
	v_cndmask_b32_e64 v4, v4, v5, s[2:3]
	v_cmp_class_f32_e32 vcc, v3, v11
	s_nop 1
	v_cndmask_b32_e32 v15, v4, v3, vcc
	s_and_b64 vcc, exec, s[16:17]
	s_cbranch_vccnz .LBB308_29
; %bb.2:
	s_load_dwordx2 s[2:3], s[0:1], 0x20
	s_cmp_lt_u32 s12, 4
	v_lshl_add_u64 v[4:5], v[0:1], 3, s[10:11]
	s_cbranch_scc1 .LBB308_21
; %bb.3:
	s_mov_b32 s5, 0
	s_and_b32 s14, s12, 0x7ffffffc
	v_ashrrev_i32_e32 v3, 31, v2
	v_mov_b32_e32 v16, 0
	s_mov_b32 s4, s5
	s_branch .LBB308_5
.LBB308_4:                              ;   in Loop: Header=BB308_5 Depth=1
	s_or_b64 exec, exec, s[6:7]
	s_add_i32 s4, s4, 4
	s_cmp_eq_u32 s4, s14
	s_cbranch_scc1 .LBB308_22
.LBB308_5:                              ; =>This Loop Header: Depth=1
                                        ;     Child Loop BB308_7 Depth 2
                                        ;     Child Loop BB308_11 Depth 2
	;; [unrolled: 1-line block ×4, first 2 shown]
	v_lshl_add_u64 v[6:7], s[4:5], 3, v[4:5]
	global_load_dwordx2 v[8:9], v[6:7], off
	v_add_u32_e32 v10, s4, v2
	v_ashrrev_i32_e32 v11, 31, v10
	s_mov_b64 s[6:7], 0
	s_waitcnt lgkmcnt(0)
	v_lshl_add_u64 v[10:11], v[10:11], 3, s[2:3]
	s_waitcnt vmcnt(0)
	v_cmp_eq_u32_e32 vcc, 1, v8
	s_nop 1
	v_cndmask_b32_e32 v18, v13, v12, vcc
	v_cmp_eq_u32_e32 vcc, 2, v8
	v_min_u32_e32 v17, 3, v8
	v_ashrrev_i32_e32 v9, 31, v8
	v_cndmask_b32_e32 v18, v18, v15, vcc
	v_cmp_eq_u32_e32 vcc, 3, v8
	v_add_u32_e32 v17, 1, v17
	v_mov_b32_e32 v19, v8
	v_cndmask_b32_e32 v18, v18, v14, vcc
	s_branch .LBB308_7
.LBB308_6:                              ;   in Loop: Header=BB308_7 Depth=2
	s_or_b64 exec, exec, s[16:17]
	v_add_u32_e32 v17, -1, v17
	v_cmp_eq_u32_e32 vcc, 0, v17
	s_or_b64 s[6:7], vcc, s[6:7]
	v_add_u32_e32 v19, -1, v19
	s_andn2_b64 exec, exec, s[6:7]
	s_cbranch_execz .LBB308_9
.LBB308_7:                              ;   Parent Loop BB308_5 Depth=1
                                        ; =>  This Inner Loop Header: Depth=2
	v_cmp_eq_u32_e32 vcc, 0, v19
	s_and_saveexec_b64 s[16:17], vcc
	s_cbranch_execz .LBB308_6
; %bb.8:                                ;   in Loop: Header=BB308_7 Depth=2
	v_add_f32_e32 v16, v16, v18
	global_store_dwordx2 v[10:11], v[8:9], off
	s_branch .LBB308_6
.LBB308_9:                              ;   in Loop: Header=BB308_5 Depth=1
	s_or_b64 exec, exec, s[6:7]
	global_load_dwordx2 v[10:11], v[6:7], off offset:8
	s_ashr_i32 s17, s4, 31
	s_mov_b32 s16, s4
	v_lshl_add_u64 v[8:9], s[16:17], 0, v[2:3]
	s_mov_b64 s[6:7], 0
	v_lshl_add_u64 v[8:9], v[8:9], 3, s[2:3]
	s_waitcnt vmcnt(0)
	v_cmp_eq_u32_e32 vcc, 1, v10
	s_nop 1
	v_cndmask_b32_e32 v18, v13, v12, vcc
	v_cmp_eq_u32_e32 vcc, 2, v10
	v_min_u32_e32 v17, 3, v10
	v_ashrrev_i32_e32 v11, 31, v10
	v_cndmask_b32_e32 v18, v18, v15, vcc
	v_cmp_eq_u32_e32 vcc, 3, v10
	v_add_u32_e32 v17, 1, v17
	v_mov_b32_e32 v19, v10
	v_cndmask_b32_e32 v18, v18, v14, vcc
	s_branch .LBB308_11
.LBB308_10:                             ;   in Loop: Header=BB308_11 Depth=2
	s_or_b64 exec, exec, s[16:17]
	v_add_u32_e32 v17, -1, v17
	v_cmp_eq_u32_e32 vcc, 0, v17
	s_or_b64 s[6:7], vcc, s[6:7]
	v_add_u32_e32 v19, -1, v19
	s_andn2_b64 exec, exec, s[6:7]
	s_cbranch_execz .LBB308_13
.LBB308_11:                             ;   Parent Loop BB308_5 Depth=1
                                        ; =>  This Inner Loop Header: Depth=2
	v_cmp_eq_u32_e32 vcc, 0, v19
	s_and_saveexec_b64 s[16:17], vcc
	s_cbranch_execz .LBB308_10
; %bb.12:                               ;   in Loop: Header=BB308_11 Depth=2
	v_add_f32_e32 v16, v16, v18
	global_store_dwordx2 v[8:9], v[10:11], off offset:8
	s_branch .LBB308_10
.LBB308_13:                             ;   in Loop: Header=BB308_5 Depth=1
	s_or_b64 exec, exec, s[6:7]
	global_load_dwordx2 v[10:11], v[6:7], off offset:16
	s_mov_b64 s[6:7], 0
	s_waitcnt vmcnt(0)
	v_cmp_eq_u32_e32 vcc, 1, v10
	s_nop 1
	v_cndmask_b32_e32 v18, v13, v12, vcc
	v_cmp_eq_u32_e32 vcc, 2, v10
	v_min_u32_e32 v17, 3, v10
	v_ashrrev_i32_e32 v11, 31, v10
	v_cndmask_b32_e32 v18, v18, v15, vcc
	v_cmp_eq_u32_e32 vcc, 3, v10
	v_add_u32_e32 v17, 1, v17
	v_mov_b32_e32 v19, v10
	v_cndmask_b32_e32 v18, v18, v14, vcc
	s_branch .LBB308_15
.LBB308_14:                             ;   in Loop: Header=BB308_15 Depth=2
	s_or_b64 exec, exec, s[16:17]
	v_add_u32_e32 v17, -1, v17
	v_cmp_eq_u32_e32 vcc, 0, v17
	s_or_b64 s[6:7], vcc, s[6:7]
	v_add_u32_e32 v19, -1, v19
	s_andn2_b64 exec, exec, s[6:7]
	s_cbranch_execz .LBB308_17
.LBB308_15:                             ;   Parent Loop BB308_5 Depth=1
                                        ; =>  This Inner Loop Header: Depth=2
	v_cmp_eq_u32_e32 vcc, 0, v19
	s_and_saveexec_b64 s[16:17], vcc
	s_cbranch_execz .LBB308_14
; %bb.16:                               ;   in Loop: Header=BB308_15 Depth=2
	v_add_f32_e32 v16, v16, v18
	global_store_dwordx2 v[8:9], v[10:11], off offset:16
	s_branch .LBB308_14
.LBB308_17:                             ;   in Loop: Header=BB308_5 Depth=1
	s_or_b64 exec, exec, s[6:7]
	global_load_dwordx2 v[6:7], v[6:7], off offset:24
	s_mov_b64 s[6:7], 0
	s_waitcnt vmcnt(0)
	v_cmp_eq_u32_e32 vcc, 1, v6
	s_nop 1
	v_cndmask_b32_e32 v11, v13, v12, vcc
	v_cmp_eq_u32_e32 vcc, 2, v6
	v_min_u32_e32 v10, 3, v6
	v_ashrrev_i32_e32 v7, 31, v6
	v_cndmask_b32_e32 v11, v11, v15, vcc
	v_cmp_eq_u32_e32 vcc, 3, v6
	v_add_u32_e32 v10, 1, v10
	v_mov_b32_e32 v17, v6
	v_cndmask_b32_e32 v11, v11, v14, vcc
	s_branch .LBB308_19
.LBB308_18:                             ;   in Loop: Header=BB308_19 Depth=2
	s_or_b64 exec, exec, s[16:17]
	v_add_u32_e32 v10, -1, v10
	v_cmp_eq_u32_e32 vcc, 0, v10
	s_or_b64 s[6:7], vcc, s[6:7]
	v_add_u32_e32 v17, -1, v17
	s_andn2_b64 exec, exec, s[6:7]
	s_cbranch_execz .LBB308_4
.LBB308_19:                             ;   Parent Loop BB308_5 Depth=1
                                        ; =>  This Inner Loop Header: Depth=2
	v_cmp_eq_u32_e32 vcc, 0, v17
	s_and_saveexec_b64 s[16:17], vcc
	s_cbranch_execz .LBB308_18
; %bb.20:                               ;   in Loop: Header=BB308_19 Depth=2
	v_add_f32_e32 v16, v16, v11
	global_store_dwordx2 v[8:9], v[6:7], off offset:24
	s_branch .LBB308_18
.LBB308_21:
	v_mov_b32_e32 v16, 0
.LBB308_22:
	s_and_b32 s13, s12, 3
	s_cmp_eq_u32 s13, 0
	s_mov_b32 s15, 0
	s_cbranch_scc1 .LBB308_29
; %bb.23:
	s_mov_b32 s16, s15
	s_branch .LBB308_25
.LBB308_24:                             ;   in Loop: Header=BB308_25 Depth=1
	s_or_b64 exec, exec, s[4:5]
	s_add_i32 s14, s14, 1
	s_add_i32 s16, s16, 1
	s_cmp_lg_u32 s16, s13
	s_cbranch_scc0 .LBB308_29
.LBB308_25:                             ; =>This Loop Header: Depth=1
                                        ;     Child Loop BB308_27 Depth 2
	v_lshl_add_u64 v[6:7], s[14:15], 3, v[4:5]
	global_load_dwordx2 v[6:7], v[6:7], off
	v_add_u32_e32 v8, s14, v2
	v_ashrrev_i32_e32 v9, 31, v8
	s_mov_b64 s[4:5], 0
	s_waitcnt lgkmcnt(0)
	v_lshl_add_u64 v[8:9], v[8:9], 3, s[2:3]
	s_waitcnt vmcnt(0)
	v_cmp_eq_u32_e32 vcc, 1, v6
	s_nop 1
	v_cndmask_b32_e32 v10, v13, v12, vcc
	v_cmp_eq_u32_e32 vcc, 2, v6
	v_min_u32_e32 v3, 3, v6
	v_ashrrev_i32_e32 v7, 31, v6
	v_cndmask_b32_e32 v10, v10, v15, vcc
	v_cmp_eq_u32_e32 vcc, 3, v6
	v_add_u32_e32 v3, 1, v3
	v_mov_b32_e32 v11, v6
	v_cndmask_b32_e32 v10, v10, v14, vcc
	s_branch .LBB308_27
.LBB308_26:                             ;   in Loop: Header=BB308_27 Depth=2
	s_or_b64 exec, exec, s[6:7]
	v_add_u32_e32 v3, -1, v3
	v_cmp_eq_u32_e32 vcc, 0, v3
	s_or_b64 s[4:5], vcc, s[4:5]
	v_add_u32_e32 v11, -1, v11
	s_andn2_b64 exec, exec, s[4:5]
	s_cbranch_execz .LBB308_24
.LBB308_27:                             ;   Parent Loop BB308_25 Depth=1
                                        ; =>  This Inner Loop Header: Depth=2
	v_cmp_eq_u32_e32 vcc, 0, v11
	s_and_saveexec_b64 s[6:7], vcc
	s_cbranch_execz .LBB308_26
; %bb.28:                               ;   in Loop: Header=BB308_27 Depth=2
	v_add_f32_e32 v16, v16, v10
	global_store_dwordx2 v[8:9], v[6:7], off
	s_branch .LBB308_26
.LBB308_29:
	s_load_dword s4, s[0:1], 0x3c
	s_waitcnt lgkmcnt(0)
	s_load_dwordx2 s[2:3], s[0:1], 0x40
	s_bitcmp1_b32 s4, 0
	s_cselect_b64 s[4:5], -1, 0
	s_waitcnt lgkmcnt(0)
	v_cvt_f32_f64_e32 v8, s[2:3]
	s_and_b64 vcc, exec, s[4:5]
	s_cbranch_vccz .LBB308_31
; %bb.30:
	v_cmp_lt_f32_e32 vcc, 0, v16
	s_nop 1
	v_cndmask_b32_e32 v3, 1.0, v16, vcc
	v_div_scale_f32 v4, s[2:3], v3, v3, v8
	v_rcp_f32_e32 v5, v4
	s_nop 0
	v_fma_f32 v6, -v4, v5, 1.0
	v_fmac_f32_e32 v5, v6, v5
	v_div_scale_f32 v6, vcc, v8, v3, v8
	v_mul_f32_e32 v7, v6, v5
	v_fma_f32 v9, -v4, v7, v6
	v_fmac_f32_e32 v7, v9, v5
	v_fma_f32 v4, -v4, v7, v6
	v_div_fmas_f32 v4, v4, v5, v7
	v_div_fixup_f32 v8, v4, v3, v8
.LBB308_31:
	s_andn2_b64 vcc, exec, s[8:9]
	s_cbranch_vccnz .LBB308_56
; %bb.32:
	s_load_dwordx2 s[0:1], s[0:1], 0x10
	s_cmp_lt_u32 s12, 8
	s_mov_b32 s2, 0
	s_cbranch_scc1 .LBB308_51
; %bb.33:
	v_ashrrev_i32_e32 v3, 31, v2
	s_waitcnt lgkmcnt(0)
	v_lshl_add_u64 v[4:5], v[2:3], 2, s[0:1]
	v_lshl_add_u64 v[6:7], v[0:1], 3, s[10:11]
	s_and_b32 s2, s12, 0x7ffffff8
	v_lshl_add_u64 v[4:5], v[4:5], 0, 28
	v_lshl_add_u64 v[6:7], v[6:7], 0, 56
	s_mov_b32 s3, 0
	s_branch .LBB308_35
.LBB308_34:                             ;   in Loop: Header=BB308_35 Depth=1
	s_or_b64 exec, exec, s[4:5]
	s_add_i32 s3, s3, 8
	v_lshl_add_u64 v[4:5], v[4:5], 0, 32
	s_cmp_eq_u32 s2, s3
	v_lshl_add_u64 v[6:7], v[6:7], 0, 64
	s_cbranch_scc1 .LBB308_51
.LBB308_35:                             ; =>This Inner Loop Header: Depth=1
	global_load_dword v3, v[6:7], off offset:-56
	s_waitcnt vmcnt(0)
	v_cmp_gt_u32_e32 vcc, 4, v3
	s_and_saveexec_b64 s[4:5], vcc
	s_cbranch_execz .LBB308_37
; %bb.36:                               ;   in Loop: Header=BB308_35 Depth=1
	v_cmp_eq_u32_e32 vcc, 1, v3
	v_add_u32_e32 v10, s3, v2
	v_ashrrev_i32_e32 v11, 31, v10
	v_cndmask_b32_e32 v9, v13, v12, vcc
	v_cmp_eq_u32_e32 vcc, 2, v3
	v_lshl_add_u64 v[10:11], v[10:11], 2, s[0:1]
	s_nop 0
	v_cndmask_b32_e32 v9, v9, v15, vcc
	v_cmp_eq_u32_e32 vcc, 3, v3
	s_nop 1
	v_cndmask_b32_e32 v3, v9, v14, vcc
	v_mul_f32_e32 v3, v8, v3
	global_store_dword v[10:11], v3, off
.LBB308_37:                             ;   in Loop: Header=BB308_35 Depth=1
	s_or_b64 exec, exec, s[4:5]
	global_load_dword v3, v[6:7], off offset:-48
	s_waitcnt vmcnt(0)
	v_cmp_gt_u32_e32 vcc, 4, v3
	s_and_saveexec_b64 s[4:5], vcc
	s_cbranch_execz .LBB308_39
; %bb.38:                               ;   in Loop: Header=BB308_35 Depth=1
	v_cmp_eq_u32_e32 vcc, 1, v3
	s_nop 1
	v_cndmask_b32_e32 v9, v13, v12, vcc
	v_cmp_eq_u32_e32 vcc, 2, v3
	s_nop 1
	v_cndmask_b32_e32 v9, v9, v15, vcc
	v_cmp_eq_u32_e32 vcc, 3, v3
	s_nop 1
	v_cndmask_b32_e32 v3, v9, v14, vcc
	v_mul_f32_e32 v3, v8, v3
	global_store_dword v[4:5], v3, off offset:-24
.LBB308_39:                             ;   in Loop: Header=BB308_35 Depth=1
	s_or_b64 exec, exec, s[4:5]
	global_load_dword v3, v[6:7], off offset:-40
	s_waitcnt vmcnt(0)
	v_cmp_gt_u32_e32 vcc, 4, v3
	s_and_saveexec_b64 s[4:5], vcc
	s_cbranch_execz .LBB308_41
; %bb.40:                               ;   in Loop: Header=BB308_35 Depth=1
	v_cmp_eq_u32_e32 vcc, 1, v3
	s_nop 1
	v_cndmask_b32_e32 v9, v13, v12, vcc
	v_cmp_eq_u32_e32 vcc, 2, v3
	s_nop 1
	v_cndmask_b32_e32 v9, v9, v15, vcc
	v_cmp_eq_u32_e32 vcc, 3, v3
	s_nop 1
	v_cndmask_b32_e32 v3, v9, v14, vcc
	v_mul_f32_e32 v3, v8, v3
	global_store_dword v[4:5], v3, off offset:-20
.LBB308_41:                             ;   in Loop: Header=BB308_35 Depth=1
	s_or_b64 exec, exec, s[4:5]
	global_load_dword v3, v[6:7], off offset:-32
	s_waitcnt vmcnt(0)
	v_cmp_gt_u32_e32 vcc, 4, v3
	s_and_saveexec_b64 s[4:5], vcc
	s_cbranch_execz .LBB308_43
; %bb.42:                               ;   in Loop: Header=BB308_35 Depth=1
	v_cmp_eq_u32_e32 vcc, 1, v3
	s_nop 1
	v_cndmask_b32_e32 v9, v13, v12, vcc
	v_cmp_eq_u32_e32 vcc, 2, v3
	s_nop 1
	v_cndmask_b32_e32 v9, v9, v15, vcc
	v_cmp_eq_u32_e32 vcc, 3, v3
	s_nop 1
	v_cndmask_b32_e32 v3, v9, v14, vcc
	v_mul_f32_e32 v3, v8, v3
	global_store_dword v[4:5], v3, off offset:-16
.LBB308_43:                             ;   in Loop: Header=BB308_35 Depth=1
	s_or_b64 exec, exec, s[4:5]
	global_load_dword v3, v[6:7], off offset:-24
	s_waitcnt vmcnt(0)
	v_cmp_gt_u32_e32 vcc, 4, v3
	s_and_saveexec_b64 s[4:5], vcc
	s_cbranch_execz .LBB308_45
; %bb.44:                               ;   in Loop: Header=BB308_35 Depth=1
	v_cmp_eq_u32_e32 vcc, 1, v3
	s_nop 1
	v_cndmask_b32_e32 v9, v13, v12, vcc
	v_cmp_eq_u32_e32 vcc, 2, v3
	s_nop 1
	v_cndmask_b32_e32 v9, v9, v15, vcc
	v_cmp_eq_u32_e32 vcc, 3, v3
	s_nop 1
	v_cndmask_b32_e32 v3, v9, v14, vcc
	v_mul_f32_e32 v3, v8, v3
	global_store_dword v[4:5], v3, off offset:-12
.LBB308_45:                             ;   in Loop: Header=BB308_35 Depth=1
	s_or_b64 exec, exec, s[4:5]
	global_load_dword v3, v[6:7], off offset:-16
	s_waitcnt vmcnt(0)
	v_cmp_gt_u32_e32 vcc, 4, v3
	s_and_saveexec_b64 s[4:5], vcc
	s_cbranch_execz .LBB308_47
; %bb.46:                               ;   in Loop: Header=BB308_35 Depth=1
	v_cmp_eq_u32_e32 vcc, 1, v3
	s_nop 1
	v_cndmask_b32_e32 v9, v13, v12, vcc
	v_cmp_eq_u32_e32 vcc, 2, v3
	s_nop 1
	v_cndmask_b32_e32 v9, v9, v15, vcc
	v_cmp_eq_u32_e32 vcc, 3, v3
	s_nop 1
	v_cndmask_b32_e32 v3, v9, v14, vcc
	v_mul_f32_e32 v3, v8, v3
	global_store_dword v[4:5], v3, off offset:-8
.LBB308_47:                             ;   in Loop: Header=BB308_35 Depth=1
	s_or_b64 exec, exec, s[4:5]
	global_load_dword v3, v[6:7], off offset:-8
	s_waitcnt vmcnt(0)
	v_cmp_gt_u32_e32 vcc, 4, v3
	s_and_saveexec_b64 s[4:5], vcc
	s_cbranch_execz .LBB308_49
; %bb.48:                               ;   in Loop: Header=BB308_35 Depth=1
	v_cmp_eq_u32_e32 vcc, 1, v3
	s_nop 1
	v_cndmask_b32_e32 v9, v13, v12, vcc
	v_cmp_eq_u32_e32 vcc, 2, v3
	s_nop 1
	v_cndmask_b32_e32 v9, v9, v15, vcc
	v_cmp_eq_u32_e32 vcc, 3, v3
	s_nop 1
	v_cndmask_b32_e32 v3, v9, v14, vcc
	v_mul_f32_e32 v3, v8, v3
	global_store_dword v[4:5], v3, off offset:-4
.LBB308_49:                             ;   in Loop: Header=BB308_35 Depth=1
	s_or_b64 exec, exec, s[4:5]
	global_load_dword v3, v[6:7], off
	s_waitcnt vmcnt(0)
	v_cmp_gt_u32_e32 vcc, 4, v3
	s_and_saveexec_b64 s[4:5], vcc
	s_cbranch_execz .LBB308_34
; %bb.50:                               ;   in Loop: Header=BB308_35 Depth=1
	v_cmp_eq_u32_e32 vcc, 1, v3
	s_nop 1
	v_cndmask_b32_e32 v9, v13, v12, vcc
	v_cmp_eq_u32_e32 vcc, 2, v3
	s_nop 1
	v_cndmask_b32_e32 v9, v9, v15, vcc
	;; [unrolled: 3-line block ×3, first 2 shown]
	v_mul_f32_e32 v3, v8, v3
	global_store_dword v[4:5], v3, off
	s_branch .LBB308_34
.LBB308_51:
	s_and_b32 s4, s12, 7
	s_cmp_eq_u32 s4, 0
	s_mov_b32 s3, 0
	s_cbranch_scc1 .LBB308_56
; %bb.52:
	v_add_u32_e32 v2, s2, v2
	s_lshl_b64 s[2:3], s[2:3], 3
	s_add_u32 s2, s10, s2
	s_addc_u32 s3, s11, s3
	v_lshl_add_u64 v[0:1], v[0:1], 3, s[2:3]
	s_branch .LBB308_54
.LBB308_53:                             ;   in Loop: Header=BB308_54 Depth=1
	s_or_b64 exec, exec, s[2:3]
	s_add_i32 s4, s4, -1
	v_add_u32_e32 v2, 1, v2
	s_cmp_eq_u32 s4, 0
	v_lshl_add_u64 v[0:1], v[0:1], 0, 8
	s_cbranch_scc1 .LBB308_56
.LBB308_54:                             ; =>This Inner Loop Header: Depth=1
	global_load_dword v3, v[0:1], off
	s_waitcnt vmcnt(0)
	v_cmp_gt_u32_e32 vcc, 4, v3
	s_and_saveexec_b64 s[2:3], vcc
	s_cbranch_execz .LBB308_53
; %bb.55:                               ;   in Loop: Header=BB308_54 Depth=1
	v_cmp_eq_u32_e32 vcc, 1, v3
	s_nop 1
	v_cndmask_b32_e32 v4, v13, v12, vcc
	v_cmp_eq_u32_e32 vcc, 2, v3
	s_nop 1
	v_cndmask_b32_e32 v4, v4, v15, vcc
	v_cmp_eq_u32_e32 vcc, 3, v3
	s_nop 1
	v_cndmask_b32_e32 v3, v4, v14, vcc
	v_mul_f32_e32 v6, v8, v3
	v_ashrrev_i32_e32 v3, 31, v2
	s_waitcnt lgkmcnt(0)
	v_lshl_add_u64 v[4:5], v[2:3], 2, s[0:1]
	global_store_dword v[4:5], v6, off
	s_branch .LBB308_53
.LBB308_56:
	s_endpgm
	.section	.rodata,"a",@progbits
	.p2align	6, 0x0
	.amdhsa_kernel _ZN4vllm3moe22topkGatingSoftplusSqrtILi4ELi4ELi4ELi8ELi64ELb1El6__halfEEvPKT6_PKbPfiPT5_PiiiibdPKfPKS9_SF_
		.amdhsa_group_segment_fixed_size 0
		.amdhsa_private_segment_fixed_size 0
		.amdhsa_kernarg_size 96
		.amdhsa_user_sgpr_count 2
		.amdhsa_user_sgpr_dispatch_ptr 0
		.amdhsa_user_sgpr_queue_ptr 0
		.amdhsa_user_sgpr_kernarg_segment_ptr 1
		.amdhsa_user_sgpr_dispatch_id 0
		.amdhsa_user_sgpr_kernarg_preload_length 0
		.amdhsa_user_sgpr_kernarg_preload_offset 0
		.amdhsa_user_sgpr_private_segment_size 0
		.amdhsa_uses_dynamic_stack 0
		.amdhsa_enable_private_segment 0
		.amdhsa_system_sgpr_workgroup_id_x 1
		.amdhsa_system_sgpr_workgroup_id_y 0
		.amdhsa_system_sgpr_workgroup_id_z 0
		.amdhsa_system_sgpr_workgroup_info 0
		.amdhsa_system_vgpr_workitem_id 1
		.amdhsa_next_free_vgpr 24
		.amdhsa_next_free_sgpr 21
		.amdhsa_accum_offset 24
		.amdhsa_reserve_vcc 1
		.amdhsa_float_round_mode_32 0
		.amdhsa_float_round_mode_16_64 0
		.amdhsa_float_denorm_mode_32 3
		.amdhsa_float_denorm_mode_16_64 3
		.amdhsa_dx10_clamp 1
		.amdhsa_ieee_mode 1
		.amdhsa_fp16_overflow 0
		.amdhsa_tg_split 0
		.amdhsa_exception_fp_ieee_invalid_op 0
		.amdhsa_exception_fp_denorm_src 0
		.amdhsa_exception_fp_ieee_div_zero 0
		.amdhsa_exception_fp_ieee_overflow 0
		.amdhsa_exception_fp_ieee_underflow 0
		.amdhsa_exception_fp_ieee_inexact 0
		.amdhsa_exception_int_div_zero 0
	.end_amdhsa_kernel
	.section	.text._ZN4vllm3moe22topkGatingSoftplusSqrtILi4ELi4ELi4ELi8ELi64ELb1El6__halfEEvPKT6_PKbPfiPT5_PiiiibdPKfPKS9_SF_,"axG",@progbits,_ZN4vllm3moe22topkGatingSoftplusSqrtILi4ELi4ELi4ELi8ELi64ELb1El6__halfEEvPKT6_PKbPfiPT5_PiiiibdPKfPKS9_SF_,comdat
.Lfunc_end308:
	.size	_ZN4vllm3moe22topkGatingSoftplusSqrtILi4ELi4ELi4ELi8ELi64ELb1El6__halfEEvPKT6_PKbPfiPT5_PiiiibdPKfPKS9_SF_, .Lfunc_end308-_ZN4vllm3moe22topkGatingSoftplusSqrtILi4ELi4ELi4ELi8ELi64ELb1El6__halfEEvPKT6_PKbPfiPT5_PiiiibdPKfPKS9_SF_
                                        ; -- End function
	.section	.AMDGPU.csdata,"",@progbits
; Kernel info:
; codeLenInByte = 2996
; NumSgprs: 27
; NumVgprs: 24
; NumAgprs: 0
; TotalNumVgprs: 24
; ScratchSize: 0
; MemoryBound: 0
; FloatMode: 240
; IeeeMode: 1
; LDSByteSize: 0 bytes/workgroup (compile time only)
; SGPRBlocks: 3
; VGPRBlocks: 2
; NumSGPRsForWavesPerEU: 27
; NumVGPRsForWavesPerEU: 24
; AccumOffset: 24
; Occupancy: 8
; WaveLimiterHint : 1
; COMPUTE_PGM_RSRC2:SCRATCH_EN: 0
; COMPUTE_PGM_RSRC2:USER_SGPR: 2
; COMPUTE_PGM_RSRC2:TRAP_HANDLER: 0
; COMPUTE_PGM_RSRC2:TGID_X_EN: 1
; COMPUTE_PGM_RSRC2:TGID_Y_EN: 0
; COMPUTE_PGM_RSRC2:TGID_Z_EN: 0
; COMPUTE_PGM_RSRC2:TIDIG_COMP_CNT: 1
; COMPUTE_PGM_RSRC3_GFX90A:ACCUM_OFFSET: 5
; COMPUTE_PGM_RSRC3_GFX90A:TG_SPLIT: 0
	.section	.text._ZN4vllm3moe22topkGatingSoftplusSqrtILi4ELi4ELi4ELi8ELi64ELb0El6__halfEEvPKT6_PKbPfiPT5_PiiiibdPKfPKS9_SF_,"axG",@progbits,_ZN4vllm3moe22topkGatingSoftplusSqrtILi4ELi4ELi4ELi8ELi64ELb0El6__halfEEvPKT6_PKbPfiPT5_PiiiibdPKfPKS9_SF_,comdat
	.protected	_ZN4vllm3moe22topkGatingSoftplusSqrtILi4ELi4ELi4ELi8ELi64ELb0El6__halfEEvPKT6_PKbPfiPT5_PiiiibdPKfPKS9_SF_ ; -- Begin function _ZN4vllm3moe22topkGatingSoftplusSqrtILi4ELi4ELi4ELi8ELi64ELb0El6__halfEEvPKT6_PKbPfiPT5_PiiiibdPKfPKS9_SF_
	.globl	_ZN4vllm3moe22topkGatingSoftplusSqrtILi4ELi4ELi4ELi8ELi64ELb0El6__halfEEvPKT6_PKbPfiPT5_PiiiibdPKfPKS9_SF_
	.p2align	8
	.type	_ZN4vllm3moe22topkGatingSoftplusSqrtILi4ELi4ELi4ELi8ELi64ELb0El6__halfEEvPKT6_PKbPfiPT5_PiiiibdPKfPKS9_SF_,@function
_ZN4vllm3moe22topkGatingSoftplusSqrtILi4ELi4ELi4ELi8ELi64ELb0El6__halfEEvPKT6_PKbPfiPT5_PiiiibdPKfPKS9_SF_: ; @_ZN4vllm3moe22topkGatingSoftplusSqrtILi4ELi4ELi4ELi8ELi64ELb0El6__halfEEvPKT6_PKbPfiPT5_PiiiibdPKfPKS9_SF_
; %bb.0:
	s_load_dword s24, s[0:1], 0x18
	v_bfe_u32 v1, v0, 10, 10
	s_lshl_b32 s2, s2, 8
	v_lshlrev_b32_e32 v1, 6, v1
	v_and_b32_e32 v0, 0x3ff, v0
	v_add3_u32 v4, v1, v0, s2
	s_waitcnt lgkmcnt(0)
	v_cmp_gt_i32_e32 vcc, s24, v4
	s_and_saveexec_b64 s[2:3], vcc
	s_cbranch_execz .LBB309_32
; %bb.1:
	s_load_dwordx4 s[4:7], s[0:1], 0x0
	s_load_dwordx2 s[20:21], s[0:1], 0x10
	s_waitcnt lgkmcnt(0)
	s_cmp_eq_u64 s[6:7], 0
	s_cbranch_scc1 .LBB309_3
; %bb.2:
	v_ashrrev_i32_e32 v5, 31, v4
	v_lshl_add_u64 v[0:1], s[6:7], 0, v[4:5]
	global_load_ubyte v0, v[0:1], off
	s_waitcnt vmcnt(0)
	v_and_b32_e32 v0, 1, v0
	v_cmp_eq_u32_e32 vcc, 1, v0
	s_xor_b64 s[2:3], vcc, -1
	s_orn2_b64 s[22:23], s[2:3], exec
	s_branch .LBB309_4
.LBB309_3:
	s_mov_b64 s[22:23], -1
.LBB309_4:
	v_lshlrev_b32_e32 v2, 2, v4
	v_mov_b32_e32 v0, s4
	v_mov_b32_e32 v1, s5
	v_ashrrev_i32_e32 v3, 31, v2
	v_lshl_add_u64 v[0:1], v[2:3], 1, v[0:1]
	global_load_dwordx2 v[2:3], v[0:1], off
	s_mov_b32 s15, 0x800000
	v_mov_b32_e32 v5, 0x4f800000
	s_mov_b32 s13, 0x3f317217
	s_mov_b32 s14, 0x7f800000
	v_mov_b32_e32 v6, 0x41b17218
	s_movk_i32 s12, 0x4d00
	s_mov_b32 s16, 0xf800000
	s_load_dwordx4 s[8:11], s[0:1], 0x40
	s_waitcnt lgkmcnt(0)
	s_cmp_lg_u64 s[10:11], 0
	s_cselect_b64 s[6:7], -1, 0
	s_and_b64 s[2:3], exec, s[6:7]
	s_waitcnt vmcnt(0)
	v_cvt_f32_f16_e32 v0, v2
	v_mul_f32_e32 v1, 0x3fb8aa3b, v0
	v_exp_f32_e32 v1, v1
	s_nop 0
	v_add_f32_e32 v1, 1.0, v1
	v_cmp_gt_f32_e32 vcc, s15, v1
	s_nop 1
	v_cndmask_b32_e32 v7, 1.0, v5, vcc
	v_mul_f32_e32 v1, v1, v7
	v_log_f32_e32 v7, v1
	v_cndmask_b32_e32 v8, 0, v6, vcc
	v_mov_b32_e32 v1, 0x260
	v_mul_f32_e32 v9, 0x3f317217, v7
	v_fma_f32 v9, v7, s13, -v9
	v_fmac_f32_e32 v9, 0x3377d1cf, v7
	v_fmac_f32_e32 v9, 0x3f317217, v7
	v_cmp_lt_f32_e64 vcc, |v7|, s14
	s_nop 1
	v_cndmask_b32_e32 v7, v7, v9, vcc
	v_sub_f32_e32 v7, v7, v8
	v_cmp_lt_f16_e32 vcc, s12, v2
	s_nop 1
	v_cndmask_b32_e32 v0, v7, v0, vcc
	v_mul_f32_e32 v7, 0x4f800000, v0
	v_cmp_gt_f32_e32 vcc, s16, v0
	s_nop 1
	v_cndmask_b32_e32 v0, v0, v7, vcc
	v_sqrt_f32_e32 v7, v0
	s_nop 0
	v_add_u32_e32 v8, -1, v7
	v_add_u32_e32 v9, 1, v7
	v_fma_f32 v10, -v8, v7, v0
	v_fma_f32 v11, -v9, v7, v0
	v_cmp_ge_f32_e64 s[4:5], 0, v10
	s_nop 1
	v_cndmask_b32_e64 v7, v7, v8, s[4:5]
	v_cmp_lt_f32_e64 s[4:5], 0, v11
	s_nop 1
	v_cndmask_b32_e64 v7, v7, v9, s[4:5]
	v_mul_f32_e32 v8, 0x37800000, v7
	v_cndmask_b32_e32 v7, v7, v8, vcc
	v_cmp_class_f32_e32 vcc, v0, v1
	s_nop 1
	v_cndmask_b32_e32 v0, v7, v0, vcc
	s_mov_b64 vcc, s[2:3]
	s_cbranch_vccz .LBB309_6
; %bb.5:
	s_load_dword s2, s[10:11], 0x0
	s_waitcnt lgkmcnt(0)
	v_add_f32_e32 v0, s2, v0
.LBB309_6:
	v_cvt_f32_f16_sdwa v7, v2 dst_sel:DWORD dst_unused:UNUSED_PAD src0_sel:WORD_1
	v_mul_f32_e32 v8, 0x3fb8aa3b, v7
	v_exp_f32_e32 v8, v8
	s_nop 0
	v_add_f32_e32 v8, 1.0, v8
	v_cmp_gt_f32_e32 vcc, s15, v8
	s_nop 1
	v_cndmask_b32_e32 v5, 1.0, v5, vcc
	v_mul_f32_e32 v5, v8, v5
	v_log_f32_e32 v5, v5
	v_cndmask_b32_e32 v6, 0, v6, vcc
	v_mul_f32_e32 v8, 0x3f317217, v5
	v_fma_f32 v8, v5, s13, -v8
	v_fmac_f32_e32 v8, 0x3377d1cf, v5
	v_fmac_f32_e32 v8, 0x3f317217, v5
	v_cmp_lt_f32_e64 vcc, |v5|, s14
	s_nop 1
	v_cndmask_b32_e32 v5, v5, v8, vcc
	v_sub_f32_e32 v5, v5, v6
	v_cmp_gt_f16_sdwa vcc, v2, s12 src0_sel:WORD_1 src1_sel:DWORD
	v_cndmask_b32_e64 v6, 0, 1, s[6:7]
	v_cmp_ne_u32_e64 s[2:3], 1, v6
	v_cndmask_b32_e32 v2, v5, v7, vcc
	v_mul_f32_e32 v5, 0x4f800000, v2
	v_cmp_gt_f32_e64 s[4:5], s16, v2
	s_andn2_b64 vcc, exec, s[6:7]
	s_nop 0
	v_cndmask_b32_e64 v2, v2, v5, s[4:5]
	v_sqrt_f32_e32 v5, v2
	s_nop 0
	v_add_u32_e32 v6, -1, v5
	v_add_u32_e32 v7, 1, v5
	v_fma_f32 v8, -v6, v5, v2
	v_fma_f32 v9, -v7, v5, v2
	v_cmp_ge_f32_e64 s[6:7], 0, v8
	s_nop 1
	v_cndmask_b32_e64 v5, v5, v6, s[6:7]
	v_cmp_lt_f32_e64 s[6:7], 0, v9
	s_nop 1
	v_cndmask_b32_e64 v5, v5, v7, s[6:7]
	v_mul_f32_e32 v6, 0x37800000, v5
	v_cndmask_b32_e64 v5, v5, v6, s[4:5]
	v_cmp_class_f32_e64 s[4:5], v2, v1
	s_nop 1
	v_cndmask_b32_e64 v1, v5, v2, s[4:5]
	s_cbranch_vccnz .LBB309_8
; %bb.7:
	s_load_dword s4, s[10:11], 0x4
	s_waitcnt lgkmcnt(0)
	v_add_f32_e32 v1, s4, v1
.LBB309_8:
	v_cvt_f32_f16_e32 v2, v3
	s_mov_b32 s12, 0x800000
	v_mov_b32_e32 v6, 0x4f800000
	s_mov_b32 s7, 0x3f317217
	v_mul_f32_e32 v5, 0x3fb8aa3b, v2
	v_exp_f32_e32 v5, v5
	s_mov_b32 s13, 0x7f800000
	s_movk_i32 s6, 0x4d00
	s_mov_b32 s14, 0xf800000
	v_add_f32_e32 v5, 1.0, v5
	v_cmp_gt_f32_e32 vcc, s12, v5
	s_nop 1
	v_cndmask_b32_e32 v7, 1.0, v6, vcc
	v_mul_f32_e32 v5, v5, v7
	v_log_f32_e32 v5, v5
	v_mov_b32_e32 v7, 0x41b17218
	v_cndmask_b32_e32 v8, 0, v7, vcc
	v_mul_f32_e32 v9, 0x3f317217, v5
	v_fma_f32 v9, v5, s7, -v9
	v_fmac_f32_e32 v9, 0x3377d1cf, v5
	v_fmac_f32_e32 v9, 0x3f317217, v5
	v_cmp_lt_f32_e64 vcc, |v5|, s13
	s_nop 1
	v_cndmask_b32_e32 v5, v5, v9, vcc
	v_sub_f32_e32 v5, v5, v8
	v_cmp_lt_f16_e32 vcc, s6, v3
	s_nop 1
	v_cndmask_b32_e32 v2, v5, v2, vcc
	v_mul_f32_e32 v5, 0x4f800000, v2
	v_cmp_gt_f32_e32 vcc, s14, v2
	s_nop 1
	v_cndmask_b32_e32 v2, v2, v5, vcc
	v_sqrt_f32_e32 v5, v2
	s_nop 0
	v_add_u32_e32 v8, -1, v5
	v_fma_f32 v9, -v8, v5, v2
	v_cmp_ge_f32_e64 s[4:5], 0, v9
	v_add_u32_e32 v9, 1, v5
	s_nop 0
	v_cndmask_b32_e64 v8, v5, v8, s[4:5]
	v_fma_f32 v5, -v9, v5, v2
	v_cmp_lt_f32_e64 s[4:5], 0, v5
	s_nop 1
	v_cndmask_b32_e64 v5, v8, v9, s[4:5]
	v_mul_f32_e32 v8, 0x37800000, v5
	v_cndmask_b32_e32 v8, v5, v8, vcc
	v_mov_b32_e32 v5, 0x260
	v_cmp_class_f32_e64 s[4:5], v2, v5
	s_and_b64 vcc, exec, s[2:3]
	s_nop 0
	v_cndmask_b32_e64 v2, v8, v2, s[4:5]
	s_cbranch_vccnz .LBB309_10
; %bb.9:
	s_load_dword s4, s[10:11], 0x8
	s_waitcnt lgkmcnt(0)
	v_add_f32_e32 v2, s4, v2
.LBB309_10:
	v_cvt_f32_f16_sdwa v8, v3 dst_sel:DWORD dst_unused:UNUSED_PAD src0_sel:WORD_1
	v_mul_f32_e32 v9, 0x3fb8aa3b, v8
	v_exp_f32_e32 v9, v9
	s_nop 0
	v_add_f32_e32 v9, 1.0, v9
	v_cmp_gt_f32_e32 vcc, s12, v9
	s_nop 1
	v_cndmask_b32_e32 v6, 1.0, v6, vcc
	v_mul_f32_e32 v6, v9, v6
	v_log_f32_e32 v6, v6
	v_cndmask_b32_e32 v7, 0, v7, vcc
	v_mul_f32_e32 v9, 0x3f317217, v6
	v_fma_f32 v9, v6, s7, -v9
	v_fmac_f32_e32 v9, 0x3377d1cf, v6
	v_fmac_f32_e32 v9, 0x3f317217, v6
	v_cmp_lt_f32_e64 vcc, |v6|, s13
	s_nop 1
	v_cndmask_b32_e32 v6, v6, v9, vcc
	v_sub_f32_e32 v6, v6, v7
	v_cmp_gt_f16_sdwa vcc, v3, s6 src0_sel:WORD_1 src1_sel:DWORD
	s_nop 1
	v_cndmask_b32_e32 v3, v6, v8, vcc
	v_mul_f32_e32 v6, 0x4f800000, v3
	v_cmp_gt_f32_e64 s[4:5], s14, v3
	s_and_b64 vcc, exec, s[2:3]
	s_nop 0
	v_cndmask_b32_e64 v3, v3, v6, s[4:5]
	v_sqrt_f32_e32 v6, v3
	s_nop 0
	v_add_u32_e32 v7, -1, v6
	v_add_u32_e32 v8, 1, v6
	v_fma_f32 v9, -v7, v6, v3
	v_fma_f32 v10, -v8, v6, v3
	v_cmp_ge_f32_e64 s[6:7], 0, v9
	s_nop 1
	v_cndmask_b32_e64 v6, v6, v7, s[6:7]
	v_cmp_lt_f32_e64 s[6:7], 0, v10
	s_nop 1
	v_cndmask_b32_e64 v6, v6, v8, s[6:7]
	v_mul_f32_e32 v7, 0x37800000, v6
	v_cndmask_b32_e64 v6, v6, v7, s[4:5]
	v_cmp_class_f32_e64 s[4:5], v3, v5
	s_nop 1
	v_cndmask_b32_e64 v3, v6, v3, s[4:5]
	s_cbranch_vccnz .LBB309_12
; %bb.11:
	s_load_dword s4, s[10:11], 0xc
	s_waitcnt lgkmcnt(0)
	v_add_f32_e32 v3, s4, v3
.LBB309_12:
	s_load_dwordx4 s[12:15], s[0:1], 0x30
	s_mov_b32 s25, 0
	s_waitcnt lgkmcnt(0)
	s_bitcmp1_b32 s15, 0
	s_cselect_b64 s[4:5], -1, 0
	s_cmp_gt_i32 s12, 0
	s_cselect_b64 s[6:7], -1, 0
	s_and_b64 vcc, exec, s[6:7]
	v_mul_lo_u32 v6, v4, s12
	s_cbranch_vccz .LBB309_19
; %bb.13:
	s_load_dwordx4 s[16:19], s[0:1], 0x20
	v_mov_b32_e32 v5, 0
	v_mov_b32_e32 v7, 0xc61c4000
	s_branch .LBB309_15
.LBB309_14:                             ;   in Loop: Header=BB309_15 Depth=1
	v_add_f32_e32 v8, v5, v8
	v_cndmask_b32_e64 v5, v5, v8, s[4:5]
	s_cmp_lg_u32 s12, s25
	v_add_u32_e32 v4, s24, v4
	s_cbranch_scc0 .LBB309_20
.LBB309_15:                             ; =>This Inner Loop Header: Depth=1
	v_cmp_gt_f32_e32 vcc, v1, v0
	s_nop 1
	v_cndmask_b32_e32 v9, v0, v1, vcc
	v_cndmask_b32_e64 v8, 0, 1, vcc
	v_cmp_gt_f32_e32 vcc, v2, v9
	s_nop 1
	v_cndmask_b32_e32 v10, v9, v2, vcc
	v_cndmask_b32_e64 v8, v8, 2, vcc
	v_cmp_gt_f32_e64 s[0:1], v3, v10
	s_and_b64 vcc, exec, s[2:3]
	s_nop 0
	v_cndmask_b32_e64 v9, v8, 3, s[0:1]
	v_cndmask_b32_e64 v8, v10, v3, s[0:1]
	s_cbranch_vccnz .LBB309_17
; %bb.16:                               ;   in Loop: Header=BB309_15 Depth=1
	v_lshlrev_b32_e32 v10, 2, v9
	global_load_dword v10, v10, s[10:11]
	s_waitcnt vmcnt(0)
	v_sub_f32_e32 v8, v8, v10
.LBB309_17:                             ;   in Loop: Header=BB309_15 Depth=1
	v_add_u32_e32 v10, s25, v6
	v_ashrrev_i32_e32 v11, 31, v10
	v_lshlrev_b64 v[12:13], 2, v[10:11]
	v_cmp_le_i32_e32 vcc, s13, v9
	v_cmp_gt_i32_e64 s[0:1], s14, v9
	v_lshl_add_u64 v[14:15], s[20:21], 0, v[12:13]
	s_and_b64 s[0:1], vcc, s[0:1]
	global_store_dword v[14:15], v8, off
	v_subrev_u32_e32 v14, s13, v9
	v_ashrrev_i32_e32 v15, 31, v14
	s_and_b64 vcc, s[22:23], s[0:1]
	v_cndmask_b32_e32 v15, 0, v15, vcc
	v_cndmask_b32_e32 v14, 4, v14, vcc
	s_waitcnt lgkmcnt(0)
	v_lshl_add_u64 v[10:11], v[10:11], 3, s[16:17]
	s_add_i32 s25, s25, 1
	global_store_dwordx2 v[10:11], v[14:15], off
	v_lshl_add_u64 v[10:11], s[18:19], 0, v[12:13]
	s_cmp_ge_i32 s25, s12
	global_store_dword v[10:11], v4, off
	s_cbranch_scc1 .LBB309_14
; %bb.18:                               ;   in Loop: Header=BB309_15 Depth=1
	v_cmp_ne_u32_e32 vcc, 3, v9
	s_nop 1
	v_cndmask_b32_e32 v3, v7, v3, vcc
	v_cmp_ne_u32_e32 vcc, 2, v9
	s_nop 1
	v_cndmask_b32_e32 v2, v7, v2, vcc
	;; [unrolled: 3-line block ×4, first 2 shown]
	s_branch .LBB309_14
.LBB309_19:
	v_mov_b32_e32 v5, 0
.LBB309_20:
	s_andn2_b64 vcc, exec, s[4:5]
	v_cvt_f32_f64_e32 v0, s[8:9]
	s_cbranch_vccnz .LBB309_22
; %bb.21:
	v_cmp_lt_f32_e32 vcc, 0, v5
	s_nop 1
	v_cndmask_b32_e32 v1, 1.0, v5, vcc
	v_div_scale_f32 v2, s[0:1], v1, v1, v0
	v_rcp_f32_e32 v3, v2
	s_nop 0
	v_fma_f32 v4, -v2, v3, 1.0
	v_fmac_f32_e32 v3, v4, v3
	v_div_scale_f32 v4, vcc, v0, v1, v0
	v_mul_f32_e32 v5, v4, v3
	v_fma_f32 v7, -v2, v5, v4
	v_fmac_f32_e32 v5, v7, v3
	v_fma_f32 v2, -v2, v5, v4
	v_div_fmas_f32 v2, v2, v3, v5
	v_div_fixup_f32 v0, v2, v1, v0
.LBB309_22:
	s_andn2_b64 vcc, exec, s[6:7]
	s_cbranch_vccnz .LBB309_32
; %bb.23:
	s_cmp_gt_u32 s12, 3
	v_ashrrev_i32_e32 v7, 31, v6
	s_cbranch_scc0 .LBB309_27
; %bb.24:
	s_and_b32 s0, s12, 0x7ffffffc
	v_lshl_add_u64 v[2:3], v[6:7], 2, s[20:21]
	v_mov_b32_e32 v1, v0
	v_lshl_add_u64 v[2:3], v[2:3], 0, 8
	s_mov_b32 s1, s0
.LBB309_25:                             ; =>This Inner Loop Header: Depth=1
	global_load_dwordx4 v[8:11], v[2:3], off offset:-8
	s_add_i32 s1, s1, -4
	s_cmp_lg_u32 s1, 0
	s_waitcnt vmcnt(0)
	v_pk_mul_f32 v[8:9], v[0:1], v[8:9]
	v_pk_mul_f32 v[10:11], v[0:1], v[10:11]
	global_store_dwordx4 v[2:3], v[8:11], off offset:-8
	v_lshl_add_u64 v[2:3], v[2:3], 0, 16
	s_cbranch_scc1 .LBB309_25
; %bb.26:
	s_cmp_lg_u32 s0, s12
	s_cselect_b64 s[2:3], -1, 0
	s_branch .LBB309_29
.LBB309_27:
	s_mov_b64 s[2:3], 0
                                        ; implicit-def: $sgpr0
	s_cbranch_execz .LBB309_29
; %bb.28:
	s_mov_b64 s[2:3], -1
	s_mov_b32 s0, 0
.LBB309_29:
	s_andn2_b64 vcc, exec, s[2:3]
	s_cbranch_vccnz .LBB309_32
; %bb.30:
	s_mov_b32 s1, 0
	v_lshl_add_u64 v[2:3], v[6:7], 0, s[0:1]
	s_sub_i32 s2, s12, s0
	v_lshl_add_u64 v[2:3], v[2:3], 2, s[20:21]
.LBB309_31:                             ; =>This Inner Loop Header: Depth=1
	global_load_dword v1, v[2:3], off
	s_add_i32 s2, s2, -1
	s_cmp_lg_u32 s2, 0
	s_waitcnt vmcnt(0)
	v_mul_f32_e32 v1, v0, v1
	global_store_dword v[2:3], v1, off
	v_lshl_add_u64 v[2:3], v[2:3], 0, 4
	s_cbranch_scc1 .LBB309_31
.LBB309_32:
	s_endpgm
	.section	.rodata,"a",@progbits
	.p2align	6, 0x0
	.amdhsa_kernel _ZN4vllm3moe22topkGatingSoftplusSqrtILi4ELi4ELi4ELi8ELi64ELb0El6__halfEEvPKT6_PKbPfiPT5_PiiiibdPKfPKS9_SF_
		.amdhsa_group_segment_fixed_size 0
		.amdhsa_private_segment_fixed_size 0
		.amdhsa_kernarg_size 96
		.amdhsa_user_sgpr_count 2
		.amdhsa_user_sgpr_dispatch_ptr 0
		.amdhsa_user_sgpr_queue_ptr 0
		.amdhsa_user_sgpr_kernarg_segment_ptr 1
		.amdhsa_user_sgpr_dispatch_id 0
		.amdhsa_user_sgpr_kernarg_preload_length 0
		.amdhsa_user_sgpr_kernarg_preload_offset 0
		.amdhsa_user_sgpr_private_segment_size 0
		.amdhsa_uses_dynamic_stack 0
		.amdhsa_enable_private_segment 0
		.amdhsa_system_sgpr_workgroup_id_x 1
		.amdhsa_system_sgpr_workgroup_id_y 0
		.amdhsa_system_sgpr_workgroup_id_z 0
		.amdhsa_system_sgpr_workgroup_info 0
		.amdhsa_system_vgpr_workitem_id 1
		.amdhsa_next_free_vgpr 16
		.amdhsa_next_free_sgpr 26
		.amdhsa_accum_offset 16
		.amdhsa_reserve_vcc 1
		.amdhsa_float_round_mode_32 0
		.amdhsa_float_round_mode_16_64 0
		.amdhsa_float_denorm_mode_32 3
		.amdhsa_float_denorm_mode_16_64 3
		.amdhsa_dx10_clamp 1
		.amdhsa_ieee_mode 1
		.amdhsa_fp16_overflow 0
		.amdhsa_tg_split 0
		.amdhsa_exception_fp_ieee_invalid_op 0
		.amdhsa_exception_fp_denorm_src 0
		.amdhsa_exception_fp_ieee_div_zero 0
		.amdhsa_exception_fp_ieee_overflow 0
		.amdhsa_exception_fp_ieee_underflow 0
		.amdhsa_exception_fp_ieee_inexact 0
		.amdhsa_exception_int_div_zero 0
	.end_amdhsa_kernel
	.section	.text._ZN4vllm3moe22topkGatingSoftplusSqrtILi4ELi4ELi4ELi8ELi64ELb0El6__halfEEvPKT6_PKbPfiPT5_PiiiibdPKfPKS9_SF_,"axG",@progbits,_ZN4vllm3moe22topkGatingSoftplusSqrtILi4ELi4ELi4ELi8ELi64ELb0El6__halfEEvPKT6_PKbPfiPT5_PiiiibdPKfPKS9_SF_,comdat
.Lfunc_end309:
	.size	_ZN4vllm3moe22topkGatingSoftplusSqrtILi4ELi4ELi4ELi8ELi64ELb0El6__halfEEvPKT6_PKbPfiPT5_PiiiibdPKfPKS9_SF_, .Lfunc_end309-_ZN4vllm3moe22topkGatingSoftplusSqrtILi4ELi4ELi4ELi8ELi64ELb0El6__halfEEvPKT6_PKbPfiPT5_PiiiibdPKfPKS9_SF_
                                        ; -- End function
	.section	.AMDGPU.csdata,"",@progbits
; Kernel info:
; codeLenInByte = 2072
; NumSgprs: 32
; NumVgprs: 16
; NumAgprs: 0
; TotalNumVgprs: 16
; ScratchSize: 0
; MemoryBound: 0
; FloatMode: 240
; IeeeMode: 1
; LDSByteSize: 0 bytes/workgroup (compile time only)
; SGPRBlocks: 3
; VGPRBlocks: 1
; NumSGPRsForWavesPerEU: 32
; NumVGPRsForWavesPerEU: 16
; AccumOffset: 16
; Occupancy: 8
; WaveLimiterHint : 0
; COMPUTE_PGM_RSRC2:SCRATCH_EN: 0
; COMPUTE_PGM_RSRC2:USER_SGPR: 2
; COMPUTE_PGM_RSRC2:TRAP_HANDLER: 0
; COMPUTE_PGM_RSRC2:TGID_X_EN: 1
; COMPUTE_PGM_RSRC2:TGID_Y_EN: 0
; COMPUTE_PGM_RSRC2:TGID_Z_EN: 0
; COMPUTE_PGM_RSRC2:TIDIG_COMP_CNT: 1
; COMPUTE_PGM_RSRC3_GFX90A:ACCUM_OFFSET: 3
; COMPUTE_PGM_RSRC3_GFX90A:TG_SPLIT: 0
	.section	.text._ZN4vllm3moe22topkGatingSoftplusSqrtILi4ELi4ELi4ELi8ELi32ELb1El6__halfEEvPKT6_PKbPfiPT5_PiiiibdPKfPKS9_SF_,"axG",@progbits,_ZN4vllm3moe22topkGatingSoftplusSqrtILi4ELi4ELi4ELi8ELi32ELb1El6__halfEEvPKT6_PKbPfiPT5_PiiiibdPKfPKS9_SF_,comdat
	.protected	_ZN4vllm3moe22topkGatingSoftplusSqrtILi4ELi4ELi4ELi8ELi32ELb1El6__halfEEvPKT6_PKbPfiPT5_PiiiibdPKfPKS9_SF_ ; -- Begin function _ZN4vllm3moe22topkGatingSoftplusSqrtILi4ELi4ELi4ELi8ELi32ELb1El6__halfEEvPKT6_PKbPfiPT5_PiiiibdPKfPKS9_SF_
	.globl	_ZN4vllm3moe22topkGatingSoftplusSqrtILi4ELi4ELi4ELi8ELi32ELb1El6__halfEEvPKT6_PKbPfiPT5_PiiiibdPKfPKS9_SF_
	.p2align	8
	.type	_ZN4vllm3moe22topkGatingSoftplusSqrtILi4ELi4ELi4ELi8ELi32ELb1El6__halfEEvPKT6_PKbPfiPT5_PiiiibdPKfPKS9_SF_,@function
_ZN4vllm3moe22topkGatingSoftplusSqrtILi4ELi4ELi4ELi8ELi32ELb1El6__halfEEvPKT6_PKbPfiPT5_PiiiibdPKfPKS9_SF_: ; @_ZN4vllm3moe22topkGatingSoftplusSqrtILi4ELi4ELi4ELi8ELi32ELb1El6__halfEEvPKT6_PKbPfiPT5_PiiiibdPKfPKS9_SF_
; %bb.0:
	s_load_dword s3, s[0:1], 0x18
	v_bfe_u32 v1, v0, 10, 10
	s_lshl_b32 s2, s2, 7
	v_lshlrev_b32_e32 v1, 5, v1
	v_and_b32_e32 v0, 0x3ff, v0
	v_add3_u32 v2, v1, v0, s2
	s_waitcnt lgkmcnt(0)
	v_cmp_gt_i32_e32 vcc, s3, v2
	s_and_saveexec_b64 s[2:3], vcc
	s_cbranch_execz .LBB310_56
; %bb.1:
	s_load_dwordx4 s[8:11], s[0:1], 0x50
	s_load_dwordx2 s[2:3], s[0:1], 0x0
	s_load_dword s12, s[0:1], 0x30
	v_lshlrev_b32_e32 v0, 2, v2
	v_ashrrev_i32_e32 v1, 31, v0
	s_waitcnt lgkmcnt(0)
	v_mov_b32_e32 v4, s8
	v_lshl_add_u64 v[0:1], v[0:1], 1, s[2:3]
	global_load_dwordx2 v[6:7], v[0:1], off
	v_mov_b32_e32 v5, s9
	v_ashrrev_i32_e32 v3, 31, v2
	v_lshl_add_u64 v[0:1], v[2:3], 3, v[4:5]
	global_load_dwordx2 v[0:1], v[0:1], off
	s_mov_b32 s6, 0x800000
	s_ashr_i32 s13, s12, 31
	v_mov_b32_e32 v3, 0x4f800000
	s_mov_b32 s18, 0x3f317217
	s_mov_b32 s19, 0x7f800000
	v_mov_b32_e32 v10, 0x41b17218
	s_movk_i32 s15, 0x4d00
	s_mov_b32 s20, 0xf800000
	v_mov_b32_e32 v11, 0x260
	v_cmp_lt_i64_e64 s[16:17], s[12:13], 1
	s_mov_b32 s14, 0
	v_mov_b32_e32 v16, 0
	v_cmp_gt_i64_e64 s[8:9], s[12:13], 0
	v_mul_lo_u32 v2, v2, s12
	s_waitcnt vmcnt(1)
	v_cvt_f32_f16_sdwa v12, v6 dst_sel:DWORD dst_unused:UNUSED_PAD src0_sel:WORD_1
	v_cvt_f32_f16_e32 v13, v6
	v_cvt_f32_f16_sdwa v14, v7 dst_sel:DWORD dst_unused:UNUSED_PAD src0_sel:WORD_1
	v_cvt_f32_f16_e32 v15, v7
	s_waitcnt vmcnt(0)
	v_mul_lo_u32 v17, v1, s12
	v_mul_f32_e32 v1, 0x3fb8aa3b, v13
	v_mul_f32_e32 v5, 0x3fb8aa3b, v12
	v_exp_f32_e32 v4, v1
	v_exp_f32_e32 v5, v5
	v_mul_f32_e32 v8, 0x3fb8aa3b, v15
	v_mul_f32_e32 v9, 0x3fb8aa3b, v14
	v_exp_f32_e32 v8, v8
	v_exp_f32_e32 v9, v9
	v_pk_add_f32 v[4:5], v[4:5], 1.0 op_sel_hi:[1,0]
	v_mul_lo_u32 v18, v0, s13
	v_mad_u64_u32 v[0:1], s[2:3], v0, s12, 0
	v_cmp_gt_f32_e32 vcc, s6, v5
	v_add3_u32 v1, v1, v18, v17
	v_pk_add_f32 v[8:9], v[8:9], 1.0 op_sel_hi:[1,0]
	v_cndmask_b32_e32 v17, 1.0, v3, vcc
	v_cmp_gt_f32_e64 s[2:3], s6, v4
	v_cmp_gt_f32_e64 s[4:5], s6, v9
	v_mul_f32_e32 v5, v5, v17
	v_cndmask_b32_e64 v18, 1.0, v3, s[2:3]
	v_cndmask_b32_e64 v19, 1.0, v3, s[4:5]
	v_cmp_gt_f32_e64 s[6:7], s6, v8
	v_mul_f32_e32 v4, v4, v18
	v_log_f32_e32 v5, v5
	v_cndmask_b32_e64 v3, 1.0, v3, s[6:7]
	v_mul_f32_e32 v9, v9, v19
	v_log_f32_e32 v4, v4
	v_mul_f32_e32 v3, v8, v3
	v_log_f32_e32 v8, v9
	v_mul_f32_e32 v9, 0x3f317217, v5
	v_mul_f32_e32 v20, 0x3f317217, v4
	v_fma_f32 v9, v5, s18, -v9
	v_mul_f32_e32 v21, 0x3f317217, v8
	v_fma_f32 v20, v4, s18, -v20
	v_fmac_f32_e32 v9, 0x3377d1cf, v5
	v_cndmask_b32_e32 v17, 0, v10, vcc
	v_fma_f32 v21, v8, s18, -v21
	v_fmac_f32_e32 v20, 0x3377d1cf, v4
	v_fmac_f32_e32 v9, 0x3f317217, v5
	v_cmp_lt_f32_e64 vcc, |v5|, s19
	v_fmac_f32_e32 v21, 0x3377d1cf, v8
	v_fmac_f32_e32 v20, 0x3f317217, v4
	v_cndmask_b32_e32 v5, v5, v9, vcc
	v_cmp_lt_f32_e64 vcc, |v4|, s19
	v_cndmask_b32_e64 v18, 0, v10, s[2:3]
	v_fmac_f32_e32 v21, 0x3f317217, v8
	v_cndmask_b32_e32 v4, v4, v20, vcc
	v_cmp_lt_f32_e64 vcc, |v8|, s19
	v_sub_f32_e32 v4, v4, v18
	v_sub_f32_e32 v5, v5, v17
	v_cndmask_b32_e32 v8, v8, v21, vcc
	v_cmp_lt_f16_e32 vcc, s15, v6
	v_cndmask_b32_e64 v19, 0, v10, s[4:5]
	v_sub_f32_e32 v8, v8, v19
	v_cndmask_b32_e32 v4, v4, v13, vcc
	v_cmp_gt_f16_sdwa vcc, v6, s15 src0_sel:WORD_1 src1_sel:DWORD
	v_mul_f32_e32 v9, 0x4f800000, v4
	v_cmp_gt_f32_e64 s[2:3], s20, v4
	v_cndmask_b32_e32 v5, v5, v12, vcc
	v_mul_f32_e32 v6, 0x4f800000, v5
	v_cmp_gt_f32_e32 vcc, s20, v5
	v_cndmask_b32_e64 v4, v4, v9, s[2:3]
	v_sqrt_f32_e32 v9, v4
	v_cndmask_b32_e32 v5, v5, v6, vcc
	v_sqrt_f32_e32 v6, v5
	v_log_f32_e32 v3, v3
	v_add_u32_e32 v17, -1, v9
	v_fma_f32 v21, -v17, v9, v4
	v_add_u32_e32 v12, -1, v6
	v_fma_f32 v19, -v12, v6, v5
	v_add_u32_e32 v13, 1, v6
	v_cmp_ge_f32_e64 s[4:5], 0, v19
	v_add_u32_e32 v18, 1, v9
	v_fma_f32 v20, -v13, v6, v5
	v_cndmask_b32_e64 v6, v6, v12, s[4:5]
	v_cmp_ge_f32_e64 s[4:5], 0, v21
	v_fma_f32 v23, -v18, v9, v4
	v_mul_f32_e32 v22, 0x3f317217, v3
	v_cndmask_b32_e64 v9, v9, v17, s[4:5]
	v_cmp_lt_f32_e64 s[4:5], 0, v20
	v_fma_f32 v22, v3, s18, -v22
	v_fmac_f32_e32 v22, 0x3377d1cf, v3
	v_cndmask_b32_e64 v6, v6, v13, s[4:5]
	v_cmp_lt_f32_e64 s[4:5], 0, v23
	v_mul_f32_e32 v12, 0x37800000, v6
	v_cndmask_b32_e32 v6, v6, v12, vcc
	v_cndmask_b32_e64 v9, v9, v18, s[4:5]
	v_mul_f32_e32 v13, 0x37800000, v9
	v_cmp_class_f32_e32 vcc, v5, v11
	v_cndmask_b32_e64 v9, v9, v13, s[2:3]
	v_fmac_f32_e32 v22, 0x3f317217, v3
	v_cndmask_b32_e32 v12, v6, v5, vcc
	v_cmp_class_f32_e32 vcc, v4, v11
	v_cmp_lt_f16_e64 s[2:3], s15, v7
	s_nop 0
	v_cndmask_b32_e32 v13, v9, v4, vcc
	v_cmp_lt_f32_e64 vcc, |v3|, s19
	v_cndmask_b32_e64 v4, 0, v10, s[6:7]
	s_nop 0
	v_cndmask_b32_e32 v3, v3, v22, vcc
	v_cmp_gt_f16_sdwa vcc, v7, s15 src0_sel:WORD_1 src1_sel:DWORD
	v_sub_f32_e32 v3, v3, v4
	v_cndmask_b32_e64 v3, v3, v15, s[2:3]
	v_cndmask_b32_e32 v5, v8, v14, vcc
	v_mul_f32_e32 v6, 0x4f800000, v5
	v_cmp_gt_f32_e32 vcc, s20, v5
	s_nop 1
	v_cndmask_b32_e32 v5, v5, v6, vcc
	v_sqrt_f32_e32 v6, v5
	s_nop 0
	v_add_u32_e32 v4, -1, v6
	v_fma_f32 v7, -v4, v6, v5
	v_cmp_ge_f32_e64 s[2:3], 0, v7
	v_add_u32_e32 v7, 1, v6
	s_nop 0
	v_cndmask_b32_e64 v4, v6, v4, s[2:3]
	v_fma_f32 v6, -v7, v6, v5
	v_cmp_lt_f32_e64 s[2:3], 0, v6
	s_nop 1
	v_cndmask_b32_e64 v4, v4, v7, s[2:3]
	v_mul_f32_e32 v7, 0x4f800000, v3
	v_cmp_gt_f32_e64 s[2:3], s20, v3
	v_mul_f32_e32 v6, 0x37800000, v4
	v_cndmask_b32_e32 v4, v4, v6, vcc
	v_cndmask_b32_e64 v3, v3, v7, s[2:3]
	v_sqrt_f32_e32 v7, v3
	v_cmp_class_f32_e32 vcc, v5, v11
	s_nop 1
	v_cndmask_b32_e32 v14, v4, v5, vcc
	v_add_u32_e32 v4, -1, v7
	v_fma_f32 v5, -v4, v7, v3
	v_cmp_ge_f32_e32 vcc, 0, v5
	v_add_u32_e32 v5, 1, v7
	v_fma_f32 v6, -v5, v7, v3
	v_cndmask_b32_e32 v4, v7, v4, vcc
	v_cmp_lt_f32_e32 vcc, 0, v6
	s_nop 1
	v_cndmask_b32_e32 v4, v4, v5, vcc
	v_mul_f32_e32 v5, 0x37800000, v4
	v_cndmask_b32_e64 v4, v4, v5, s[2:3]
	v_cmp_class_f32_e32 vcc, v3, v11
	s_nop 1
	v_cndmask_b32_e32 v15, v4, v3, vcc
	s_and_b64 vcc, exec, s[16:17]
	s_cbranch_vccnz .LBB310_29
; %bb.2:
	s_load_dwordx2 s[2:3], s[0:1], 0x20
	s_cmp_lt_u32 s12, 4
	v_lshl_add_u64 v[4:5], v[0:1], 3, s[10:11]
	s_cbranch_scc1 .LBB310_21
; %bb.3:
	s_mov_b32 s5, 0
	s_and_b32 s14, s12, 0x7ffffffc
	v_ashrrev_i32_e32 v3, 31, v2
	v_mov_b32_e32 v16, 0
	s_mov_b32 s4, s5
	s_branch .LBB310_5
.LBB310_4:                              ;   in Loop: Header=BB310_5 Depth=1
	s_or_b64 exec, exec, s[6:7]
	s_add_i32 s4, s4, 4
	s_cmp_eq_u32 s4, s14
	s_cbranch_scc1 .LBB310_22
.LBB310_5:                              ; =>This Loop Header: Depth=1
                                        ;     Child Loop BB310_7 Depth 2
                                        ;     Child Loop BB310_11 Depth 2
	;; [unrolled: 1-line block ×4, first 2 shown]
	v_lshl_add_u64 v[6:7], s[4:5], 3, v[4:5]
	global_load_dwordx2 v[8:9], v[6:7], off
	v_add_u32_e32 v10, s4, v2
	v_ashrrev_i32_e32 v11, 31, v10
	s_mov_b64 s[6:7], 0
	s_waitcnt lgkmcnt(0)
	v_lshl_add_u64 v[10:11], v[10:11], 3, s[2:3]
	s_waitcnt vmcnt(0)
	v_cmp_eq_u32_e32 vcc, 1, v8
	s_nop 1
	v_cndmask_b32_e32 v18, v13, v12, vcc
	v_cmp_eq_u32_e32 vcc, 2, v8
	v_min_u32_e32 v17, 3, v8
	v_ashrrev_i32_e32 v9, 31, v8
	v_cndmask_b32_e32 v18, v18, v15, vcc
	v_cmp_eq_u32_e32 vcc, 3, v8
	v_add_u32_e32 v17, 1, v17
	v_mov_b32_e32 v19, v8
	v_cndmask_b32_e32 v18, v18, v14, vcc
	s_branch .LBB310_7
.LBB310_6:                              ;   in Loop: Header=BB310_7 Depth=2
	s_or_b64 exec, exec, s[16:17]
	v_add_u32_e32 v17, -1, v17
	v_cmp_eq_u32_e32 vcc, 0, v17
	s_or_b64 s[6:7], vcc, s[6:7]
	v_add_u32_e32 v19, -1, v19
	s_andn2_b64 exec, exec, s[6:7]
	s_cbranch_execz .LBB310_9
.LBB310_7:                              ;   Parent Loop BB310_5 Depth=1
                                        ; =>  This Inner Loop Header: Depth=2
	v_cmp_eq_u32_e32 vcc, 0, v19
	s_and_saveexec_b64 s[16:17], vcc
	s_cbranch_execz .LBB310_6
; %bb.8:                                ;   in Loop: Header=BB310_7 Depth=2
	v_add_f32_e32 v16, v16, v18
	global_store_dwordx2 v[10:11], v[8:9], off
	s_branch .LBB310_6
.LBB310_9:                              ;   in Loop: Header=BB310_5 Depth=1
	s_or_b64 exec, exec, s[6:7]
	global_load_dwordx2 v[10:11], v[6:7], off offset:8
	s_ashr_i32 s17, s4, 31
	s_mov_b32 s16, s4
	v_lshl_add_u64 v[8:9], s[16:17], 0, v[2:3]
	s_mov_b64 s[6:7], 0
	v_lshl_add_u64 v[8:9], v[8:9], 3, s[2:3]
	s_waitcnt vmcnt(0)
	v_cmp_eq_u32_e32 vcc, 1, v10
	s_nop 1
	v_cndmask_b32_e32 v18, v13, v12, vcc
	v_cmp_eq_u32_e32 vcc, 2, v10
	v_min_u32_e32 v17, 3, v10
	v_ashrrev_i32_e32 v11, 31, v10
	v_cndmask_b32_e32 v18, v18, v15, vcc
	v_cmp_eq_u32_e32 vcc, 3, v10
	v_add_u32_e32 v17, 1, v17
	v_mov_b32_e32 v19, v10
	v_cndmask_b32_e32 v18, v18, v14, vcc
	s_branch .LBB310_11
.LBB310_10:                             ;   in Loop: Header=BB310_11 Depth=2
	s_or_b64 exec, exec, s[16:17]
	v_add_u32_e32 v17, -1, v17
	v_cmp_eq_u32_e32 vcc, 0, v17
	s_or_b64 s[6:7], vcc, s[6:7]
	v_add_u32_e32 v19, -1, v19
	s_andn2_b64 exec, exec, s[6:7]
	s_cbranch_execz .LBB310_13
.LBB310_11:                             ;   Parent Loop BB310_5 Depth=1
                                        ; =>  This Inner Loop Header: Depth=2
	v_cmp_eq_u32_e32 vcc, 0, v19
	s_and_saveexec_b64 s[16:17], vcc
	s_cbranch_execz .LBB310_10
; %bb.12:                               ;   in Loop: Header=BB310_11 Depth=2
	v_add_f32_e32 v16, v16, v18
	global_store_dwordx2 v[8:9], v[10:11], off offset:8
	s_branch .LBB310_10
.LBB310_13:                             ;   in Loop: Header=BB310_5 Depth=1
	s_or_b64 exec, exec, s[6:7]
	global_load_dwordx2 v[10:11], v[6:7], off offset:16
	s_mov_b64 s[6:7], 0
	s_waitcnt vmcnt(0)
	v_cmp_eq_u32_e32 vcc, 1, v10
	s_nop 1
	v_cndmask_b32_e32 v18, v13, v12, vcc
	v_cmp_eq_u32_e32 vcc, 2, v10
	v_min_u32_e32 v17, 3, v10
	v_ashrrev_i32_e32 v11, 31, v10
	v_cndmask_b32_e32 v18, v18, v15, vcc
	v_cmp_eq_u32_e32 vcc, 3, v10
	v_add_u32_e32 v17, 1, v17
	v_mov_b32_e32 v19, v10
	v_cndmask_b32_e32 v18, v18, v14, vcc
	s_branch .LBB310_15
.LBB310_14:                             ;   in Loop: Header=BB310_15 Depth=2
	s_or_b64 exec, exec, s[16:17]
	v_add_u32_e32 v17, -1, v17
	v_cmp_eq_u32_e32 vcc, 0, v17
	s_or_b64 s[6:7], vcc, s[6:7]
	v_add_u32_e32 v19, -1, v19
	s_andn2_b64 exec, exec, s[6:7]
	s_cbranch_execz .LBB310_17
.LBB310_15:                             ;   Parent Loop BB310_5 Depth=1
                                        ; =>  This Inner Loop Header: Depth=2
	v_cmp_eq_u32_e32 vcc, 0, v19
	s_and_saveexec_b64 s[16:17], vcc
	s_cbranch_execz .LBB310_14
; %bb.16:                               ;   in Loop: Header=BB310_15 Depth=2
	v_add_f32_e32 v16, v16, v18
	global_store_dwordx2 v[8:9], v[10:11], off offset:16
	s_branch .LBB310_14
.LBB310_17:                             ;   in Loop: Header=BB310_5 Depth=1
	s_or_b64 exec, exec, s[6:7]
	global_load_dwordx2 v[6:7], v[6:7], off offset:24
	s_mov_b64 s[6:7], 0
	s_waitcnt vmcnt(0)
	v_cmp_eq_u32_e32 vcc, 1, v6
	s_nop 1
	v_cndmask_b32_e32 v11, v13, v12, vcc
	v_cmp_eq_u32_e32 vcc, 2, v6
	v_min_u32_e32 v10, 3, v6
	v_ashrrev_i32_e32 v7, 31, v6
	v_cndmask_b32_e32 v11, v11, v15, vcc
	v_cmp_eq_u32_e32 vcc, 3, v6
	v_add_u32_e32 v10, 1, v10
	v_mov_b32_e32 v17, v6
	v_cndmask_b32_e32 v11, v11, v14, vcc
	s_branch .LBB310_19
.LBB310_18:                             ;   in Loop: Header=BB310_19 Depth=2
	s_or_b64 exec, exec, s[16:17]
	v_add_u32_e32 v10, -1, v10
	v_cmp_eq_u32_e32 vcc, 0, v10
	s_or_b64 s[6:7], vcc, s[6:7]
	v_add_u32_e32 v17, -1, v17
	s_andn2_b64 exec, exec, s[6:7]
	s_cbranch_execz .LBB310_4
.LBB310_19:                             ;   Parent Loop BB310_5 Depth=1
                                        ; =>  This Inner Loop Header: Depth=2
	v_cmp_eq_u32_e32 vcc, 0, v17
	s_and_saveexec_b64 s[16:17], vcc
	s_cbranch_execz .LBB310_18
; %bb.20:                               ;   in Loop: Header=BB310_19 Depth=2
	v_add_f32_e32 v16, v16, v11
	global_store_dwordx2 v[8:9], v[6:7], off offset:24
	s_branch .LBB310_18
.LBB310_21:
	v_mov_b32_e32 v16, 0
.LBB310_22:
	s_and_b32 s13, s12, 3
	s_cmp_eq_u32 s13, 0
	s_mov_b32 s15, 0
	s_cbranch_scc1 .LBB310_29
; %bb.23:
	s_mov_b32 s16, s15
	s_branch .LBB310_25
.LBB310_24:                             ;   in Loop: Header=BB310_25 Depth=1
	s_or_b64 exec, exec, s[4:5]
	s_add_i32 s14, s14, 1
	s_add_i32 s16, s16, 1
	s_cmp_lg_u32 s16, s13
	s_cbranch_scc0 .LBB310_29
.LBB310_25:                             ; =>This Loop Header: Depth=1
                                        ;     Child Loop BB310_27 Depth 2
	v_lshl_add_u64 v[6:7], s[14:15], 3, v[4:5]
	global_load_dwordx2 v[6:7], v[6:7], off
	v_add_u32_e32 v8, s14, v2
	v_ashrrev_i32_e32 v9, 31, v8
	s_mov_b64 s[4:5], 0
	s_waitcnt lgkmcnt(0)
	v_lshl_add_u64 v[8:9], v[8:9], 3, s[2:3]
	s_waitcnt vmcnt(0)
	v_cmp_eq_u32_e32 vcc, 1, v6
	s_nop 1
	v_cndmask_b32_e32 v10, v13, v12, vcc
	v_cmp_eq_u32_e32 vcc, 2, v6
	v_min_u32_e32 v3, 3, v6
	v_ashrrev_i32_e32 v7, 31, v6
	v_cndmask_b32_e32 v10, v10, v15, vcc
	v_cmp_eq_u32_e32 vcc, 3, v6
	v_add_u32_e32 v3, 1, v3
	v_mov_b32_e32 v11, v6
	v_cndmask_b32_e32 v10, v10, v14, vcc
	s_branch .LBB310_27
.LBB310_26:                             ;   in Loop: Header=BB310_27 Depth=2
	s_or_b64 exec, exec, s[6:7]
	v_add_u32_e32 v3, -1, v3
	v_cmp_eq_u32_e32 vcc, 0, v3
	s_or_b64 s[4:5], vcc, s[4:5]
	v_add_u32_e32 v11, -1, v11
	s_andn2_b64 exec, exec, s[4:5]
	s_cbranch_execz .LBB310_24
.LBB310_27:                             ;   Parent Loop BB310_25 Depth=1
                                        ; =>  This Inner Loop Header: Depth=2
	v_cmp_eq_u32_e32 vcc, 0, v11
	s_and_saveexec_b64 s[6:7], vcc
	s_cbranch_execz .LBB310_26
; %bb.28:                               ;   in Loop: Header=BB310_27 Depth=2
	v_add_f32_e32 v16, v16, v10
	global_store_dwordx2 v[8:9], v[6:7], off
	s_branch .LBB310_26
.LBB310_29:
	s_load_dword s4, s[0:1], 0x3c
	s_waitcnt lgkmcnt(0)
	s_load_dwordx2 s[2:3], s[0:1], 0x40
	s_bitcmp1_b32 s4, 0
	s_cselect_b64 s[4:5], -1, 0
	s_waitcnt lgkmcnt(0)
	v_cvt_f32_f64_e32 v8, s[2:3]
	s_and_b64 vcc, exec, s[4:5]
	s_cbranch_vccz .LBB310_31
; %bb.30:
	v_cmp_lt_f32_e32 vcc, 0, v16
	s_nop 1
	v_cndmask_b32_e32 v3, 1.0, v16, vcc
	v_div_scale_f32 v4, s[2:3], v3, v3, v8
	v_rcp_f32_e32 v5, v4
	s_nop 0
	v_fma_f32 v6, -v4, v5, 1.0
	v_fmac_f32_e32 v5, v6, v5
	v_div_scale_f32 v6, vcc, v8, v3, v8
	v_mul_f32_e32 v7, v6, v5
	v_fma_f32 v9, -v4, v7, v6
	v_fmac_f32_e32 v7, v9, v5
	v_fma_f32 v4, -v4, v7, v6
	v_div_fmas_f32 v4, v4, v5, v7
	v_div_fixup_f32 v8, v4, v3, v8
.LBB310_31:
	s_andn2_b64 vcc, exec, s[8:9]
	s_cbranch_vccnz .LBB310_56
; %bb.32:
	s_load_dwordx2 s[0:1], s[0:1], 0x10
	s_cmp_lt_u32 s12, 8
	s_mov_b32 s2, 0
	s_cbranch_scc1 .LBB310_51
; %bb.33:
	v_ashrrev_i32_e32 v3, 31, v2
	s_waitcnt lgkmcnt(0)
	v_lshl_add_u64 v[4:5], v[2:3], 2, s[0:1]
	v_lshl_add_u64 v[6:7], v[0:1], 3, s[10:11]
	s_and_b32 s2, s12, 0x7ffffff8
	v_lshl_add_u64 v[4:5], v[4:5], 0, 28
	v_lshl_add_u64 v[6:7], v[6:7], 0, 56
	s_mov_b32 s3, 0
	s_branch .LBB310_35
.LBB310_34:                             ;   in Loop: Header=BB310_35 Depth=1
	s_or_b64 exec, exec, s[4:5]
	s_add_i32 s3, s3, 8
	v_lshl_add_u64 v[4:5], v[4:5], 0, 32
	s_cmp_eq_u32 s2, s3
	v_lshl_add_u64 v[6:7], v[6:7], 0, 64
	s_cbranch_scc1 .LBB310_51
.LBB310_35:                             ; =>This Inner Loop Header: Depth=1
	global_load_dword v3, v[6:7], off offset:-56
	s_waitcnt vmcnt(0)
	v_cmp_gt_u32_e32 vcc, 4, v3
	s_and_saveexec_b64 s[4:5], vcc
	s_cbranch_execz .LBB310_37
; %bb.36:                               ;   in Loop: Header=BB310_35 Depth=1
	v_cmp_eq_u32_e32 vcc, 1, v3
	v_add_u32_e32 v10, s3, v2
	v_ashrrev_i32_e32 v11, 31, v10
	v_cndmask_b32_e32 v9, v13, v12, vcc
	v_cmp_eq_u32_e32 vcc, 2, v3
	v_lshl_add_u64 v[10:11], v[10:11], 2, s[0:1]
	s_nop 0
	v_cndmask_b32_e32 v9, v9, v15, vcc
	v_cmp_eq_u32_e32 vcc, 3, v3
	s_nop 1
	v_cndmask_b32_e32 v3, v9, v14, vcc
	v_mul_f32_e32 v3, v8, v3
	global_store_dword v[10:11], v3, off
.LBB310_37:                             ;   in Loop: Header=BB310_35 Depth=1
	s_or_b64 exec, exec, s[4:5]
	global_load_dword v3, v[6:7], off offset:-48
	s_waitcnt vmcnt(0)
	v_cmp_gt_u32_e32 vcc, 4, v3
	s_and_saveexec_b64 s[4:5], vcc
	s_cbranch_execz .LBB310_39
; %bb.38:                               ;   in Loop: Header=BB310_35 Depth=1
	v_cmp_eq_u32_e32 vcc, 1, v3
	s_nop 1
	v_cndmask_b32_e32 v9, v13, v12, vcc
	v_cmp_eq_u32_e32 vcc, 2, v3
	s_nop 1
	v_cndmask_b32_e32 v9, v9, v15, vcc
	v_cmp_eq_u32_e32 vcc, 3, v3
	s_nop 1
	v_cndmask_b32_e32 v3, v9, v14, vcc
	v_mul_f32_e32 v3, v8, v3
	global_store_dword v[4:5], v3, off offset:-24
.LBB310_39:                             ;   in Loop: Header=BB310_35 Depth=1
	s_or_b64 exec, exec, s[4:5]
	global_load_dword v3, v[6:7], off offset:-40
	s_waitcnt vmcnt(0)
	v_cmp_gt_u32_e32 vcc, 4, v3
	s_and_saveexec_b64 s[4:5], vcc
	s_cbranch_execz .LBB310_41
; %bb.40:                               ;   in Loop: Header=BB310_35 Depth=1
	v_cmp_eq_u32_e32 vcc, 1, v3
	s_nop 1
	v_cndmask_b32_e32 v9, v13, v12, vcc
	v_cmp_eq_u32_e32 vcc, 2, v3
	s_nop 1
	v_cndmask_b32_e32 v9, v9, v15, vcc
	v_cmp_eq_u32_e32 vcc, 3, v3
	s_nop 1
	v_cndmask_b32_e32 v3, v9, v14, vcc
	v_mul_f32_e32 v3, v8, v3
	global_store_dword v[4:5], v3, off offset:-20
.LBB310_41:                             ;   in Loop: Header=BB310_35 Depth=1
	;; [unrolled: 19-line block ×6, first 2 shown]
	s_or_b64 exec, exec, s[4:5]
	global_load_dword v3, v[6:7], off
	s_waitcnt vmcnt(0)
	v_cmp_gt_u32_e32 vcc, 4, v3
	s_and_saveexec_b64 s[4:5], vcc
	s_cbranch_execz .LBB310_34
; %bb.50:                               ;   in Loop: Header=BB310_35 Depth=1
	v_cmp_eq_u32_e32 vcc, 1, v3
	s_nop 1
	v_cndmask_b32_e32 v9, v13, v12, vcc
	v_cmp_eq_u32_e32 vcc, 2, v3
	s_nop 1
	v_cndmask_b32_e32 v9, v9, v15, vcc
	;; [unrolled: 3-line block ×3, first 2 shown]
	v_mul_f32_e32 v3, v8, v3
	global_store_dword v[4:5], v3, off
	s_branch .LBB310_34
.LBB310_51:
	s_and_b32 s4, s12, 7
	s_cmp_eq_u32 s4, 0
	s_mov_b32 s3, 0
	s_cbranch_scc1 .LBB310_56
; %bb.52:
	v_add_u32_e32 v2, s2, v2
	s_lshl_b64 s[2:3], s[2:3], 3
	s_add_u32 s2, s10, s2
	s_addc_u32 s3, s11, s3
	v_lshl_add_u64 v[0:1], v[0:1], 3, s[2:3]
	s_branch .LBB310_54
.LBB310_53:                             ;   in Loop: Header=BB310_54 Depth=1
	s_or_b64 exec, exec, s[2:3]
	s_add_i32 s4, s4, -1
	v_add_u32_e32 v2, 1, v2
	s_cmp_eq_u32 s4, 0
	v_lshl_add_u64 v[0:1], v[0:1], 0, 8
	s_cbranch_scc1 .LBB310_56
.LBB310_54:                             ; =>This Inner Loop Header: Depth=1
	global_load_dword v3, v[0:1], off
	s_waitcnt vmcnt(0)
	v_cmp_gt_u32_e32 vcc, 4, v3
	s_and_saveexec_b64 s[2:3], vcc
	s_cbranch_execz .LBB310_53
; %bb.55:                               ;   in Loop: Header=BB310_54 Depth=1
	v_cmp_eq_u32_e32 vcc, 1, v3
	s_nop 1
	v_cndmask_b32_e32 v4, v13, v12, vcc
	v_cmp_eq_u32_e32 vcc, 2, v3
	s_nop 1
	v_cndmask_b32_e32 v4, v4, v15, vcc
	;; [unrolled: 3-line block ×3, first 2 shown]
	v_mul_f32_e32 v6, v8, v3
	v_ashrrev_i32_e32 v3, 31, v2
	s_waitcnt lgkmcnt(0)
	v_lshl_add_u64 v[4:5], v[2:3], 2, s[0:1]
	global_store_dword v[4:5], v6, off
	s_branch .LBB310_53
.LBB310_56:
	s_endpgm
	.section	.rodata,"a",@progbits
	.p2align	6, 0x0
	.amdhsa_kernel _ZN4vllm3moe22topkGatingSoftplusSqrtILi4ELi4ELi4ELi8ELi32ELb1El6__halfEEvPKT6_PKbPfiPT5_PiiiibdPKfPKS9_SF_
		.amdhsa_group_segment_fixed_size 0
		.amdhsa_private_segment_fixed_size 0
		.amdhsa_kernarg_size 96
		.amdhsa_user_sgpr_count 2
		.amdhsa_user_sgpr_dispatch_ptr 0
		.amdhsa_user_sgpr_queue_ptr 0
		.amdhsa_user_sgpr_kernarg_segment_ptr 1
		.amdhsa_user_sgpr_dispatch_id 0
		.amdhsa_user_sgpr_kernarg_preload_length 0
		.amdhsa_user_sgpr_kernarg_preload_offset 0
		.amdhsa_user_sgpr_private_segment_size 0
		.amdhsa_uses_dynamic_stack 0
		.amdhsa_enable_private_segment 0
		.amdhsa_system_sgpr_workgroup_id_x 1
		.amdhsa_system_sgpr_workgroup_id_y 0
		.amdhsa_system_sgpr_workgroup_id_z 0
		.amdhsa_system_sgpr_workgroup_info 0
		.amdhsa_system_vgpr_workitem_id 1
		.amdhsa_next_free_vgpr 24
		.amdhsa_next_free_sgpr 21
		.amdhsa_accum_offset 24
		.amdhsa_reserve_vcc 1
		.amdhsa_float_round_mode_32 0
		.amdhsa_float_round_mode_16_64 0
		.amdhsa_float_denorm_mode_32 3
		.amdhsa_float_denorm_mode_16_64 3
		.amdhsa_dx10_clamp 1
		.amdhsa_ieee_mode 1
		.amdhsa_fp16_overflow 0
		.amdhsa_tg_split 0
		.amdhsa_exception_fp_ieee_invalid_op 0
		.amdhsa_exception_fp_denorm_src 0
		.amdhsa_exception_fp_ieee_div_zero 0
		.amdhsa_exception_fp_ieee_overflow 0
		.amdhsa_exception_fp_ieee_underflow 0
		.amdhsa_exception_fp_ieee_inexact 0
		.amdhsa_exception_int_div_zero 0
	.end_amdhsa_kernel
	.section	.text._ZN4vllm3moe22topkGatingSoftplusSqrtILi4ELi4ELi4ELi8ELi32ELb1El6__halfEEvPKT6_PKbPfiPT5_PiiiibdPKfPKS9_SF_,"axG",@progbits,_ZN4vllm3moe22topkGatingSoftplusSqrtILi4ELi4ELi4ELi8ELi32ELb1El6__halfEEvPKT6_PKbPfiPT5_PiiiibdPKfPKS9_SF_,comdat
.Lfunc_end310:
	.size	_ZN4vllm3moe22topkGatingSoftplusSqrtILi4ELi4ELi4ELi8ELi32ELb1El6__halfEEvPKT6_PKbPfiPT5_PiiiibdPKfPKS9_SF_, .Lfunc_end310-_ZN4vllm3moe22topkGatingSoftplusSqrtILi4ELi4ELi4ELi8ELi32ELb1El6__halfEEvPKT6_PKbPfiPT5_PiiiibdPKfPKS9_SF_
                                        ; -- End function
	.section	.AMDGPU.csdata,"",@progbits
; Kernel info:
; codeLenInByte = 2996
; NumSgprs: 27
; NumVgprs: 24
; NumAgprs: 0
; TotalNumVgprs: 24
; ScratchSize: 0
; MemoryBound: 0
; FloatMode: 240
; IeeeMode: 1
; LDSByteSize: 0 bytes/workgroup (compile time only)
; SGPRBlocks: 3
; VGPRBlocks: 2
; NumSGPRsForWavesPerEU: 27
; NumVGPRsForWavesPerEU: 24
; AccumOffset: 24
; Occupancy: 8
; WaveLimiterHint : 1
; COMPUTE_PGM_RSRC2:SCRATCH_EN: 0
; COMPUTE_PGM_RSRC2:USER_SGPR: 2
; COMPUTE_PGM_RSRC2:TRAP_HANDLER: 0
; COMPUTE_PGM_RSRC2:TGID_X_EN: 1
; COMPUTE_PGM_RSRC2:TGID_Y_EN: 0
; COMPUTE_PGM_RSRC2:TGID_Z_EN: 0
; COMPUTE_PGM_RSRC2:TIDIG_COMP_CNT: 1
; COMPUTE_PGM_RSRC3_GFX90A:ACCUM_OFFSET: 5
; COMPUTE_PGM_RSRC3_GFX90A:TG_SPLIT: 0
	.section	.text._ZN4vllm3moe22topkGatingSoftplusSqrtILi4ELi4ELi4ELi8ELi32ELb0El6__halfEEvPKT6_PKbPfiPT5_PiiiibdPKfPKS9_SF_,"axG",@progbits,_ZN4vllm3moe22topkGatingSoftplusSqrtILi4ELi4ELi4ELi8ELi32ELb0El6__halfEEvPKT6_PKbPfiPT5_PiiiibdPKfPKS9_SF_,comdat
	.protected	_ZN4vllm3moe22topkGatingSoftplusSqrtILi4ELi4ELi4ELi8ELi32ELb0El6__halfEEvPKT6_PKbPfiPT5_PiiiibdPKfPKS9_SF_ ; -- Begin function _ZN4vllm3moe22topkGatingSoftplusSqrtILi4ELi4ELi4ELi8ELi32ELb0El6__halfEEvPKT6_PKbPfiPT5_PiiiibdPKfPKS9_SF_
	.globl	_ZN4vllm3moe22topkGatingSoftplusSqrtILi4ELi4ELi4ELi8ELi32ELb0El6__halfEEvPKT6_PKbPfiPT5_PiiiibdPKfPKS9_SF_
	.p2align	8
	.type	_ZN4vllm3moe22topkGatingSoftplusSqrtILi4ELi4ELi4ELi8ELi32ELb0El6__halfEEvPKT6_PKbPfiPT5_PiiiibdPKfPKS9_SF_,@function
_ZN4vllm3moe22topkGatingSoftplusSqrtILi4ELi4ELi4ELi8ELi32ELb0El6__halfEEvPKT6_PKbPfiPT5_PiiiibdPKfPKS9_SF_: ; @_ZN4vllm3moe22topkGatingSoftplusSqrtILi4ELi4ELi4ELi8ELi32ELb0El6__halfEEvPKT6_PKbPfiPT5_PiiiibdPKfPKS9_SF_
; %bb.0:
	s_load_dword s24, s[0:1], 0x18
	v_bfe_u32 v1, v0, 10, 10
	s_lshl_b32 s2, s2, 7
	v_lshlrev_b32_e32 v1, 5, v1
	v_and_b32_e32 v0, 0x3ff, v0
	v_add3_u32 v4, v1, v0, s2
	s_waitcnt lgkmcnt(0)
	v_cmp_gt_i32_e32 vcc, s24, v4
	s_and_saveexec_b64 s[2:3], vcc
	s_cbranch_execz .LBB311_32
; %bb.1:
	s_load_dwordx4 s[4:7], s[0:1], 0x0
	s_load_dwordx2 s[20:21], s[0:1], 0x10
	s_waitcnt lgkmcnt(0)
	s_cmp_eq_u64 s[6:7], 0
	s_cbranch_scc1 .LBB311_3
; %bb.2:
	v_ashrrev_i32_e32 v5, 31, v4
	v_lshl_add_u64 v[0:1], s[6:7], 0, v[4:5]
	global_load_ubyte v0, v[0:1], off
	s_waitcnt vmcnt(0)
	v_and_b32_e32 v0, 1, v0
	v_cmp_eq_u32_e32 vcc, 1, v0
	s_xor_b64 s[2:3], vcc, -1
	s_orn2_b64 s[22:23], s[2:3], exec
	s_branch .LBB311_4
.LBB311_3:
	s_mov_b64 s[22:23], -1
.LBB311_4:
	v_lshlrev_b32_e32 v2, 2, v4
	v_mov_b32_e32 v0, s4
	v_mov_b32_e32 v1, s5
	v_ashrrev_i32_e32 v3, 31, v2
	v_lshl_add_u64 v[0:1], v[2:3], 1, v[0:1]
	global_load_dwordx2 v[2:3], v[0:1], off
	s_mov_b32 s15, 0x800000
	v_mov_b32_e32 v5, 0x4f800000
	s_mov_b32 s13, 0x3f317217
	s_mov_b32 s14, 0x7f800000
	v_mov_b32_e32 v6, 0x41b17218
	s_movk_i32 s12, 0x4d00
	s_mov_b32 s16, 0xf800000
	s_load_dwordx4 s[8:11], s[0:1], 0x40
	s_waitcnt lgkmcnt(0)
	s_cmp_lg_u64 s[10:11], 0
	s_cselect_b64 s[6:7], -1, 0
	s_and_b64 s[2:3], exec, s[6:7]
	s_waitcnt vmcnt(0)
	v_cvt_f32_f16_e32 v0, v2
	v_mul_f32_e32 v1, 0x3fb8aa3b, v0
	v_exp_f32_e32 v1, v1
	s_nop 0
	v_add_f32_e32 v1, 1.0, v1
	v_cmp_gt_f32_e32 vcc, s15, v1
	s_nop 1
	v_cndmask_b32_e32 v7, 1.0, v5, vcc
	v_mul_f32_e32 v1, v1, v7
	v_log_f32_e32 v7, v1
	v_cndmask_b32_e32 v8, 0, v6, vcc
	v_mov_b32_e32 v1, 0x260
	v_mul_f32_e32 v9, 0x3f317217, v7
	v_fma_f32 v9, v7, s13, -v9
	v_fmac_f32_e32 v9, 0x3377d1cf, v7
	v_fmac_f32_e32 v9, 0x3f317217, v7
	v_cmp_lt_f32_e64 vcc, |v7|, s14
	s_nop 1
	v_cndmask_b32_e32 v7, v7, v9, vcc
	v_sub_f32_e32 v7, v7, v8
	v_cmp_lt_f16_e32 vcc, s12, v2
	s_nop 1
	v_cndmask_b32_e32 v0, v7, v0, vcc
	v_mul_f32_e32 v7, 0x4f800000, v0
	v_cmp_gt_f32_e32 vcc, s16, v0
	s_nop 1
	v_cndmask_b32_e32 v0, v0, v7, vcc
	v_sqrt_f32_e32 v7, v0
	s_nop 0
	v_add_u32_e32 v8, -1, v7
	v_add_u32_e32 v9, 1, v7
	v_fma_f32 v10, -v8, v7, v0
	v_fma_f32 v11, -v9, v7, v0
	v_cmp_ge_f32_e64 s[4:5], 0, v10
	s_nop 1
	v_cndmask_b32_e64 v7, v7, v8, s[4:5]
	v_cmp_lt_f32_e64 s[4:5], 0, v11
	s_nop 1
	v_cndmask_b32_e64 v7, v7, v9, s[4:5]
	v_mul_f32_e32 v8, 0x37800000, v7
	v_cndmask_b32_e32 v7, v7, v8, vcc
	v_cmp_class_f32_e32 vcc, v0, v1
	s_nop 1
	v_cndmask_b32_e32 v0, v7, v0, vcc
	s_mov_b64 vcc, s[2:3]
	s_cbranch_vccz .LBB311_6
; %bb.5:
	s_load_dword s2, s[10:11], 0x0
	s_waitcnt lgkmcnt(0)
	v_add_f32_e32 v0, s2, v0
.LBB311_6:
	v_cvt_f32_f16_sdwa v7, v2 dst_sel:DWORD dst_unused:UNUSED_PAD src0_sel:WORD_1
	v_mul_f32_e32 v8, 0x3fb8aa3b, v7
	v_exp_f32_e32 v8, v8
	s_nop 0
	v_add_f32_e32 v8, 1.0, v8
	v_cmp_gt_f32_e32 vcc, s15, v8
	s_nop 1
	v_cndmask_b32_e32 v5, 1.0, v5, vcc
	v_mul_f32_e32 v5, v8, v5
	v_log_f32_e32 v5, v5
	v_cndmask_b32_e32 v6, 0, v6, vcc
	v_mul_f32_e32 v8, 0x3f317217, v5
	v_fma_f32 v8, v5, s13, -v8
	v_fmac_f32_e32 v8, 0x3377d1cf, v5
	v_fmac_f32_e32 v8, 0x3f317217, v5
	v_cmp_lt_f32_e64 vcc, |v5|, s14
	s_nop 1
	v_cndmask_b32_e32 v5, v5, v8, vcc
	v_sub_f32_e32 v5, v5, v6
	v_cmp_gt_f16_sdwa vcc, v2, s12 src0_sel:WORD_1 src1_sel:DWORD
	v_cndmask_b32_e64 v6, 0, 1, s[6:7]
	v_cmp_ne_u32_e64 s[2:3], 1, v6
	v_cndmask_b32_e32 v2, v5, v7, vcc
	v_mul_f32_e32 v5, 0x4f800000, v2
	v_cmp_gt_f32_e64 s[4:5], s16, v2
	s_andn2_b64 vcc, exec, s[6:7]
	s_nop 0
	v_cndmask_b32_e64 v2, v2, v5, s[4:5]
	v_sqrt_f32_e32 v5, v2
	s_nop 0
	v_add_u32_e32 v6, -1, v5
	v_add_u32_e32 v7, 1, v5
	v_fma_f32 v8, -v6, v5, v2
	v_fma_f32 v9, -v7, v5, v2
	v_cmp_ge_f32_e64 s[6:7], 0, v8
	s_nop 1
	v_cndmask_b32_e64 v5, v5, v6, s[6:7]
	v_cmp_lt_f32_e64 s[6:7], 0, v9
	s_nop 1
	v_cndmask_b32_e64 v5, v5, v7, s[6:7]
	v_mul_f32_e32 v6, 0x37800000, v5
	v_cndmask_b32_e64 v5, v5, v6, s[4:5]
	v_cmp_class_f32_e64 s[4:5], v2, v1
	s_nop 1
	v_cndmask_b32_e64 v1, v5, v2, s[4:5]
	s_cbranch_vccnz .LBB311_8
; %bb.7:
	s_load_dword s4, s[10:11], 0x4
	s_waitcnt lgkmcnt(0)
	v_add_f32_e32 v1, s4, v1
.LBB311_8:
	v_cvt_f32_f16_e32 v2, v3
	s_mov_b32 s12, 0x800000
	v_mov_b32_e32 v6, 0x4f800000
	s_mov_b32 s7, 0x3f317217
	v_mul_f32_e32 v5, 0x3fb8aa3b, v2
	v_exp_f32_e32 v5, v5
	s_mov_b32 s13, 0x7f800000
	s_movk_i32 s6, 0x4d00
	s_mov_b32 s14, 0xf800000
	v_add_f32_e32 v5, 1.0, v5
	v_cmp_gt_f32_e32 vcc, s12, v5
	s_nop 1
	v_cndmask_b32_e32 v7, 1.0, v6, vcc
	v_mul_f32_e32 v5, v5, v7
	v_log_f32_e32 v5, v5
	v_mov_b32_e32 v7, 0x41b17218
	v_cndmask_b32_e32 v8, 0, v7, vcc
	v_mul_f32_e32 v9, 0x3f317217, v5
	v_fma_f32 v9, v5, s7, -v9
	v_fmac_f32_e32 v9, 0x3377d1cf, v5
	v_fmac_f32_e32 v9, 0x3f317217, v5
	v_cmp_lt_f32_e64 vcc, |v5|, s13
	s_nop 1
	v_cndmask_b32_e32 v5, v5, v9, vcc
	v_sub_f32_e32 v5, v5, v8
	v_cmp_lt_f16_e32 vcc, s6, v3
	s_nop 1
	v_cndmask_b32_e32 v2, v5, v2, vcc
	v_mul_f32_e32 v5, 0x4f800000, v2
	v_cmp_gt_f32_e32 vcc, s14, v2
	s_nop 1
	v_cndmask_b32_e32 v2, v2, v5, vcc
	v_sqrt_f32_e32 v5, v2
	s_nop 0
	v_add_u32_e32 v8, -1, v5
	v_fma_f32 v9, -v8, v5, v2
	v_cmp_ge_f32_e64 s[4:5], 0, v9
	v_add_u32_e32 v9, 1, v5
	s_nop 0
	v_cndmask_b32_e64 v8, v5, v8, s[4:5]
	v_fma_f32 v5, -v9, v5, v2
	v_cmp_lt_f32_e64 s[4:5], 0, v5
	s_nop 1
	v_cndmask_b32_e64 v5, v8, v9, s[4:5]
	v_mul_f32_e32 v8, 0x37800000, v5
	v_cndmask_b32_e32 v8, v5, v8, vcc
	v_mov_b32_e32 v5, 0x260
	v_cmp_class_f32_e64 s[4:5], v2, v5
	s_and_b64 vcc, exec, s[2:3]
	s_nop 0
	v_cndmask_b32_e64 v2, v8, v2, s[4:5]
	s_cbranch_vccnz .LBB311_10
; %bb.9:
	s_load_dword s4, s[10:11], 0x8
	s_waitcnt lgkmcnt(0)
	v_add_f32_e32 v2, s4, v2
.LBB311_10:
	v_cvt_f32_f16_sdwa v8, v3 dst_sel:DWORD dst_unused:UNUSED_PAD src0_sel:WORD_1
	v_mul_f32_e32 v9, 0x3fb8aa3b, v8
	v_exp_f32_e32 v9, v9
	s_nop 0
	v_add_f32_e32 v9, 1.0, v9
	v_cmp_gt_f32_e32 vcc, s12, v9
	s_nop 1
	v_cndmask_b32_e32 v6, 1.0, v6, vcc
	v_mul_f32_e32 v6, v9, v6
	v_log_f32_e32 v6, v6
	v_cndmask_b32_e32 v7, 0, v7, vcc
	v_mul_f32_e32 v9, 0x3f317217, v6
	v_fma_f32 v9, v6, s7, -v9
	v_fmac_f32_e32 v9, 0x3377d1cf, v6
	v_fmac_f32_e32 v9, 0x3f317217, v6
	v_cmp_lt_f32_e64 vcc, |v6|, s13
	s_nop 1
	v_cndmask_b32_e32 v6, v6, v9, vcc
	v_sub_f32_e32 v6, v6, v7
	v_cmp_gt_f16_sdwa vcc, v3, s6 src0_sel:WORD_1 src1_sel:DWORD
	s_nop 1
	v_cndmask_b32_e32 v3, v6, v8, vcc
	v_mul_f32_e32 v6, 0x4f800000, v3
	v_cmp_gt_f32_e64 s[4:5], s14, v3
	s_and_b64 vcc, exec, s[2:3]
	s_nop 0
	v_cndmask_b32_e64 v3, v3, v6, s[4:5]
	v_sqrt_f32_e32 v6, v3
	s_nop 0
	v_add_u32_e32 v7, -1, v6
	v_add_u32_e32 v8, 1, v6
	v_fma_f32 v9, -v7, v6, v3
	v_fma_f32 v10, -v8, v6, v3
	v_cmp_ge_f32_e64 s[6:7], 0, v9
	s_nop 1
	v_cndmask_b32_e64 v6, v6, v7, s[6:7]
	v_cmp_lt_f32_e64 s[6:7], 0, v10
	s_nop 1
	v_cndmask_b32_e64 v6, v6, v8, s[6:7]
	v_mul_f32_e32 v7, 0x37800000, v6
	v_cndmask_b32_e64 v6, v6, v7, s[4:5]
	v_cmp_class_f32_e64 s[4:5], v3, v5
	s_nop 1
	v_cndmask_b32_e64 v3, v6, v3, s[4:5]
	s_cbranch_vccnz .LBB311_12
; %bb.11:
	s_load_dword s4, s[10:11], 0xc
	s_waitcnt lgkmcnt(0)
	v_add_f32_e32 v3, s4, v3
.LBB311_12:
	s_load_dwordx4 s[12:15], s[0:1], 0x30
	s_mov_b32 s25, 0
	s_waitcnt lgkmcnt(0)
	s_bitcmp1_b32 s15, 0
	s_cselect_b64 s[4:5], -1, 0
	s_cmp_gt_i32 s12, 0
	s_cselect_b64 s[6:7], -1, 0
	s_and_b64 vcc, exec, s[6:7]
	v_mul_lo_u32 v6, v4, s12
	s_cbranch_vccz .LBB311_19
; %bb.13:
	s_load_dwordx4 s[16:19], s[0:1], 0x20
	v_mov_b32_e32 v5, 0
	v_mov_b32_e32 v7, 0xc61c4000
	s_branch .LBB311_15
.LBB311_14:                             ;   in Loop: Header=BB311_15 Depth=1
	v_add_f32_e32 v8, v5, v8
	v_cndmask_b32_e64 v5, v5, v8, s[4:5]
	s_cmp_lg_u32 s12, s25
	v_add_u32_e32 v4, s24, v4
	s_cbranch_scc0 .LBB311_20
.LBB311_15:                             ; =>This Inner Loop Header: Depth=1
	v_cmp_gt_f32_e32 vcc, v1, v0
	s_nop 1
	v_cndmask_b32_e32 v9, v0, v1, vcc
	v_cndmask_b32_e64 v8, 0, 1, vcc
	v_cmp_gt_f32_e32 vcc, v2, v9
	s_nop 1
	v_cndmask_b32_e32 v10, v9, v2, vcc
	v_cndmask_b32_e64 v8, v8, 2, vcc
	v_cmp_gt_f32_e64 s[0:1], v3, v10
	s_and_b64 vcc, exec, s[2:3]
	s_nop 0
	v_cndmask_b32_e64 v9, v8, 3, s[0:1]
	v_cndmask_b32_e64 v8, v10, v3, s[0:1]
	s_cbranch_vccnz .LBB311_17
; %bb.16:                               ;   in Loop: Header=BB311_15 Depth=1
	v_lshlrev_b32_e32 v10, 2, v9
	global_load_dword v10, v10, s[10:11]
	s_waitcnt vmcnt(0)
	v_sub_f32_e32 v8, v8, v10
.LBB311_17:                             ;   in Loop: Header=BB311_15 Depth=1
	v_add_u32_e32 v10, s25, v6
	v_ashrrev_i32_e32 v11, 31, v10
	v_lshlrev_b64 v[12:13], 2, v[10:11]
	v_cmp_le_i32_e32 vcc, s13, v9
	v_cmp_gt_i32_e64 s[0:1], s14, v9
	v_lshl_add_u64 v[14:15], s[20:21], 0, v[12:13]
	s_and_b64 s[0:1], vcc, s[0:1]
	global_store_dword v[14:15], v8, off
	v_subrev_u32_e32 v14, s13, v9
	v_ashrrev_i32_e32 v15, 31, v14
	s_and_b64 vcc, s[22:23], s[0:1]
	v_cndmask_b32_e32 v15, 0, v15, vcc
	v_cndmask_b32_e32 v14, 4, v14, vcc
	s_waitcnt lgkmcnt(0)
	v_lshl_add_u64 v[10:11], v[10:11], 3, s[16:17]
	s_add_i32 s25, s25, 1
	global_store_dwordx2 v[10:11], v[14:15], off
	v_lshl_add_u64 v[10:11], s[18:19], 0, v[12:13]
	s_cmp_ge_i32 s25, s12
	global_store_dword v[10:11], v4, off
	s_cbranch_scc1 .LBB311_14
; %bb.18:                               ;   in Loop: Header=BB311_15 Depth=1
	v_cmp_ne_u32_e32 vcc, 3, v9
	s_nop 1
	v_cndmask_b32_e32 v3, v7, v3, vcc
	v_cmp_ne_u32_e32 vcc, 2, v9
	s_nop 1
	v_cndmask_b32_e32 v2, v7, v2, vcc
	v_cmp_ne_u32_e32 vcc, 1, v9
	s_nop 1
	v_cndmask_b32_e32 v1, v7, v1, vcc
	v_cmp_ne_u32_e32 vcc, 0, v9
	s_nop 1
	v_cndmask_b32_e32 v0, v7, v0, vcc
	s_branch .LBB311_14
.LBB311_19:
	v_mov_b32_e32 v5, 0
.LBB311_20:
	s_andn2_b64 vcc, exec, s[4:5]
	v_cvt_f32_f64_e32 v0, s[8:9]
	s_cbranch_vccnz .LBB311_22
; %bb.21:
	v_cmp_lt_f32_e32 vcc, 0, v5
	s_nop 1
	v_cndmask_b32_e32 v1, 1.0, v5, vcc
	v_div_scale_f32 v2, s[0:1], v1, v1, v0
	v_rcp_f32_e32 v3, v2
	s_nop 0
	v_fma_f32 v4, -v2, v3, 1.0
	v_fmac_f32_e32 v3, v4, v3
	v_div_scale_f32 v4, vcc, v0, v1, v0
	v_mul_f32_e32 v5, v4, v3
	v_fma_f32 v7, -v2, v5, v4
	v_fmac_f32_e32 v5, v7, v3
	v_fma_f32 v2, -v2, v5, v4
	v_div_fmas_f32 v2, v2, v3, v5
	v_div_fixup_f32 v0, v2, v1, v0
.LBB311_22:
	s_andn2_b64 vcc, exec, s[6:7]
	s_cbranch_vccnz .LBB311_32
; %bb.23:
	s_cmp_gt_u32 s12, 3
	v_ashrrev_i32_e32 v7, 31, v6
	s_cbranch_scc0 .LBB311_27
; %bb.24:
	s_and_b32 s0, s12, 0x7ffffffc
	v_lshl_add_u64 v[2:3], v[6:7], 2, s[20:21]
	v_mov_b32_e32 v1, v0
	v_lshl_add_u64 v[2:3], v[2:3], 0, 8
	s_mov_b32 s1, s0
.LBB311_25:                             ; =>This Inner Loop Header: Depth=1
	global_load_dwordx4 v[8:11], v[2:3], off offset:-8
	s_add_i32 s1, s1, -4
	s_cmp_lg_u32 s1, 0
	s_waitcnt vmcnt(0)
	v_pk_mul_f32 v[8:9], v[0:1], v[8:9]
	v_pk_mul_f32 v[10:11], v[0:1], v[10:11]
	global_store_dwordx4 v[2:3], v[8:11], off offset:-8
	v_lshl_add_u64 v[2:3], v[2:3], 0, 16
	s_cbranch_scc1 .LBB311_25
; %bb.26:
	s_cmp_lg_u32 s0, s12
	s_cselect_b64 s[2:3], -1, 0
	s_branch .LBB311_29
.LBB311_27:
	s_mov_b64 s[2:3], 0
                                        ; implicit-def: $sgpr0
	s_cbranch_execz .LBB311_29
; %bb.28:
	s_mov_b64 s[2:3], -1
	s_mov_b32 s0, 0
.LBB311_29:
	s_andn2_b64 vcc, exec, s[2:3]
	s_cbranch_vccnz .LBB311_32
; %bb.30:
	s_mov_b32 s1, 0
	v_lshl_add_u64 v[2:3], v[6:7], 0, s[0:1]
	s_sub_i32 s2, s12, s0
	v_lshl_add_u64 v[2:3], v[2:3], 2, s[20:21]
.LBB311_31:                             ; =>This Inner Loop Header: Depth=1
	global_load_dword v1, v[2:3], off
	s_add_i32 s2, s2, -1
	s_cmp_lg_u32 s2, 0
	s_waitcnt vmcnt(0)
	v_mul_f32_e32 v1, v0, v1
	global_store_dword v[2:3], v1, off
	v_lshl_add_u64 v[2:3], v[2:3], 0, 4
	s_cbranch_scc1 .LBB311_31
.LBB311_32:
	s_endpgm
	.section	.rodata,"a",@progbits
	.p2align	6, 0x0
	.amdhsa_kernel _ZN4vllm3moe22topkGatingSoftplusSqrtILi4ELi4ELi4ELi8ELi32ELb0El6__halfEEvPKT6_PKbPfiPT5_PiiiibdPKfPKS9_SF_
		.amdhsa_group_segment_fixed_size 0
		.amdhsa_private_segment_fixed_size 0
		.amdhsa_kernarg_size 96
		.amdhsa_user_sgpr_count 2
		.amdhsa_user_sgpr_dispatch_ptr 0
		.amdhsa_user_sgpr_queue_ptr 0
		.amdhsa_user_sgpr_kernarg_segment_ptr 1
		.amdhsa_user_sgpr_dispatch_id 0
		.amdhsa_user_sgpr_kernarg_preload_length 0
		.amdhsa_user_sgpr_kernarg_preload_offset 0
		.amdhsa_user_sgpr_private_segment_size 0
		.amdhsa_uses_dynamic_stack 0
		.amdhsa_enable_private_segment 0
		.amdhsa_system_sgpr_workgroup_id_x 1
		.amdhsa_system_sgpr_workgroup_id_y 0
		.amdhsa_system_sgpr_workgroup_id_z 0
		.amdhsa_system_sgpr_workgroup_info 0
		.amdhsa_system_vgpr_workitem_id 1
		.amdhsa_next_free_vgpr 16
		.amdhsa_next_free_sgpr 26
		.amdhsa_accum_offset 16
		.amdhsa_reserve_vcc 1
		.amdhsa_float_round_mode_32 0
		.amdhsa_float_round_mode_16_64 0
		.amdhsa_float_denorm_mode_32 3
		.amdhsa_float_denorm_mode_16_64 3
		.amdhsa_dx10_clamp 1
		.amdhsa_ieee_mode 1
		.amdhsa_fp16_overflow 0
		.amdhsa_tg_split 0
		.amdhsa_exception_fp_ieee_invalid_op 0
		.amdhsa_exception_fp_denorm_src 0
		.amdhsa_exception_fp_ieee_div_zero 0
		.amdhsa_exception_fp_ieee_overflow 0
		.amdhsa_exception_fp_ieee_underflow 0
		.amdhsa_exception_fp_ieee_inexact 0
		.amdhsa_exception_int_div_zero 0
	.end_amdhsa_kernel
	.section	.text._ZN4vllm3moe22topkGatingSoftplusSqrtILi4ELi4ELi4ELi8ELi32ELb0El6__halfEEvPKT6_PKbPfiPT5_PiiiibdPKfPKS9_SF_,"axG",@progbits,_ZN4vllm3moe22topkGatingSoftplusSqrtILi4ELi4ELi4ELi8ELi32ELb0El6__halfEEvPKT6_PKbPfiPT5_PiiiibdPKfPKS9_SF_,comdat
.Lfunc_end311:
	.size	_ZN4vllm3moe22topkGatingSoftplusSqrtILi4ELi4ELi4ELi8ELi32ELb0El6__halfEEvPKT6_PKbPfiPT5_PiiiibdPKfPKS9_SF_, .Lfunc_end311-_ZN4vllm3moe22topkGatingSoftplusSqrtILi4ELi4ELi4ELi8ELi32ELb0El6__halfEEvPKT6_PKbPfiPT5_PiiiibdPKfPKS9_SF_
                                        ; -- End function
	.section	.AMDGPU.csdata,"",@progbits
; Kernel info:
; codeLenInByte = 2072
; NumSgprs: 32
; NumVgprs: 16
; NumAgprs: 0
; TotalNumVgprs: 16
; ScratchSize: 0
; MemoryBound: 0
; FloatMode: 240
; IeeeMode: 1
; LDSByteSize: 0 bytes/workgroup (compile time only)
; SGPRBlocks: 3
; VGPRBlocks: 1
; NumSGPRsForWavesPerEU: 32
; NumVGPRsForWavesPerEU: 16
; AccumOffset: 16
; Occupancy: 8
; WaveLimiterHint : 0
; COMPUTE_PGM_RSRC2:SCRATCH_EN: 0
; COMPUTE_PGM_RSRC2:USER_SGPR: 2
; COMPUTE_PGM_RSRC2:TRAP_HANDLER: 0
; COMPUTE_PGM_RSRC2:TGID_X_EN: 1
; COMPUTE_PGM_RSRC2:TGID_Y_EN: 0
; COMPUTE_PGM_RSRC2:TGID_Z_EN: 0
; COMPUTE_PGM_RSRC2:TIDIG_COMP_CNT: 1
; COMPUTE_PGM_RSRC3_GFX90A:ACCUM_OFFSET: 3
; COMPUTE_PGM_RSRC3_GFX90A:TG_SPLIT: 0
	.section	.text._ZN4vllm3moe22topkGatingSoftplusSqrtILi8ELi8ELi4ELi16ELi64ELb1El6__halfEEvPKT6_PKbPfiPT5_PiiiibdPKfPKS9_SF_,"axG",@progbits,_ZN4vllm3moe22topkGatingSoftplusSqrtILi8ELi8ELi4ELi16ELi64ELb1El6__halfEEvPKT6_PKbPfiPT5_PiiiibdPKfPKS9_SF_,comdat
	.protected	_ZN4vllm3moe22topkGatingSoftplusSqrtILi8ELi8ELi4ELi16ELi64ELb1El6__halfEEvPKT6_PKbPfiPT5_PiiiibdPKfPKS9_SF_ ; -- Begin function _ZN4vllm3moe22topkGatingSoftplusSqrtILi8ELi8ELi4ELi16ELi64ELb1El6__halfEEvPKT6_PKbPfiPT5_PiiiibdPKfPKS9_SF_
	.globl	_ZN4vllm3moe22topkGatingSoftplusSqrtILi8ELi8ELi4ELi16ELi64ELb1El6__halfEEvPKT6_PKbPfiPT5_PiiiibdPKfPKS9_SF_
	.p2align	8
	.type	_ZN4vllm3moe22topkGatingSoftplusSqrtILi8ELi8ELi4ELi16ELi64ELb1El6__halfEEvPKT6_PKbPfiPT5_PiiiibdPKfPKS9_SF_,@function
_ZN4vllm3moe22topkGatingSoftplusSqrtILi8ELi8ELi4ELi16ELi64ELb1El6__halfEEvPKT6_PKbPfiPT5_PiiiibdPKfPKS9_SF_: ; @_ZN4vllm3moe22topkGatingSoftplusSqrtILi8ELi8ELi4ELi16ELi64ELb1El6__halfEEvPKT6_PKbPfiPT5_PiiiibdPKfPKS9_SF_
; %bb.0:
	s_load_dword s3, s[0:1], 0x18
	v_bfe_u32 v1, v0, 10, 10
	s_lshl_b32 s2, s2, 8
	v_lshlrev_b32_e32 v1, 6, v1
	v_and_b32_e32 v0, 0x3ff, v0
	v_add3_u32 v6, v1, v0, s2
	s_waitcnt lgkmcnt(0)
	v_cmp_gt_i32_e32 vcc, s3, v6
	s_and_saveexec_b64 s[2:3], vcc
	s_cbranch_execz .LBB312_56
; %bb.1:
	s_load_dwordx4 s[8:11], s[0:1], 0x50
	s_load_dwordx2 s[2:3], s[0:1], 0x0
	s_load_dword s12, s[0:1], 0x30
	v_lshlrev_b32_e32 v0, 3, v6
	v_ashrrev_i32_e32 v1, 31, v0
	s_waitcnt lgkmcnt(0)
	v_mov_b32_e32 v4, s8
	v_lshl_add_u64 v[0:1], v[0:1], 1, s[2:3]
	global_load_dwordx4 v[0:3], v[0:1], off
	v_mov_b32_e32 v5, s9
	v_ashrrev_i32_e32 v7, 31, v6
	v_lshl_add_u64 v[4:5], v[6:7], 3, v[4:5]
	global_load_dwordx2 v[4:5], v[4:5], off
	s_mov_b32 s21, 0x800000
	s_ashr_i32 s13, s12, 31
	v_mov_b32_e32 v7, 0x4f800000
	s_mov_b32 s19, 0x3f317217
	s_mov_b32 s20, 0x7f800000
	v_mov_b32_e32 v19, 0x41b17218
	s_movk_i32 s15, 0x4d00
	s_mov_b32 s18, 0xf800000
	v_mov_b32_e32 v20, 0x260
	v_cmp_lt_i64_e64 s[16:17], s[12:13], 1
	s_mov_b32 s14, 0
	v_mov_b32_e32 v18, 0
	v_cmp_gt_i64_e64 s[8:9], s[12:13], 0
	s_waitcnt vmcnt(1)
	v_cvt_f32_f16_sdwa v12, v0 dst_sel:DWORD dst_unused:UNUSED_PAD src0_sel:WORD_1
	v_cvt_f32_f16_e32 v13, v0
	v_cvt_f32_f16_sdwa v14, v1 dst_sel:DWORD dst_unused:UNUSED_PAD src0_sel:WORD_1
	v_cvt_f32_f16_e32 v15, v1
	s_waitcnt vmcnt(0)
	v_mul_lo_u32 v16, v5, s12
	v_mul_f32_e32 v5, 0x3fb8aa3b, v13
	v_mul_f32_e32 v9, 0x3fb8aa3b, v12
	v_exp_f32_e32 v8, v5
	v_exp_f32_e32 v9, v9
	v_mul_f32_e32 v10, 0x3fb8aa3b, v15
	v_mul_f32_e32 v11, 0x3fb8aa3b, v14
	v_exp_f32_e32 v10, v10
	v_exp_f32_e32 v11, v11
	v_pk_add_f32 v[8:9], v[8:9], 1.0 op_sel_hi:[1,0]
	v_mul_lo_u32 v17, v4, s13
	v_mad_u64_u32 v[4:5], s[2:3], v4, s12, 0
	v_cmp_gt_f32_e32 vcc, s21, v9
	v_add3_u32 v5, v5, v17, v16
	v_pk_add_f32 v[10:11], v[10:11], 1.0 op_sel_hi:[1,0]
	v_cndmask_b32_e32 v16, 1.0, v7, vcc
	v_cmp_gt_f32_e64 s[2:3], s21, v8
	v_cmp_gt_f32_e64 s[4:5], s21, v11
	v_mul_f32_e32 v9, v9, v16
	v_cndmask_b32_e64 v17, 1.0, v7, s[2:3]
	v_cndmask_b32_e64 v21, 1.0, v7, s[4:5]
	v_mul_f32_e32 v8, v8, v17
	v_log_f32_e32 v9, v9
	v_mul_f32_e32 v11, v11, v21
	v_log_f32_e32 v8, v8
	v_cmp_gt_f32_e64 s[6:7], s21, v10
	v_log_f32_e32 v11, v11
	v_cndmask_b32_e32 v16, 0, v19, vcc
	v_cndmask_b32_e64 v22, 1.0, v7, s[6:7]
	v_mul_f32_e32 v10, v10, v22
	v_mul_f32_e32 v22, 0x3f317217, v9
	;; [unrolled: 1-line block ×3, first 2 shown]
	v_fma_f32 v22, v9, s19, -v22
	v_mul_f32_e32 v24, 0x3f317217, v11
	v_fma_f32 v23, v8, s19, -v23
	v_fmac_f32_e32 v22, 0x3377d1cf, v9
	v_fma_f32 v24, v11, s19, -v24
	v_fmac_f32_e32 v23, 0x3377d1cf, v8
	v_fmac_f32_e32 v22, 0x3f317217, v9
	v_cmp_lt_f32_e64 vcc, |v9|, s20
	v_fmac_f32_e32 v24, 0x3377d1cf, v11
	v_fmac_f32_e32 v23, 0x3f317217, v8
	v_cndmask_b32_e32 v9, v9, v22, vcc
	v_cmp_lt_f32_e64 vcc, |v8|, s20
	v_cndmask_b32_e64 v17, 0, v19, s[2:3]
	v_fmac_f32_e32 v24, 0x3f317217, v11
	v_cndmask_b32_e32 v8, v8, v23, vcc
	v_cmp_lt_f32_e64 vcc, |v11|, s20
	v_sub_f32_e32 v8, v8, v17
	v_sub_f32_e32 v9, v9, v16
	v_cndmask_b32_e32 v11, v11, v24, vcc
	v_cmp_lt_f16_e32 vcc, s15, v0
	v_cndmask_b32_e64 v21, 0, v19, s[4:5]
	v_log_f32_e32 v10, v10
	v_cndmask_b32_e32 v8, v8, v13, vcc
	v_cmp_gt_f16_sdwa vcc, v0, s15 src0_sel:WORD_1 src1_sel:DWORD
	v_cmp_gt_f32_e64 s[2:3], s18, v8
	v_sub_f32_e32 v11, v11, v21
	v_cndmask_b32_e32 v0, v9, v12, vcc
	v_mul_f32_e32 v9, 0x4f800000, v0
	v_cmp_gt_f32_e32 vcc, s18, v0
	v_mul_f32_e32 v12, 0x4f800000, v8
	v_cndmask_b32_e64 v8, v8, v12, s[2:3]
	v_cndmask_b32_e32 v0, v0, v9, vcc
	v_sqrt_f32_e32 v9, v0
	v_sqrt_f32_e32 v12, v8
	v_mul_f32_e32 v25, 0x3f317217, v10
	v_fma_f32 v25, v10, s19, -v25
	v_add_u32_e32 v13, -1, v9
	v_add_u32_e32 v17, -1, v12
	v_fma_f32 v22, -v13, v9, v0
	v_add_u32_e32 v16, 1, v9
	v_fma_f32 v24, -v17, v12, v8
	v_cmp_ge_f32_e64 s[4:5], 0, v22
	v_add_u32_e32 v21, 1, v12
	v_fma_f32 v23, -v16, v9, v0
	v_cndmask_b32_e64 v9, v9, v13, s[4:5]
	v_cmp_ge_f32_e64 s[4:5], 0, v24
	v_fma_f32 v26, -v21, v12, v8
	v_fmac_f32_e32 v25, 0x3377d1cf, v10
	v_cndmask_b32_e64 v12, v12, v17, s[4:5]
	v_cmp_lt_f32_e64 s[4:5], 0, v23
	v_fmac_f32_e32 v25, 0x3f317217, v10
	s_nop 0
	v_cndmask_b32_e64 v9, v9, v16, s[4:5]
	v_cmp_lt_f32_e64 s[4:5], 0, v26
	v_mul_f32_e32 v13, 0x37800000, v9
	v_cndmask_b32_e32 v9, v9, v13, vcc
	v_cndmask_b32_e64 v12, v12, v21, s[4:5]
	v_mul_f32_e32 v16, 0x37800000, v12
	v_cmp_class_f32_e32 vcc, v0, v20
	v_cndmask_b32_e64 v13, v12, v16, s[2:3]
	v_cmp_lt_f16_e64 s[2:3], s15, v1
	v_cndmask_b32_e32 v12, v9, v0, vcc
	v_cmp_class_f32_e32 vcc, v8, v20
	v_cvt_f32_f16_sdwa v16, v2 dst_sel:DWORD dst_unused:UNUSED_PAD src0_sel:WORD_1
	s_nop 0
	v_cndmask_b32_e32 v13, v13, v8, vcc
	v_cmp_lt_f32_e64 vcc, |v10|, s20
	v_cndmask_b32_e64 v8, 0, v19, s[6:7]
	s_nop 0
	v_cndmask_b32_e32 v0, v10, v25, vcc
	v_cmp_gt_f16_sdwa vcc, v1, s15 src0_sel:WORD_1 src1_sel:DWORD
	v_sub_f32_e32 v0, v0, v8
	v_cndmask_b32_e64 v0, v0, v15, s[2:3]
	v_cndmask_b32_e32 v9, v11, v14, vcc
	v_mul_f32_e32 v10, 0x4f800000, v9
	v_cmp_gt_f32_e32 vcc, s18, v9
	s_nop 1
	v_cndmask_b32_e32 v9, v9, v10, vcc
	v_sqrt_f32_e32 v10, v9
	s_nop 0
	v_add_u32_e32 v1, -1, v10
	v_fma_f32 v8, -v1, v10, v9
	v_cmp_ge_f32_e64 s[2:3], 0, v8
	v_add_u32_e32 v8, 1, v10
	s_nop 0
	v_cndmask_b32_e64 v1, v10, v1, s[2:3]
	v_fma_f32 v10, -v8, v10, v9
	v_cmp_lt_f32_e64 s[2:3], 0, v10
	v_mul_f32_e32 v10, 0x4f800000, v0
	s_nop 0
	v_cndmask_b32_e64 v1, v1, v8, s[2:3]
	v_cmp_gt_f32_e64 s[2:3], s18, v0
	v_mul_f32_e32 v8, 0x37800000, v1
	v_cndmask_b32_e32 v1, v1, v8, vcc
	v_cndmask_b32_e64 v10, v0, v10, s[2:3]
	v_sqrt_f32_e32 v0, v10
	v_cmp_class_f32_e32 vcc, v9, v20
	v_add_u32_e32 v11, 1, v0
	s_nop 0
	v_cndmask_b32_e32 v14, v1, v9, vcc
	v_cvt_f32_f16_e32 v9, v2
	v_add_u32_e32 v1, -1, v0
	v_fma_f32 v8, -v1, v0, v10
	v_cmp_ge_f32_e32 vcc, 0, v8
	v_fma_f32 v15, -v11, v0, v10
	s_nop 0
	v_cndmask_b32_e32 v8, v0, v1, vcc
	v_mul_f32_e32 v0, 0x3fb8aa3b, v9
	v_mul_f32_e32 v1, 0x3fb8aa3b, v16
	v_exp_f32_e32 v0, v0
	v_exp_f32_e32 v1, v1
	v_cmp_lt_f32_e32 vcc, 0, v15
	v_pk_add_f32 v[0:1], v[0:1], 1.0 op_sel_hi:[1,0]
	s_nop 0
	v_cndmask_b32_e32 v8, v8, v11, vcc
	v_cmp_gt_f32_e32 vcc, s21, v1
	v_mul_f32_e32 v11, 0x37800000, v8
	v_cndmask_b32_e64 v8, v8, v11, s[2:3]
	v_cndmask_b32_e32 v15, 1.0, v7, vcc
	v_mul_f32_e32 v1, v1, v15
	v_log_f32_e32 v1, v1
	v_cmp_class_f32_e64 s[2:3], v10, v20
	v_cvt_f32_f16_sdwa v11, v3 dst_sel:DWORD dst_unused:UNUSED_PAD src0_sel:WORD_1
	v_cmp_lt_f32_e64 s[4:5], |v1|, s20
	v_cndmask_b32_e64 v15, v8, v10, s[2:3]
	v_cmp_gt_f32_e64 s[2:3], s21, v0
	v_mul_f32_e32 v8, 0x3f317217, v1
	v_fma_f32 v8, v1, s19, -v8
	v_cndmask_b32_e64 v10, 1.0, v7, s[2:3]
	v_mul_f32_e32 v0, v0, v10
	v_log_f32_e32 v0, v0
	v_fmac_f32_e32 v8, 0x3377d1cf, v1
	v_fmac_f32_e32 v8, 0x3f317217, v1
	v_cndmask_b32_e64 v1, v1, v8, s[4:5]
	v_cndmask_b32_e32 v8, 0, v19, vcc
	v_sub_f32_e32 v1, v1, v8
	v_mul_f32_e32 v8, 0x3f317217, v0
	v_fma_f32 v8, v0, s19, -v8
	v_fmac_f32_e32 v8, 0x3377d1cf, v0
	v_fmac_f32_e32 v8, 0x3f317217, v0
	v_cmp_lt_f32_e64 vcc, |v0|, s20
	s_nop 1
	v_cndmask_b32_e32 v0, v0, v8, vcc
	v_cmp_gt_f16_sdwa vcc, v2, s15 src0_sel:WORD_1 src1_sel:DWORD
	v_cndmask_b32_e64 v8, 0, v19, s[2:3]
	v_cmp_lt_f16_e64 s[2:3], s15, v2
	v_cndmask_b32_e32 v1, v1, v16, vcc
	v_mul_f32_e32 v10, 0x4f800000, v1
	v_cmp_gt_f32_e32 vcc, s18, v1
	v_sub_f32_e32 v0, v0, v8
	v_cndmask_b32_e64 v0, v0, v9, s[2:3]
	v_cndmask_b32_e32 v1, v1, v10, vcc
	v_sqrt_f32_e32 v10, v1
	s_nop 0
	v_add_u32_e32 v2, -1, v10
	v_fma_f32 v8, -v2, v10, v1
	v_cmp_ge_f32_e64 s[2:3], 0, v8
	v_add_u32_e32 v8, 1, v10
	v_fma_f32 v9, -v8, v10, v1
	v_cndmask_b32_e64 v2, v10, v2, s[2:3]
	v_cmp_lt_f32_e64 s[2:3], 0, v9
	v_mul_f32_e32 v9, 0x4f800000, v0
	s_nop 0
	v_cndmask_b32_e64 v2, v2, v8, s[2:3]
	v_cmp_gt_f32_e64 s[2:3], s18, v0
	v_mul_f32_e32 v8, 0x37800000, v2
	v_cndmask_b32_e32 v2, v2, v8, vcc
	v_cndmask_b32_e64 v9, v0, v9, s[2:3]
	v_sqrt_f32_e32 v0, v9
	v_cmp_class_f32_e32 vcc, v1, v20
	v_cvt_f32_f16_e32 v8, v3
	v_add_u32_e32 v10, 1, v0
	v_cndmask_b32_e32 v16, v2, v1, vcc
	v_add_u32_e32 v1, -1, v0
	v_fma_f32 v2, -v1, v0, v9
	v_cmp_ge_f32_e32 vcc, 0, v2
	v_fma_f32 v17, -v10, v0, v9
	s_nop 0
	v_cndmask_b32_e32 v2, v0, v1, vcc
	v_mul_f32_e32 v0, 0x3fb8aa3b, v8
	v_mul_f32_e32 v1, 0x3fb8aa3b, v11
	v_exp_f32_e32 v0, v0
	v_exp_f32_e32 v1, v1
	v_cmp_lt_f32_e32 vcc, 0, v17
	v_pk_add_f32 v[0:1], v[0:1], 1.0 op_sel_hi:[1,0]
	s_nop 0
	v_cndmask_b32_e32 v2, v2, v10, vcc
	v_cmp_gt_f32_e32 vcc, s21, v1
	v_mul_f32_e32 v10, 0x37800000, v2
	v_cndmask_b32_e64 v2, v2, v10, s[2:3]
	v_cndmask_b32_e32 v17, 1.0, v7, vcc
	v_mul_f32_e32 v1, v1, v17
	v_log_f32_e32 v1, v1
	v_cmp_class_f32_e64 s[2:3], v9, v20
	v_cmp_lt_f32_e64 s[4:5], |v1|, s20
	s_nop 0
	v_cndmask_b32_e64 v17, v2, v9, s[2:3]
	v_cmp_gt_f32_e64 s[2:3], s21, v0
	v_mul_f32_e32 v2, 0x3f317217, v1
	v_fma_f32 v2, v1, s19, -v2
	v_cndmask_b32_e64 v7, 1.0, v7, s[2:3]
	v_mul_f32_e32 v0, v0, v7
	v_log_f32_e32 v0, v0
	v_fmac_f32_e32 v2, 0x3377d1cf, v1
	v_fmac_f32_e32 v2, 0x3f317217, v1
	v_cndmask_b32_e64 v1, v1, v2, s[4:5]
	v_cndmask_b32_e32 v2, 0, v19, vcc
	v_sub_f32_e32 v1, v1, v2
	v_mul_f32_e32 v2, 0x3f317217, v0
	v_fma_f32 v2, v0, s19, -v2
	v_fmac_f32_e32 v2, 0x3377d1cf, v0
	v_fmac_f32_e32 v2, 0x3f317217, v0
	v_cmp_lt_f32_e64 vcc, |v0|, s20
	s_nop 1
	v_cndmask_b32_e32 v0, v0, v2, vcc
	v_cmp_gt_f16_sdwa vcc, v3, s15 src0_sel:WORD_1 src1_sel:DWORD
	v_cndmask_b32_e64 v2, 0, v19, s[2:3]
	v_sub_f32_e32 v0, v0, v2
	v_cndmask_b32_e32 v1, v1, v11, vcc
	v_mul_f32_e32 v7, 0x4f800000, v1
	v_cmp_gt_f32_e32 vcc, s18, v1
	v_cmp_lt_f16_e64 s[2:3], s15, v3
	s_nop 0
	v_cndmask_b32_e32 v1, v1, v7, vcc
	v_sqrt_f32_e32 v7, v1
	v_cndmask_b32_e64 v0, v0, v8, s[2:3]
	v_add_u32_e32 v2, -1, v7
	v_fma_f32 v3, -v2, v7, v1
	v_cmp_ge_f32_e64 s[2:3], 0, v3
	v_add_u32_e32 v3, 1, v7
	s_nop 0
	v_cndmask_b32_e64 v2, v7, v2, s[2:3]
	v_fma_f32 v7, -v3, v7, v1
	v_cmp_lt_f32_e64 s[2:3], 0, v7
	v_mul_f32_e32 v7, 0x4f800000, v0
	s_nop 0
	v_cndmask_b32_e64 v2, v2, v3, s[2:3]
	v_cmp_gt_f32_e64 s[2:3], s18, v0
	v_mul_f32_e32 v3, 0x37800000, v2
	v_cndmask_b32_e32 v2, v2, v3, vcc
	v_cndmask_b32_e64 v0, v0, v7, s[2:3]
	v_sqrt_f32_e32 v7, v0
	v_cmp_class_f32_e32 vcc, v1, v20
	s_nop 1
	v_cndmask_b32_e32 v19, v2, v1, vcc
	v_add_u32_e32 v1, -1, v7
	v_fma_f32 v2, -v1, v7, v0
	v_cmp_ge_f32_e32 vcc, 0, v2
	v_add_u32_e32 v2, 1, v7
	v_fma_f32 v3, -v2, v7, v0
	v_cndmask_b32_e32 v1, v7, v1, vcc
	v_cmp_lt_f32_e32 vcc, 0, v3
	s_nop 1
	v_cndmask_b32_e32 v1, v1, v2, vcc
	v_mul_f32_e32 v2, 0x37800000, v1
	v_cndmask_b32_e64 v1, v1, v2, s[2:3]
	v_cmp_class_f32_e32 vcc, v0, v20
	s_nop 1
	v_cndmask_b32_e32 v20, v1, v0, vcc
	s_and_b64 vcc, exec, s[16:17]
	v_mul_lo_u32 v0, v6, s12
	s_cbranch_vccnz .LBB312_29
; %bb.2:
	s_load_dwordx2 s[2:3], s[0:1], 0x20
	s_cmp_lt_u32 s12, 4
	v_lshl_add_u64 v[2:3], v[4:5], 3, s[10:11]
	s_cbranch_scc1 .LBB312_21
; %bb.3:
	s_mov_b32 s5, 0
	s_and_b32 s14, s12, 0x7ffffffc
	v_ashrrev_i32_e32 v1, 31, v0
	v_mov_b32_e32 v18, 0
	s_mov_b32 s4, s5
	s_branch .LBB312_5
.LBB312_4:                              ;   in Loop: Header=BB312_5 Depth=1
	s_or_b64 exec, exec, s[6:7]
	s_add_i32 s4, s4, 4
	s_cmp_eq_u32 s4, s14
	s_cbranch_scc1 .LBB312_22
.LBB312_5:                              ; =>This Loop Header: Depth=1
                                        ;     Child Loop BB312_7 Depth 2
                                        ;     Child Loop BB312_11 Depth 2
	;; [unrolled: 1-line block ×4, first 2 shown]
	v_lshl_add_u64 v[6:7], s[4:5], 3, v[2:3]
	global_load_dwordx2 v[8:9], v[6:7], off
	v_add_u32_e32 v10, s4, v0
	v_ashrrev_i32_e32 v11, 31, v10
	s_mov_b64 s[6:7], 0
	s_waitcnt lgkmcnt(0)
	v_lshl_add_u64 v[10:11], v[10:11], 3, s[2:3]
	s_waitcnt vmcnt(0)
	v_cmp_eq_u32_e32 vcc, 1, v8
	s_nop 1
	v_cndmask_b32_e32 v22, v13, v12, vcc
	v_cmp_eq_u32_e32 vcc, 2, v8
	v_min_u32_e32 v21, 7, v8
	v_ashrrev_i32_e32 v9, 31, v8
	v_cndmask_b32_e32 v22, v22, v15, vcc
	v_cmp_eq_u32_e32 vcc, 3, v8
	v_add_u32_e32 v21, 1, v21
	v_mov_b32_e32 v23, v8
	v_cndmask_b32_e32 v22, v22, v14, vcc
	v_cmp_eq_u32_e32 vcc, 4, v8
	s_nop 1
	v_cndmask_b32_e32 v22, v22, v17, vcc
	v_cmp_eq_u32_e32 vcc, 5, v8
	s_nop 1
	;; [unrolled: 3-line block ×4, first 2 shown]
	v_cndmask_b32_e32 v22, v22, v19, vcc
	s_branch .LBB312_7
.LBB312_6:                              ;   in Loop: Header=BB312_7 Depth=2
	s_or_b64 exec, exec, s[16:17]
	v_add_u32_e32 v21, -1, v21
	v_cmp_eq_u32_e32 vcc, 0, v21
	s_or_b64 s[6:7], vcc, s[6:7]
	v_add_u32_e32 v23, -1, v23
	s_andn2_b64 exec, exec, s[6:7]
	s_cbranch_execz .LBB312_9
.LBB312_7:                              ;   Parent Loop BB312_5 Depth=1
                                        ; =>  This Inner Loop Header: Depth=2
	v_cmp_eq_u32_e32 vcc, 0, v23
	s_and_saveexec_b64 s[16:17], vcc
	s_cbranch_execz .LBB312_6
; %bb.8:                                ;   in Loop: Header=BB312_7 Depth=2
	v_add_f32_e32 v18, v18, v22
	global_store_dwordx2 v[10:11], v[8:9], off
	s_branch .LBB312_6
.LBB312_9:                              ;   in Loop: Header=BB312_5 Depth=1
	s_or_b64 exec, exec, s[6:7]
	global_load_dwordx2 v[10:11], v[6:7], off offset:8
	s_ashr_i32 s17, s4, 31
	s_mov_b32 s16, s4
	v_lshl_add_u64 v[8:9], s[16:17], 0, v[0:1]
	s_mov_b64 s[6:7], 0
	v_lshl_add_u64 v[8:9], v[8:9], 3, s[2:3]
	s_waitcnt vmcnt(0)
	v_cmp_eq_u32_e32 vcc, 1, v10
	s_nop 1
	v_cndmask_b32_e32 v22, v13, v12, vcc
	v_cmp_eq_u32_e32 vcc, 2, v10
	v_min_u32_e32 v21, 7, v10
	v_ashrrev_i32_e32 v11, 31, v10
	v_cndmask_b32_e32 v22, v22, v15, vcc
	v_cmp_eq_u32_e32 vcc, 3, v10
	v_add_u32_e32 v21, 1, v21
	v_mov_b32_e32 v23, v10
	v_cndmask_b32_e32 v22, v22, v14, vcc
	v_cmp_eq_u32_e32 vcc, 4, v10
	s_nop 1
	v_cndmask_b32_e32 v22, v22, v17, vcc
	v_cmp_eq_u32_e32 vcc, 5, v10
	s_nop 1
	;; [unrolled: 3-line block ×4, first 2 shown]
	v_cndmask_b32_e32 v22, v22, v19, vcc
	s_branch .LBB312_11
.LBB312_10:                             ;   in Loop: Header=BB312_11 Depth=2
	s_or_b64 exec, exec, s[16:17]
	v_add_u32_e32 v21, -1, v21
	v_cmp_eq_u32_e32 vcc, 0, v21
	s_or_b64 s[6:7], vcc, s[6:7]
	v_add_u32_e32 v23, -1, v23
	s_andn2_b64 exec, exec, s[6:7]
	s_cbranch_execz .LBB312_13
.LBB312_11:                             ;   Parent Loop BB312_5 Depth=1
                                        ; =>  This Inner Loop Header: Depth=2
	v_cmp_eq_u32_e32 vcc, 0, v23
	s_and_saveexec_b64 s[16:17], vcc
	s_cbranch_execz .LBB312_10
; %bb.12:                               ;   in Loop: Header=BB312_11 Depth=2
	v_add_f32_e32 v18, v18, v22
	global_store_dwordx2 v[8:9], v[10:11], off offset:8
	s_branch .LBB312_10
.LBB312_13:                             ;   in Loop: Header=BB312_5 Depth=1
	s_or_b64 exec, exec, s[6:7]
	global_load_dwordx2 v[10:11], v[6:7], off offset:16
	s_mov_b64 s[6:7], 0
	s_waitcnt vmcnt(0)
	v_cmp_eq_u32_e32 vcc, 1, v10
	s_nop 1
	v_cndmask_b32_e32 v22, v13, v12, vcc
	v_cmp_eq_u32_e32 vcc, 2, v10
	v_min_u32_e32 v21, 7, v10
	v_ashrrev_i32_e32 v11, 31, v10
	v_cndmask_b32_e32 v22, v22, v15, vcc
	v_cmp_eq_u32_e32 vcc, 3, v10
	v_add_u32_e32 v21, 1, v21
	v_mov_b32_e32 v23, v10
	v_cndmask_b32_e32 v22, v22, v14, vcc
	v_cmp_eq_u32_e32 vcc, 4, v10
	s_nop 1
	v_cndmask_b32_e32 v22, v22, v17, vcc
	v_cmp_eq_u32_e32 vcc, 5, v10
	s_nop 1
	;; [unrolled: 3-line block ×4, first 2 shown]
	v_cndmask_b32_e32 v22, v22, v19, vcc
	s_branch .LBB312_15
.LBB312_14:                             ;   in Loop: Header=BB312_15 Depth=2
	s_or_b64 exec, exec, s[16:17]
	v_add_u32_e32 v21, -1, v21
	v_cmp_eq_u32_e32 vcc, 0, v21
	s_or_b64 s[6:7], vcc, s[6:7]
	v_add_u32_e32 v23, -1, v23
	s_andn2_b64 exec, exec, s[6:7]
	s_cbranch_execz .LBB312_17
.LBB312_15:                             ;   Parent Loop BB312_5 Depth=1
                                        ; =>  This Inner Loop Header: Depth=2
	v_cmp_eq_u32_e32 vcc, 0, v23
	s_and_saveexec_b64 s[16:17], vcc
	s_cbranch_execz .LBB312_14
; %bb.16:                               ;   in Loop: Header=BB312_15 Depth=2
	v_add_f32_e32 v18, v18, v22
	global_store_dwordx2 v[8:9], v[10:11], off offset:16
	s_branch .LBB312_14
.LBB312_17:                             ;   in Loop: Header=BB312_5 Depth=1
	s_or_b64 exec, exec, s[6:7]
	global_load_dwordx2 v[6:7], v[6:7], off offset:24
	s_mov_b64 s[6:7], 0
	s_waitcnt vmcnt(0)
	v_cmp_eq_u32_e32 vcc, 1, v6
	s_nop 1
	v_cndmask_b32_e32 v11, v13, v12, vcc
	v_cmp_eq_u32_e32 vcc, 2, v6
	v_min_u32_e32 v10, 7, v6
	v_ashrrev_i32_e32 v7, 31, v6
	v_cndmask_b32_e32 v11, v11, v15, vcc
	v_cmp_eq_u32_e32 vcc, 3, v6
	v_add_u32_e32 v10, 1, v10
	v_mov_b32_e32 v21, v6
	v_cndmask_b32_e32 v11, v11, v14, vcc
	v_cmp_eq_u32_e32 vcc, 4, v6
	s_nop 1
	v_cndmask_b32_e32 v11, v11, v17, vcc
	v_cmp_eq_u32_e32 vcc, 5, v6
	s_nop 1
	;; [unrolled: 3-line block ×4, first 2 shown]
	v_cndmask_b32_e32 v11, v11, v19, vcc
	s_branch .LBB312_19
.LBB312_18:                             ;   in Loop: Header=BB312_19 Depth=2
	s_or_b64 exec, exec, s[16:17]
	v_add_u32_e32 v10, -1, v10
	v_cmp_eq_u32_e32 vcc, 0, v10
	s_or_b64 s[6:7], vcc, s[6:7]
	v_add_u32_e32 v21, -1, v21
	s_andn2_b64 exec, exec, s[6:7]
	s_cbranch_execz .LBB312_4
.LBB312_19:                             ;   Parent Loop BB312_5 Depth=1
                                        ; =>  This Inner Loop Header: Depth=2
	v_cmp_eq_u32_e32 vcc, 0, v21
	s_and_saveexec_b64 s[16:17], vcc
	s_cbranch_execz .LBB312_18
; %bb.20:                               ;   in Loop: Header=BB312_19 Depth=2
	v_add_f32_e32 v18, v18, v11
	global_store_dwordx2 v[8:9], v[6:7], off offset:24
	s_branch .LBB312_18
.LBB312_21:
	v_mov_b32_e32 v18, 0
.LBB312_22:
	s_and_b32 s13, s12, 3
	s_cmp_eq_u32 s13, 0
	s_mov_b32 s15, 0
	s_cbranch_scc1 .LBB312_29
; %bb.23:
	s_mov_b32 s16, s15
	s_branch .LBB312_25
.LBB312_24:                             ;   in Loop: Header=BB312_25 Depth=1
	s_or_b64 exec, exec, s[4:5]
	s_add_i32 s14, s14, 1
	s_add_i32 s16, s16, 1
	s_cmp_lg_u32 s16, s13
	s_cbranch_scc0 .LBB312_29
.LBB312_25:                             ; =>This Loop Header: Depth=1
                                        ;     Child Loop BB312_27 Depth 2
	v_lshl_add_u64 v[6:7], s[14:15], 3, v[2:3]
	global_load_dwordx2 v[6:7], v[6:7], off
	v_add_u32_e32 v8, s14, v0
	v_ashrrev_i32_e32 v9, 31, v8
	s_mov_b64 s[4:5], 0
	s_waitcnt lgkmcnt(0)
	v_lshl_add_u64 v[8:9], v[8:9], 3, s[2:3]
	s_waitcnt vmcnt(0)
	v_cmp_eq_u32_e32 vcc, 1, v6
	s_nop 1
	v_cndmask_b32_e32 v10, v13, v12, vcc
	v_cmp_eq_u32_e32 vcc, 2, v6
	v_min_u32_e32 v1, 7, v6
	v_ashrrev_i32_e32 v7, 31, v6
	v_cndmask_b32_e32 v10, v10, v15, vcc
	v_cmp_eq_u32_e32 vcc, 3, v6
	v_add_u32_e32 v1, 1, v1
	v_mov_b32_e32 v11, v6
	v_cndmask_b32_e32 v10, v10, v14, vcc
	v_cmp_eq_u32_e32 vcc, 4, v6
	s_nop 1
	v_cndmask_b32_e32 v10, v10, v17, vcc
	v_cmp_eq_u32_e32 vcc, 5, v6
	s_nop 1
	;; [unrolled: 3-line block ×4, first 2 shown]
	v_cndmask_b32_e32 v10, v10, v19, vcc
	s_branch .LBB312_27
.LBB312_26:                             ;   in Loop: Header=BB312_27 Depth=2
	s_or_b64 exec, exec, s[6:7]
	v_add_u32_e32 v1, -1, v1
	v_cmp_eq_u32_e32 vcc, 0, v1
	s_or_b64 s[4:5], vcc, s[4:5]
	v_add_u32_e32 v11, -1, v11
	s_andn2_b64 exec, exec, s[4:5]
	s_cbranch_execz .LBB312_24
.LBB312_27:                             ;   Parent Loop BB312_25 Depth=1
                                        ; =>  This Inner Loop Header: Depth=2
	v_cmp_eq_u32_e32 vcc, 0, v11
	s_and_saveexec_b64 s[6:7], vcc
	s_cbranch_execz .LBB312_26
; %bb.28:                               ;   in Loop: Header=BB312_27 Depth=2
	v_add_f32_e32 v18, v18, v10
	global_store_dwordx2 v[8:9], v[6:7], off
	s_branch .LBB312_26
.LBB312_29:
	s_load_dword s4, s[0:1], 0x3c
	s_waitcnt lgkmcnt(0)
	s_load_dwordx2 s[2:3], s[0:1], 0x40
	s_bitcmp1_b32 s4, 0
	s_cselect_b64 s[4:5], -1, 0
	s_waitcnt lgkmcnt(0)
	v_cvt_f32_f64_e32 v8, s[2:3]
	s_and_b64 vcc, exec, s[4:5]
	s_cbranch_vccz .LBB312_31
; %bb.30:
	v_cmp_lt_f32_e32 vcc, 0, v18
	s_nop 1
	v_cndmask_b32_e32 v1, 1.0, v18, vcc
	v_div_scale_f32 v2, s[2:3], v1, v1, v8
	v_rcp_f32_e32 v3, v2
	s_nop 0
	v_fma_f32 v6, -v2, v3, 1.0
	v_fmac_f32_e32 v3, v6, v3
	v_div_scale_f32 v6, vcc, v8, v1, v8
	v_mul_f32_e32 v7, v6, v3
	v_fma_f32 v9, -v2, v7, v6
	v_fmac_f32_e32 v7, v9, v3
	v_fma_f32 v2, -v2, v7, v6
	v_div_fmas_f32 v2, v2, v3, v7
	v_div_fixup_f32 v8, v2, v1, v8
.LBB312_31:
	s_andn2_b64 vcc, exec, s[8:9]
	s_cbranch_vccnz .LBB312_56
; %bb.32:
	s_load_dwordx2 s[0:1], s[0:1], 0x10
	s_cmp_lt_u32 s12, 8
	s_mov_b32 s2, 0
	s_cbranch_scc1 .LBB312_51
; %bb.33:
	v_ashrrev_i32_e32 v1, 31, v0
	s_waitcnt lgkmcnt(0)
	v_lshl_add_u64 v[2:3], v[0:1], 2, s[0:1]
	v_lshl_add_u64 v[6:7], v[4:5], 3, s[10:11]
	s_and_b32 s2, s12, 0x7ffffff8
	v_lshl_add_u64 v[2:3], v[2:3], 0, 28
	v_lshl_add_u64 v[6:7], v[6:7], 0, 56
	s_mov_b32 s3, 0
	s_branch .LBB312_35
.LBB312_34:                             ;   in Loop: Header=BB312_35 Depth=1
	s_or_b64 exec, exec, s[4:5]
	s_add_i32 s3, s3, 8
	v_lshl_add_u64 v[2:3], v[2:3], 0, 32
	s_cmp_eq_u32 s2, s3
	v_lshl_add_u64 v[6:7], v[6:7], 0, 64
	s_cbranch_scc1 .LBB312_51
.LBB312_35:                             ; =>This Inner Loop Header: Depth=1
	global_load_dword v1, v[6:7], off offset:-56
	s_waitcnt vmcnt(0)
	v_cmp_gt_u32_e32 vcc, 8, v1
	s_and_saveexec_b64 s[4:5], vcc
	s_cbranch_execz .LBB312_37
; %bb.36:                               ;   in Loop: Header=BB312_35 Depth=1
	v_cmp_eq_u32_e32 vcc, 1, v1
	v_add_u32_e32 v10, s3, v0
	v_ashrrev_i32_e32 v11, 31, v10
	v_cndmask_b32_e32 v9, v13, v12, vcc
	v_cmp_eq_u32_e32 vcc, 2, v1
	v_lshl_add_u64 v[10:11], v[10:11], 2, s[0:1]
	s_nop 0
	v_cndmask_b32_e32 v9, v9, v15, vcc
	v_cmp_eq_u32_e32 vcc, 3, v1
	s_nop 1
	v_cndmask_b32_e32 v9, v9, v14, vcc
	v_cmp_eq_u32_e32 vcc, 4, v1
	;; [unrolled: 3-line block ×5, first 2 shown]
	s_nop 1
	v_cndmask_b32_e32 v1, v9, v19, vcc
	v_mul_f32_e32 v1, v8, v1
	global_store_dword v[10:11], v1, off
.LBB312_37:                             ;   in Loop: Header=BB312_35 Depth=1
	s_or_b64 exec, exec, s[4:5]
	global_load_dword v1, v[6:7], off offset:-48
	s_waitcnt vmcnt(0)
	v_cmp_gt_u32_e32 vcc, 8, v1
	s_and_saveexec_b64 s[4:5], vcc
	s_cbranch_execz .LBB312_39
; %bb.38:                               ;   in Loop: Header=BB312_35 Depth=1
	v_cmp_eq_u32_e32 vcc, 1, v1
	s_nop 1
	v_cndmask_b32_e32 v9, v13, v12, vcc
	v_cmp_eq_u32_e32 vcc, 2, v1
	s_nop 1
	v_cndmask_b32_e32 v9, v9, v15, vcc
	v_cmp_eq_u32_e32 vcc, 3, v1
	s_nop 1
	v_cndmask_b32_e32 v9, v9, v14, vcc
	v_cmp_eq_u32_e32 vcc, 4, v1
	s_nop 1
	v_cndmask_b32_e32 v9, v9, v17, vcc
	v_cmp_eq_u32_e32 vcc, 5, v1
	s_nop 1
	v_cndmask_b32_e32 v9, v9, v16, vcc
	v_cmp_eq_u32_e32 vcc, 6, v1
	s_nop 1
	v_cndmask_b32_e32 v9, v9, v20, vcc
	v_cmp_eq_u32_e32 vcc, 7, v1
	s_nop 1
	v_cndmask_b32_e32 v1, v9, v19, vcc
	v_mul_f32_e32 v1, v8, v1
	global_store_dword v[2:3], v1, off offset:-24
.LBB312_39:                             ;   in Loop: Header=BB312_35 Depth=1
	s_or_b64 exec, exec, s[4:5]
	global_load_dword v1, v[6:7], off offset:-40
	s_waitcnt vmcnt(0)
	v_cmp_gt_u32_e32 vcc, 8, v1
	s_and_saveexec_b64 s[4:5], vcc
	s_cbranch_execz .LBB312_41
; %bb.40:                               ;   in Loop: Header=BB312_35 Depth=1
	v_cmp_eq_u32_e32 vcc, 1, v1
	s_nop 1
	v_cndmask_b32_e32 v9, v13, v12, vcc
	v_cmp_eq_u32_e32 vcc, 2, v1
	s_nop 1
	v_cndmask_b32_e32 v9, v9, v15, vcc
	v_cmp_eq_u32_e32 vcc, 3, v1
	s_nop 1
	v_cndmask_b32_e32 v9, v9, v14, vcc
	v_cmp_eq_u32_e32 vcc, 4, v1
	s_nop 1
	v_cndmask_b32_e32 v9, v9, v17, vcc
	v_cmp_eq_u32_e32 vcc, 5, v1
	s_nop 1
	v_cndmask_b32_e32 v9, v9, v16, vcc
	v_cmp_eq_u32_e32 vcc, 6, v1
	s_nop 1
	v_cndmask_b32_e32 v9, v9, v20, vcc
	v_cmp_eq_u32_e32 vcc, 7, v1
	s_nop 1
	v_cndmask_b32_e32 v1, v9, v19, vcc
	v_mul_f32_e32 v1, v8, v1
	global_store_dword v[2:3], v1, off offset:-20
.LBB312_41:                             ;   in Loop: Header=BB312_35 Depth=1
	;; [unrolled: 31-line block ×6, first 2 shown]
	s_or_b64 exec, exec, s[4:5]
	global_load_dword v1, v[6:7], off
	s_waitcnt vmcnt(0)
	v_cmp_gt_u32_e32 vcc, 8, v1
	s_and_saveexec_b64 s[4:5], vcc
	s_cbranch_execz .LBB312_34
; %bb.50:                               ;   in Loop: Header=BB312_35 Depth=1
	v_cmp_eq_u32_e32 vcc, 1, v1
	s_nop 1
	v_cndmask_b32_e32 v9, v13, v12, vcc
	v_cmp_eq_u32_e32 vcc, 2, v1
	s_nop 1
	v_cndmask_b32_e32 v9, v9, v15, vcc
	;; [unrolled: 3-line block ×7, first 2 shown]
	v_mul_f32_e32 v1, v8, v1
	global_store_dword v[2:3], v1, off
	s_branch .LBB312_34
.LBB312_51:
	s_and_b32 s4, s12, 7
	s_cmp_eq_u32 s4, 0
	s_mov_b32 s3, 0
	s_cbranch_scc1 .LBB312_56
; %bb.52:
	v_add_u32_e32 v0, s2, v0
	s_lshl_b64 s[2:3], s[2:3], 3
	s_add_u32 s2, s10, s2
	s_addc_u32 s3, s11, s3
	v_lshl_add_u64 v[2:3], v[4:5], 3, s[2:3]
	s_branch .LBB312_54
.LBB312_53:                             ;   in Loop: Header=BB312_54 Depth=1
	s_or_b64 exec, exec, s[2:3]
	s_add_i32 s4, s4, -1
	v_add_u32_e32 v0, 1, v0
	s_cmp_eq_u32 s4, 0
	v_lshl_add_u64 v[2:3], v[2:3], 0, 8
	s_cbranch_scc1 .LBB312_56
.LBB312_54:                             ; =>This Inner Loop Header: Depth=1
	global_load_dword v1, v[2:3], off
	s_waitcnt vmcnt(0)
	v_cmp_gt_u32_e32 vcc, 8, v1
	s_and_saveexec_b64 s[2:3], vcc
	s_cbranch_execz .LBB312_53
; %bb.55:                               ;   in Loop: Header=BB312_54 Depth=1
	v_cmp_eq_u32_e32 vcc, 1, v1
	s_nop 1
	v_cndmask_b32_e32 v4, v13, v12, vcc
	v_cmp_eq_u32_e32 vcc, 2, v1
	s_nop 1
	v_cndmask_b32_e32 v4, v4, v15, vcc
	;; [unrolled: 3-line block ×7, first 2 shown]
	v_mul_f32_e32 v6, v8, v1
	v_ashrrev_i32_e32 v1, 31, v0
	s_waitcnt lgkmcnt(0)
	v_lshl_add_u64 v[4:5], v[0:1], 2, s[0:1]
	global_store_dword v[4:5], v6, off
	s_branch .LBB312_53
.LBB312_56:
	s_endpgm
	.section	.rodata,"a",@progbits
	.p2align	6, 0x0
	.amdhsa_kernel _ZN4vllm3moe22topkGatingSoftplusSqrtILi8ELi8ELi4ELi16ELi64ELb1El6__halfEEvPKT6_PKbPfiPT5_PiiiibdPKfPKS9_SF_
		.amdhsa_group_segment_fixed_size 0
		.amdhsa_private_segment_fixed_size 0
		.amdhsa_kernarg_size 96
		.amdhsa_user_sgpr_count 2
		.amdhsa_user_sgpr_dispatch_ptr 0
		.amdhsa_user_sgpr_queue_ptr 0
		.amdhsa_user_sgpr_kernarg_segment_ptr 1
		.amdhsa_user_sgpr_dispatch_id 0
		.amdhsa_user_sgpr_kernarg_preload_length 0
		.amdhsa_user_sgpr_kernarg_preload_offset 0
		.amdhsa_user_sgpr_private_segment_size 0
		.amdhsa_uses_dynamic_stack 0
		.amdhsa_enable_private_segment 0
		.amdhsa_system_sgpr_workgroup_id_x 1
		.amdhsa_system_sgpr_workgroup_id_y 0
		.amdhsa_system_sgpr_workgroup_id_z 0
		.amdhsa_system_sgpr_workgroup_info 0
		.amdhsa_system_vgpr_workitem_id 1
		.amdhsa_next_free_vgpr 27
		.amdhsa_next_free_sgpr 22
		.amdhsa_accum_offset 28
		.amdhsa_reserve_vcc 1
		.amdhsa_float_round_mode_32 0
		.amdhsa_float_round_mode_16_64 0
		.amdhsa_float_denorm_mode_32 3
		.amdhsa_float_denorm_mode_16_64 3
		.amdhsa_dx10_clamp 1
		.amdhsa_ieee_mode 1
		.amdhsa_fp16_overflow 0
		.amdhsa_tg_split 0
		.amdhsa_exception_fp_ieee_invalid_op 0
		.amdhsa_exception_fp_denorm_src 0
		.amdhsa_exception_fp_ieee_div_zero 0
		.amdhsa_exception_fp_ieee_overflow 0
		.amdhsa_exception_fp_ieee_underflow 0
		.amdhsa_exception_fp_ieee_inexact 0
		.amdhsa_exception_int_div_zero 0
	.end_amdhsa_kernel
	.section	.text._ZN4vllm3moe22topkGatingSoftplusSqrtILi8ELi8ELi4ELi16ELi64ELb1El6__halfEEvPKT6_PKbPfiPT5_PiiiibdPKfPKS9_SF_,"axG",@progbits,_ZN4vllm3moe22topkGatingSoftplusSqrtILi8ELi8ELi4ELi16ELi64ELb1El6__halfEEvPKT6_PKbPfiPT5_PiiiibdPKfPKS9_SF_,comdat
.Lfunc_end312:
	.size	_ZN4vllm3moe22topkGatingSoftplusSqrtILi8ELi8ELi4ELi16ELi64ELb1El6__halfEEvPKT6_PKbPfiPT5_PiiiibdPKfPKS9_SF_, .Lfunc_end312-_ZN4vllm3moe22topkGatingSoftplusSqrtILi8ELi8ELi4ELi16ELi64ELb1El6__halfEEvPKT6_PKbPfiPT5_PiiiibdPKfPKS9_SF_
                                        ; -- End function
	.section	.AMDGPU.csdata,"",@progbits
; Kernel info:
; codeLenInByte = 4564
; NumSgprs: 28
; NumVgprs: 27
; NumAgprs: 0
; TotalNumVgprs: 27
; ScratchSize: 0
; MemoryBound: 0
; FloatMode: 240
; IeeeMode: 1
; LDSByteSize: 0 bytes/workgroup (compile time only)
; SGPRBlocks: 3
; VGPRBlocks: 3
; NumSGPRsForWavesPerEU: 28
; NumVGPRsForWavesPerEU: 27
; AccumOffset: 28
; Occupancy: 8
; WaveLimiterHint : 1
; COMPUTE_PGM_RSRC2:SCRATCH_EN: 0
; COMPUTE_PGM_RSRC2:USER_SGPR: 2
; COMPUTE_PGM_RSRC2:TRAP_HANDLER: 0
; COMPUTE_PGM_RSRC2:TGID_X_EN: 1
; COMPUTE_PGM_RSRC2:TGID_Y_EN: 0
; COMPUTE_PGM_RSRC2:TGID_Z_EN: 0
; COMPUTE_PGM_RSRC2:TIDIG_COMP_CNT: 1
; COMPUTE_PGM_RSRC3_GFX90A:ACCUM_OFFSET: 6
; COMPUTE_PGM_RSRC3_GFX90A:TG_SPLIT: 0
	.section	.text._ZN4vllm3moe22topkGatingSoftplusSqrtILi8ELi8ELi4ELi16ELi64ELb0El6__halfEEvPKT6_PKbPfiPT5_PiiiibdPKfPKS9_SF_,"axG",@progbits,_ZN4vllm3moe22topkGatingSoftplusSqrtILi8ELi8ELi4ELi16ELi64ELb0El6__halfEEvPKT6_PKbPfiPT5_PiiiibdPKfPKS9_SF_,comdat
	.protected	_ZN4vllm3moe22topkGatingSoftplusSqrtILi8ELi8ELi4ELi16ELi64ELb0El6__halfEEvPKT6_PKbPfiPT5_PiiiibdPKfPKS9_SF_ ; -- Begin function _ZN4vllm3moe22topkGatingSoftplusSqrtILi8ELi8ELi4ELi16ELi64ELb0El6__halfEEvPKT6_PKbPfiPT5_PiiiibdPKfPKS9_SF_
	.globl	_ZN4vllm3moe22topkGatingSoftplusSqrtILi8ELi8ELi4ELi16ELi64ELb0El6__halfEEvPKT6_PKbPfiPT5_PiiiibdPKfPKS9_SF_
	.p2align	8
	.type	_ZN4vllm3moe22topkGatingSoftplusSqrtILi8ELi8ELi4ELi16ELi64ELb0El6__halfEEvPKT6_PKbPfiPT5_PiiiibdPKfPKS9_SF_,@function
_ZN4vllm3moe22topkGatingSoftplusSqrtILi8ELi8ELi4ELi16ELi64ELb0El6__halfEEvPKT6_PKbPfiPT5_PiiiibdPKfPKS9_SF_: ; @_ZN4vllm3moe22topkGatingSoftplusSqrtILi8ELi8ELi4ELi16ELi64ELb0El6__halfEEvPKT6_PKbPfiPT5_PiiiibdPKfPKS9_SF_
; %bb.0:
	s_load_dword s24, s[0:1], 0x18
	v_bfe_u32 v1, v0, 10, 10
	s_lshl_b32 s2, s2, 8
	v_lshlrev_b32_e32 v1, 6, v1
	v_and_b32_e32 v0, 0x3ff, v0
	v_add3_u32 v8, v1, v0, s2
	s_waitcnt lgkmcnt(0)
	v_cmp_gt_i32_e32 vcc, s24, v8
	s_and_saveexec_b64 s[2:3], vcc
	s_cbranch_execz .LBB313_40
; %bb.1:
	s_load_dwordx4 s[4:7], s[0:1], 0x0
	s_load_dwordx2 s[20:21], s[0:1], 0x10
	s_waitcnt lgkmcnt(0)
	s_cmp_eq_u64 s[6:7], 0
	s_cbranch_scc1 .LBB313_3
; %bb.2:
	v_ashrrev_i32_e32 v9, 31, v8
	v_lshl_add_u64 v[0:1], s[6:7], 0, v[8:9]
	global_load_ubyte v0, v[0:1], off
	s_waitcnt vmcnt(0)
	v_and_b32_e32 v0, 1, v0
	v_cmp_eq_u32_e32 vcc, 1, v0
	s_xor_b64 s[2:3], vcc, -1
	s_orn2_b64 s[22:23], s[2:3], exec
	s_branch .LBB313_4
.LBB313_3:
	s_mov_b64 s[22:23], -1
.LBB313_4:
	v_lshlrev_b32_e32 v2, 3, v8
	v_mov_b32_e32 v0, s4
	v_mov_b32_e32 v1, s5
	v_ashrrev_i32_e32 v3, 31, v2
	v_lshl_add_u64 v[0:1], v[2:3], 1, v[0:1]
	global_load_dwordx4 v[4:7], v[0:1], off
	s_mov_b32 s15, 0x800000
	v_mov_b32_e32 v2, 0x4f800000
	s_mov_b32 s13, 0x3f317217
	s_mov_b32 s14, 0x7f800000
	v_mov_b32_e32 v3, 0x41b17218
	s_movk_i32 s12, 0x4d00
	s_mov_b32 s16, 0xf800000
	s_load_dwordx4 s[8:11], s[0:1], 0x40
	s_waitcnt lgkmcnt(0)
	s_cmp_lg_u64 s[10:11], 0
	s_cselect_b64 s[6:7], -1, 0
	s_and_b64 s[2:3], exec, s[6:7]
	s_waitcnt vmcnt(0)
	v_cvt_f32_f16_e32 v0, v4
	v_mul_f32_e32 v1, 0x3fb8aa3b, v0
	v_exp_f32_e32 v1, v1
	s_nop 0
	v_add_f32_e32 v1, 1.0, v1
	v_cmp_gt_f32_e32 vcc, s15, v1
	s_nop 1
	v_cndmask_b32_e32 v9, 1.0, v2, vcc
	v_mul_f32_e32 v1, v1, v9
	v_log_f32_e32 v9, v1
	v_cndmask_b32_e32 v10, 0, v3, vcc
	v_mov_b32_e32 v1, 0x260
	v_mul_f32_e32 v11, 0x3f317217, v9
	v_fma_f32 v11, v9, s13, -v11
	v_fmac_f32_e32 v11, 0x3377d1cf, v9
	v_fmac_f32_e32 v11, 0x3f317217, v9
	v_cmp_lt_f32_e64 vcc, |v9|, s14
	s_nop 1
	v_cndmask_b32_e32 v9, v9, v11, vcc
	v_sub_f32_e32 v9, v9, v10
	v_cmp_lt_f16_e32 vcc, s12, v4
	s_nop 1
	v_cndmask_b32_e32 v0, v9, v0, vcc
	v_mul_f32_e32 v9, 0x4f800000, v0
	v_cmp_gt_f32_e32 vcc, s16, v0
	s_nop 1
	v_cndmask_b32_e32 v0, v0, v9, vcc
	v_sqrt_f32_e32 v9, v0
	s_nop 0
	v_add_u32_e32 v10, -1, v9
	v_add_u32_e32 v11, 1, v9
	v_fma_f32 v12, -v10, v9, v0
	v_fma_f32 v13, -v11, v9, v0
	v_cmp_ge_f32_e64 s[4:5], 0, v12
	s_nop 1
	v_cndmask_b32_e64 v9, v9, v10, s[4:5]
	v_cmp_lt_f32_e64 s[4:5], 0, v13
	s_nop 1
	v_cndmask_b32_e64 v9, v9, v11, s[4:5]
	v_mul_f32_e32 v10, 0x37800000, v9
	v_cndmask_b32_e32 v9, v9, v10, vcc
	v_cmp_class_f32_e32 vcc, v0, v1
	s_nop 1
	v_cndmask_b32_e32 v0, v9, v0, vcc
	s_mov_b64 vcc, s[2:3]
	s_cbranch_vccz .LBB313_6
; %bb.5:
	s_load_dword s2, s[10:11], 0x0
	s_waitcnt lgkmcnt(0)
	v_add_f32_e32 v0, s2, v0
.LBB313_6:
	v_cvt_f32_f16_sdwa v9, v4 dst_sel:DWORD dst_unused:UNUSED_PAD src0_sel:WORD_1
	v_mul_f32_e32 v10, 0x3fb8aa3b, v9
	v_exp_f32_e32 v10, v10
	s_nop 0
	v_add_f32_e32 v10, 1.0, v10
	v_cmp_gt_f32_e32 vcc, s15, v10
	s_nop 1
	v_cndmask_b32_e32 v2, 1.0, v2, vcc
	v_mul_f32_e32 v2, v10, v2
	v_log_f32_e32 v2, v2
	v_cndmask_b32_e32 v3, 0, v3, vcc
	v_mul_f32_e32 v10, 0x3f317217, v2
	v_fma_f32 v10, v2, s13, -v10
	v_fmac_f32_e32 v10, 0x3377d1cf, v2
	v_fmac_f32_e32 v10, 0x3f317217, v2
	v_cmp_lt_f32_e64 vcc, |v2|, s14
	s_nop 1
	v_cndmask_b32_e32 v2, v2, v10, vcc
	v_sub_f32_e32 v2, v2, v3
	v_cmp_gt_f16_sdwa vcc, v4, s12 src0_sel:WORD_1 src1_sel:DWORD
	v_cndmask_b32_e64 v4, 0, 1, s[6:7]
	v_cmp_ne_u32_e64 s[2:3], 1, v4
	v_cndmask_b32_e32 v2, v2, v9, vcc
	v_mul_f32_e32 v3, 0x4f800000, v2
	v_cmp_gt_f32_e64 s[4:5], s16, v2
	s_andn2_b64 vcc, exec, s[6:7]
	s_nop 0
	v_cndmask_b32_e64 v2, v2, v3, s[4:5]
	v_sqrt_f32_e32 v3, v2
	s_nop 0
	v_add_u32_e32 v4, -1, v3
	v_add_u32_e32 v9, 1, v3
	v_fma_f32 v10, -v4, v3, v2
	v_fma_f32 v11, -v9, v3, v2
	v_cmp_ge_f32_e64 s[6:7], 0, v10
	s_nop 1
	v_cndmask_b32_e64 v3, v3, v4, s[6:7]
	v_cmp_lt_f32_e64 s[6:7], 0, v11
	s_nop 1
	v_cndmask_b32_e64 v3, v3, v9, s[6:7]
	v_mul_f32_e32 v4, 0x37800000, v3
	v_cndmask_b32_e64 v3, v3, v4, s[4:5]
	v_cmp_class_f32_e64 s[4:5], v2, v1
	s_nop 1
	v_cndmask_b32_e64 v1, v3, v2, s[4:5]
	s_cbranch_vccnz .LBB313_8
; %bb.7:
	s_load_dword s4, s[10:11], 0x4
	s_waitcnt lgkmcnt(0)
	v_add_f32_e32 v1, s4, v1
.LBB313_8:
	v_cvt_f32_f16_e32 v2, v5
	s_mov_b32 s12, 0x800000
	v_mov_b32_e32 v4, 0x4f800000
	s_mov_b32 s7, 0x3f317217
	v_mul_f32_e32 v3, 0x3fb8aa3b, v2
	v_exp_f32_e32 v3, v3
	s_mov_b32 s13, 0x7f800000
	s_movk_i32 s6, 0x4d00
	s_mov_b32 s14, 0xf800000
	v_add_f32_e32 v3, 1.0, v3
	v_cmp_gt_f32_e32 vcc, s12, v3
	s_nop 1
	v_cndmask_b32_e32 v9, 1.0, v4, vcc
	v_mul_f32_e32 v3, v3, v9
	v_log_f32_e32 v3, v3
	v_mov_b32_e32 v9, 0x41b17218
	v_cndmask_b32_e32 v10, 0, v9, vcc
	v_mul_f32_e32 v11, 0x3f317217, v3
	v_fma_f32 v11, v3, s7, -v11
	v_fmac_f32_e32 v11, 0x3377d1cf, v3
	v_fmac_f32_e32 v11, 0x3f317217, v3
	v_cmp_lt_f32_e64 vcc, |v3|, s13
	s_nop 1
	v_cndmask_b32_e32 v3, v3, v11, vcc
	v_sub_f32_e32 v3, v3, v10
	v_cmp_lt_f16_e32 vcc, s6, v5
	s_nop 1
	v_cndmask_b32_e32 v2, v3, v2, vcc
	v_mul_f32_e32 v3, 0x4f800000, v2
	v_cmp_gt_f32_e32 vcc, s14, v2
	s_nop 1
	v_cndmask_b32_e32 v2, v2, v3, vcc
	v_sqrt_f32_e32 v3, v2
	s_nop 0
	v_add_u32_e32 v10, -1, v3
	v_fma_f32 v11, -v10, v3, v2
	v_cmp_ge_f32_e64 s[4:5], 0, v11
	v_add_u32_e32 v11, 1, v3
	s_nop 0
	v_cndmask_b32_e64 v10, v3, v10, s[4:5]
	v_fma_f32 v3, -v11, v3, v2
	v_cmp_lt_f32_e64 s[4:5], 0, v3
	s_nop 1
	v_cndmask_b32_e64 v3, v10, v11, s[4:5]
	v_mul_f32_e32 v10, 0x37800000, v3
	v_cndmask_b32_e32 v10, v3, v10, vcc
	v_mov_b32_e32 v3, 0x260
	v_cmp_class_f32_e64 s[4:5], v2, v3
	s_and_b64 vcc, exec, s[2:3]
	s_nop 0
	v_cndmask_b32_e64 v2, v10, v2, s[4:5]
	s_cbranch_vccnz .LBB313_10
; %bb.9:
	s_load_dword s4, s[10:11], 0x8
	s_waitcnt lgkmcnt(0)
	v_add_f32_e32 v2, s4, v2
.LBB313_10:
	v_cvt_f32_f16_sdwa v10, v5 dst_sel:DWORD dst_unused:UNUSED_PAD src0_sel:WORD_1
	v_mul_f32_e32 v11, 0x3fb8aa3b, v10
	v_exp_f32_e32 v11, v11
	s_nop 0
	v_add_f32_e32 v11, 1.0, v11
	v_cmp_gt_f32_e32 vcc, s12, v11
	s_nop 1
	v_cndmask_b32_e32 v4, 1.0, v4, vcc
	v_mul_f32_e32 v4, v11, v4
	v_log_f32_e32 v4, v4
	v_cndmask_b32_e32 v9, 0, v9, vcc
	v_mul_f32_e32 v11, 0x3f317217, v4
	v_fma_f32 v11, v4, s7, -v11
	v_fmac_f32_e32 v11, 0x3377d1cf, v4
	v_fmac_f32_e32 v11, 0x3f317217, v4
	v_cmp_lt_f32_e64 vcc, |v4|, s13
	s_nop 1
	v_cndmask_b32_e32 v4, v4, v11, vcc
	v_sub_f32_e32 v4, v4, v9
	v_cmp_gt_f16_sdwa vcc, v5, s6 src0_sel:WORD_1 src1_sel:DWORD
	s_nop 1
	v_cndmask_b32_e32 v4, v4, v10, vcc
	v_mul_f32_e32 v5, 0x4f800000, v4
	v_cmp_gt_f32_e64 s[4:5], s14, v4
	s_and_b64 vcc, exec, s[2:3]
	s_nop 0
	v_cndmask_b32_e64 v4, v4, v5, s[4:5]
	v_sqrt_f32_e32 v5, v4
	s_nop 0
	v_add_u32_e32 v9, -1, v5
	v_add_u32_e32 v10, 1, v5
	v_fma_f32 v11, -v9, v5, v4
	v_fma_f32 v12, -v10, v5, v4
	v_cmp_ge_f32_e64 s[6:7], 0, v11
	s_nop 1
	v_cndmask_b32_e64 v5, v5, v9, s[6:7]
	v_cmp_lt_f32_e64 s[6:7], 0, v12
	s_nop 1
	v_cndmask_b32_e64 v5, v5, v10, s[6:7]
	v_mul_f32_e32 v9, 0x37800000, v5
	v_cndmask_b32_e64 v5, v5, v9, s[4:5]
	v_cmp_class_f32_e64 s[4:5], v4, v3
	s_nop 1
	v_cndmask_b32_e64 v3, v5, v4, s[4:5]
	s_cbranch_vccnz .LBB313_12
; %bb.11:
	s_load_dword s4, s[10:11], 0xc
	s_waitcnt lgkmcnt(0)
	v_add_f32_e32 v3, s4, v3
.LBB313_12:
	v_cvt_f32_f16_e32 v4, v6
	v_mov_b32_e32 v9, 0x4f800000
	s_mov_b32 s7, 0x3f317217
	s_movk_i32 s6, 0x4d00
	v_mul_f32_e32 v5, 0x3fb8aa3b, v4
	v_exp_f32_e32 v5, v5
	s_nop 0
	v_add_f32_e32 v5, 1.0, v5
	v_cmp_gt_f32_e32 vcc, s12, v5
	s_nop 1
	v_cndmask_b32_e32 v10, 1.0, v9, vcc
	v_mul_f32_e32 v5, v5, v10
	v_log_f32_e32 v5, v5
	v_mov_b32_e32 v10, 0x41b17218
	v_cndmask_b32_e32 v11, 0, v10, vcc
	v_mul_f32_e32 v12, 0x3f317217, v5
	v_fma_f32 v12, v5, s7, -v12
	v_fmac_f32_e32 v12, 0x3377d1cf, v5
	v_fmac_f32_e32 v12, 0x3f317217, v5
	v_cmp_lt_f32_e64 vcc, |v5|, s13
	s_nop 1
	v_cndmask_b32_e32 v5, v5, v12, vcc
	v_sub_f32_e32 v5, v5, v11
	v_cmp_lt_f16_e32 vcc, s6, v6
	s_nop 1
	v_cndmask_b32_e32 v4, v5, v4, vcc
	v_mul_f32_e32 v5, 0x4f800000, v4
	v_cmp_gt_f32_e32 vcc, s14, v4
	s_nop 1
	v_cndmask_b32_e32 v4, v4, v5, vcc
	v_sqrt_f32_e32 v5, v4
	s_nop 0
	v_add_u32_e32 v11, -1, v5
	v_fma_f32 v12, -v11, v5, v4
	v_cmp_ge_f32_e64 s[4:5], 0, v12
	v_add_u32_e32 v12, 1, v5
	s_nop 0
	v_cndmask_b32_e64 v11, v5, v11, s[4:5]
	v_fma_f32 v5, -v12, v5, v4
	v_cmp_lt_f32_e64 s[4:5], 0, v5
	s_nop 1
	v_cndmask_b32_e64 v5, v11, v12, s[4:5]
	v_mul_f32_e32 v11, 0x37800000, v5
	v_cndmask_b32_e32 v11, v5, v11, vcc
	v_mov_b32_e32 v5, 0x260
	v_cmp_class_f32_e64 s[4:5], v4, v5
	s_and_b64 vcc, exec, s[2:3]
	s_nop 0
	v_cndmask_b32_e64 v4, v11, v4, s[4:5]
	s_cbranch_vccnz .LBB313_14
; %bb.13:
	s_load_dword s4, s[10:11], 0x10
	s_waitcnt lgkmcnt(0)
	v_add_f32_e32 v4, s4, v4
.LBB313_14:
	v_cvt_f32_f16_sdwa v11, v6 dst_sel:DWORD dst_unused:UNUSED_PAD src0_sel:WORD_1
	v_mul_f32_e32 v12, 0x3fb8aa3b, v11
	v_exp_f32_e32 v12, v12
	s_nop 0
	v_add_f32_e32 v12, 1.0, v12
	v_cmp_gt_f32_e32 vcc, s12, v12
	s_nop 1
	v_cndmask_b32_e32 v9, 1.0, v9, vcc
	v_mul_f32_e32 v9, v12, v9
	v_log_f32_e32 v9, v9
	v_cndmask_b32_e32 v10, 0, v10, vcc
	v_mul_f32_e32 v12, 0x3f317217, v9
	v_fma_f32 v12, v9, s7, -v12
	v_fmac_f32_e32 v12, 0x3377d1cf, v9
	v_fmac_f32_e32 v12, 0x3f317217, v9
	v_cmp_lt_f32_e64 vcc, |v9|, s13
	s_nop 1
	v_cndmask_b32_e32 v9, v9, v12, vcc
	v_sub_f32_e32 v9, v9, v10
	v_cmp_gt_f16_sdwa vcc, v6, s6 src0_sel:WORD_1 src1_sel:DWORD
	s_nop 1
	v_cndmask_b32_e32 v6, v9, v11, vcc
	v_mul_f32_e32 v9, 0x4f800000, v6
	v_cmp_gt_f32_e64 s[4:5], s14, v6
	s_and_b64 vcc, exec, s[2:3]
	s_nop 0
	v_cndmask_b32_e64 v6, v6, v9, s[4:5]
	v_sqrt_f32_e32 v9, v6
	s_nop 0
	v_add_u32_e32 v10, -1, v9
	v_add_u32_e32 v11, 1, v9
	v_fma_f32 v12, -v10, v9, v6
	v_fma_f32 v13, -v11, v9, v6
	v_cmp_ge_f32_e64 s[6:7], 0, v12
	s_nop 1
	v_cndmask_b32_e64 v9, v9, v10, s[6:7]
	v_cmp_lt_f32_e64 s[6:7], 0, v13
	s_nop 1
	v_cndmask_b32_e64 v9, v9, v11, s[6:7]
	v_mul_f32_e32 v10, 0x37800000, v9
	v_cndmask_b32_e64 v9, v9, v10, s[4:5]
	v_cmp_class_f32_e64 s[4:5], v6, v5
	s_nop 1
	v_cndmask_b32_e64 v5, v9, v6, s[4:5]
	s_cbranch_vccnz .LBB313_16
; %bb.15:
	s_load_dword s4, s[10:11], 0x14
	s_waitcnt lgkmcnt(0)
	v_add_f32_e32 v5, s4, v5
.LBB313_16:
	v_cvt_f32_f16_e32 v6, v7
	v_mov_b32_e32 v10, 0x4f800000
	s_mov_b32 s7, 0x3f317217
	s_movk_i32 s6, 0x4d00
	v_mul_f32_e32 v9, 0x3fb8aa3b, v6
	v_exp_f32_e32 v9, v9
	s_nop 0
	v_add_f32_e32 v9, 1.0, v9
	v_cmp_gt_f32_e32 vcc, s12, v9
	s_nop 1
	v_cndmask_b32_e32 v11, 1.0, v10, vcc
	v_mul_f32_e32 v9, v9, v11
	v_log_f32_e32 v9, v9
	v_mov_b32_e32 v11, 0x41b17218
	v_cndmask_b32_e32 v12, 0, v11, vcc
	v_mul_f32_e32 v13, 0x3f317217, v9
	v_fma_f32 v13, v9, s7, -v13
	v_fmac_f32_e32 v13, 0x3377d1cf, v9
	v_fmac_f32_e32 v13, 0x3f317217, v9
	v_cmp_lt_f32_e64 vcc, |v9|, s13
	s_nop 1
	v_cndmask_b32_e32 v9, v9, v13, vcc
	v_sub_f32_e32 v9, v9, v12
	v_cmp_lt_f16_e32 vcc, s6, v7
	s_nop 1
	v_cndmask_b32_e32 v6, v9, v6, vcc
	v_mul_f32_e32 v9, 0x4f800000, v6
	v_cmp_gt_f32_e32 vcc, s14, v6
	s_nop 1
	v_cndmask_b32_e32 v6, v6, v9, vcc
	v_sqrt_f32_e32 v9, v6
	s_nop 0
	v_add_u32_e32 v12, -1, v9
	v_fma_f32 v13, -v12, v9, v6
	v_cmp_ge_f32_e64 s[4:5], 0, v13
	v_add_u32_e32 v13, 1, v9
	s_nop 0
	v_cndmask_b32_e64 v12, v9, v12, s[4:5]
	v_fma_f32 v9, -v13, v9, v6
	v_cmp_lt_f32_e64 s[4:5], 0, v9
	s_nop 1
	v_cndmask_b32_e64 v9, v12, v13, s[4:5]
	v_mul_f32_e32 v12, 0x37800000, v9
	v_cndmask_b32_e32 v12, v9, v12, vcc
	v_mov_b32_e32 v9, 0x260
	v_cmp_class_f32_e64 s[4:5], v6, v9
	s_and_b64 vcc, exec, s[2:3]
	s_nop 0
	v_cndmask_b32_e64 v6, v12, v6, s[4:5]
	s_cbranch_vccnz .LBB313_18
; %bb.17:
	s_load_dword s4, s[10:11], 0x18
	s_waitcnt lgkmcnt(0)
	v_add_f32_e32 v6, s4, v6
.LBB313_18:
	v_cvt_f32_f16_sdwa v12, v7 dst_sel:DWORD dst_unused:UNUSED_PAD src0_sel:WORD_1
	v_mul_f32_e32 v13, 0x3fb8aa3b, v12
	v_exp_f32_e32 v13, v13
	s_nop 0
	v_add_f32_e32 v13, 1.0, v13
	v_cmp_gt_f32_e32 vcc, s12, v13
	s_nop 1
	v_cndmask_b32_e32 v10, 1.0, v10, vcc
	v_mul_f32_e32 v10, v13, v10
	v_log_f32_e32 v10, v10
	v_cndmask_b32_e32 v11, 0, v11, vcc
	v_mul_f32_e32 v13, 0x3f317217, v10
	v_fma_f32 v13, v10, s7, -v13
	v_fmac_f32_e32 v13, 0x3377d1cf, v10
	v_fmac_f32_e32 v13, 0x3f317217, v10
	v_cmp_lt_f32_e64 vcc, |v10|, s13
	s_nop 1
	v_cndmask_b32_e32 v10, v10, v13, vcc
	v_sub_f32_e32 v10, v10, v11
	v_cmp_gt_f16_sdwa vcc, v7, s6 src0_sel:WORD_1 src1_sel:DWORD
	s_nop 1
	v_cndmask_b32_e32 v7, v10, v12, vcc
	v_mul_f32_e32 v10, 0x4f800000, v7
	v_cmp_gt_f32_e64 s[4:5], s14, v7
	s_and_b64 vcc, exec, s[2:3]
	s_nop 0
	v_cndmask_b32_e64 v7, v7, v10, s[4:5]
	v_sqrt_f32_e32 v10, v7
	s_nop 0
	v_add_u32_e32 v11, -1, v10
	v_add_u32_e32 v12, 1, v10
	v_fma_f32 v13, -v11, v10, v7
	v_fma_f32 v14, -v12, v10, v7
	v_cmp_ge_f32_e64 s[6:7], 0, v13
	s_nop 1
	v_cndmask_b32_e64 v10, v10, v11, s[6:7]
	v_cmp_lt_f32_e64 s[6:7], 0, v14
	s_nop 1
	v_cndmask_b32_e64 v10, v10, v12, s[6:7]
	v_mul_f32_e32 v11, 0x37800000, v10
	v_cndmask_b32_e64 v10, v10, v11, s[4:5]
	v_cmp_class_f32_e64 s[4:5], v7, v9
	s_nop 1
	v_cndmask_b32_e64 v7, v10, v7, s[4:5]
	s_cbranch_vccnz .LBB313_20
; %bb.19:
	s_load_dword s4, s[10:11], 0x1c
	s_waitcnt lgkmcnt(0)
	v_add_f32_e32 v7, s4, v7
.LBB313_20:
	s_load_dwordx4 s[12:15], s[0:1], 0x30
	s_mov_b32 s25, 0
	s_waitcnt lgkmcnt(0)
	s_bitcmp1_b32 s15, 0
	s_cselect_b64 s[4:5], -1, 0
	s_cmp_gt_i32 s12, 0
	s_cselect_b64 s[6:7], -1, 0
	s_and_b64 vcc, exec, s[6:7]
	v_mul_lo_u32 v10, v8, s12
	s_cbranch_vccz .LBB313_27
; %bb.21:
	s_load_dwordx4 s[16:19], s[0:1], 0x20
	v_mov_b32_e32 v13, 0
	v_mov_b32_e32 v11, 0xc61c4000
	;; [unrolled: 1-line block ×3, first 2 shown]
	s_branch .LBB313_23
.LBB313_22:                             ;   in Loop: Header=BB313_23 Depth=1
	v_add_f32_e32 v12, v9, v14
	v_cndmask_b32_e64 v9, v9, v12, s[4:5]
	s_cmp_lg_u32 s12, s25
	v_add_u32_e32 v8, s24, v8
	s_cbranch_scc0 .LBB313_28
.LBB313_23:                             ; =>This Inner Loop Header: Depth=1
	v_cmp_gt_f32_e32 vcc, v1, v0
	s_nop 1
	v_cndmask_b32_e32 v14, v0, v1, vcc
	v_cndmask_b32_e64 v12, 0, 1, vcc
	v_cmp_gt_f32_e32 vcc, v2, v14
	s_nop 1
	v_cndmask_b32_e32 v14, v14, v2, vcc
	v_cndmask_b32_e64 v12, v12, 2, vcc
	;; [unrolled: 4-line block ×6, first 2 shown]
	v_cmp_gt_f32_e64 s[0:1], v7, v14
	s_and_b64 vcc, exec, s[2:3]
	s_nop 0
	v_cndmask_b32_e64 v12, v12, 7, s[0:1]
	v_cndmask_b32_e64 v14, v14, v7, s[0:1]
	s_cbranch_vccnz .LBB313_25
; %bb.24:                               ;   in Loop: Header=BB313_23 Depth=1
	v_lshl_add_u64 v[16:17], v[12:13], 2, s[10:11]
	global_load_dword v15, v[16:17], off
	s_waitcnt vmcnt(0)
	v_sub_f32_e32 v14, v14, v15
.LBB313_25:                             ;   in Loop: Header=BB313_23 Depth=1
	v_add_u32_e32 v16, s25, v10
	v_ashrrev_i32_e32 v17, 31, v16
	v_cmp_le_i32_e32 vcc, s13, v12
	v_cmp_gt_i32_e64 s[0:1], s14, v12
	v_lshlrev_b64 v[18:19], 2, v[16:17]
	s_and_b64 s[0:1], vcc, s[0:1]
	v_lshl_add_u64 v[20:21], s[20:21], 0, v[18:19]
	v_subrev_u32_e32 v15, s13, v12
	global_store_dword v[20:21], v14, off
	v_ashrrev_i32_e32 v20, 31, v15
	s_and_b64 vcc, s[22:23], s[0:1]
	v_cndmask_b32_e32 v21, 0, v20, vcc
	v_cndmask_b32_e32 v20, 8, v15, vcc
	s_waitcnt lgkmcnt(0)
	v_lshl_add_u64 v[16:17], v[16:17], 3, s[16:17]
	s_add_i32 s25, s25, 1
	global_store_dwordx2 v[16:17], v[20:21], off
	v_lshl_add_u64 v[16:17], s[18:19], 0, v[18:19]
	s_cmp_ge_i32 s25, s12
	global_store_dword v[16:17], v8, off
	s_cbranch_scc1 .LBB313_22
; %bb.26:                               ;   in Loop: Header=BB313_23 Depth=1
	v_cmp_ne_u32_e32 vcc, 7, v12
	s_nop 1
	v_cndmask_b32_e32 v7, v11, v7, vcc
	v_cmp_ne_u32_e32 vcc, 6, v12
	s_nop 1
	v_cndmask_b32_e32 v6, v11, v6, vcc
	;; [unrolled: 3-line block ×8, first 2 shown]
	s_branch .LBB313_22
.LBB313_27:
	v_mov_b32_e32 v9, 0
.LBB313_28:
	s_andn2_b64 vcc, exec, s[4:5]
	v_cvt_f32_f64_e32 v0, s[8:9]
	s_cbranch_vccnz .LBB313_30
; %bb.29:
	v_cmp_lt_f32_e32 vcc, 0, v9
	s_nop 1
	v_cndmask_b32_e32 v1, 1.0, v9, vcc
	v_div_scale_f32 v2, s[0:1], v1, v1, v0
	v_rcp_f32_e32 v3, v2
	s_nop 0
	v_fma_f32 v4, -v2, v3, 1.0
	v_fmac_f32_e32 v3, v4, v3
	v_div_scale_f32 v4, vcc, v0, v1, v0
	v_mul_f32_e32 v5, v4, v3
	v_fma_f32 v6, -v2, v5, v4
	v_fmac_f32_e32 v5, v6, v3
	v_fma_f32 v2, -v2, v5, v4
	v_div_fmas_f32 v2, v2, v3, v5
	v_div_fixup_f32 v0, v2, v1, v0
.LBB313_30:
	s_andn2_b64 vcc, exec, s[6:7]
	s_cbranch_vccnz .LBB313_40
; %bb.31:
	s_cmp_gt_u32 s12, 3
	v_ashrrev_i32_e32 v11, 31, v10
	s_cbranch_scc0 .LBB313_35
; %bb.32:
	s_and_b32 s0, s12, 0x7ffffffc
	v_lshl_add_u64 v[2:3], v[10:11], 2, s[20:21]
	v_mov_b32_e32 v1, v0
	v_lshl_add_u64 v[2:3], v[2:3], 0, 8
	s_mov_b32 s1, s0
.LBB313_33:                             ; =>This Inner Loop Header: Depth=1
	global_load_dwordx4 v[4:7], v[2:3], off offset:-8
	s_add_i32 s1, s1, -4
	s_cmp_lg_u32 s1, 0
	s_waitcnt vmcnt(0)
	v_pk_mul_f32 v[4:5], v[0:1], v[4:5]
	v_pk_mul_f32 v[6:7], v[0:1], v[6:7]
	global_store_dwordx4 v[2:3], v[4:7], off offset:-8
	v_lshl_add_u64 v[2:3], v[2:3], 0, 16
	s_cbranch_scc1 .LBB313_33
; %bb.34:
	s_cmp_lg_u32 s0, s12
	s_cselect_b64 s[2:3], -1, 0
	s_branch .LBB313_37
.LBB313_35:
	s_mov_b64 s[2:3], 0
                                        ; implicit-def: $sgpr0
	s_cbranch_execz .LBB313_37
; %bb.36:
	s_mov_b64 s[2:3], -1
	s_mov_b32 s0, 0
.LBB313_37:
	s_andn2_b64 vcc, exec, s[2:3]
	s_cbranch_vccnz .LBB313_40
; %bb.38:
	s_mov_b32 s1, 0
	v_lshl_add_u64 v[2:3], v[10:11], 0, s[0:1]
	s_sub_i32 s2, s12, s0
	v_lshl_add_u64 v[2:3], v[2:3], 2, s[20:21]
.LBB313_39:                             ; =>This Inner Loop Header: Depth=1
	global_load_dword v1, v[2:3], off
	s_add_i32 s2, s2, -1
	s_cmp_lg_u32 s2, 0
	s_waitcnt vmcnt(0)
	v_mul_f32_e32 v1, v0, v1
	global_store_dword v[2:3], v1, off
	v_lshl_add_u64 v[2:3], v[2:3], 0, 4
	s_cbranch_scc1 .LBB313_39
.LBB313_40:
	s_endpgm
	.section	.rodata,"a",@progbits
	.p2align	6, 0x0
	.amdhsa_kernel _ZN4vllm3moe22topkGatingSoftplusSqrtILi8ELi8ELi4ELi16ELi64ELb0El6__halfEEvPKT6_PKbPfiPT5_PiiiibdPKfPKS9_SF_
		.amdhsa_group_segment_fixed_size 0
		.amdhsa_private_segment_fixed_size 0
		.amdhsa_kernarg_size 96
		.amdhsa_user_sgpr_count 2
		.amdhsa_user_sgpr_dispatch_ptr 0
		.amdhsa_user_sgpr_queue_ptr 0
		.amdhsa_user_sgpr_kernarg_segment_ptr 1
		.amdhsa_user_sgpr_dispatch_id 0
		.amdhsa_user_sgpr_kernarg_preload_length 0
		.amdhsa_user_sgpr_kernarg_preload_offset 0
		.amdhsa_user_sgpr_private_segment_size 0
		.amdhsa_uses_dynamic_stack 0
		.amdhsa_enable_private_segment 0
		.amdhsa_system_sgpr_workgroup_id_x 1
		.amdhsa_system_sgpr_workgroup_id_y 0
		.amdhsa_system_sgpr_workgroup_id_z 0
		.amdhsa_system_sgpr_workgroup_info 0
		.amdhsa_system_vgpr_workitem_id 1
		.amdhsa_next_free_vgpr 22
		.amdhsa_next_free_sgpr 26
		.amdhsa_accum_offset 24
		.amdhsa_reserve_vcc 1
		.amdhsa_float_round_mode_32 0
		.amdhsa_float_round_mode_16_64 0
		.amdhsa_float_denorm_mode_32 3
		.amdhsa_float_denorm_mode_16_64 3
		.amdhsa_dx10_clamp 1
		.amdhsa_ieee_mode 1
		.amdhsa_fp16_overflow 0
		.amdhsa_tg_split 0
		.amdhsa_exception_fp_ieee_invalid_op 0
		.amdhsa_exception_fp_denorm_src 0
		.amdhsa_exception_fp_ieee_div_zero 0
		.amdhsa_exception_fp_ieee_overflow 0
		.amdhsa_exception_fp_ieee_underflow 0
		.amdhsa_exception_fp_ieee_inexact 0
		.amdhsa_exception_int_div_zero 0
	.end_amdhsa_kernel
	.section	.text._ZN4vllm3moe22topkGatingSoftplusSqrtILi8ELi8ELi4ELi16ELi64ELb0El6__halfEEvPKT6_PKbPfiPT5_PiiiibdPKfPKS9_SF_,"axG",@progbits,_ZN4vllm3moe22topkGatingSoftplusSqrtILi8ELi8ELi4ELi16ELi64ELb0El6__halfEEvPKT6_PKbPfiPT5_PiiiibdPKfPKS9_SF_,comdat
.Lfunc_end313:
	.size	_ZN4vllm3moe22topkGatingSoftplusSqrtILi8ELi8ELi4ELi16ELi64ELb0El6__halfEEvPKT6_PKbPfiPT5_PiiiibdPKfPKS9_SF_, .Lfunc_end313-_ZN4vllm3moe22topkGatingSoftplusSqrtILi8ELi8ELi4ELi16ELi64ELb0El6__halfEEvPKT6_PKbPfiPT5_PiiiibdPKfPKS9_SF_
                                        ; -- End function
	.section	.AMDGPU.csdata,"",@progbits
; Kernel info:
; codeLenInByte = 3360
; NumSgprs: 32
; NumVgprs: 22
; NumAgprs: 0
; TotalNumVgprs: 22
; ScratchSize: 0
; MemoryBound: 0
; FloatMode: 240
; IeeeMode: 1
; LDSByteSize: 0 bytes/workgroup (compile time only)
; SGPRBlocks: 3
; VGPRBlocks: 2
; NumSGPRsForWavesPerEU: 32
; NumVGPRsForWavesPerEU: 22
; AccumOffset: 24
; Occupancy: 8
; WaveLimiterHint : 0
; COMPUTE_PGM_RSRC2:SCRATCH_EN: 0
; COMPUTE_PGM_RSRC2:USER_SGPR: 2
; COMPUTE_PGM_RSRC2:TRAP_HANDLER: 0
; COMPUTE_PGM_RSRC2:TGID_X_EN: 1
; COMPUTE_PGM_RSRC2:TGID_Y_EN: 0
; COMPUTE_PGM_RSRC2:TGID_Z_EN: 0
; COMPUTE_PGM_RSRC2:TIDIG_COMP_CNT: 1
; COMPUTE_PGM_RSRC3_GFX90A:ACCUM_OFFSET: 5
; COMPUTE_PGM_RSRC3_GFX90A:TG_SPLIT: 0
	.section	.text._ZN4vllm3moe22topkGatingSoftplusSqrtILi8ELi8ELi4ELi16ELi32ELb1El6__halfEEvPKT6_PKbPfiPT5_PiiiibdPKfPKS9_SF_,"axG",@progbits,_ZN4vllm3moe22topkGatingSoftplusSqrtILi8ELi8ELi4ELi16ELi32ELb1El6__halfEEvPKT6_PKbPfiPT5_PiiiibdPKfPKS9_SF_,comdat
	.protected	_ZN4vllm3moe22topkGatingSoftplusSqrtILi8ELi8ELi4ELi16ELi32ELb1El6__halfEEvPKT6_PKbPfiPT5_PiiiibdPKfPKS9_SF_ ; -- Begin function _ZN4vllm3moe22topkGatingSoftplusSqrtILi8ELi8ELi4ELi16ELi32ELb1El6__halfEEvPKT6_PKbPfiPT5_PiiiibdPKfPKS9_SF_
	.globl	_ZN4vllm3moe22topkGatingSoftplusSqrtILi8ELi8ELi4ELi16ELi32ELb1El6__halfEEvPKT6_PKbPfiPT5_PiiiibdPKfPKS9_SF_
	.p2align	8
	.type	_ZN4vllm3moe22topkGatingSoftplusSqrtILi8ELi8ELi4ELi16ELi32ELb1El6__halfEEvPKT6_PKbPfiPT5_PiiiibdPKfPKS9_SF_,@function
_ZN4vllm3moe22topkGatingSoftplusSqrtILi8ELi8ELi4ELi16ELi32ELb1El6__halfEEvPKT6_PKbPfiPT5_PiiiibdPKfPKS9_SF_: ; @_ZN4vllm3moe22topkGatingSoftplusSqrtILi8ELi8ELi4ELi16ELi32ELb1El6__halfEEvPKT6_PKbPfiPT5_PiiiibdPKfPKS9_SF_
; %bb.0:
	s_load_dword s3, s[0:1], 0x18
	v_bfe_u32 v1, v0, 10, 10
	s_lshl_b32 s2, s2, 7
	v_lshlrev_b32_e32 v1, 5, v1
	v_and_b32_e32 v0, 0x3ff, v0
	v_add3_u32 v6, v1, v0, s2
	s_waitcnt lgkmcnt(0)
	v_cmp_gt_i32_e32 vcc, s3, v6
	s_and_saveexec_b64 s[2:3], vcc
	s_cbranch_execz .LBB314_56
; %bb.1:
	s_load_dwordx4 s[8:11], s[0:1], 0x50
	s_load_dwordx2 s[2:3], s[0:1], 0x0
	s_load_dword s12, s[0:1], 0x30
	v_lshlrev_b32_e32 v0, 3, v6
	v_ashrrev_i32_e32 v1, 31, v0
	s_waitcnt lgkmcnt(0)
	v_mov_b32_e32 v4, s8
	v_lshl_add_u64 v[0:1], v[0:1], 1, s[2:3]
	global_load_dwordx4 v[0:3], v[0:1], off
	v_mov_b32_e32 v5, s9
	v_ashrrev_i32_e32 v7, 31, v6
	v_lshl_add_u64 v[4:5], v[6:7], 3, v[4:5]
	global_load_dwordx2 v[4:5], v[4:5], off
	s_mov_b32 s21, 0x800000
	s_ashr_i32 s13, s12, 31
	v_mov_b32_e32 v7, 0x4f800000
	s_mov_b32 s19, 0x3f317217
	s_mov_b32 s20, 0x7f800000
	v_mov_b32_e32 v19, 0x41b17218
	s_movk_i32 s15, 0x4d00
	s_mov_b32 s18, 0xf800000
	v_mov_b32_e32 v20, 0x260
	v_cmp_lt_i64_e64 s[16:17], s[12:13], 1
	s_mov_b32 s14, 0
	v_mov_b32_e32 v18, 0
	v_cmp_gt_i64_e64 s[8:9], s[12:13], 0
	s_waitcnt vmcnt(1)
	v_cvt_f32_f16_sdwa v12, v0 dst_sel:DWORD dst_unused:UNUSED_PAD src0_sel:WORD_1
	v_cvt_f32_f16_e32 v13, v0
	v_cvt_f32_f16_sdwa v14, v1 dst_sel:DWORD dst_unused:UNUSED_PAD src0_sel:WORD_1
	v_cvt_f32_f16_e32 v15, v1
	s_waitcnt vmcnt(0)
	v_mul_lo_u32 v16, v5, s12
	v_mul_f32_e32 v5, 0x3fb8aa3b, v13
	v_mul_f32_e32 v9, 0x3fb8aa3b, v12
	v_exp_f32_e32 v8, v5
	v_exp_f32_e32 v9, v9
	v_mul_f32_e32 v10, 0x3fb8aa3b, v15
	v_mul_f32_e32 v11, 0x3fb8aa3b, v14
	v_exp_f32_e32 v10, v10
	v_exp_f32_e32 v11, v11
	v_pk_add_f32 v[8:9], v[8:9], 1.0 op_sel_hi:[1,0]
	v_mul_lo_u32 v17, v4, s13
	v_mad_u64_u32 v[4:5], s[2:3], v4, s12, 0
	v_cmp_gt_f32_e32 vcc, s21, v9
	v_add3_u32 v5, v5, v17, v16
	v_pk_add_f32 v[10:11], v[10:11], 1.0 op_sel_hi:[1,0]
	v_cndmask_b32_e32 v16, 1.0, v7, vcc
	v_cmp_gt_f32_e64 s[2:3], s21, v8
	v_cmp_gt_f32_e64 s[4:5], s21, v11
	v_mul_f32_e32 v9, v9, v16
	v_cndmask_b32_e64 v17, 1.0, v7, s[2:3]
	v_cndmask_b32_e64 v21, 1.0, v7, s[4:5]
	v_mul_f32_e32 v8, v8, v17
	v_log_f32_e32 v9, v9
	v_mul_f32_e32 v11, v11, v21
	v_log_f32_e32 v8, v8
	v_cmp_gt_f32_e64 s[6:7], s21, v10
	v_log_f32_e32 v11, v11
	v_cndmask_b32_e32 v16, 0, v19, vcc
	v_cndmask_b32_e64 v22, 1.0, v7, s[6:7]
	v_mul_f32_e32 v10, v10, v22
	v_mul_f32_e32 v22, 0x3f317217, v9
	;; [unrolled: 1-line block ×3, first 2 shown]
	v_fma_f32 v22, v9, s19, -v22
	v_mul_f32_e32 v24, 0x3f317217, v11
	v_fma_f32 v23, v8, s19, -v23
	v_fmac_f32_e32 v22, 0x3377d1cf, v9
	v_fma_f32 v24, v11, s19, -v24
	v_fmac_f32_e32 v23, 0x3377d1cf, v8
	v_fmac_f32_e32 v22, 0x3f317217, v9
	v_cmp_lt_f32_e64 vcc, |v9|, s20
	v_fmac_f32_e32 v24, 0x3377d1cf, v11
	v_fmac_f32_e32 v23, 0x3f317217, v8
	v_cndmask_b32_e32 v9, v9, v22, vcc
	v_cmp_lt_f32_e64 vcc, |v8|, s20
	v_cndmask_b32_e64 v17, 0, v19, s[2:3]
	v_fmac_f32_e32 v24, 0x3f317217, v11
	v_cndmask_b32_e32 v8, v8, v23, vcc
	v_cmp_lt_f32_e64 vcc, |v11|, s20
	v_sub_f32_e32 v8, v8, v17
	v_sub_f32_e32 v9, v9, v16
	v_cndmask_b32_e32 v11, v11, v24, vcc
	v_cmp_lt_f16_e32 vcc, s15, v0
	v_cndmask_b32_e64 v21, 0, v19, s[4:5]
	v_log_f32_e32 v10, v10
	v_cndmask_b32_e32 v8, v8, v13, vcc
	v_cmp_gt_f16_sdwa vcc, v0, s15 src0_sel:WORD_1 src1_sel:DWORD
	v_cmp_gt_f32_e64 s[2:3], s18, v8
	v_sub_f32_e32 v11, v11, v21
	v_cndmask_b32_e32 v0, v9, v12, vcc
	v_mul_f32_e32 v9, 0x4f800000, v0
	v_cmp_gt_f32_e32 vcc, s18, v0
	v_mul_f32_e32 v12, 0x4f800000, v8
	v_cndmask_b32_e64 v8, v8, v12, s[2:3]
	v_cndmask_b32_e32 v0, v0, v9, vcc
	v_sqrt_f32_e32 v9, v0
	v_sqrt_f32_e32 v12, v8
	v_mul_f32_e32 v25, 0x3f317217, v10
	v_fma_f32 v25, v10, s19, -v25
	v_add_u32_e32 v13, -1, v9
	v_add_u32_e32 v17, -1, v12
	v_fma_f32 v22, -v13, v9, v0
	v_add_u32_e32 v16, 1, v9
	v_fma_f32 v24, -v17, v12, v8
	v_cmp_ge_f32_e64 s[4:5], 0, v22
	v_add_u32_e32 v21, 1, v12
	v_fma_f32 v23, -v16, v9, v0
	v_cndmask_b32_e64 v9, v9, v13, s[4:5]
	v_cmp_ge_f32_e64 s[4:5], 0, v24
	v_fma_f32 v26, -v21, v12, v8
	v_fmac_f32_e32 v25, 0x3377d1cf, v10
	v_cndmask_b32_e64 v12, v12, v17, s[4:5]
	v_cmp_lt_f32_e64 s[4:5], 0, v23
	v_fmac_f32_e32 v25, 0x3f317217, v10
	s_nop 0
	v_cndmask_b32_e64 v9, v9, v16, s[4:5]
	v_cmp_lt_f32_e64 s[4:5], 0, v26
	v_mul_f32_e32 v13, 0x37800000, v9
	v_cndmask_b32_e32 v9, v9, v13, vcc
	v_cndmask_b32_e64 v12, v12, v21, s[4:5]
	v_mul_f32_e32 v16, 0x37800000, v12
	v_cmp_class_f32_e32 vcc, v0, v20
	v_cndmask_b32_e64 v13, v12, v16, s[2:3]
	v_cmp_lt_f16_e64 s[2:3], s15, v1
	v_cndmask_b32_e32 v12, v9, v0, vcc
	v_cmp_class_f32_e32 vcc, v8, v20
	v_cvt_f32_f16_sdwa v16, v2 dst_sel:DWORD dst_unused:UNUSED_PAD src0_sel:WORD_1
	s_nop 0
	v_cndmask_b32_e32 v13, v13, v8, vcc
	v_cmp_lt_f32_e64 vcc, |v10|, s20
	v_cndmask_b32_e64 v8, 0, v19, s[6:7]
	s_nop 0
	v_cndmask_b32_e32 v0, v10, v25, vcc
	v_cmp_gt_f16_sdwa vcc, v1, s15 src0_sel:WORD_1 src1_sel:DWORD
	v_sub_f32_e32 v0, v0, v8
	v_cndmask_b32_e64 v0, v0, v15, s[2:3]
	v_cndmask_b32_e32 v9, v11, v14, vcc
	v_mul_f32_e32 v10, 0x4f800000, v9
	v_cmp_gt_f32_e32 vcc, s18, v9
	s_nop 1
	v_cndmask_b32_e32 v9, v9, v10, vcc
	v_sqrt_f32_e32 v10, v9
	s_nop 0
	v_add_u32_e32 v1, -1, v10
	v_fma_f32 v8, -v1, v10, v9
	v_cmp_ge_f32_e64 s[2:3], 0, v8
	v_add_u32_e32 v8, 1, v10
	s_nop 0
	v_cndmask_b32_e64 v1, v10, v1, s[2:3]
	v_fma_f32 v10, -v8, v10, v9
	v_cmp_lt_f32_e64 s[2:3], 0, v10
	v_mul_f32_e32 v10, 0x4f800000, v0
	s_nop 0
	v_cndmask_b32_e64 v1, v1, v8, s[2:3]
	v_cmp_gt_f32_e64 s[2:3], s18, v0
	v_mul_f32_e32 v8, 0x37800000, v1
	v_cndmask_b32_e32 v1, v1, v8, vcc
	v_cndmask_b32_e64 v10, v0, v10, s[2:3]
	v_sqrt_f32_e32 v0, v10
	v_cmp_class_f32_e32 vcc, v9, v20
	v_add_u32_e32 v11, 1, v0
	s_nop 0
	v_cndmask_b32_e32 v14, v1, v9, vcc
	v_cvt_f32_f16_e32 v9, v2
	v_add_u32_e32 v1, -1, v0
	v_fma_f32 v8, -v1, v0, v10
	v_cmp_ge_f32_e32 vcc, 0, v8
	v_fma_f32 v15, -v11, v0, v10
	s_nop 0
	v_cndmask_b32_e32 v8, v0, v1, vcc
	v_mul_f32_e32 v0, 0x3fb8aa3b, v9
	v_mul_f32_e32 v1, 0x3fb8aa3b, v16
	v_exp_f32_e32 v0, v0
	v_exp_f32_e32 v1, v1
	v_cmp_lt_f32_e32 vcc, 0, v15
	v_pk_add_f32 v[0:1], v[0:1], 1.0 op_sel_hi:[1,0]
	s_nop 0
	v_cndmask_b32_e32 v8, v8, v11, vcc
	v_cmp_gt_f32_e32 vcc, s21, v1
	v_mul_f32_e32 v11, 0x37800000, v8
	v_cndmask_b32_e64 v8, v8, v11, s[2:3]
	v_cndmask_b32_e32 v15, 1.0, v7, vcc
	v_mul_f32_e32 v1, v1, v15
	v_log_f32_e32 v1, v1
	v_cmp_class_f32_e64 s[2:3], v10, v20
	v_cvt_f32_f16_sdwa v11, v3 dst_sel:DWORD dst_unused:UNUSED_PAD src0_sel:WORD_1
	v_cmp_lt_f32_e64 s[4:5], |v1|, s20
	v_cndmask_b32_e64 v15, v8, v10, s[2:3]
	v_cmp_gt_f32_e64 s[2:3], s21, v0
	v_mul_f32_e32 v8, 0x3f317217, v1
	v_fma_f32 v8, v1, s19, -v8
	v_cndmask_b32_e64 v10, 1.0, v7, s[2:3]
	v_mul_f32_e32 v0, v0, v10
	v_log_f32_e32 v0, v0
	v_fmac_f32_e32 v8, 0x3377d1cf, v1
	v_fmac_f32_e32 v8, 0x3f317217, v1
	v_cndmask_b32_e64 v1, v1, v8, s[4:5]
	v_cndmask_b32_e32 v8, 0, v19, vcc
	v_sub_f32_e32 v1, v1, v8
	v_mul_f32_e32 v8, 0x3f317217, v0
	v_fma_f32 v8, v0, s19, -v8
	v_fmac_f32_e32 v8, 0x3377d1cf, v0
	v_fmac_f32_e32 v8, 0x3f317217, v0
	v_cmp_lt_f32_e64 vcc, |v0|, s20
	s_nop 1
	v_cndmask_b32_e32 v0, v0, v8, vcc
	v_cmp_gt_f16_sdwa vcc, v2, s15 src0_sel:WORD_1 src1_sel:DWORD
	v_cndmask_b32_e64 v8, 0, v19, s[2:3]
	v_cmp_lt_f16_e64 s[2:3], s15, v2
	v_cndmask_b32_e32 v1, v1, v16, vcc
	v_mul_f32_e32 v10, 0x4f800000, v1
	v_cmp_gt_f32_e32 vcc, s18, v1
	v_sub_f32_e32 v0, v0, v8
	v_cndmask_b32_e64 v0, v0, v9, s[2:3]
	v_cndmask_b32_e32 v1, v1, v10, vcc
	v_sqrt_f32_e32 v10, v1
	s_nop 0
	v_add_u32_e32 v2, -1, v10
	v_fma_f32 v8, -v2, v10, v1
	v_cmp_ge_f32_e64 s[2:3], 0, v8
	v_add_u32_e32 v8, 1, v10
	v_fma_f32 v9, -v8, v10, v1
	v_cndmask_b32_e64 v2, v10, v2, s[2:3]
	v_cmp_lt_f32_e64 s[2:3], 0, v9
	v_mul_f32_e32 v9, 0x4f800000, v0
	s_nop 0
	v_cndmask_b32_e64 v2, v2, v8, s[2:3]
	v_cmp_gt_f32_e64 s[2:3], s18, v0
	v_mul_f32_e32 v8, 0x37800000, v2
	v_cndmask_b32_e32 v2, v2, v8, vcc
	v_cndmask_b32_e64 v9, v0, v9, s[2:3]
	v_sqrt_f32_e32 v0, v9
	v_cmp_class_f32_e32 vcc, v1, v20
	v_cvt_f32_f16_e32 v8, v3
	v_add_u32_e32 v10, 1, v0
	v_cndmask_b32_e32 v16, v2, v1, vcc
	v_add_u32_e32 v1, -1, v0
	v_fma_f32 v2, -v1, v0, v9
	v_cmp_ge_f32_e32 vcc, 0, v2
	v_fma_f32 v17, -v10, v0, v9
	s_nop 0
	v_cndmask_b32_e32 v2, v0, v1, vcc
	v_mul_f32_e32 v0, 0x3fb8aa3b, v8
	v_mul_f32_e32 v1, 0x3fb8aa3b, v11
	v_exp_f32_e32 v0, v0
	v_exp_f32_e32 v1, v1
	v_cmp_lt_f32_e32 vcc, 0, v17
	v_pk_add_f32 v[0:1], v[0:1], 1.0 op_sel_hi:[1,0]
	s_nop 0
	v_cndmask_b32_e32 v2, v2, v10, vcc
	v_cmp_gt_f32_e32 vcc, s21, v1
	v_mul_f32_e32 v10, 0x37800000, v2
	v_cndmask_b32_e64 v2, v2, v10, s[2:3]
	v_cndmask_b32_e32 v17, 1.0, v7, vcc
	v_mul_f32_e32 v1, v1, v17
	v_log_f32_e32 v1, v1
	v_cmp_class_f32_e64 s[2:3], v9, v20
	v_cmp_lt_f32_e64 s[4:5], |v1|, s20
	s_nop 0
	v_cndmask_b32_e64 v17, v2, v9, s[2:3]
	v_cmp_gt_f32_e64 s[2:3], s21, v0
	v_mul_f32_e32 v2, 0x3f317217, v1
	v_fma_f32 v2, v1, s19, -v2
	v_cndmask_b32_e64 v7, 1.0, v7, s[2:3]
	v_mul_f32_e32 v0, v0, v7
	v_log_f32_e32 v0, v0
	v_fmac_f32_e32 v2, 0x3377d1cf, v1
	v_fmac_f32_e32 v2, 0x3f317217, v1
	v_cndmask_b32_e64 v1, v1, v2, s[4:5]
	v_cndmask_b32_e32 v2, 0, v19, vcc
	v_sub_f32_e32 v1, v1, v2
	v_mul_f32_e32 v2, 0x3f317217, v0
	v_fma_f32 v2, v0, s19, -v2
	v_fmac_f32_e32 v2, 0x3377d1cf, v0
	v_fmac_f32_e32 v2, 0x3f317217, v0
	v_cmp_lt_f32_e64 vcc, |v0|, s20
	s_nop 1
	v_cndmask_b32_e32 v0, v0, v2, vcc
	v_cmp_gt_f16_sdwa vcc, v3, s15 src0_sel:WORD_1 src1_sel:DWORD
	v_cndmask_b32_e64 v2, 0, v19, s[2:3]
	v_sub_f32_e32 v0, v0, v2
	v_cndmask_b32_e32 v1, v1, v11, vcc
	v_mul_f32_e32 v7, 0x4f800000, v1
	v_cmp_gt_f32_e32 vcc, s18, v1
	v_cmp_lt_f16_e64 s[2:3], s15, v3
	s_nop 0
	v_cndmask_b32_e32 v1, v1, v7, vcc
	v_sqrt_f32_e32 v7, v1
	v_cndmask_b32_e64 v0, v0, v8, s[2:3]
	v_add_u32_e32 v2, -1, v7
	v_fma_f32 v3, -v2, v7, v1
	v_cmp_ge_f32_e64 s[2:3], 0, v3
	v_add_u32_e32 v3, 1, v7
	s_nop 0
	v_cndmask_b32_e64 v2, v7, v2, s[2:3]
	v_fma_f32 v7, -v3, v7, v1
	v_cmp_lt_f32_e64 s[2:3], 0, v7
	v_mul_f32_e32 v7, 0x4f800000, v0
	s_nop 0
	v_cndmask_b32_e64 v2, v2, v3, s[2:3]
	v_cmp_gt_f32_e64 s[2:3], s18, v0
	v_mul_f32_e32 v3, 0x37800000, v2
	v_cndmask_b32_e32 v2, v2, v3, vcc
	v_cndmask_b32_e64 v0, v0, v7, s[2:3]
	v_sqrt_f32_e32 v7, v0
	v_cmp_class_f32_e32 vcc, v1, v20
	s_nop 1
	v_cndmask_b32_e32 v19, v2, v1, vcc
	v_add_u32_e32 v1, -1, v7
	v_fma_f32 v2, -v1, v7, v0
	v_cmp_ge_f32_e32 vcc, 0, v2
	v_add_u32_e32 v2, 1, v7
	v_fma_f32 v3, -v2, v7, v0
	v_cndmask_b32_e32 v1, v7, v1, vcc
	v_cmp_lt_f32_e32 vcc, 0, v3
	s_nop 1
	v_cndmask_b32_e32 v1, v1, v2, vcc
	v_mul_f32_e32 v2, 0x37800000, v1
	v_cndmask_b32_e64 v1, v1, v2, s[2:3]
	v_cmp_class_f32_e32 vcc, v0, v20
	s_nop 1
	v_cndmask_b32_e32 v20, v1, v0, vcc
	s_and_b64 vcc, exec, s[16:17]
	v_mul_lo_u32 v0, v6, s12
	s_cbranch_vccnz .LBB314_29
; %bb.2:
	s_load_dwordx2 s[2:3], s[0:1], 0x20
	s_cmp_lt_u32 s12, 4
	v_lshl_add_u64 v[2:3], v[4:5], 3, s[10:11]
	s_cbranch_scc1 .LBB314_21
; %bb.3:
	s_mov_b32 s5, 0
	s_and_b32 s14, s12, 0x7ffffffc
	v_ashrrev_i32_e32 v1, 31, v0
	v_mov_b32_e32 v18, 0
	s_mov_b32 s4, s5
	s_branch .LBB314_5
.LBB314_4:                              ;   in Loop: Header=BB314_5 Depth=1
	s_or_b64 exec, exec, s[6:7]
	s_add_i32 s4, s4, 4
	s_cmp_eq_u32 s4, s14
	s_cbranch_scc1 .LBB314_22
.LBB314_5:                              ; =>This Loop Header: Depth=1
                                        ;     Child Loop BB314_7 Depth 2
                                        ;     Child Loop BB314_11 Depth 2
                                        ;     Child Loop BB314_15 Depth 2
                                        ;     Child Loop BB314_19 Depth 2
	v_lshl_add_u64 v[6:7], s[4:5], 3, v[2:3]
	global_load_dwordx2 v[8:9], v[6:7], off
	v_add_u32_e32 v10, s4, v0
	v_ashrrev_i32_e32 v11, 31, v10
	s_mov_b64 s[6:7], 0
	s_waitcnt lgkmcnt(0)
	v_lshl_add_u64 v[10:11], v[10:11], 3, s[2:3]
	s_waitcnt vmcnt(0)
	v_cmp_eq_u32_e32 vcc, 1, v8
	s_nop 1
	v_cndmask_b32_e32 v22, v13, v12, vcc
	v_cmp_eq_u32_e32 vcc, 2, v8
	v_min_u32_e32 v21, 7, v8
	v_ashrrev_i32_e32 v9, 31, v8
	v_cndmask_b32_e32 v22, v22, v15, vcc
	v_cmp_eq_u32_e32 vcc, 3, v8
	v_add_u32_e32 v21, 1, v21
	v_mov_b32_e32 v23, v8
	v_cndmask_b32_e32 v22, v22, v14, vcc
	v_cmp_eq_u32_e32 vcc, 4, v8
	s_nop 1
	v_cndmask_b32_e32 v22, v22, v17, vcc
	v_cmp_eq_u32_e32 vcc, 5, v8
	s_nop 1
	;; [unrolled: 3-line block ×4, first 2 shown]
	v_cndmask_b32_e32 v22, v22, v19, vcc
	s_branch .LBB314_7
.LBB314_6:                              ;   in Loop: Header=BB314_7 Depth=2
	s_or_b64 exec, exec, s[16:17]
	v_add_u32_e32 v21, -1, v21
	v_cmp_eq_u32_e32 vcc, 0, v21
	s_or_b64 s[6:7], vcc, s[6:7]
	v_add_u32_e32 v23, -1, v23
	s_andn2_b64 exec, exec, s[6:7]
	s_cbranch_execz .LBB314_9
.LBB314_7:                              ;   Parent Loop BB314_5 Depth=1
                                        ; =>  This Inner Loop Header: Depth=2
	v_cmp_eq_u32_e32 vcc, 0, v23
	s_and_saveexec_b64 s[16:17], vcc
	s_cbranch_execz .LBB314_6
; %bb.8:                                ;   in Loop: Header=BB314_7 Depth=2
	v_add_f32_e32 v18, v18, v22
	global_store_dwordx2 v[10:11], v[8:9], off
	s_branch .LBB314_6
.LBB314_9:                              ;   in Loop: Header=BB314_5 Depth=1
	s_or_b64 exec, exec, s[6:7]
	global_load_dwordx2 v[10:11], v[6:7], off offset:8
	s_ashr_i32 s17, s4, 31
	s_mov_b32 s16, s4
	v_lshl_add_u64 v[8:9], s[16:17], 0, v[0:1]
	s_mov_b64 s[6:7], 0
	v_lshl_add_u64 v[8:9], v[8:9], 3, s[2:3]
	s_waitcnt vmcnt(0)
	v_cmp_eq_u32_e32 vcc, 1, v10
	s_nop 1
	v_cndmask_b32_e32 v22, v13, v12, vcc
	v_cmp_eq_u32_e32 vcc, 2, v10
	v_min_u32_e32 v21, 7, v10
	v_ashrrev_i32_e32 v11, 31, v10
	v_cndmask_b32_e32 v22, v22, v15, vcc
	v_cmp_eq_u32_e32 vcc, 3, v10
	v_add_u32_e32 v21, 1, v21
	v_mov_b32_e32 v23, v10
	v_cndmask_b32_e32 v22, v22, v14, vcc
	v_cmp_eq_u32_e32 vcc, 4, v10
	s_nop 1
	v_cndmask_b32_e32 v22, v22, v17, vcc
	v_cmp_eq_u32_e32 vcc, 5, v10
	s_nop 1
	;; [unrolled: 3-line block ×4, first 2 shown]
	v_cndmask_b32_e32 v22, v22, v19, vcc
	s_branch .LBB314_11
.LBB314_10:                             ;   in Loop: Header=BB314_11 Depth=2
	s_or_b64 exec, exec, s[16:17]
	v_add_u32_e32 v21, -1, v21
	v_cmp_eq_u32_e32 vcc, 0, v21
	s_or_b64 s[6:7], vcc, s[6:7]
	v_add_u32_e32 v23, -1, v23
	s_andn2_b64 exec, exec, s[6:7]
	s_cbranch_execz .LBB314_13
.LBB314_11:                             ;   Parent Loop BB314_5 Depth=1
                                        ; =>  This Inner Loop Header: Depth=2
	v_cmp_eq_u32_e32 vcc, 0, v23
	s_and_saveexec_b64 s[16:17], vcc
	s_cbranch_execz .LBB314_10
; %bb.12:                               ;   in Loop: Header=BB314_11 Depth=2
	v_add_f32_e32 v18, v18, v22
	global_store_dwordx2 v[8:9], v[10:11], off offset:8
	s_branch .LBB314_10
.LBB314_13:                             ;   in Loop: Header=BB314_5 Depth=1
	s_or_b64 exec, exec, s[6:7]
	global_load_dwordx2 v[10:11], v[6:7], off offset:16
	s_mov_b64 s[6:7], 0
	s_waitcnt vmcnt(0)
	v_cmp_eq_u32_e32 vcc, 1, v10
	s_nop 1
	v_cndmask_b32_e32 v22, v13, v12, vcc
	v_cmp_eq_u32_e32 vcc, 2, v10
	v_min_u32_e32 v21, 7, v10
	v_ashrrev_i32_e32 v11, 31, v10
	v_cndmask_b32_e32 v22, v22, v15, vcc
	v_cmp_eq_u32_e32 vcc, 3, v10
	v_add_u32_e32 v21, 1, v21
	v_mov_b32_e32 v23, v10
	v_cndmask_b32_e32 v22, v22, v14, vcc
	v_cmp_eq_u32_e32 vcc, 4, v10
	s_nop 1
	v_cndmask_b32_e32 v22, v22, v17, vcc
	v_cmp_eq_u32_e32 vcc, 5, v10
	s_nop 1
	;; [unrolled: 3-line block ×4, first 2 shown]
	v_cndmask_b32_e32 v22, v22, v19, vcc
	s_branch .LBB314_15
.LBB314_14:                             ;   in Loop: Header=BB314_15 Depth=2
	s_or_b64 exec, exec, s[16:17]
	v_add_u32_e32 v21, -1, v21
	v_cmp_eq_u32_e32 vcc, 0, v21
	s_or_b64 s[6:7], vcc, s[6:7]
	v_add_u32_e32 v23, -1, v23
	s_andn2_b64 exec, exec, s[6:7]
	s_cbranch_execz .LBB314_17
.LBB314_15:                             ;   Parent Loop BB314_5 Depth=1
                                        ; =>  This Inner Loop Header: Depth=2
	v_cmp_eq_u32_e32 vcc, 0, v23
	s_and_saveexec_b64 s[16:17], vcc
	s_cbranch_execz .LBB314_14
; %bb.16:                               ;   in Loop: Header=BB314_15 Depth=2
	v_add_f32_e32 v18, v18, v22
	global_store_dwordx2 v[8:9], v[10:11], off offset:16
	s_branch .LBB314_14
.LBB314_17:                             ;   in Loop: Header=BB314_5 Depth=1
	s_or_b64 exec, exec, s[6:7]
	global_load_dwordx2 v[6:7], v[6:7], off offset:24
	s_mov_b64 s[6:7], 0
	s_waitcnt vmcnt(0)
	v_cmp_eq_u32_e32 vcc, 1, v6
	s_nop 1
	v_cndmask_b32_e32 v11, v13, v12, vcc
	v_cmp_eq_u32_e32 vcc, 2, v6
	v_min_u32_e32 v10, 7, v6
	v_ashrrev_i32_e32 v7, 31, v6
	v_cndmask_b32_e32 v11, v11, v15, vcc
	v_cmp_eq_u32_e32 vcc, 3, v6
	v_add_u32_e32 v10, 1, v10
	v_mov_b32_e32 v21, v6
	v_cndmask_b32_e32 v11, v11, v14, vcc
	v_cmp_eq_u32_e32 vcc, 4, v6
	s_nop 1
	v_cndmask_b32_e32 v11, v11, v17, vcc
	v_cmp_eq_u32_e32 vcc, 5, v6
	s_nop 1
	;; [unrolled: 3-line block ×4, first 2 shown]
	v_cndmask_b32_e32 v11, v11, v19, vcc
	s_branch .LBB314_19
.LBB314_18:                             ;   in Loop: Header=BB314_19 Depth=2
	s_or_b64 exec, exec, s[16:17]
	v_add_u32_e32 v10, -1, v10
	v_cmp_eq_u32_e32 vcc, 0, v10
	s_or_b64 s[6:7], vcc, s[6:7]
	v_add_u32_e32 v21, -1, v21
	s_andn2_b64 exec, exec, s[6:7]
	s_cbranch_execz .LBB314_4
.LBB314_19:                             ;   Parent Loop BB314_5 Depth=1
                                        ; =>  This Inner Loop Header: Depth=2
	v_cmp_eq_u32_e32 vcc, 0, v21
	s_and_saveexec_b64 s[16:17], vcc
	s_cbranch_execz .LBB314_18
; %bb.20:                               ;   in Loop: Header=BB314_19 Depth=2
	v_add_f32_e32 v18, v18, v11
	global_store_dwordx2 v[8:9], v[6:7], off offset:24
	s_branch .LBB314_18
.LBB314_21:
	v_mov_b32_e32 v18, 0
.LBB314_22:
	s_and_b32 s13, s12, 3
	s_cmp_eq_u32 s13, 0
	s_mov_b32 s15, 0
	s_cbranch_scc1 .LBB314_29
; %bb.23:
	s_mov_b32 s16, s15
	s_branch .LBB314_25
.LBB314_24:                             ;   in Loop: Header=BB314_25 Depth=1
	s_or_b64 exec, exec, s[4:5]
	s_add_i32 s14, s14, 1
	s_add_i32 s16, s16, 1
	s_cmp_lg_u32 s16, s13
	s_cbranch_scc0 .LBB314_29
.LBB314_25:                             ; =>This Loop Header: Depth=1
                                        ;     Child Loop BB314_27 Depth 2
	v_lshl_add_u64 v[6:7], s[14:15], 3, v[2:3]
	global_load_dwordx2 v[6:7], v[6:7], off
	v_add_u32_e32 v8, s14, v0
	v_ashrrev_i32_e32 v9, 31, v8
	s_mov_b64 s[4:5], 0
	s_waitcnt lgkmcnt(0)
	v_lshl_add_u64 v[8:9], v[8:9], 3, s[2:3]
	s_waitcnt vmcnt(0)
	v_cmp_eq_u32_e32 vcc, 1, v6
	s_nop 1
	v_cndmask_b32_e32 v10, v13, v12, vcc
	v_cmp_eq_u32_e32 vcc, 2, v6
	v_min_u32_e32 v1, 7, v6
	v_ashrrev_i32_e32 v7, 31, v6
	v_cndmask_b32_e32 v10, v10, v15, vcc
	v_cmp_eq_u32_e32 vcc, 3, v6
	v_add_u32_e32 v1, 1, v1
	v_mov_b32_e32 v11, v6
	v_cndmask_b32_e32 v10, v10, v14, vcc
	v_cmp_eq_u32_e32 vcc, 4, v6
	s_nop 1
	v_cndmask_b32_e32 v10, v10, v17, vcc
	v_cmp_eq_u32_e32 vcc, 5, v6
	s_nop 1
	;; [unrolled: 3-line block ×4, first 2 shown]
	v_cndmask_b32_e32 v10, v10, v19, vcc
	s_branch .LBB314_27
.LBB314_26:                             ;   in Loop: Header=BB314_27 Depth=2
	s_or_b64 exec, exec, s[6:7]
	v_add_u32_e32 v1, -1, v1
	v_cmp_eq_u32_e32 vcc, 0, v1
	s_or_b64 s[4:5], vcc, s[4:5]
	v_add_u32_e32 v11, -1, v11
	s_andn2_b64 exec, exec, s[4:5]
	s_cbranch_execz .LBB314_24
.LBB314_27:                             ;   Parent Loop BB314_25 Depth=1
                                        ; =>  This Inner Loop Header: Depth=2
	v_cmp_eq_u32_e32 vcc, 0, v11
	s_and_saveexec_b64 s[6:7], vcc
	s_cbranch_execz .LBB314_26
; %bb.28:                               ;   in Loop: Header=BB314_27 Depth=2
	v_add_f32_e32 v18, v18, v10
	global_store_dwordx2 v[8:9], v[6:7], off
	s_branch .LBB314_26
.LBB314_29:
	s_load_dword s4, s[0:1], 0x3c
	s_waitcnt lgkmcnt(0)
	s_load_dwordx2 s[2:3], s[0:1], 0x40
	s_bitcmp1_b32 s4, 0
	s_cselect_b64 s[4:5], -1, 0
	s_waitcnt lgkmcnt(0)
	v_cvt_f32_f64_e32 v8, s[2:3]
	s_and_b64 vcc, exec, s[4:5]
	s_cbranch_vccz .LBB314_31
; %bb.30:
	v_cmp_lt_f32_e32 vcc, 0, v18
	s_nop 1
	v_cndmask_b32_e32 v1, 1.0, v18, vcc
	v_div_scale_f32 v2, s[2:3], v1, v1, v8
	v_rcp_f32_e32 v3, v2
	s_nop 0
	v_fma_f32 v6, -v2, v3, 1.0
	v_fmac_f32_e32 v3, v6, v3
	v_div_scale_f32 v6, vcc, v8, v1, v8
	v_mul_f32_e32 v7, v6, v3
	v_fma_f32 v9, -v2, v7, v6
	v_fmac_f32_e32 v7, v9, v3
	v_fma_f32 v2, -v2, v7, v6
	v_div_fmas_f32 v2, v2, v3, v7
	v_div_fixup_f32 v8, v2, v1, v8
.LBB314_31:
	s_andn2_b64 vcc, exec, s[8:9]
	s_cbranch_vccnz .LBB314_56
; %bb.32:
	s_load_dwordx2 s[0:1], s[0:1], 0x10
	s_cmp_lt_u32 s12, 8
	s_mov_b32 s2, 0
	s_cbranch_scc1 .LBB314_51
; %bb.33:
	v_ashrrev_i32_e32 v1, 31, v0
	s_waitcnt lgkmcnt(0)
	v_lshl_add_u64 v[2:3], v[0:1], 2, s[0:1]
	v_lshl_add_u64 v[6:7], v[4:5], 3, s[10:11]
	s_and_b32 s2, s12, 0x7ffffff8
	v_lshl_add_u64 v[2:3], v[2:3], 0, 28
	v_lshl_add_u64 v[6:7], v[6:7], 0, 56
	s_mov_b32 s3, 0
	s_branch .LBB314_35
.LBB314_34:                             ;   in Loop: Header=BB314_35 Depth=1
	s_or_b64 exec, exec, s[4:5]
	s_add_i32 s3, s3, 8
	v_lshl_add_u64 v[2:3], v[2:3], 0, 32
	s_cmp_eq_u32 s2, s3
	v_lshl_add_u64 v[6:7], v[6:7], 0, 64
	s_cbranch_scc1 .LBB314_51
.LBB314_35:                             ; =>This Inner Loop Header: Depth=1
	global_load_dword v1, v[6:7], off offset:-56
	s_waitcnt vmcnt(0)
	v_cmp_gt_u32_e32 vcc, 8, v1
	s_and_saveexec_b64 s[4:5], vcc
	s_cbranch_execz .LBB314_37
; %bb.36:                               ;   in Loop: Header=BB314_35 Depth=1
	v_cmp_eq_u32_e32 vcc, 1, v1
	v_add_u32_e32 v10, s3, v0
	v_ashrrev_i32_e32 v11, 31, v10
	v_cndmask_b32_e32 v9, v13, v12, vcc
	v_cmp_eq_u32_e32 vcc, 2, v1
	v_lshl_add_u64 v[10:11], v[10:11], 2, s[0:1]
	s_nop 0
	v_cndmask_b32_e32 v9, v9, v15, vcc
	v_cmp_eq_u32_e32 vcc, 3, v1
	s_nop 1
	v_cndmask_b32_e32 v9, v9, v14, vcc
	v_cmp_eq_u32_e32 vcc, 4, v1
	;; [unrolled: 3-line block ×5, first 2 shown]
	s_nop 1
	v_cndmask_b32_e32 v1, v9, v19, vcc
	v_mul_f32_e32 v1, v8, v1
	global_store_dword v[10:11], v1, off
.LBB314_37:                             ;   in Loop: Header=BB314_35 Depth=1
	s_or_b64 exec, exec, s[4:5]
	global_load_dword v1, v[6:7], off offset:-48
	s_waitcnt vmcnt(0)
	v_cmp_gt_u32_e32 vcc, 8, v1
	s_and_saveexec_b64 s[4:5], vcc
	s_cbranch_execz .LBB314_39
; %bb.38:                               ;   in Loop: Header=BB314_35 Depth=1
	v_cmp_eq_u32_e32 vcc, 1, v1
	s_nop 1
	v_cndmask_b32_e32 v9, v13, v12, vcc
	v_cmp_eq_u32_e32 vcc, 2, v1
	s_nop 1
	v_cndmask_b32_e32 v9, v9, v15, vcc
	v_cmp_eq_u32_e32 vcc, 3, v1
	s_nop 1
	v_cndmask_b32_e32 v9, v9, v14, vcc
	v_cmp_eq_u32_e32 vcc, 4, v1
	s_nop 1
	v_cndmask_b32_e32 v9, v9, v17, vcc
	v_cmp_eq_u32_e32 vcc, 5, v1
	s_nop 1
	v_cndmask_b32_e32 v9, v9, v16, vcc
	v_cmp_eq_u32_e32 vcc, 6, v1
	s_nop 1
	v_cndmask_b32_e32 v9, v9, v20, vcc
	v_cmp_eq_u32_e32 vcc, 7, v1
	s_nop 1
	v_cndmask_b32_e32 v1, v9, v19, vcc
	v_mul_f32_e32 v1, v8, v1
	global_store_dword v[2:3], v1, off offset:-24
.LBB314_39:                             ;   in Loop: Header=BB314_35 Depth=1
	s_or_b64 exec, exec, s[4:5]
	global_load_dword v1, v[6:7], off offset:-40
	s_waitcnt vmcnt(0)
	v_cmp_gt_u32_e32 vcc, 8, v1
	s_and_saveexec_b64 s[4:5], vcc
	s_cbranch_execz .LBB314_41
; %bb.40:                               ;   in Loop: Header=BB314_35 Depth=1
	v_cmp_eq_u32_e32 vcc, 1, v1
	s_nop 1
	v_cndmask_b32_e32 v9, v13, v12, vcc
	v_cmp_eq_u32_e32 vcc, 2, v1
	s_nop 1
	v_cndmask_b32_e32 v9, v9, v15, vcc
	v_cmp_eq_u32_e32 vcc, 3, v1
	s_nop 1
	v_cndmask_b32_e32 v9, v9, v14, vcc
	v_cmp_eq_u32_e32 vcc, 4, v1
	s_nop 1
	v_cndmask_b32_e32 v9, v9, v17, vcc
	v_cmp_eq_u32_e32 vcc, 5, v1
	s_nop 1
	v_cndmask_b32_e32 v9, v9, v16, vcc
	v_cmp_eq_u32_e32 vcc, 6, v1
	s_nop 1
	v_cndmask_b32_e32 v9, v9, v20, vcc
	v_cmp_eq_u32_e32 vcc, 7, v1
	s_nop 1
	v_cndmask_b32_e32 v1, v9, v19, vcc
	v_mul_f32_e32 v1, v8, v1
	global_store_dword v[2:3], v1, off offset:-20
.LBB314_41:                             ;   in Loop: Header=BB314_35 Depth=1
	;; [unrolled: 31-line block ×6, first 2 shown]
	s_or_b64 exec, exec, s[4:5]
	global_load_dword v1, v[6:7], off
	s_waitcnt vmcnt(0)
	v_cmp_gt_u32_e32 vcc, 8, v1
	s_and_saveexec_b64 s[4:5], vcc
	s_cbranch_execz .LBB314_34
; %bb.50:                               ;   in Loop: Header=BB314_35 Depth=1
	v_cmp_eq_u32_e32 vcc, 1, v1
	s_nop 1
	v_cndmask_b32_e32 v9, v13, v12, vcc
	v_cmp_eq_u32_e32 vcc, 2, v1
	s_nop 1
	v_cndmask_b32_e32 v9, v9, v15, vcc
	;; [unrolled: 3-line block ×7, first 2 shown]
	v_mul_f32_e32 v1, v8, v1
	global_store_dword v[2:3], v1, off
	s_branch .LBB314_34
.LBB314_51:
	s_and_b32 s4, s12, 7
	s_cmp_eq_u32 s4, 0
	s_mov_b32 s3, 0
	s_cbranch_scc1 .LBB314_56
; %bb.52:
	v_add_u32_e32 v0, s2, v0
	s_lshl_b64 s[2:3], s[2:3], 3
	s_add_u32 s2, s10, s2
	s_addc_u32 s3, s11, s3
	v_lshl_add_u64 v[2:3], v[4:5], 3, s[2:3]
	s_branch .LBB314_54
.LBB314_53:                             ;   in Loop: Header=BB314_54 Depth=1
	s_or_b64 exec, exec, s[2:3]
	s_add_i32 s4, s4, -1
	v_add_u32_e32 v0, 1, v0
	s_cmp_eq_u32 s4, 0
	v_lshl_add_u64 v[2:3], v[2:3], 0, 8
	s_cbranch_scc1 .LBB314_56
.LBB314_54:                             ; =>This Inner Loop Header: Depth=1
	global_load_dword v1, v[2:3], off
	s_waitcnt vmcnt(0)
	v_cmp_gt_u32_e32 vcc, 8, v1
	s_and_saveexec_b64 s[2:3], vcc
	s_cbranch_execz .LBB314_53
; %bb.55:                               ;   in Loop: Header=BB314_54 Depth=1
	v_cmp_eq_u32_e32 vcc, 1, v1
	s_nop 1
	v_cndmask_b32_e32 v4, v13, v12, vcc
	v_cmp_eq_u32_e32 vcc, 2, v1
	s_nop 1
	v_cndmask_b32_e32 v4, v4, v15, vcc
	;; [unrolled: 3-line block ×7, first 2 shown]
	v_mul_f32_e32 v6, v8, v1
	v_ashrrev_i32_e32 v1, 31, v0
	s_waitcnt lgkmcnt(0)
	v_lshl_add_u64 v[4:5], v[0:1], 2, s[0:1]
	global_store_dword v[4:5], v6, off
	s_branch .LBB314_53
.LBB314_56:
	s_endpgm
	.section	.rodata,"a",@progbits
	.p2align	6, 0x0
	.amdhsa_kernel _ZN4vllm3moe22topkGatingSoftplusSqrtILi8ELi8ELi4ELi16ELi32ELb1El6__halfEEvPKT6_PKbPfiPT5_PiiiibdPKfPKS9_SF_
		.amdhsa_group_segment_fixed_size 0
		.amdhsa_private_segment_fixed_size 0
		.amdhsa_kernarg_size 96
		.amdhsa_user_sgpr_count 2
		.amdhsa_user_sgpr_dispatch_ptr 0
		.amdhsa_user_sgpr_queue_ptr 0
		.amdhsa_user_sgpr_kernarg_segment_ptr 1
		.amdhsa_user_sgpr_dispatch_id 0
		.amdhsa_user_sgpr_kernarg_preload_length 0
		.amdhsa_user_sgpr_kernarg_preload_offset 0
		.amdhsa_user_sgpr_private_segment_size 0
		.amdhsa_uses_dynamic_stack 0
		.amdhsa_enable_private_segment 0
		.amdhsa_system_sgpr_workgroup_id_x 1
		.amdhsa_system_sgpr_workgroup_id_y 0
		.amdhsa_system_sgpr_workgroup_id_z 0
		.amdhsa_system_sgpr_workgroup_info 0
		.amdhsa_system_vgpr_workitem_id 1
		.amdhsa_next_free_vgpr 27
		.amdhsa_next_free_sgpr 22
		.amdhsa_accum_offset 28
		.amdhsa_reserve_vcc 1
		.amdhsa_float_round_mode_32 0
		.amdhsa_float_round_mode_16_64 0
		.amdhsa_float_denorm_mode_32 3
		.amdhsa_float_denorm_mode_16_64 3
		.amdhsa_dx10_clamp 1
		.amdhsa_ieee_mode 1
		.amdhsa_fp16_overflow 0
		.amdhsa_tg_split 0
		.amdhsa_exception_fp_ieee_invalid_op 0
		.amdhsa_exception_fp_denorm_src 0
		.amdhsa_exception_fp_ieee_div_zero 0
		.amdhsa_exception_fp_ieee_overflow 0
		.amdhsa_exception_fp_ieee_underflow 0
		.amdhsa_exception_fp_ieee_inexact 0
		.amdhsa_exception_int_div_zero 0
	.end_amdhsa_kernel
	.section	.text._ZN4vllm3moe22topkGatingSoftplusSqrtILi8ELi8ELi4ELi16ELi32ELb1El6__halfEEvPKT6_PKbPfiPT5_PiiiibdPKfPKS9_SF_,"axG",@progbits,_ZN4vllm3moe22topkGatingSoftplusSqrtILi8ELi8ELi4ELi16ELi32ELb1El6__halfEEvPKT6_PKbPfiPT5_PiiiibdPKfPKS9_SF_,comdat
.Lfunc_end314:
	.size	_ZN4vllm3moe22topkGatingSoftplusSqrtILi8ELi8ELi4ELi16ELi32ELb1El6__halfEEvPKT6_PKbPfiPT5_PiiiibdPKfPKS9_SF_, .Lfunc_end314-_ZN4vllm3moe22topkGatingSoftplusSqrtILi8ELi8ELi4ELi16ELi32ELb1El6__halfEEvPKT6_PKbPfiPT5_PiiiibdPKfPKS9_SF_
                                        ; -- End function
	.section	.AMDGPU.csdata,"",@progbits
; Kernel info:
; codeLenInByte = 4564
; NumSgprs: 28
; NumVgprs: 27
; NumAgprs: 0
; TotalNumVgprs: 27
; ScratchSize: 0
; MemoryBound: 0
; FloatMode: 240
; IeeeMode: 1
; LDSByteSize: 0 bytes/workgroup (compile time only)
; SGPRBlocks: 3
; VGPRBlocks: 3
; NumSGPRsForWavesPerEU: 28
; NumVGPRsForWavesPerEU: 27
; AccumOffset: 28
; Occupancy: 8
; WaveLimiterHint : 1
; COMPUTE_PGM_RSRC2:SCRATCH_EN: 0
; COMPUTE_PGM_RSRC2:USER_SGPR: 2
; COMPUTE_PGM_RSRC2:TRAP_HANDLER: 0
; COMPUTE_PGM_RSRC2:TGID_X_EN: 1
; COMPUTE_PGM_RSRC2:TGID_Y_EN: 0
; COMPUTE_PGM_RSRC2:TGID_Z_EN: 0
; COMPUTE_PGM_RSRC2:TIDIG_COMP_CNT: 1
; COMPUTE_PGM_RSRC3_GFX90A:ACCUM_OFFSET: 6
; COMPUTE_PGM_RSRC3_GFX90A:TG_SPLIT: 0
	.section	.text._ZN4vllm3moe22topkGatingSoftplusSqrtILi8ELi8ELi4ELi16ELi32ELb0El6__halfEEvPKT6_PKbPfiPT5_PiiiibdPKfPKS9_SF_,"axG",@progbits,_ZN4vllm3moe22topkGatingSoftplusSqrtILi8ELi8ELi4ELi16ELi32ELb0El6__halfEEvPKT6_PKbPfiPT5_PiiiibdPKfPKS9_SF_,comdat
	.protected	_ZN4vllm3moe22topkGatingSoftplusSqrtILi8ELi8ELi4ELi16ELi32ELb0El6__halfEEvPKT6_PKbPfiPT5_PiiiibdPKfPKS9_SF_ ; -- Begin function _ZN4vllm3moe22topkGatingSoftplusSqrtILi8ELi8ELi4ELi16ELi32ELb0El6__halfEEvPKT6_PKbPfiPT5_PiiiibdPKfPKS9_SF_
	.globl	_ZN4vllm3moe22topkGatingSoftplusSqrtILi8ELi8ELi4ELi16ELi32ELb0El6__halfEEvPKT6_PKbPfiPT5_PiiiibdPKfPKS9_SF_
	.p2align	8
	.type	_ZN4vllm3moe22topkGatingSoftplusSqrtILi8ELi8ELi4ELi16ELi32ELb0El6__halfEEvPKT6_PKbPfiPT5_PiiiibdPKfPKS9_SF_,@function
_ZN4vllm3moe22topkGatingSoftplusSqrtILi8ELi8ELi4ELi16ELi32ELb0El6__halfEEvPKT6_PKbPfiPT5_PiiiibdPKfPKS9_SF_: ; @_ZN4vllm3moe22topkGatingSoftplusSqrtILi8ELi8ELi4ELi16ELi32ELb0El6__halfEEvPKT6_PKbPfiPT5_PiiiibdPKfPKS9_SF_
; %bb.0:
	s_load_dword s24, s[0:1], 0x18
	v_bfe_u32 v1, v0, 10, 10
	s_lshl_b32 s2, s2, 7
	v_lshlrev_b32_e32 v1, 5, v1
	v_and_b32_e32 v0, 0x3ff, v0
	v_add3_u32 v8, v1, v0, s2
	s_waitcnt lgkmcnt(0)
	v_cmp_gt_i32_e32 vcc, s24, v8
	s_and_saveexec_b64 s[2:3], vcc
	s_cbranch_execz .LBB315_40
; %bb.1:
	s_load_dwordx4 s[4:7], s[0:1], 0x0
	s_load_dwordx2 s[20:21], s[0:1], 0x10
	s_waitcnt lgkmcnt(0)
	s_cmp_eq_u64 s[6:7], 0
	s_cbranch_scc1 .LBB315_3
; %bb.2:
	v_ashrrev_i32_e32 v9, 31, v8
	v_lshl_add_u64 v[0:1], s[6:7], 0, v[8:9]
	global_load_ubyte v0, v[0:1], off
	s_waitcnt vmcnt(0)
	v_and_b32_e32 v0, 1, v0
	v_cmp_eq_u32_e32 vcc, 1, v0
	s_xor_b64 s[2:3], vcc, -1
	s_orn2_b64 s[22:23], s[2:3], exec
	s_branch .LBB315_4
.LBB315_3:
	s_mov_b64 s[22:23], -1
.LBB315_4:
	v_lshlrev_b32_e32 v2, 3, v8
	v_mov_b32_e32 v0, s4
	v_mov_b32_e32 v1, s5
	v_ashrrev_i32_e32 v3, 31, v2
	v_lshl_add_u64 v[0:1], v[2:3], 1, v[0:1]
	global_load_dwordx4 v[4:7], v[0:1], off
	s_mov_b32 s15, 0x800000
	v_mov_b32_e32 v2, 0x4f800000
	s_mov_b32 s13, 0x3f317217
	s_mov_b32 s14, 0x7f800000
	v_mov_b32_e32 v3, 0x41b17218
	s_movk_i32 s12, 0x4d00
	s_mov_b32 s16, 0xf800000
	s_load_dwordx4 s[8:11], s[0:1], 0x40
	s_waitcnt lgkmcnt(0)
	s_cmp_lg_u64 s[10:11], 0
	s_cselect_b64 s[6:7], -1, 0
	s_and_b64 s[2:3], exec, s[6:7]
	s_waitcnt vmcnt(0)
	v_cvt_f32_f16_e32 v0, v4
	v_mul_f32_e32 v1, 0x3fb8aa3b, v0
	v_exp_f32_e32 v1, v1
	s_nop 0
	v_add_f32_e32 v1, 1.0, v1
	v_cmp_gt_f32_e32 vcc, s15, v1
	s_nop 1
	v_cndmask_b32_e32 v9, 1.0, v2, vcc
	v_mul_f32_e32 v1, v1, v9
	v_log_f32_e32 v9, v1
	v_cndmask_b32_e32 v10, 0, v3, vcc
	v_mov_b32_e32 v1, 0x260
	v_mul_f32_e32 v11, 0x3f317217, v9
	v_fma_f32 v11, v9, s13, -v11
	v_fmac_f32_e32 v11, 0x3377d1cf, v9
	v_fmac_f32_e32 v11, 0x3f317217, v9
	v_cmp_lt_f32_e64 vcc, |v9|, s14
	s_nop 1
	v_cndmask_b32_e32 v9, v9, v11, vcc
	v_sub_f32_e32 v9, v9, v10
	v_cmp_lt_f16_e32 vcc, s12, v4
	s_nop 1
	v_cndmask_b32_e32 v0, v9, v0, vcc
	v_mul_f32_e32 v9, 0x4f800000, v0
	v_cmp_gt_f32_e32 vcc, s16, v0
	s_nop 1
	v_cndmask_b32_e32 v0, v0, v9, vcc
	v_sqrt_f32_e32 v9, v0
	s_nop 0
	v_add_u32_e32 v10, -1, v9
	v_add_u32_e32 v11, 1, v9
	v_fma_f32 v12, -v10, v9, v0
	v_fma_f32 v13, -v11, v9, v0
	v_cmp_ge_f32_e64 s[4:5], 0, v12
	s_nop 1
	v_cndmask_b32_e64 v9, v9, v10, s[4:5]
	v_cmp_lt_f32_e64 s[4:5], 0, v13
	s_nop 1
	v_cndmask_b32_e64 v9, v9, v11, s[4:5]
	v_mul_f32_e32 v10, 0x37800000, v9
	v_cndmask_b32_e32 v9, v9, v10, vcc
	v_cmp_class_f32_e32 vcc, v0, v1
	s_nop 1
	v_cndmask_b32_e32 v0, v9, v0, vcc
	s_mov_b64 vcc, s[2:3]
	s_cbranch_vccz .LBB315_6
; %bb.5:
	s_load_dword s2, s[10:11], 0x0
	s_waitcnt lgkmcnt(0)
	v_add_f32_e32 v0, s2, v0
.LBB315_6:
	v_cvt_f32_f16_sdwa v9, v4 dst_sel:DWORD dst_unused:UNUSED_PAD src0_sel:WORD_1
	v_mul_f32_e32 v10, 0x3fb8aa3b, v9
	v_exp_f32_e32 v10, v10
	s_nop 0
	v_add_f32_e32 v10, 1.0, v10
	v_cmp_gt_f32_e32 vcc, s15, v10
	s_nop 1
	v_cndmask_b32_e32 v2, 1.0, v2, vcc
	v_mul_f32_e32 v2, v10, v2
	v_log_f32_e32 v2, v2
	v_cndmask_b32_e32 v3, 0, v3, vcc
	v_mul_f32_e32 v10, 0x3f317217, v2
	v_fma_f32 v10, v2, s13, -v10
	v_fmac_f32_e32 v10, 0x3377d1cf, v2
	v_fmac_f32_e32 v10, 0x3f317217, v2
	v_cmp_lt_f32_e64 vcc, |v2|, s14
	s_nop 1
	v_cndmask_b32_e32 v2, v2, v10, vcc
	v_sub_f32_e32 v2, v2, v3
	v_cmp_gt_f16_sdwa vcc, v4, s12 src0_sel:WORD_1 src1_sel:DWORD
	v_cndmask_b32_e64 v4, 0, 1, s[6:7]
	v_cmp_ne_u32_e64 s[2:3], 1, v4
	v_cndmask_b32_e32 v2, v2, v9, vcc
	v_mul_f32_e32 v3, 0x4f800000, v2
	v_cmp_gt_f32_e64 s[4:5], s16, v2
	s_andn2_b64 vcc, exec, s[6:7]
	s_nop 0
	v_cndmask_b32_e64 v2, v2, v3, s[4:5]
	v_sqrt_f32_e32 v3, v2
	s_nop 0
	v_add_u32_e32 v4, -1, v3
	v_add_u32_e32 v9, 1, v3
	v_fma_f32 v10, -v4, v3, v2
	v_fma_f32 v11, -v9, v3, v2
	v_cmp_ge_f32_e64 s[6:7], 0, v10
	s_nop 1
	v_cndmask_b32_e64 v3, v3, v4, s[6:7]
	v_cmp_lt_f32_e64 s[6:7], 0, v11
	s_nop 1
	v_cndmask_b32_e64 v3, v3, v9, s[6:7]
	v_mul_f32_e32 v4, 0x37800000, v3
	v_cndmask_b32_e64 v3, v3, v4, s[4:5]
	v_cmp_class_f32_e64 s[4:5], v2, v1
	s_nop 1
	v_cndmask_b32_e64 v1, v3, v2, s[4:5]
	s_cbranch_vccnz .LBB315_8
; %bb.7:
	s_load_dword s4, s[10:11], 0x4
	s_waitcnt lgkmcnt(0)
	v_add_f32_e32 v1, s4, v1
.LBB315_8:
	v_cvt_f32_f16_e32 v2, v5
	s_mov_b32 s12, 0x800000
	v_mov_b32_e32 v4, 0x4f800000
	s_mov_b32 s7, 0x3f317217
	v_mul_f32_e32 v3, 0x3fb8aa3b, v2
	v_exp_f32_e32 v3, v3
	s_mov_b32 s13, 0x7f800000
	s_movk_i32 s6, 0x4d00
	s_mov_b32 s14, 0xf800000
	v_add_f32_e32 v3, 1.0, v3
	v_cmp_gt_f32_e32 vcc, s12, v3
	s_nop 1
	v_cndmask_b32_e32 v9, 1.0, v4, vcc
	v_mul_f32_e32 v3, v3, v9
	v_log_f32_e32 v3, v3
	v_mov_b32_e32 v9, 0x41b17218
	v_cndmask_b32_e32 v10, 0, v9, vcc
	v_mul_f32_e32 v11, 0x3f317217, v3
	v_fma_f32 v11, v3, s7, -v11
	v_fmac_f32_e32 v11, 0x3377d1cf, v3
	v_fmac_f32_e32 v11, 0x3f317217, v3
	v_cmp_lt_f32_e64 vcc, |v3|, s13
	s_nop 1
	v_cndmask_b32_e32 v3, v3, v11, vcc
	v_sub_f32_e32 v3, v3, v10
	v_cmp_lt_f16_e32 vcc, s6, v5
	s_nop 1
	v_cndmask_b32_e32 v2, v3, v2, vcc
	v_mul_f32_e32 v3, 0x4f800000, v2
	v_cmp_gt_f32_e32 vcc, s14, v2
	s_nop 1
	v_cndmask_b32_e32 v2, v2, v3, vcc
	v_sqrt_f32_e32 v3, v2
	s_nop 0
	v_add_u32_e32 v10, -1, v3
	v_fma_f32 v11, -v10, v3, v2
	v_cmp_ge_f32_e64 s[4:5], 0, v11
	v_add_u32_e32 v11, 1, v3
	s_nop 0
	v_cndmask_b32_e64 v10, v3, v10, s[4:5]
	v_fma_f32 v3, -v11, v3, v2
	v_cmp_lt_f32_e64 s[4:5], 0, v3
	s_nop 1
	v_cndmask_b32_e64 v3, v10, v11, s[4:5]
	v_mul_f32_e32 v10, 0x37800000, v3
	v_cndmask_b32_e32 v10, v3, v10, vcc
	v_mov_b32_e32 v3, 0x260
	v_cmp_class_f32_e64 s[4:5], v2, v3
	s_and_b64 vcc, exec, s[2:3]
	s_nop 0
	v_cndmask_b32_e64 v2, v10, v2, s[4:5]
	s_cbranch_vccnz .LBB315_10
; %bb.9:
	s_load_dword s4, s[10:11], 0x8
	s_waitcnt lgkmcnt(0)
	v_add_f32_e32 v2, s4, v2
.LBB315_10:
	v_cvt_f32_f16_sdwa v10, v5 dst_sel:DWORD dst_unused:UNUSED_PAD src0_sel:WORD_1
	v_mul_f32_e32 v11, 0x3fb8aa3b, v10
	v_exp_f32_e32 v11, v11
	s_nop 0
	v_add_f32_e32 v11, 1.0, v11
	v_cmp_gt_f32_e32 vcc, s12, v11
	s_nop 1
	v_cndmask_b32_e32 v4, 1.0, v4, vcc
	v_mul_f32_e32 v4, v11, v4
	v_log_f32_e32 v4, v4
	v_cndmask_b32_e32 v9, 0, v9, vcc
	v_mul_f32_e32 v11, 0x3f317217, v4
	v_fma_f32 v11, v4, s7, -v11
	v_fmac_f32_e32 v11, 0x3377d1cf, v4
	v_fmac_f32_e32 v11, 0x3f317217, v4
	v_cmp_lt_f32_e64 vcc, |v4|, s13
	s_nop 1
	v_cndmask_b32_e32 v4, v4, v11, vcc
	v_sub_f32_e32 v4, v4, v9
	v_cmp_gt_f16_sdwa vcc, v5, s6 src0_sel:WORD_1 src1_sel:DWORD
	s_nop 1
	v_cndmask_b32_e32 v4, v4, v10, vcc
	v_mul_f32_e32 v5, 0x4f800000, v4
	v_cmp_gt_f32_e64 s[4:5], s14, v4
	s_and_b64 vcc, exec, s[2:3]
	s_nop 0
	v_cndmask_b32_e64 v4, v4, v5, s[4:5]
	v_sqrt_f32_e32 v5, v4
	s_nop 0
	v_add_u32_e32 v9, -1, v5
	v_add_u32_e32 v10, 1, v5
	v_fma_f32 v11, -v9, v5, v4
	v_fma_f32 v12, -v10, v5, v4
	v_cmp_ge_f32_e64 s[6:7], 0, v11
	s_nop 1
	v_cndmask_b32_e64 v5, v5, v9, s[6:7]
	v_cmp_lt_f32_e64 s[6:7], 0, v12
	s_nop 1
	v_cndmask_b32_e64 v5, v5, v10, s[6:7]
	v_mul_f32_e32 v9, 0x37800000, v5
	v_cndmask_b32_e64 v5, v5, v9, s[4:5]
	v_cmp_class_f32_e64 s[4:5], v4, v3
	s_nop 1
	v_cndmask_b32_e64 v3, v5, v4, s[4:5]
	s_cbranch_vccnz .LBB315_12
; %bb.11:
	s_load_dword s4, s[10:11], 0xc
	s_waitcnt lgkmcnt(0)
	v_add_f32_e32 v3, s4, v3
.LBB315_12:
	v_cvt_f32_f16_e32 v4, v6
	v_mov_b32_e32 v9, 0x4f800000
	s_mov_b32 s7, 0x3f317217
	s_movk_i32 s6, 0x4d00
	v_mul_f32_e32 v5, 0x3fb8aa3b, v4
	v_exp_f32_e32 v5, v5
	s_nop 0
	v_add_f32_e32 v5, 1.0, v5
	v_cmp_gt_f32_e32 vcc, s12, v5
	s_nop 1
	v_cndmask_b32_e32 v10, 1.0, v9, vcc
	v_mul_f32_e32 v5, v5, v10
	v_log_f32_e32 v5, v5
	v_mov_b32_e32 v10, 0x41b17218
	v_cndmask_b32_e32 v11, 0, v10, vcc
	v_mul_f32_e32 v12, 0x3f317217, v5
	v_fma_f32 v12, v5, s7, -v12
	v_fmac_f32_e32 v12, 0x3377d1cf, v5
	v_fmac_f32_e32 v12, 0x3f317217, v5
	v_cmp_lt_f32_e64 vcc, |v5|, s13
	s_nop 1
	v_cndmask_b32_e32 v5, v5, v12, vcc
	v_sub_f32_e32 v5, v5, v11
	v_cmp_lt_f16_e32 vcc, s6, v6
	s_nop 1
	v_cndmask_b32_e32 v4, v5, v4, vcc
	v_mul_f32_e32 v5, 0x4f800000, v4
	v_cmp_gt_f32_e32 vcc, s14, v4
	s_nop 1
	v_cndmask_b32_e32 v4, v4, v5, vcc
	v_sqrt_f32_e32 v5, v4
	s_nop 0
	v_add_u32_e32 v11, -1, v5
	v_fma_f32 v12, -v11, v5, v4
	v_cmp_ge_f32_e64 s[4:5], 0, v12
	v_add_u32_e32 v12, 1, v5
	s_nop 0
	v_cndmask_b32_e64 v11, v5, v11, s[4:5]
	v_fma_f32 v5, -v12, v5, v4
	v_cmp_lt_f32_e64 s[4:5], 0, v5
	s_nop 1
	v_cndmask_b32_e64 v5, v11, v12, s[4:5]
	v_mul_f32_e32 v11, 0x37800000, v5
	v_cndmask_b32_e32 v11, v5, v11, vcc
	v_mov_b32_e32 v5, 0x260
	v_cmp_class_f32_e64 s[4:5], v4, v5
	s_and_b64 vcc, exec, s[2:3]
	s_nop 0
	v_cndmask_b32_e64 v4, v11, v4, s[4:5]
	s_cbranch_vccnz .LBB315_14
; %bb.13:
	s_load_dword s4, s[10:11], 0x10
	s_waitcnt lgkmcnt(0)
	v_add_f32_e32 v4, s4, v4
.LBB315_14:
	v_cvt_f32_f16_sdwa v11, v6 dst_sel:DWORD dst_unused:UNUSED_PAD src0_sel:WORD_1
	v_mul_f32_e32 v12, 0x3fb8aa3b, v11
	v_exp_f32_e32 v12, v12
	s_nop 0
	v_add_f32_e32 v12, 1.0, v12
	v_cmp_gt_f32_e32 vcc, s12, v12
	s_nop 1
	v_cndmask_b32_e32 v9, 1.0, v9, vcc
	v_mul_f32_e32 v9, v12, v9
	v_log_f32_e32 v9, v9
	v_cndmask_b32_e32 v10, 0, v10, vcc
	v_mul_f32_e32 v12, 0x3f317217, v9
	v_fma_f32 v12, v9, s7, -v12
	v_fmac_f32_e32 v12, 0x3377d1cf, v9
	v_fmac_f32_e32 v12, 0x3f317217, v9
	v_cmp_lt_f32_e64 vcc, |v9|, s13
	s_nop 1
	v_cndmask_b32_e32 v9, v9, v12, vcc
	v_sub_f32_e32 v9, v9, v10
	v_cmp_gt_f16_sdwa vcc, v6, s6 src0_sel:WORD_1 src1_sel:DWORD
	s_nop 1
	v_cndmask_b32_e32 v6, v9, v11, vcc
	v_mul_f32_e32 v9, 0x4f800000, v6
	v_cmp_gt_f32_e64 s[4:5], s14, v6
	s_and_b64 vcc, exec, s[2:3]
	s_nop 0
	v_cndmask_b32_e64 v6, v6, v9, s[4:5]
	v_sqrt_f32_e32 v9, v6
	s_nop 0
	v_add_u32_e32 v10, -1, v9
	v_add_u32_e32 v11, 1, v9
	v_fma_f32 v12, -v10, v9, v6
	v_fma_f32 v13, -v11, v9, v6
	v_cmp_ge_f32_e64 s[6:7], 0, v12
	s_nop 1
	v_cndmask_b32_e64 v9, v9, v10, s[6:7]
	v_cmp_lt_f32_e64 s[6:7], 0, v13
	s_nop 1
	v_cndmask_b32_e64 v9, v9, v11, s[6:7]
	v_mul_f32_e32 v10, 0x37800000, v9
	v_cndmask_b32_e64 v9, v9, v10, s[4:5]
	v_cmp_class_f32_e64 s[4:5], v6, v5
	s_nop 1
	v_cndmask_b32_e64 v5, v9, v6, s[4:5]
	s_cbranch_vccnz .LBB315_16
; %bb.15:
	s_load_dword s4, s[10:11], 0x14
	s_waitcnt lgkmcnt(0)
	v_add_f32_e32 v5, s4, v5
.LBB315_16:
	v_cvt_f32_f16_e32 v6, v7
	v_mov_b32_e32 v10, 0x4f800000
	s_mov_b32 s7, 0x3f317217
	s_movk_i32 s6, 0x4d00
	v_mul_f32_e32 v9, 0x3fb8aa3b, v6
	v_exp_f32_e32 v9, v9
	s_nop 0
	v_add_f32_e32 v9, 1.0, v9
	v_cmp_gt_f32_e32 vcc, s12, v9
	s_nop 1
	v_cndmask_b32_e32 v11, 1.0, v10, vcc
	v_mul_f32_e32 v9, v9, v11
	v_log_f32_e32 v9, v9
	v_mov_b32_e32 v11, 0x41b17218
	v_cndmask_b32_e32 v12, 0, v11, vcc
	v_mul_f32_e32 v13, 0x3f317217, v9
	v_fma_f32 v13, v9, s7, -v13
	v_fmac_f32_e32 v13, 0x3377d1cf, v9
	v_fmac_f32_e32 v13, 0x3f317217, v9
	v_cmp_lt_f32_e64 vcc, |v9|, s13
	s_nop 1
	v_cndmask_b32_e32 v9, v9, v13, vcc
	v_sub_f32_e32 v9, v9, v12
	v_cmp_lt_f16_e32 vcc, s6, v7
	s_nop 1
	v_cndmask_b32_e32 v6, v9, v6, vcc
	v_mul_f32_e32 v9, 0x4f800000, v6
	v_cmp_gt_f32_e32 vcc, s14, v6
	s_nop 1
	v_cndmask_b32_e32 v6, v6, v9, vcc
	v_sqrt_f32_e32 v9, v6
	s_nop 0
	v_add_u32_e32 v12, -1, v9
	v_fma_f32 v13, -v12, v9, v6
	v_cmp_ge_f32_e64 s[4:5], 0, v13
	v_add_u32_e32 v13, 1, v9
	s_nop 0
	v_cndmask_b32_e64 v12, v9, v12, s[4:5]
	v_fma_f32 v9, -v13, v9, v6
	v_cmp_lt_f32_e64 s[4:5], 0, v9
	s_nop 1
	v_cndmask_b32_e64 v9, v12, v13, s[4:5]
	v_mul_f32_e32 v12, 0x37800000, v9
	v_cndmask_b32_e32 v12, v9, v12, vcc
	v_mov_b32_e32 v9, 0x260
	v_cmp_class_f32_e64 s[4:5], v6, v9
	s_and_b64 vcc, exec, s[2:3]
	s_nop 0
	v_cndmask_b32_e64 v6, v12, v6, s[4:5]
	s_cbranch_vccnz .LBB315_18
; %bb.17:
	s_load_dword s4, s[10:11], 0x18
	s_waitcnt lgkmcnt(0)
	v_add_f32_e32 v6, s4, v6
.LBB315_18:
	v_cvt_f32_f16_sdwa v12, v7 dst_sel:DWORD dst_unused:UNUSED_PAD src0_sel:WORD_1
	v_mul_f32_e32 v13, 0x3fb8aa3b, v12
	v_exp_f32_e32 v13, v13
	s_nop 0
	v_add_f32_e32 v13, 1.0, v13
	v_cmp_gt_f32_e32 vcc, s12, v13
	s_nop 1
	v_cndmask_b32_e32 v10, 1.0, v10, vcc
	v_mul_f32_e32 v10, v13, v10
	v_log_f32_e32 v10, v10
	v_cndmask_b32_e32 v11, 0, v11, vcc
	v_mul_f32_e32 v13, 0x3f317217, v10
	v_fma_f32 v13, v10, s7, -v13
	v_fmac_f32_e32 v13, 0x3377d1cf, v10
	v_fmac_f32_e32 v13, 0x3f317217, v10
	v_cmp_lt_f32_e64 vcc, |v10|, s13
	s_nop 1
	v_cndmask_b32_e32 v10, v10, v13, vcc
	v_sub_f32_e32 v10, v10, v11
	v_cmp_gt_f16_sdwa vcc, v7, s6 src0_sel:WORD_1 src1_sel:DWORD
	s_nop 1
	v_cndmask_b32_e32 v7, v10, v12, vcc
	v_mul_f32_e32 v10, 0x4f800000, v7
	v_cmp_gt_f32_e64 s[4:5], s14, v7
	s_and_b64 vcc, exec, s[2:3]
	s_nop 0
	v_cndmask_b32_e64 v7, v7, v10, s[4:5]
	v_sqrt_f32_e32 v10, v7
	s_nop 0
	v_add_u32_e32 v11, -1, v10
	v_add_u32_e32 v12, 1, v10
	v_fma_f32 v13, -v11, v10, v7
	v_fma_f32 v14, -v12, v10, v7
	v_cmp_ge_f32_e64 s[6:7], 0, v13
	s_nop 1
	v_cndmask_b32_e64 v10, v10, v11, s[6:7]
	v_cmp_lt_f32_e64 s[6:7], 0, v14
	s_nop 1
	v_cndmask_b32_e64 v10, v10, v12, s[6:7]
	v_mul_f32_e32 v11, 0x37800000, v10
	v_cndmask_b32_e64 v10, v10, v11, s[4:5]
	v_cmp_class_f32_e64 s[4:5], v7, v9
	s_nop 1
	v_cndmask_b32_e64 v7, v10, v7, s[4:5]
	s_cbranch_vccnz .LBB315_20
; %bb.19:
	s_load_dword s4, s[10:11], 0x1c
	s_waitcnt lgkmcnt(0)
	v_add_f32_e32 v7, s4, v7
.LBB315_20:
	s_load_dwordx4 s[12:15], s[0:1], 0x30
	s_mov_b32 s25, 0
	s_waitcnt lgkmcnt(0)
	s_bitcmp1_b32 s15, 0
	s_cselect_b64 s[4:5], -1, 0
	s_cmp_gt_i32 s12, 0
	s_cselect_b64 s[6:7], -1, 0
	s_and_b64 vcc, exec, s[6:7]
	v_mul_lo_u32 v10, v8, s12
	s_cbranch_vccz .LBB315_27
; %bb.21:
	s_load_dwordx4 s[16:19], s[0:1], 0x20
	v_mov_b32_e32 v13, 0
	v_mov_b32_e32 v11, 0xc61c4000
	;; [unrolled: 1-line block ×3, first 2 shown]
	s_branch .LBB315_23
.LBB315_22:                             ;   in Loop: Header=BB315_23 Depth=1
	v_add_f32_e32 v12, v9, v14
	v_cndmask_b32_e64 v9, v9, v12, s[4:5]
	s_cmp_lg_u32 s12, s25
	v_add_u32_e32 v8, s24, v8
	s_cbranch_scc0 .LBB315_28
.LBB315_23:                             ; =>This Inner Loop Header: Depth=1
	v_cmp_gt_f32_e32 vcc, v1, v0
	s_nop 1
	v_cndmask_b32_e32 v14, v0, v1, vcc
	v_cndmask_b32_e64 v12, 0, 1, vcc
	v_cmp_gt_f32_e32 vcc, v2, v14
	s_nop 1
	v_cndmask_b32_e32 v14, v14, v2, vcc
	v_cndmask_b32_e64 v12, v12, 2, vcc
	;; [unrolled: 4-line block ×6, first 2 shown]
	v_cmp_gt_f32_e64 s[0:1], v7, v14
	s_and_b64 vcc, exec, s[2:3]
	s_nop 0
	v_cndmask_b32_e64 v12, v12, 7, s[0:1]
	v_cndmask_b32_e64 v14, v14, v7, s[0:1]
	s_cbranch_vccnz .LBB315_25
; %bb.24:                               ;   in Loop: Header=BB315_23 Depth=1
	v_lshl_add_u64 v[16:17], v[12:13], 2, s[10:11]
	global_load_dword v15, v[16:17], off
	s_waitcnt vmcnt(0)
	v_sub_f32_e32 v14, v14, v15
.LBB315_25:                             ;   in Loop: Header=BB315_23 Depth=1
	v_add_u32_e32 v16, s25, v10
	v_ashrrev_i32_e32 v17, 31, v16
	v_cmp_le_i32_e32 vcc, s13, v12
	v_cmp_gt_i32_e64 s[0:1], s14, v12
	v_lshlrev_b64 v[18:19], 2, v[16:17]
	s_and_b64 s[0:1], vcc, s[0:1]
	v_lshl_add_u64 v[20:21], s[20:21], 0, v[18:19]
	v_subrev_u32_e32 v15, s13, v12
	global_store_dword v[20:21], v14, off
	v_ashrrev_i32_e32 v20, 31, v15
	s_and_b64 vcc, s[22:23], s[0:1]
	v_cndmask_b32_e32 v21, 0, v20, vcc
	v_cndmask_b32_e32 v20, 8, v15, vcc
	s_waitcnt lgkmcnt(0)
	v_lshl_add_u64 v[16:17], v[16:17], 3, s[16:17]
	s_add_i32 s25, s25, 1
	global_store_dwordx2 v[16:17], v[20:21], off
	v_lshl_add_u64 v[16:17], s[18:19], 0, v[18:19]
	s_cmp_ge_i32 s25, s12
	global_store_dword v[16:17], v8, off
	s_cbranch_scc1 .LBB315_22
; %bb.26:                               ;   in Loop: Header=BB315_23 Depth=1
	v_cmp_ne_u32_e32 vcc, 7, v12
	s_nop 1
	v_cndmask_b32_e32 v7, v11, v7, vcc
	v_cmp_ne_u32_e32 vcc, 6, v12
	s_nop 1
	v_cndmask_b32_e32 v6, v11, v6, vcc
	;; [unrolled: 3-line block ×8, first 2 shown]
	s_branch .LBB315_22
.LBB315_27:
	v_mov_b32_e32 v9, 0
.LBB315_28:
	s_andn2_b64 vcc, exec, s[4:5]
	v_cvt_f32_f64_e32 v0, s[8:9]
	s_cbranch_vccnz .LBB315_30
; %bb.29:
	v_cmp_lt_f32_e32 vcc, 0, v9
	s_nop 1
	v_cndmask_b32_e32 v1, 1.0, v9, vcc
	v_div_scale_f32 v2, s[0:1], v1, v1, v0
	v_rcp_f32_e32 v3, v2
	s_nop 0
	v_fma_f32 v4, -v2, v3, 1.0
	v_fmac_f32_e32 v3, v4, v3
	v_div_scale_f32 v4, vcc, v0, v1, v0
	v_mul_f32_e32 v5, v4, v3
	v_fma_f32 v6, -v2, v5, v4
	v_fmac_f32_e32 v5, v6, v3
	v_fma_f32 v2, -v2, v5, v4
	v_div_fmas_f32 v2, v2, v3, v5
	v_div_fixup_f32 v0, v2, v1, v0
.LBB315_30:
	s_andn2_b64 vcc, exec, s[6:7]
	s_cbranch_vccnz .LBB315_40
; %bb.31:
	s_cmp_gt_u32 s12, 3
	v_ashrrev_i32_e32 v11, 31, v10
	s_cbranch_scc0 .LBB315_35
; %bb.32:
	s_and_b32 s0, s12, 0x7ffffffc
	v_lshl_add_u64 v[2:3], v[10:11], 2, s[20:21]
	v_mov_b32_e32 v1, v0
	v_lshl_add_u64 v[2:3], v[2:3], 0, 8
	s_mov_b32 s1, s0
.LBB315_33:                             ; =>This Inner Loop Header: Depth=1
	global_load_dwordx4 v[4:7], v[2:3], off offset:-8
	s_add_i32 s1, s1, -4
	s_cmp_lg_u32 s1, 0
	s_waitcnt vmcnt(0)
	v_pk_mul_f32 v[4:5], v[0:1], v[4:5]
	v_pk_mul_f32 v[6:7], v[0:1], v[6:7]
	global_store_dwordx4 v[2:3], v[4:7], off offset:-8
	v_lshl_add_u64 v[2:3], v[2:3], 0, 16
	s_cbranch_scc1 .LBB315_33
; %bb.34:
	s_cmp_lg_u32 s0, s12
	s_cselect_b64 s[2:3], -1, 0
	s_branch .LBB315_37
.LBB315_35:
	s_mov_b64 s[2:3], 0
                                        ; implicit-def: $sgpr0
	s_cbranch_execz .LBB315_37
; %bb.36:
	s_mov_b64 s[2:3], -1
	s_mov_b32 s0, 0
.LBB315_37:
	s_andn2_b64 vcc, exec, s[2:3]
	s_cbranch_vccnz .LBB315_40
; %bb.38:
	s_mov_b32 s1, 0
	v_lshl_add_u64 v[2:3], v[10:11], 0, s[0:1]
	s_sub_i32 s2, s12, s0
	v_lshl_add_u64 v[2:3], v[2:3], 2, s[20:21]
.LBB315_39:                             ; =>This Inner Loop Header: Depth=1
	global_load_dword v1, v[2:3], off
	s_add_i32 s2, s2, -1
	s_cmp_lg_u32 s2, 0
	s_waitcnt vmcnt(0)
	v_mul_f32_e32 v1, v0, v1
	global_store_dword v[2:3], v1, off
	v_lshl_add_u64 v[2:3], v[2:3], 0, 4
	s_cbranch_scc1 .LBB315_39
.LBB315_40:
	s_endpgm
	.section	.rodata,"a",@progbits
	.p2align	6, 0x0
	.amdhsa_kernel _ZN4vllm3moe22topkGatingSoftplusSqrtILi8ELi8ELi4ELi16ELi32ELb0El6__halfEEvPKT6_PKbPfiPT5_PiiiibdPKfPKS9_SF_
		.amdhsa_group_segment_fixed_size 0
		.amdhsa_private_segment_fixed_size 0
		.amdhsa_kernarg_size 96
		.amdhsa_user_sgpr_count 2
		.amdhsa_user_sgpr_dispatch_ptr 0
		.amdhsa_user_sgpr_queue_ptr 0
		.amdhsa_user_sgpr_kernarg_segment_ptr 1
		.amdhsa_user_sgpr_dispatch_id 0
		.amdhsa_user_sgpr_kernarg_preload_length 0
		.amdhsa_user_sgpr_kernarg_preload_offset 0
		.amdhsa_user_sgpr_private_segment_size 0
		.amdhsa_uses_dynamic_stack 0
		.amdhsa_enable_private_segment 0
		.amdhsa_system_sgpr_workgroup_id_x 1
		.amdhsa_system_sgpr_workgroup_id_y 0
		.amdhsa_system_sgpr_workgroup_id_z 0
		.amdhsa_system_sgpr_workgroup_info 0
		.amdhsa_system_vgpr_workitem_id 1
		.amdhsa_next_free_vgpr 22
		.amdhsa_next_free_sgpr 26
		.amdhsa_accum_offset 24
		.amdhsa_reserve_vcc 1
		.amdhsa_float_round_mode_32 0
		.amdhsa_float_round_mode_16_64 0
		.amdhsa_float_denorm_mode_32 3
		.amdhsa_float_denorm_mode_16_64 3
		.amdhsa_dx10_clamp 1
		.amdhsa_ieee_mode 1
		.amdhsa_fp16_overflow 0
		.amdhsa_tg_split 0
		.amdhsa_exception_fp_ieee_invalid_op 0
		.amdhsa_exception_fp_denorm_src 0
		.amdhsa_exception_fp_ieee_div_zero 0
		.amdhsa_exception_fp_ieee_overflow 0
		.amdhsa_exception_fp_ieee_underflow 0
		.amdhsa_exception_fp_ieee_inexact 0
		.amdhsa_exception_int_div_zero 0
	.end_amdhsa_kernel
	.section	.text._ZN4vllm3moe22topkGatingSoftplusSqrtILi8ELi8ELi4ELi16ELi32ELb0El6__halfEEvPKT6_PKbPfiPT5_PiiiibdPKfPKS9_SF_,"axG",@progbits,_ZN4vllm3moe22topkGatingSoftplusSqrtILi8ELi8ELi4ELi16ELi32ELb0El6__halfEEvPKT6_PKbPfiPT5_PiiiibdPKfPKS9_SF_,comdat
.Lfunc_end315:
	.size	_ZN4vllm3moe22topkGatingSoftplusSqrtILi8ELi8ELi4ELi16ELi32ELb0El6__halfEEvPKT6_PKbPfiPT5_PiiiibdPKfPKS9_SF_, .Lfunc_end315-_ZN4vllm3moe22topkGatingSoftplusSqrtILi8ELi8ELi4ELi16ELi32ELb0El6__halfEEvPKT6_PKbPfiPT5_PiiiibdPKfPKS9_SF_
                                        ; -- End function
	.section	.AMDGPU.csdata,"",@progbits
; Kernel info:
; codeLenInByte = 3360
; NumSgprs: 32
; NumVgprs: 22
; NumAgprs: 0
; TotalNumVgprs: 22
; ScratchSize: 0
; MemoryBound: 0
; FloatMode: 240
; IeeeMode: 1
; LDSByteSize: 0 bytes/workgroup (compile time only)
; SGPRBlocks: 3
; VGPRBlocks: 2
; NumSGPRsForWavesPerEU: 32
; NumVGPRsForWavesPerEU: 22
; AccumOffset: 24
; Occupancy: 8
; WaveLimiterHint : 0
; COMPUTE_PGM_RSRC2:SCRATCH_EN: 0
; COMPUTE_PGM_RSRC2:USER_SGPR: 2
; COMPUTE_PGM_RSRC2:TRAP_HANDLER: 0
; COMPUTE_PGM_RSRC2:TGID_X_EN: 1
; COMPUTE_PGM_RSRC2:TGID_Y_EN: 0
; COMPUTE_PGM_RSRC2:TGID_Z_EN: 0
; COMPUTE_PGM_RSRC2:TIDIG_COMP_CNT: 1
; COMPUTE_PGM_RSRC3_GFX90A:ACCUM_OFFSET: 5
; COMPUTE_PGM_RSRC3_GFX90A:TG_SPLIT: 0
	.section	.text._ZN4vllm3moe22topkGatingSoftplusSqrtILi8ELi16ELi4ELi16ELi64ELb1El6__halfEEvPKT6_PKbPfiPT5_PiiiibdPKfPKS9_SF_,"axG",@progbits,_ZN4vllm3moe22topkGatingSoftplusSqrtILi8ELi16ELi4ELi16ELi64ELb1El6__halfEEvPKT6_PKbPfiPT5_PiiiibdPKfPKS9_SF_,comdat
	.protected	_ZN4vllm3moe22topkGatingSoftplusSqrtILi8ELi16ELi4ELi16ELi64ELb1El6__halfEEvPKT6_PKbPfiPT5_PiiiibdPKfPKS9_SF_ ; -- Begin function _ZN4vllm3moe22topkGatingSoftplusSqrtILi8ELi16ELi4ELi16ELi64ELb1El6__halfEEvPKT6_PKbPfiPT5_PiiiibdPKfPKS9_SF_
	.globl	_ZN4vllm3moe22topkGatingSoftplusSqrtILi8ELi16ELi4ELi16ELi64ELb1El6__halfEEvPKT6_PKbPfiPT5_PiiiibdPKfPKS9_SF_
	.p2align	8
	.type	_ZN4vllm3moe22topkGatingSoftplusSqrtILi8ELi16ELi4ELi16ELi64ELb1El6__halfEEvPKT6_PKbPfiPT5_PiiiibdPKfPKS9_SF_,@function
_ZN4vllm3moe22topkGatingSoftplusSqrtILi8ELi16ELi4ELi16ELi64ELb1El6__halfEEvPKT6_PKbPfiPT5_PiiiibdPKfPKS9_SF_: ; @_ZN4vllm3moe22topkGatingSoftplusSqrtILi8ELi16ELi4ELi16ELi64ELb1El6__halfEEvPKT6_PKbPfiPT5_PiiiibdPKfPKS9_SF_
; %bb.0:
	s_load_dword s3, s[0:1], 0x18
	v_bfe_u32 v1, v0, 10, 10
	v_and_b32_e32 v10, 0x3ff, v0
	s_lshl_b32 s2, s2, 7
	v_lshlrev_b32_e32 v1, 5, v1
	v_lshrrev_b32_e32 v0, 1, v10
	v_add3_u32 v6, s2, v1, v0
	s_waitcnt lgkmcnt(0)
	v_cmp_gt_i32_e32 vcc, s3, v6
	s_and_saveexec_b64 s[2:3], vcc
	s_cbranch_execz .LBB316_31
; %bb.1:
	s_load_dwordx4 s[8:11], s[0:1], 0x50
	s_load_dwordx2 s[2:3], s[0:1], 0x0
	s_load_dword s12, s[0:1], 0x30
	v_lshlrev_b32_e32 v0, 4, v6
	v_lshlrev_b32_e32 v4, 3, v10
	v_ashrrev_i32_e32 v1, 31, v0
	v_and_b32_e32 v12, 8, v4
	s_waitcnt lgkmcnt(0)
	v_mov_b32_e32 v2, s8
	v_mov_b32_e32 v3, s9
	v_lshl_add_u64 v[0:1], v[0:1], 1, s[2:3]
	v_lshlrev_b32_e32 v4, 1, v12
	v_mov_b32_e32 v5, 0
	v_ashrrev_i32_e32 v7, 31, v6
	v_lshl_add_u64 v[2:3], v[6:7], 3, v[2:3]
	v_lshl_add_u64 v[0:1], v[0:1], 0, v[4:5]
	global_load_dwordx2 v[8:9], v[2:3], off
	s_mov_b32 s21, 0x800000
	global_load_dwordx4 v[0:3], v[0:1], off
	s_ashr_i32 s13, s12, 31
	v_mov_b32_e32 v4, 0x4f800000
	s_mov_b32 s19, 0x3f317217
	s_mov_b32 s20, 0x7f800000
	v_mov_b32_e32 v7, 0x41b17218
	s_movk_i32 s15, 0x4d00
	s_mov_b32 s18, 0xf800000
	v_mov_b32_e32 v11, 0x260
	v_cmp_lt_i64_e64 s[16:17], s[12:13], 1
	s_mov_b32 s14, 0
	v_cmp_gt_i64_e64 s[8:9], s[12:13], 0
	s_waitcnt vmcnt(1)
	v_mul_lo_u32 v13, v9, s12
	v_mul_lo_u32 v18, v8, s13
	s_waitcnt vmcnt(0)
	v_cvt_f32_f16_e32 v19, v0
	v_cvt_f32_f16_sdwa v20, v0 dst_sel:DWORD dst_unused:UNUSED_PAD src0_sel:WORD_1
	v_cvt_f32_f16_e32 v21, v1
	v_cvt_f32_f16_sdwa v22, v1 dst_sel:DWORD dst_unused:UNUSED_PAD src0_sel:WORD_1
	v_mul_f32_e32 v9, 0x3fb8aa3b, v19
	v_mul_f32_e32 v15, 0x3fb8aa3b, v20
	v_exp_f32_e32 v14, v9
	v_exp_f32_e32 v15, v15
	v_mul_f32_e32 v16, 0x3fb8aa3b, v21
	v_mul_f32_e32 v17, 0x3fb8aa3b, v22
	v_exp_f32_e32 v16, v16
	v_pk_add_f32 v[14:15], v[14:15], 1.0 op_sel_hi:[1,0]
	v_exp_f32_e32 v17, v17
	v_mad_u64_u32 v[8:9], s[2:3], v8, s12, 0
	v_cmp_gt_f32_e32 vcc, s21, v15
	v_add3_u32 v9, v9, v18, v13
	v_cmp_gt_f32_e64 s[2:3], s21, v14
	v_cndmask_b32_e32 v13, 1.0, v4, vcc
	v_mul_f32_e32 v13, v15, v13
	v_cndmask_b32_e64 v18, 1.0, v4, s[2:3]
	v_mul_f32_e32 v14, v14, v18
	v_log_f32_e32 v13, v13
	v_pk_add_f32 v[16:17], v[16:17], 1.0 op_sel_hi:[1,0]
	v_log_f32_e32 v14, v14
	v_cmp_gt_f32_e64 s[6:7], s21, v16
	v_cndmask_b32_e32 v15, 0, v7, vcc
	v_cmp_lt_f32_e64 vcc, |v13|, s20
	v_cndmask_b32_e64 v24, 1.0, v4, s[6:7]
	v_mul_f32_e32 v16, v16, v24
	v_mul_f32_e32 v24, 0x3f317217, v13
	;; [unrolled: 1-line block ×3, first 2 shown]
	v_fma_f32 v24, v13, s19, -v24
	v_fma_f32 v25, v14, s19, -v25
	v_fmac_f32_e32 v24, 0x3377d1cf, v13
	v_fmac_f32_e32 v25, 0x3377d1cf, v14
	;; [unrolled: 1-line block ×4, first 2 shown]
	v_cndmask_b32_e32 v13, v13, v24, vcc
	v_cmp_lt_f32_e64 vcc, |v14|, s20
	v_cndmask_b32_e64 v18, 0, v7, s[2:3]
	v_cmp_gt_f32_e64 s[4:5], s21, v17
	v_cndmask_b32_e32 v14, v14, v25, vcc
	v_sub_f32_e32 v14, v14, v18
	v_cmp_lt_f16_e32 vcc, s15, v0
	v_cndmask_b32_e64 v23, 1.0, v4, s[4:5]
	v_sub_f32_e32 v13, v13, v15
	v_cndmask_b32_e32 v14, v14, v19, vcc
	v_cmp_gt_f16_sdwa vcc, v0, s15 src0_sel:WORD_1 src1_sel:DWORD
	v_mul_f32_e32 v17, v17, v23
	v_log_f32_e32 v17, v17
	v_cndmask_b32_e32 v0, v13, v20, vcc
	v_mul_f32_e32 v13, 0x4f800000, v0
	v_cmp_gt_f32_e32 vcc, s18, v0
	v_mul_f32_e32 v15, 0x4f800000, v14
	v_cmp_gt_f32_e64 s[2:3], s18, v14
	v_cndmask_b32_e32 v0, v0, v13, vcc
	v_mul_f32_e32 v26, 0x3f317217, v17
	v_cndmask_b32_e64 v13, v14, v15, s[2:3]
	v_sqrt_f32_e32 v14, v0
	v_sqrt_f32_e32 v15, v13
	v_fma_f32 v26, v17, s19, -v26
	v_fmac_f32_e32 v26, 0x3377d1cf, v17
	v_add_u32_e32 v18, -1, v14
	v_cndmask_b32_e64 v23, 0, v7, s[4:5]
	v_fmac_f32_e32 v26, 0x3f317217, v17
	v_cmp_lt_f32_e64 s[4:5], |v17|, s20
	v_add_u32_e32 v20, -1, v15
	v_fma_f32 v25, -v18, v14, v0
	v_cndmask_b32_e64 v17, v17, v26, s[4:5]
	v_add_u32_e32 v19, 1, v14
	v_fma_f32 v27, -v20, v15, v13
	v_cmp_ge_f32_e64 s[4:5], 0, v25
	v_add_u32_e32 v24, 1, v15
	v_fma_f32 v26, -v19, v14, v0
	v_cndmask_b32_e64 v14, v14, v18, s[4:5]
	v_cmp_ge_f32_e64 s[4:5], 0, v27
	v_fma_f32 v28, -v24, v15, v13
	v_log_f32_e32 v16, v16
	v_cndmask_b32_e64 v15, v15, v20, s[4:5]
	v_cmp_lt_f32_e64 s[4:5], 0, v26
	v_cvt_f32_f16_sdwa v20, v2 dst_sel:DWORD dst_unused:UNUSED_PAD src0_sel:WORD_1
	s_nop 0
	v_cndmask_b32_e64 v14, v14, v19, s[4:5]
	v_cmp_lt_f32_e64 s[4:5], 0, v28
	v_mul_f32_e32 v18, 0x37800000, v14
	v_cndmask_b32_e32 v14, v14, v18, vcc
	v_cndmask_b32_e64 v15, v15, v24, s[4:5]
	v_mul_f32_e32 v19, 0x37800000, v15
	v_cmp_class_f32_e32 vcc, v0, v11
	v_cndmask_b32_e64 v18, v15, v19, s[2:3]
	v_cmp_lt_f16_e64 s[2:3], s15, v1
	v_cndmask_b32_e32 v15, v14, v0, vcc
	v_cmp_class_f32_e32 vcc, v13, v11
	v_sub_f32_e32 v0, v17, v23
	v_cvt_f32_f16_e32 v19, v2
	v_cndmask_b32_e32 v14, v18, v13, vcc
	v_mul_f32_e32 v13, 0x3f317217, v16
	v_fma_f32 v13, v16, s19, -v13
	v_fmac_f32_e32 v13, 0x3377d1cf, v16
	v_fmac_f32_e32 v13, 0x3f317217, v16
	v_cmp_lt_f32_e64 vcc, |v16|, s20
	s_nop 1
	v_cndmask_b32_e32 v13, v16, v13, vcc
	v_cmp_gt_f16_sdwa vcc, v1, s15 src0_sel:WORD_1 src1_sel:DWORD
	v_cndmask_b32_e64 v16, 0, v7, s[6:7]
	v_sub_f32_e32 v13, v13, v16
	v_cndmask_b32_e32 v0, v0, v22, vcc
	v_mul_f32_e32 v17, 0x4f800000, v0
	v_cmp_gt_f32_e32 vcc, s18, v0
	v_cndmask_b32_e64 v1, v13, v21, s[2:3]
	s_nop 0
	v_cndmask_b32_e32 v0, v0, v17, vcc
	v_sqrt_f32_e32 v17, v0
	s_nop 0
	v_add_u32_e32 v13, -1, v17
	v_fma_f32 v16, -v13, v17, v0
	v_cmp_ge_f32_e64 s[2:3], 0, v16
	v_add_u32_e32 v16, 1, v17
	s_nop 0
	v_cndmask_b32_e64 v13, v17, v13, s[2:3]
	v_fma_f32 v17, -v16, v17, v0
	v_cmp_lt_f32_e64 s[2:3], 0, v17
	v_mul_f32_e32 v17, 0x4f800000, v1
	s_nop 0
	v_cndmask_b32_e64 v13, v13, v16, s[2:3]
	v_cmp_gt_f32_e64 s[2:3], s18, v1
	v_mul_f32_e32 v16, 0x37800000, v13
	v_cndmask_b32_e32 v13, v13, v16, vcc
	v_cndmask_b32_e64 v18, v1, v17, s[2:3]
	v_sqrt_f32_e32 v1, v18
	v_cmp_class_f32_e32 vcc, v0, v11
	v_add_u32_e32 v16, 1, v1
	s_nop 0
	v_cndmask_b32_e32 v17, v13, v0, vcc
	v_add_u32_e32 v0, -1, v1
	v_fma_f32 v13, -v0, v1, v18
	v_cmp_ge_f32_e32 vcc, 0, v13
	v_fma_f32 v21, -v16, v1, v18
	s_nop 0
	v_cndmask_b32_e32 v13, v1, v0, vcc
	v_mul_f32_e32 v0, 0x3fb8aa3b, v19
	v_mul_f32_e32 v1, 0x3fb8aa3b, v20
	v_exp_f32_e32 v0, v0
	v_exp_f32_e32 v1, v1
	v_cmp_lt_f32_e32 vcc, 0, v21
	v_pk_add_f32 v[0:1], v[0:1], 1.0 op_sel_hi:[1,0]
	s_nop 0
	v_cndmask_b32_e32 v13, v13, v16, vcc
	v_mul_f32_e32 v16, 0x37800000, v13
	v_cmp_gt_f32_e32 vcc, s21, v1
	v_cndmask_b32_e64 v13, v13, v16, s[2:3]
	v_cmp_class_f32_e64 s[2:3], v18, v11
	v_cndmask_b32_e32 v16, 1.0, v4, vcc
	v_mul_f32_e32 v1, v1, v16
	v_log_f32_e32 v1, v1
	v_cndmask_b32_e64 v16, v13, v18, s[2:3]
	v_cmp_gt_f32_e64 s[2:3], s21, v0
	scratch_store_dwordx4 off, v[14:17], off
	v_mul_f32_e32 v13, 0x3f317217, v1
	v_fma_f32 v13, v1, s19, -v13
	v_cndmask_b32_e64 v14, 1.0, v4, s[2:3]
	v_mul_f32_e32 v0, v0, v14
	v_log_f32_e32 v0, v0
	v_fmac_f32_e32 v13, 0x3377d1cf, v1
	v_fmac_f32_e32 v13, 0x3f317217, v1
	v_cmp_lt_f32_e64 s[4:5], |v1|, s20
	v_cvt_f32_f16_sdwa v17, v3 dst_sel:DWORD dst_unused:UNUSED_PAD src0_sel:WORD_1
	v_mul_f32_e32 v15, 0x3fb8aa3b, v17
	v_cndmask_b32_e64 v1, v1, v13, s[4:5]
	v_cndmask_b32_e32 v13, 0, v7, vcc
	v_sub_f32_e32 v1, v1, v13
	v_mul_f32_e32 v13, 0x3f317217, v0
	v_fma_f32 v13, v0, s19, -v13
	v_fmac_f32_e32 v13, 0x3377d1cf, v0
	v_fmac_f32_e32 v13, 0x3f317217, v0
	v_cmp_lt_f32_e64 vcc, |v0|, s20
	v_exp_f32_e32 v15, v15
	s_nop 0
	v_cndmask_b32_e32 v0, v0, v13, vcc
	v_cmp_gt_f16_sdwa vcc, v2, s15 src0_sel:WORD_1 src1_sel:DWORD
	v_cndmask_b32_e64 v13, 0, v7, s[2:3]
	v_cmp_lt_f16_e64 s[2:3], s15, v2
	v_cndmask_b32_e32 v1, v1, v20, vcc
	v_mul_f32_e32 v14, 0x4f800000, v1
	v_cmp_gt_f32_e32 vcc, s18, v1
	v_sub_f32_e32 v0, v0, v13
	v_cndmask_b32_e64 v0, v0, v19, s[2:3]
	v_cndmask_b32_e32 v1, v1, v14, vcc
	v_sqrt_f32_e32 v14, v1
	s_nop 0
	v_add_u32_e32 v2, -1, v14
	v_fma_f32 v13, -v2, v14, v1
	v_cmp_ge_f32_e64 s[2:3], 0, v13
	v_add_u32_e32 v13, 1, v14
	s_nop 0
	v_cndmask_b32_e64 v2, v14, v2, s[2:3]
	v_fma_f32 v14, -v13, v14, v1
	v_cmp_lt_f32_e64 s[2:3], 0, v14
	v_mul_f32_e32 v14, 0x4f800000, v0
	s_nop 0
	v_cndmask_b32_e64 v2, v2, v13, s[2:3]
	v_cmp_gt_f32_e64 s[2:3], s18, v0
	v_mul_f32_e32 v13, 0x37800000, v2
	v_cndmask_b32_e32 v2, v2, v13, vcc
	v_cndmask_b32_e64 v0, v0, v14, s[2:3]
	v_sqrt_f32_e32 v14, v0
	v_cmp_class_f32_e32 vcc, v1, v11
	v_add_u32_e32 v16, 1, v14
	s_nop 0
	v_cndmask_b32_e32 v1, v2, v1, vcc
	v_add_u32_e32 v2, -1, v14
	v_fma_f32 v13, -v2, v14, v0
	v_cmp_ge_f32_e32 vcc, 0, v13
	v_cvt_f32_f16_e32 v13, v3
	v_fma_f32 v18, -v16, v14, v0
	v_cndmask_b32_e32 v2, v14, v2, vcc
	v_cmp_lt_f32_e32 vcc, 0, v18
	v_mul_f32_e32 v14, 0x3fb8aa3b, v13
	v_exp_f32_e32 v14, v14
	v_cndmask_b32_e32 v2, v2, v16, vcc
	v_mul_f32_e32 v16, 0x37800000, v2
	v_cndmask_b32_e64 v2, v2, v16, s[2:3]
	v_pk_add_f32 v[14:15], v[14:15], 1.0 op_sel_hi:[1,0]
	v_cmp_class_f32_e64 s[2:3], v0, v11
	v_cmp_gt_f32_e32 vcc, s21, v15
	s_nop 0
	v_cndmask_b32_e64 v0, v2, v0, s[2:3]
	v_cndmask_b32_e32 v18, 1.0, v4, vcc
	v_mul_f32_e32 v15, v15, v18
	v_log_f32_e32 v15, v15
	v_cmp_gt_f32_e64 s[2:3], s21, v14
	v_mul_f32_e32 v2, 0x3f317217, v15
	s_nop 0
	v_cndmask_b32_e64 v4, 1.0, v4, s[2:3]
	v_mul_f32_e32 v4, v14, v4
	v_fma_f32 v2, v15, s19, -v2
	v_log_f32_e32 v4, v4
	v_fmac_f32_e32 v2, 0x3377d1cf, v15
	v_fmac_f32_e32 v2, 0x3f317217, v15
	v_cmp_lt_f32_e64 s[4:5], |v15|, s20
	v_cndmask_b32_e32 v14, 0, v7, vcc
	v_cmp_lt_f32_e64 vcc, |v4|, s20
	v_cndmask_b32_e64 v2, v15, v2, s[4:5]
	v_sub_f32_e32 v2, v2, v14
	v_mul_f32_e32 v14, 0x3f317217, v4
	v_fma_f32 v14, v4, s19, -v14
	v_fmac_f32_e32 v14, 0x3377d1cf, v4
	v_fmac_f32_e32 v14, 0x3f317217, v4
	v_cndmask_b32_e32 v4, v4, v14, vcc
	v_cmp_gt_f16_sdwa vcc, v3, s15 src0_sel:WORD_1 src1_sel:DWORD
	v_cndmask_b32_e64 v7, 0, v7, s[2:3]
	v_sub_f32_e32 v4, v4, v7
	v_cndmask_b32_e32 v2, v2, v17, vcc
	v_mul_f32_e32 v14, 0x4f800000, v2
	v_cmp_gt_f32_e32 vcc, s18, v2
	v_cmp_lt_f16_e64 s[2:3], s15, v3
	s_nop 0
	v_cndmask_b32_e32 v2, v2, v14, vcc
	v_sqrt_f32_e32 v14, v2
	v_cndmask_b32_e64 v3, v4, v13, s[2:3]
	v_add_u32_e32 v4, -1, v14
	v_fma_f32 v7, -v4, v14, v2
	v_cmp_ge_f32_e64 s[2:3], 0, v7
	v_add_u32_e32 v7, 1, v14
	v_fma_f32 v13, -v7, v14, v2
	v_cndmask_b32_e64 v4, v14, v4, s[2:3]
	v_cmp_lt_f32_e64 s[2:3], 0, v13
	v_mul_f32_e32 v13, 0x4f800000, v3
	s_nop 0
	v_cndmask_b32_e64 v4, v4, v7, s[2:3]
	v_cmp_gt_f32_e64 s[2:3], s18, v3
	v_mul_f32_e32 v7, 0x37800000, v4
	s_nop 0
	v_cndmask_b32_e64 v13, v3, v13, s[2:3]
	v_sqrt_f32_e32 v14, v13
	v_cndmask_b32_e32 v3, v4, v7, vcc
	v_cmp_class_f32_e32 vcc, v2, v11
	s_nop 1
	v_cndmask_b32_e32 v3, v3, v2, vcc
	v_add_u32_e32 v2, -1, v14
	v_fma_f32 v4, -v2, v14, v13
	v_cmp_ge_f32_e32 vcc, 0, v4
	v_add_u32_e32 v4, 1, v14
	v_fma_f32 v7, -v4, v14, v13
	v_cndmask_b32_e32 v2, v14, v2, vcc
	v_cmp_lt_f32_e32 vcc, 0, v7
	s_nop 1
	v_cndmask_b32_e32 v2, v2, v4, vcc
	v_mul_f32_e32 v4, 0x37800000, v2
	v_cndmask_b32_e64 v2, v2, v4, s[2:3]
	v_cmp_class_f32_e32 vcc, v13, v11
	s_nop 1
	v_cndmask_b32_e32 v2, v2, v13, vcc
	scratch_store_dwordx4 off, v[0:3], off offset:16
	s_and_b64 vcc, exec, s[16:17]
	s_nop 0
	v_lshl_add_u64 v[2:3], v[8:9], 3, s[10:11]
	v_mul_lo_u32 v0, v6, s12
	s_cbranch_vccnz .LBB316_28
; %bb.2:
	s_load_dwordx2 s[4:5], s[0:1], 0x20
	s_cmp_lt_u32 s12, 4
	v_and_b32_e32 v4, 1, v10
	s_cbranch_scc1 .LBB316_21
; %bb.3:
	v_lshlrev_b32_e32 v5, 3, v4
	s_mov_b32 s7, 0
	s_and_b32 s14, s12, 0x7ffffffc
	v_ashrrev_i32_e32 v1, 31, v0
	v_sub_u32_e32 v13, 0, v5
	v_mov_b32_e32 v5, 0
	s_mov_b32 s6, s7
	s_branch .LBB316_5
.LBB316_4:                              ;   in Loop: Header=BB316_5 Depth=1
	s_or_b64 exec, exec, s[10:11]
	s_add_i32 s6, s6, 4
	s_cmp_eq_u32 s6, s14
	s_cbranch_scc1 .LBB316_21
.LBB316_5:                              ; =>This Loop Header: Depth=1
                                        ;     Child Loop BB316_7 Depth 2
                                        ;     Child Loop BB316_11 Depth 2
	;; [unrolled: 1-line block ×4, first 2 shown]
	v_lshl_add_u64 v[6:7], s[6:7], 3, v[2:3]
	global_load_dwordx2 v[8:9], v[6:7], off
	v_add_u32_e32 v10, s6, v0
	v_ashrrev_i32_e32 v11, 31, v10
	v_mov_b32_e32 v14, 0
	s_mov_b64 s[10:11], 0
	s_waitcnt lgkmcnt(0)
	v_lshl_add_u64 v[10:11], v[10:11], 3, s[4:5]
	s_mov_b32 s13, 0
	s_waitcnt vmcnt(0)
	v_ashrrev_i32_e32 v9, 31, v8
	v_add_u32_e32 v15, v13, v8
	s_branch .LBB316_7
.LBB316_6:                              ;   in Loop: Header=BB316_7 Depth=2
	s_or_b64 exec, exec, s[16:17]
	s_add_i32 s15, s13, 1
	s_cmp_gt_u32 s13, 6
	s_cselect_b64 s[2:3], -1, 0
	s_xor_b64 s[16:17], vcc, -1
	s_or_b64 s[2:3], s[16:17], s[2:3]
	s_and_b64 s[2:3], exec, s[2:3]
	v_add_u32_e32 v14, 4, v14
	s_or_b64 s[10:11], s[2:3], s[10:11]
	s_mov_b32 s13, s15
	s_andn2_b64 exec, exec, s[10:11]
	s_cbranch_execz .LBB316_9
.LBB316_7:                              ;   Parent Loop BB316_5 Depth=1
                                        ; =>  This Inner Loop Header: Depth=2
	v_cmp_ne_u32_e32 vcc, s13, v15
	v_cmp_eq_u32_e64 s[2:3], s13, v15
	s_and_saveexec_b64 s[16:17], s[2:3]
	s_cbranch_execz .LBB316_6
; %bb.8:                                ;   in Loop: Header=BB316_7 Depth=2
	scratch_load_dword v16, v14, off
	s_waitcnt vmcnt(0)
	v_add_f32_e32 v5, v5, v16
	global_store_dwordx2 v[10:11], v[8:9], off
	s_branch .LBB316_6
.LBB316_9:                              ;   in Loop: Header=BB316_5 Depth=1
	s_or_b64 exec, exec, s[10:11]
	global_load_dwordx2 v[10:11], v[6:7], off offset:8
	s_ashr_i32 s3, s6, 31
	s_mov_b32 s2, s6
	v_lshl_add_u64 v[8:9], s[2:3], 0, v[0:1]
	v_mov_b32_e32 v14, 0
	s_mov_b32 s13, 0
	v_lshl_add_u64 v[8:9], v[8:9], 3, s[4:5]
	s_mov_b64 s[10:11], 0
	s_waitcnt vmcnt(0)
	v_ashrrev_i32_e32 v11, 31, v10
	v_add_u32_e32 v15, v13, v10
	s_branch .LBB316_11
.LBB316_10:                             ;   in Loop: Header=BB316_11 Depth=2
	s_or_b64 exec, exec, s[16:17]
	s_add_i32 s15, s13, 1
	s_cmp_gt_u32 s13, 6
	s_cselect_b64 s[2:3], -1, 0
	s_xor_b64 s[16:17], vcc, -1
	s_or_b64 s[2:3], s[16:17], s[2:3]
	s_and_b64 s[2:3], exec, s[2:3]
	v_add_u32_e32 v14, 4, v14
	s_or_b64 s[10:11], s[2:3], s[10:11]
	s_mov_b32 s13, s15
	s_andn2_b64 exec, exec, s[10:11]
	s_cbranch_execz .LBB316_13
.LBB316_11:                             ;   Parent Loop BB316_5 Depth=1
                                        ; =>  This Inner Loop Header: Depth=2
	v_cmp_ne_u32_e32 vcc, s13, v15
	v_cmp_eq_u32_e64 s[2:3], s13, v15
	s_and_saveexec_b64 s[16:17], s[2:3]
	s_cbranch_execz .LBB316_10
; %bb.12:                               ;   in Loop: Header=BB316_11 Depth=2
	scratch_load_dword v16, v14, off
	s_waitcnt vmcnt(0)
	v_add_f32_e32 v5, v5, v16
	global_store_dwordx2 v[8:9], v[10:11], off offset:8
	s_branch .LBB316_10
.LBB316_13:                             ;   in Loop: Header=BB316_5 Depth=1
	s_or_b64 exec, exec, s[10:11]
	global_load_dwordx2 v[10:11], v[6:7], off offset:16
	v_mov_b32_e32 v14, 0
	s_mov_b32 s13, 0
	s_mov_b64 s[10:11], 0
	s_waitcnt vmcnt(0)
	v_ashrrev_i32_e32 v11, 31, v10
	v_add_u32_e32 v15, v13, v10
	s_branch .LBB316_15
.LBB316_14:                             ;   in Loop: Header=BB316_15 Depth=2
	s_or_b64 exec, exec, s[16:17]
	s_add_i32 s15, s13, 1
	s_cmp_gt_u32 s13, 6
	s_cselect_b64 s[2:3], -1, 0
	s_xor_b64 s[16:17], vcc, -1
	s_or_b64 s[2:3], s[16:17], s[2:3]
	s_and_b64 s[2:3], exec, s[2:3]
	v_add_u32_e32 v14, 4, v14
	s_or_b64 s[10:11], s[2:3], s[10:11]
	s_mov_b32 s13, s15
	s_andn2_b64 exec, exec, s[10:11]
	s_cbranch_execz .LBB316_17
.LBB316_15:                             ;   Parent Loop BB316_5 Depth=1
                                        ; =>  This Inner Loop Header: Depth=2
	v_cmp_ne_u32_e32 vcc, s13, v15
	v_cmp_eq_u32_e64 s[2:3], s13, v15
	s_and_saveexec_b64 s[16:17], s[2:3]
	s_cbranch_execz .LBB316_14
; %bb.16:                               ;   in Loop: Header=BB316_15 Depth=2
	scratch_load_dword v16, v14, off
	s_waitcnt vmcnt(0)
	v_add_f32_e32 v5, v5, v16
	global_store_dwordx2 v[8:9], v[10:11], off offset:16
	s_branch .LBB316_14
.LBB316_17:                             ;   in Loop: Header=BB316_5 Depth=1
	s_or_b64 exec, exec, s[10:11]
	global_load_dwordx2 v[6:7], v[6:7], off offset:24
	v_mov_b32_e32 v10, 0
	s_mov_b32 s13, 0
	s_mov_b64 s[10:11], 0
	s_waitcnt vmcnt(0)
	v_ashrrev_i32_e32 v7, 31, v6
	v_add_u32_e32 v11, v13, v6
	s_branch .LBB316_19
.LBB316_18:                             ;   in Loop: Header=BB316_19 Depth=2
	s_or_b64 exec, exec, s[16:17]
	s_add_i32 s15, s13, 1
	s_cmp_gt_u32 s13, 6
	s_cselect_b64 s[2:3], -1, 0
	s_xor_b64 s[16:17], vcc, -1
	s_or_b64 s[2:3], s[16:17], s[2:3]
	s_and_b64 s[2:3], exec, s[2:3]
	v_add_u32_e32 v10, 4, v10
	s_or_b64 s[10:11], s[2:3], s[10:11]
	s_mov_b32 s13, s15
	s_andn2_b64 exec, exec, s[10:11]
	s_cbranch_execz .LBB316_4
.LBB316_19:                             ;   Parent Loop BB316_5 Depth=1
                                        ; =>  This Inner Loop Header: Depth=2
	v_cmp_ne_u32_e32 vcc, s13, v11
	v_cmp_eq_u32_e64 s[2:3], s13, v11
	s_and_saveexec_b64 s[16:17], s[2:3]
	s_cbranch_execz .LBB316_18
; %bb.20:                               ;   in Loop: Header=BB316_19 Depth=2
	scratch_load_dword v14, v10, off
	s_waitcnt vmcnt(0)
	v_add_f32_e32 v5, v5, v14
	global_store_dwordx2 v[8:9], v[6:7], off offset:24
	s_branch .LBB316_18
.LBB316_21:
	s_and_b32 s13, s12, 3
	s_cmp_eq_u32 s13, 0
	s_mov_b32 s15, 0
	s_cbranch_scc1 .LBB316_28
; %bb.22:
	v_lshlrev_b32_e32 v1, 3, v4
	v_sub_u32_e32 v1, 0, v1
	s_mov_b32 s16, s15
	s_branch .LBB316_24
.LBB316_23:                             ;   in Loop: Header=BB316_24 Depth=1
	s_or_b64 exec, exec, s[6:7]
	s_add_i32 s14, s14, 1
	s_add_i32 s16, s16, 1
	s_cmp_lg_u32 s16, s13
	s_cbranch_scc0 .LBB316_28
.LBB316_24:                             ; =>This Loop Header: Depth=1
                                        ;     Child Loop BB316_26 Depth 2
	v_lshl_add_u64 v[6:7], s[14:15], 3, v[2:3]
	global_load_dwordx2 v[6:7], v[6:7], off
	v_add_u32_e32 v8, s14, v0
	v_ashrrev_i32_e32 v9, 31, v8
	v_mov_b32_e32 v4, 0
	s_mov_b32 s17, 0
	s_waitcnt lgkmcnt(0)
	v_lshl_add_u64 v[8:9], v[8:9], 3, s[4:5]
	s_mov_b64 s[6:7], 0
	s_waitcnt vmcnt(0)
	v_ashrrev_i32_e32 v7, 31, v6
	v_add_u32_e32 v10, v1, v6
	s_branch .LBB316_26
.LBB316_25:                             ;   in Loop: Header=BB316_26 Depth=2
	s_or_b64 exec, exec, s[10:11]
	s_add_i32 s18, s17, 1
	s_cmp_gt_u32 s17, 6
	s_cselect_b64 s[2:3], -1, 0
	s_xor_b64 s[10:11], vcc, -1
	s_or_b64 s[2:3], s[10:11], s[2:3]
	s_and_b64 s[2:3], exec, s[2:3]
	v_add_u32_e32 v4, 4, v4
	s_or_b64 s[6:7], s[2:3], s[6:7]
	s_mov_b32 s17, s18
	s_andn2_b64 exec, exec, s[6:7]
	s_cbranch_execz .LBB316_23
.LBB316_26:                             ;   Parent Loop BB316_24 Depth=1
                                        ; =>  This Inner Loop Header: Depth=2
	v_cmp_ne_u32_e32 vcc, s17, v10
	v_cmp_eq_u32_e64 s[2:3], s17, v10
	s_and_saveexec_b64 s[10:11], s[2:3]
	s_cbranch_execz .LBB316_25
; %bb.27:                               ;   in Loop: Header=BB316_26 Depth=2
	scratch_load_dword v11, v4, off
	s_waitcnt vmcnt(0)
	v_add_f32_e32 v5, v5, v11
	global_store_dwordx2 v[8:9], v[6:7], off
	s_branch .LBB316_25
.LBB316_28:
	s_waitcnt lgkmcnt(0)
	s_load_dword s4, s[0:1], 0x3c
	s_waitcnt lgkmcnt(0)
	s_bitcmp1_b32 s4, 0
	s_cselect_b64 s[2:3], -1, 0
	s_bitcmp0_b32 s4, 0
	s_cbranch_scc0 .LBB316_32
; %bb.29:
	s_load_dwordx2 s[4:5], s[0:1], 0x40
	s_andn2_b64 vcc, exec, s[2:3]
	s_waitcnt lgkmcnt(0)
	v_cvt_f32_f64_e32 v8, s[4:5]
	s_cbranch_vccz .LBB316_33
.LBB316_30:
	s_andn2_b64 vcc, exec, s[8:9]
	s_cbranch_vccz .LBB316_34
.LBB316_31:
	s_endpgm
.LBB316_32:
	v_mbcnt_lo_u32_b32 v1, -1, 0
	v_mbcnt_hi_u32_b32 v1, -1, v1
	v_and_b32_e32 v6, 0x7e, v1
	v_xor_b32_e32 v4, 1, v1
	v_add_u32_e32 v6, 2, v6
	v_cmp_lt_i32_e32 vcc, v4, v6
	s_nop 1
	v_cndmask_b32_e32 v1, v1, v4, vcc
	v_lshlrev_b32_e32 v1, 2, v1
	ds_bpermute_b32 v1, v1, v5
	s_waitcnt lgkmcnt(0)
	v_add_f32_e32 v5, v5, v1
	s_load_dwordx2 s[4:5], s[0:1], 0x40
	s_andn2_b64 vcc, exec, s[2:3]
	s_waitcnt lgkmcnt(0)
	v_cvt_f32_f64_e32 v8, s[4:5]
	s_cbranch_vccnz .LBB316_30
.LBB316_33:
	v_cmp_lt_f32_e32 vcc, 0, v5
	s_nop 1
	v_cndmask_b32_e32 v1, 1.0, v5, vcc
	v_div_scale_f32 v4, s[2:3], v1, v1, v8
	v_rcp_f32_e32 v5, v4
	s_nop 0
	v_fma_f32 v6, -v4, v5, 1.0
	v_fmac_f32_e32 v5, v6, v5
	v_div_scale_f32 v6, vcc, v8, v1, v8
	v_mul_f32_e32 v7, v6, v5
	v_fma_f32 v9, -v4, v7, v6
	v_fmac_f32_e32 v7, v9, v5
	v_fma_f32 v4, -v4, v7, v6
	v_div_fmas_f32 v4, v4, v5, v7
	v_div_fixup_f32 v8, v4, v1, v8
	s_andn2_b64 vcc, exec, s[8:9]
	s_cbranch_vccnz .LBB316_31
.LBB316_34:
	s_load_dwordx2 s[14:15], s[0:1], 0x10
	v_mov_b32_e32 v1, 0
	v_or_b32_e32 v20, 4, v1
	v_or_b32_e32 v18, 8, v1
	;; [unrolled: 1-line block ×3, first 2 shown]
	v_add_u32_e32 v14, 16, v1
	v_add_u32_e32 v11, 20, v1
	;; [unrolled: 1-line block ×4, first 2 shown]
	v_or_b32_e32 v23, 1, v12
	v_or_b32_e32 v22, 2, v12
	;; [unrolled: 1-line block ×7, first 2 shown]
	s_cmp_eq_u32 s12, 1
	s_mov_b32 s16, 0
	s_cbranch_scc1 .LBB316_69
; %bb.35:
	v_ashrrev_i32_e32 v1, 31, v0
	s_waitcnt lgkmcnt(0)
	v_lshl_add_u64 v[4:5], v[0:1], 2, s[14:15]
	s_and_b32 s16, s12, 0x7ffffffe
	v_lshl_add_u64 v[4:5], v[4:5], 0, 4
	v_lshl_add_u64 v[6:7], v[2:3], 0, 8
	s_mov_b32 s13, 0
	s_branch .LBB316_37
.LBB316_36:                             ;   in Loop: Header=BB316_37 Depth=1
	s_or_b64 exec, exec, s[0:1]
	s_add_i32 s13, s13, 2
	v_lshl_add_u64 v[4:5], v[4:5], 0, 8
	s_cmp_eq_u32 s16, s13
	v_lshl_add_u64 v[6:7], v[6:7], 0, 16
	s_cbranch_scc1 .LBB316_69
.LBB316_37:                             ; =>This Inner Loop Header: Depth=1
	global_load_dword v24, v[6:7], off offset:-8
	v_mov_b32_e32 v1, 0
	s_waitcnt vmcnt(0)
	v_cmp_eq_u32_e32 vcc, v12, v24
	v_cmp_ne_u32_e64 s[0:1], v12, v24
	s_and_saveexec_b64 s[18:19], s[0:1]
	s_cbranch_execz .LBB316_51
; %bb.38:                               ;   in Loop: Header=BB316_37 Depth=1
	v_cmp_eq_u32_e64 s[0:1], v23, v24
	v_cmp_ne_u32_e64 s[2:3], v23, v24
	v_mov_b32_e32 v1, v20
	s_and_saveexec_b64 s[20:21], s[2:3]
	s_cbranch_execz .LBB316_50
; %bb.39:                               ;   in Loop: Header=BB316_37 Depth=1
	v_cmp_eq_u32_e64 s[2:3], v22, v24
	v_cmp_ne_u32_e64 s[4:5], v22, v24
	v_mov_b32_e32 v1, v18
	s_and_saveexec_b64 s[22:23], s[4:5]
	s_cbranch_execz .LBB316_49
; %bb.40:                               ;   in Loop: Header=BB316_37 Depth=1
	v_cmp_eq_u32_e64 s[4:5], v21, v24
	v_cmp_ne_u32_e64 s[6:7], v21, v24
	v_mov_b32_e32 v1, v16
	s_and_saveexec_b64 s[24:25], s[6:7]
	s_cbranch_execz .LBB316_48
; %bb.41:                               ;   in Loop: Header=BB316_37 Depth=1
	v_cmp_eq_u32_e64 s[6:7], v19, v24
	v_cmp_ne_u32_e64 s[8:9], v19, v24
	v_mov_b32_e32 v1, v14
	s_and_saveexec_b64 s[26:27], s[8:9]
	s_cbranch_execz .LBB316_47
; %bb.42:                               ;   in Loop: Header=BB316_37 Depth=1
	v_cmp_eq_u32_e64 s[8:9], v17, v24
	v_cmp_ne_u32_e64 s[10:11], v17, v24
	v_mov_b32_e32 v1, v11
	s_and_saveexec_b64 s[28:29], s[10:11]
	s_cbranch_execz .LBB316_46
; %bb.43:                               ;   in Loop: Header=BB316_37 Depth=1
	v_cmp_eq_u32_e64 s[30:31], v15, v24
	v_cmp_ne_u32_e64 s[10:11], v15, v24
	v_mov_b32_e32 v1, v9
	s_and_saveexec_b64 s[34:35], s[10:11]
	s_xor_b64 s[34:35], exec, s[34:35]
; %bb.44:                               ;   in Loop: Header=BB316_37 Depth=1
	v_cmp_eq_u32_e64 s[10:11], v13, v24
	s_andn2_b64 s[30:31], s[30:31], exec
	s_and_b64 s[10:11], s[10:11], exec
	s_or_b64 s[30:31], s[30:31], s[10:11]
	v_mov_b32_e32 v1, v10
; %bb.45:                               ;   in Loop: Header=BB316_37 Depth=1
	s_or_b64 exec, exec, s[34:35]
	s_andn2_b64 s[8:9], s[8:9], exec
	s_and_b64 s[10:11], s[30:31], exec
	s_or_b64 s[8:9], s[8:9], s[10:11]
.LBB316_46:                             ;   in Loop: Header=BB316_37 Depth=1
	s_or_b64 exec, exec, s[28:29]
	s_andn2_b64 s[6:7], s[6:7], exec
	s_and_b64 s[8:9], s[8:9], exec
	s_or_b64 s[6:7], s[6:7], s[8:9]
.LBB316_47:                             ;   in Loop: Header=BB316_37 Depth=1
	s_or_b64 exec, exec, s[26:27]
	s_andn2_b64 s[4:5], s[4:5], exec
	s_and_b64 s[6:7], s[6:7], exec
	s_or_b64 s[4:5], s[4:5], s[6:7]
.LBB316_48:                             ;   in Loop: Header=BB316_37 Depth=1
	s_or_b64 exec, exec, s[24:25]
	s_andn2_b64 s[2:3], s[2:3], exec
	s_and_b64 s[4:5], s[4:5], exec
	s_or_b64 s[2:3], s[2:3], s[4:5]
.LBB316_49:                             ;   in Loop: Header=BB316_37 Depth=1
	s_or_b64 exec, exec, s[22:23]
	s_andn2_b64 s[0:1], s[0:1], exec
	s_and_b64 s[2:3], s[2:3], exec
	s_or_b64 s[0:1], s[0:1], s[2:3]
.LBB316_50:                             ;   in Loop: Header=BB316_37 Depth=1
	s_or_b64 exec, exec, s[20:21]
	s_andn2_b64 s[2:3], vcc, exec
	s_and_b64 s[0:1], s[0:1], exec
	s_or_b64 vcc, s[2:3], s[0:1]
.LBB316_51:                             ;   in Loop: Header=BB316_37 Depth=1
	s_or_b64 exec, exec, s[18:19]
	s_and_saveexec_b64 s[0:1], vcc
	s_cbranch_execz .LBB316_53
; %bb.52:                               ;   in Loop: Header=BB316_37 Depth=1
	scratch_load_dword v1, v1, off
	v_add_u32_e32 v24, s13, v0
	v_ashrrev_i32_e32 v25, 31, v24
	v_lshl_add_u64 v[24:25], v[24:25], 2, s[14:15]
	s_waitcnt vmcnt(0)
	v_mul_f32_e32 v1, v8, v1
	global_store_dword v[24:25], v1, off
.LBB316_53:                             ;   in Loop: Header=BB316_37 Depth=1
	s_or_b64 exec, exec, s[0:1]
	global_load_dword v24, v[6:7], off
	v_mov_b32_e32 v1, 0
	s_waitcnt vmcnt(0)
	v_cmp_eq_u32_e64 s[8:9], v12, v24
	v_cmp_ne_u32_e32 vcc, v12, v24
	s_and_saveexec_b64 s[10:11], vcc
	s_cbranch_execz .LBB316_67
; %bb.54:                               ;   in Loop: Header=BB316_37 Depth=1
	v_cmp_eq_u32_e32 vcc, v23, v24
	v_cmp_ne_u32_e64 s[0:1], v23, v24
	v_mov_b32_e32 v1, v20
	s_and_saveexec_b64 s[18:19], s[0:1]
	s_cbranch_execz .LBB316_66
; %bb.55:                               ;   in Loop: Header=BB316_37 Depth=1
	v_cmp_eq_u32_e64 s[0:1], v22, v24
	v_cmp_ne_u32_e64 s[2:3], v22, v24
	v_mov_b32_e32 v1, v18
	s_and_saveexec_b64 s[20:21], s[2:3]
	s_cbranch_execz .LBB316_65
; %bb.56:                               ;   in Loop: Header=BB316_37 Depth=1
	v_cmp_eq_u32_e64 s[2:3], v21, v24
	;; [unrolled: 6-line block ×5, first 2 shown]
	v_cmp_ne_u32_e64 s[6:7], v15, v24
	v_mov_b32_e32 v1, v9
	s_and_saveexec_b64 s[34:35], s[6:7]
; %bb.60:                               ;   in Loop: Header=BB316_37 Depth=1
	v_cmp_eq_u32_e64 s[6:7], v13, v24
	s_andn2_b64 s[30:31], s[30:31], exec
	s_and_b64 s[6:7], s[6:7], exec
	s_or_b64 s[30:31], s[30:31], s[6:7]
	v_mov_b32_e32 v1, v10
; %bb.61:                               ;   in Loop: Header=BB316_37 Depth=1
	s_or_b64 exec, exec, s[34:35]
	s_andn2_b64 s[6:7], s[26:27], exec
	s_and_b64 s[26:27], s[30:31], exec
	s_or_b64 s[26:27], s[6:7], s[26:27]
.LBB316_62:                             ;   in Loop: Header=BB316_37 Depth=1
	s_or_b64 exec, exec, s[28:29]
	s_andn2_b64 s[4:5], s[4:5], exec
	s_and_b64 s[6:7], s[26:27], exec
	s_or_b64 s[4:5], s[4:5], s[6:7]
.LBB316_63:                             ;   in Loop: Header=BB316_37 Depth=1
	s_or_b64 exec, exec, s[24:25]
	s_andn2_b64 s[2:3], s[2:3], exec
	s_and_b64 s[4:5], s[4:5], exec
	s_or_b64 s[2:3], s[2:3], s[4:5]
.LBB316_64:                             ;   in Loop: Header=BB316_37 Depth=1
	s_or_b64 exec, exec, s[22:23]
	s_andn2_b64 s[0:1], s[0:1], exec
	s_and_b64 s[2:3], s[2:3], exec
	s_or_b64 s[0:1], s[0:1], s[2:3]
.LBB316_65:                             ;   in Loop: Header=BB316_37 Depth=1
	s_or_b64 exec, exec, s[20:21]
	s_andn2_b64 s[2:3], vcc, exec
	s_and_b64 s[0:1], s[0:1], exec
	s_or_b64 vcc, s[2:3], s[0:1]
.LBB316_66:                             ;   in Loop: Header=BB316_37 Depth=1
	s_or_b64 exec, exec, s[18:19]
	s_andn2_b64 s[0:1], s[8:9], exec
	s_and_b64 s[2:3], vcc, exec
	s_or_b64 s[8:9], s[0:1], s[2:3]
.LBB316_67:                             ;   in Loop: Header=BB316_37 Depth=1
	s_or_b64 exec, exec, s[10:11]
	s_and_saveexec_b64 s[0:1], s[8:9]
	s_cbranch_execz .LBB316_36
; %bb.68:                               ;   in Loop: Header=BB316_37 Depth=1
	scratch_load_dword v1, v1, off
	s_waitcnt vmcnt(0)
	v_mul_f32_e32 v1, v8, v1
	global_store_dword v[4:5], v1, off
	s_branch .LBB316_36
.LBB316_69:
	s_bitcmp0_b32 s12, 0
	s_mov_b32 s17, 0
	s_cbranch_scc1 .LBB316_31
; %bb.70:
	v_lshl_add_u64 v[2:3], s[16:17], 3, v[2:3]
	global_load_dword v1, v[2:3], off
	v_mov_b32_e32 v2, 0
	s_waitcnt vmcnt(0)
	v_cmp_eq_u32_e64 s[8:9], v12, v1
	v_cmp_ne_u32_e32 vcc, v12, v1
	s_and_saveexec_b64 s[10:11], vcc
	s_cbranch_execz .LBB316_84
; %bb.71:
	v_cmp_eq_u32_e32 vcc, v23, v1
	v_cmp_ne_u32_e64 s[0:1], v23, v1
	s_and_saveexec_b64 s[12:13], s[0:1]
	s_cbranch_execz .LBB316_83
; %bb.72:
	v_cmp_eq_u32_e64 s[0:1], v22, v1
	v_cmp_ne_u32_e64 s[2:3], v22, v1
	s_and_saveexec_b64 s[18:19], s[2:3]
	s_cbranch_execz .LBB316_82
; %bb.73:
	v_cmp_eq_u32_e64 s[2:3], v21, v1
	;; [unrolled: 5-line block ×5, first 2 shown]
	v_cmp_ne_u32_e64 s[6:7], v15, v1
	s_and_saveexec_b64 s[30:31], s[6:7]
; %bb.77:
	v_cmp_eq_u32_e64 s[6:7], v13, v1
	s_andn2_b64 s[28:29], s[28:29], exec
	s_and_b64 s[6:7], s[6:7], exec
	s_or_b64 s[28:29], s[28:29], s[6:7]
	v_mov_b32_e32 v9, v10
; %bb.78:
	s_or_b64 exec, exec, s[30:31]
	s_andn2_b64 s[6:7], s[24:25], exec
	s_and_b64 s[24:25], s[28:29], exec
	s_or_b64 s[24:25], s[6:7], s[24:25]
	v_mov_b32_e32 v11, v9
.LBB316_79:
	s_or_b64 exec, exec, s[26:27]
	s_andn2_b64 s[4:5], s[4:5], exec
	s_and_b64 s[6:7], s[24:25], exec
	s_or_b64 s[4:5], s[4:5], s[6:7]
	v_mov_b32_e32 v14, v11
.LBB316_80:
	s_or_b64 exec, exec, s[22:23]
	s_andn2_b64 s[2:3], s[2:3], exec
	s_and_b64 s[4:5], s[4:5], exec
	s_or_b64 s[2:3], s[2:3], s[4:5]
	v_mov_b32_e32 v16, v14
.LBB316_81:
	s_or_b64 exec, exec, s[20:21]
	s_andn2_b64 s[0:1], s[0:1], exec
	s_and_b64 s[2:3], s[2:3], exec
	s_or_b64 s[0:1], s[0:1], s[2:3]
	v_mov_b32_e32 v18, v16
.LBB316_82:
	s_or_b64 exec, exec, s[18:19]
	s_andn2_b64 s[2:3], vcc, exec
	s_and_b64 s[0:1], s[0:1], exec
	s_or_b64 vcc, s[2:3], s[0:1]
	v_mov_b32_e32 v20, v18
.LBB316_83:
	s_or_b64 exec, exec, s[12:13]
	s_andn2_b64 s[0:1], s[8:9], exec
	s_and_b64 s[2:3], vcc, exec
	s_or_b64 s[8:9], s[0:1], s[2:3]
	v_mov_b32_e32 v2, v20
.LBB316_84:
	s_or_b64 exec, exec, s[10:11]
	s_and_b64 exec, exec, s[8:9]
	s_cbranch_execz .LBB316_31
; %bb.85:
	scratch_load_dword v2, v2, off
	v_add_u32_e32 v0, s16, v0
	v_ashrrev_i32_e32 v1, 31, v0
	s_waitcnt lgkmcnt(0)
	v_lshl_add_u64 v[0:1], v[0:1], 2, s[14:15]
	s_waitcnt vmcnt(0)
	v_mul_f32_e32 v2, v8, v2
	global_store_dword v[0:1], v2, off
	s_endpgm
	.section	.rodata,"a",@progbits
	.p2align	6, 0x0
	.amdhsa_kernel _ZN4vllm3moe22topkGatingSoftplusSqrtILi8ELi16ELi4ELi16ELi64ELb1El6__halfEEvPKT6_PKbPfiPT5_PiiiibdPKfPKS9_SF_
		.amdhsa_group_segment_fixed_size 0
		.amdhsa_private_segment_fixed_size 48
		.amdhsa_kernarg_size 96
		.amdhsa_user_sgpr_count 2
		.amdhsa_user_sgpr_dispatch_ptr 0
		.amdhsa_user_sgpr_queue_ptr 0
		.amdhsa_user_sgpr_kernarg_segment_ptr 1
		.amdhsa_user_sgpr_dispatch_id 0
		.amdhsa_user_sgpr_kernarg_preload_length 0
		.amdhsa_user_sgpr_kernarg_preload_offset 0
		.amdhsa_user_sgpr_private_segment_size 0
		.amdhsa_uses_dynamic_stack 0
		.amdhsa_enable_private_segment 1
		.amdhsa_system_sgpr_workgroup_id_x 1
		.amdhsa_system_sgpr_workgroup_id_y 0
		.amdhsa_system_sgpr_workgroup_id_z 0
		.amdhsa_system_sgpr_workgroup_info 0
		.amdhsa_system_vgpr_workitem_id 1
		.amdhsa_next_free_vgpr 29
		.amdhsa_next_free_sgpr 36
		.amdhsa_accum_offset 32
		.amdhsa_reserve_vcc 1
		.amdhsa_float_round_mode_32 0
		.amdhsa_float_round_mode_16_64 0
		.amdhsa_float_denorm_mode_32 3
		.amdhsa_float_denorm_mode_16_64 3
		.amdhsa_dx10_clamp 1
		.amdhsa_ieee_mode 1
		.amdhsa_fp16_overflow 0
		.amdhsa_tg_split 0
		.amdhsa_exception_fp_ieee_invalid_op 0
		.amdhsa_exception_fp_denorm_src 0
		.amdhsa_exception_fp_ieee_div_zero 0
		.amdhsa_exception_fp_ieee_overflow 0
		.amdhsa_exception_fp_ieee_underflow 0
		.amdhsa_exception_fp_ieee_inexact 0
		.amdhsa_exception_int_div_zero 0
	.end_amdhsa_kernel
	.section	.text._ZN4vllm3moe22topkGatingSoftplusSqrtILi8ELi16ELi4ELi16ELi64ELb1El6__halfEEvPKT6_PKbPfiPT5_PiiiibdPKfPKS9_SF_,"axG",@progbits,_ZN4vllm3moe22topkGatingSoftplusSqrtILi8ELi16ELi4ELi16ELi64ELb1El6__halfEEvPKT6_PKbPfiPT5_PiiiibdPKfPKS9_SF_,comdat
.Lfunc_end316:
	.size	_ZN4vllm3moe22topkGatingSoftplusSqrtILi8ELi16ELi4ELi16ELi64ELb1El6__halfEEvPKT6_PKbPfiPT5_PiiiibdPKfPKS9_SF_, .Lfunc_end316-_ZN4vllm3moe22topkGatingSoftplusSqrtILi8ELi16ELi4ELi16ELi64ELb1El6__halfEEvPKT6_PKbPfiPT5_PiiiibdPKfPKS9_SF_
                                        ; -- End function
	.section	.AMDGPU.csdata,"",@progbits
; Kernel info:
; codeLenInByte = 4520
; NumSgprs: 42
; NumVgprs: 29
; NumAgprs: 0
; TotalNumVgprs: 29
; ScratchSize: 48
; MemoryBound: 0
; FloatMode: 240
; IeeeMode: 1
; LDSByteSize: 0 bytes/workgroup (compile time only)
; SGPRBlocks: 5
; VGPRBlocks: 3
; NumSGPRsForWavesPerEU: 42
; NumVGPRsForWavesPerEU: 29
; AccumOffset: 32
; Occupancy: 8
; WaveLimiterHint : 1
; COMPUTE_PGM_RSRC2:SCRATCH_EN: 1
; COMPUTE_PGM_RSRC2:USER_SGPR: 2
; COMPUTE_PGM_RSRC2:TRAP_HANDLER: 0
; COMPUTE_PGM_RSRC2:TGID_X_EN: 1
; COMPUTE_PGM_RSRC2:TGID_Y_EN: 0
; COMPUTE_PGM_RSRC2:TGID_Z_EN: 0
; COMPUTE_PGM_RSRC2:TIDIG_COMP_CNT: 1
; COMPUTE_PGM_RSRC3_GFX90A:ACCUM_OFFSET: 7
; COMPUTE_PGM_RSRC3_GFX90A:TG_SPLIT: 0
	.section	.text._ZN4vllm3moe22topkGatingSoftplusSqrtILi8ELi16ELi4ELi16ELi64ELb0El6__halfEEvPKT6_PKbPfiPT5_PiiiibdPKfPKS9_SF_,"axG",@progbits,_ZN4vllm3moe22topkGatingSoftplusSqrtILi8ELi16ELi4ELi16ELi64ELb0El6__halfEEvPKT6_PKbPfiPT5_PiiiibdPKfPKS9_SF_,comdat
	.protected	_ZN4vllm3moe22topkGatingSoftplusSqrtILi8ELi16ELi4ELi16ELi64ELb0El6__halfEEvPKT6_PKbPfiPT5_PiiiibdPKfPKS9_SF_ ; -- Begin function _ZN4vllm3moe22topkGatingSoftplusSqrtILi8ELi16ELi4ELi16ELi64ELb0El6__halfEEvPKT6_PKbPfiPT5_PiiiibdPKfPKS9_SF_
	.globl	_ZN4vllm3moe22topkGatingSoftplusSqrtILi8ELi16ELi4ELi16ELi64ELb0El6__halfEEvPKT6_PKbPfiPT5_PiiiibdPKfPKS9_SF_
	.p2align	8
	.type	_ZN4vllm3moe22topkGatingSoftplusSqrtILi8ELi16ELi4ELi16ELi64ELb0El6__halfEEvPKT6_PKbPfiPT5_PiiiibdPKfPKS9_SF_,@function
_ZN4vllm3moe22topkGatingSoftplusSqrtILi8ELi16ELi4ELi16ELi64ELb0El6__halfEEvPKT6_PKbPfiPT5_PiiiibdPKfPKS9_SF_: ; @_ZN4vllm3moe22topkGatingSoftplusSqrtILi8ELi16ELi4ELi16ELi64ELb0El6__halfEEvPKT6_PKbPfiPT5_PiiiibdPKfPKS9_SF_
; %bb.0:
	s_load_dword s33, s[0:1], 0x18
	v_bfe_u32 v1, v0, 10, 10
	v_and_b32_e32 v0, 0x3ff, v0
	s_lshl_b32 s2, s2, 7
	v_lshlrev_b32_e32 v1, 5, v1
	v_lshrrev_b32_e32 v2, 1, v0
	v_add3_u32 v8, s2, v1, v2
	s_waitcnt lgkmcnt(0)
	v_cmp_gt_i32_e32 vcc, s33, v8
	s_and_saveexec_b64 s[2:3], vcc
	s_cbranch_execz .LBB317_49
; %bb.1:
	s_load_dwordx4 s[4:7], s[0:1], 0x0
	s_load_dwordx2 s[34:35], s[0:1], 0x10
	s_waitcnt lgkmcnt(0)
	s_cmp_eq_u64 s[6:7], 0
	s_cbranch_scc1 .LBB317_3
; %bb.2:
	v_ashrrev_i32_e32 v9, 31, v8
	v_lshl_add_u64 v[2:3], s[6:7], 0, v[8:9]
	global_load_ubyte v1, v[2:3], off
	s_waitcnt vmcnt(0)
	v_and_b32_e32 v1, 1, v1
	v_cmp_eq_u32_e32 vcc, 1, v1
	s_xor_b64 s[2:3], vcc, -1
	s_orn2_b64 s[36:37], s[2:3], exec
	s_branch .LBB317_4
.LBB317_3:
	s_mov_b64 s[36:37], -1
.LBB317_4:
	v_lshlrev_b32_e32 v4, 4, v8
	v_mov_b32_e32 v2, s4
	v_mov_b32_e32 v3, s5
	v_ashrrev_i32_e32 v5, 31, v4
	v_and_b32_e32 v9, 1, v0
	v_lshl_add_u64 v[2:3], v[4:5], 1, v[2:3]
	v_mov_b32_e32 v1, 0
	v_lshlrev_b32_e32 v0, 4, v9
	v_lshl_add_u64 v[0:1], v[2:3], 0, v[0:1]
	global_load_dwordx4 v[4:7], v[0:1], off
	s_mov_b32 s12, 0x800000
	v_mov_b32_e32 v2, 0x4f800000
	s_mov_b32 s9, 0x3f317217
	s_mov_b32 s10, 0x7f800000
	v_mov_b32_e32 v3, 0x41b17218
	s_movk_i32 s8, 0x4d00
	s_mov_b32 s11, 0xf800000
	s_load_dwordx4 s[20:23], s[0:1], 0x40
	v_lshlrev_b32_e32 v12, 3, v9
	s_waitcnt lgkmcnt(0)
	s_cmp_lg_u64 s[22:23], 0
	s_cselect_b64 s[6:7], -1, 0
	s_and_b64 s[2:3], exec, s[6:7]
	s_waitcnt vmcnt(0)
	v_cvt_f32_f16_e32 v0, v4
	v_mul_f32_e32 v1, 0x3fb8aa3b, v0
	v_exp_f32_e32 v10, v1
	v_mov_b32_e32 v1, 0x260
	v_add_f32_e32 v10, 1.0, v10
	v_cmp_gt_f32_e32 vcc, s12, v10
	s_nop 1
	v_cndmask_b32_e32 v11, 1.0, v2, vcc
	v_mul_f32_e32 v10, v10, v11
	v_log_f32_e32 v11, v10
	v_cndmask_b32_e32 v13, 0, v3, vcc
	v_lshlrev_b32_e32 v10, 2, v12
	v_mul_f32_e32 v14, 0x3f317217, v11
	v_fma_f32 v14, v11, s9, -v14
	v_fmac_f32_e32 v14, 0x3377d1cf, v11
	v_fmac_f32_e32 v14, 0x3f317217, v11
	v_cmp_lt_f32_e64 vcc, |v11|, s10
	s_nop 1
	v_cndmask_b32_e32 v11, v11, v14, vcc
	v_sub_f32_e32 v11, v11, v13
	v_cmp_lt_f16_e32 vcc, s8, v4
	s_nop 1
	v_cndmask_b32_e32 v0, v11, v0, vcc
	v_mul_f32_e32 v11, 0x4f800000, v0
	v_cmp_gt_f32_e32 vcc, s11, v0
	s_nop 1
	v_cndmask_b32_e32 v0, v0, v11, vcc
	v_sqrt_f32_e32 v11, v0
	s_nop 0
	v_add_u32_e32 v13, -1, v11
	v_add_u32_e32 v14, 1, v11
	v_fma_f32 v15, -v13, v11, v0
	v_fma_f32 v16, -v14, v11, v0
	v_cmp_ge_f32_e64 s[4:5], 0, v15
	s_nop 1
	v_cndmask_b32_e64 v11, v11, v13, s[4:5]
	v_cmp_lt_f32_e64 s[4:5], 0, v16
	s_nop 1
	v_cndmask_b32_e64 v11, v11, v14, s[4:5]
	v_mul_f32_e32 v13, 0x37800000, v11
	v_cndmask_b32_e32 v11, v11, v13, vcc
	v_cmp_class_f32_e32 vcc, v0, v1
	s_nop 1
	v_cndmask_b32_e32 v0, v11, v0, vcc
	s_mov_b64 vcc, s[2:3]
	s_cbranch_vccz .LBB317_6
; %bb.5:
	global_load_dword v11, v10, s[22:23]
	s_waitcnt vmcnt(0)
	v_add_f32_e32 v0, v0, v11
.LBB317_6:
	v_cvt_f32_f16_sdwa v11, v4 dst_sel:DWORD dst_unused:UNUSED_PAD src0_sel:WORD_1
	v_mul_f32_e32 v13, 0x3fb8aa3b, v11
	v_exp_f32_e32 v13, v13
	s_nop 0
	v_add_f32_e32 v13, 1.0, v13
	v_cmp_gt_f32_e32 vcc, s12, v13
	s_nop 1
	v_cndmask_b32_e32 v2, 1.0, v2, vcc
	v_mul_f32_e32 v2, v13, v2
	v_log_f32_e32 v2, v2
	v_cndmask_b32_e32 v3, 0, v3, vcc
	v_mul_f32_e32 v13, 0x3f317217, v2
	v_fma_f32 v13, v2, s9, -v13
	v_fmac_f32_e32 v13, 0x3377d1cf, v2
	v_fmac_f32_e32 v13, 0x3f317217, v2
	v_cmp_lt_f32_e64 vcc, |v2|, s10
	s_nop 1
	v_cndmask_b32_e32 v2, v2, v13, vcc
	v_sub_f32_e32 v2, v2, v3
	v_cmp_gt_f16_sdwa vcc, v4, s8 src0_sel:WORD_1 src1_sel:DWORD
	v_cndmask_b32_e64 v4, 0, 1, s[6:7]
	v_cmp_ne_u32_e64 s[2:3], 1, v4
	v_cndmask_b32_e32 v2, v2, v11, vcc
	v_mul_f32_e32 v3, 0x4f800000, v2
	v_cmp_gt_f32_e64 s[4:5], s11, v2
	s_andn2_b64 vcc, exec, s[6:7]
	s_nop 0
	v_cndmask_b32_e64 v2, v2, v3, s[4:5]
	v_sqrt_f32_e32 v3, v2
	s_nop 0
	v_add_u32_e32 v4, -1, v3
	v_add_u32_e32 v11, 1, v3
	v_fma_f32 v13, -v4, v3, v2
	v_fma_f32 v14, -v11, v3, v2
	v_cmp_ge_f32_e64 s[6:7], 0, v13
	s_nop 1
	v_cndmask_b32_e64 v3, v3, v4, s[6:7]
	v_cmp_lt_f32_e64 s[6:7], 0, v14
	s_nop 1
	v_cndmask_b32_e64 v3, v3, v11, s[6:7]
	v_mul_f32_e32 v4, 0x37800000, v3
	v_cndmask_b32_e64 v3, v3, v4, s[4:5]
	v_cmp_class_f32_e64 s[4:5], v2, v1
	s_nop 1
	v_cndmask_b32_e64 v1, v3, v2, s[4:5]
	s_cbranch_vccnz .LBB317_8
; %bb.7:
	global_load_dword v2, v10, s[22:23] offset:4
	s_waitcnt vmcnt(0)
	v_add_f32_e32 v1, v1, v2
.LBB317_8:
	v_cvt_f32_f16_e32 v2, v5
	s_mov_b32 s8, 0x800000
	v_mov_b32_e32 v4, 0x4f800000
	s_mov_b32 s7, 0x3f317217
	v_mul_f32_e32 v3, 0x3fb8aa3b, v2
	v_exp_f32_e32 v3, v3
	s_mov_b32 s9, 0x7f800000
	s_movk_i32 s6, 0x4d00
	s_mov_b32 s10, 0xf800000
	v_add_f32_e32 v3, 1.0, v3
	v_cmp_gt_f32_e32 vcc, s8, v3
	s_nop 1
	v_cndmask_b32_e32 v11, 1.0, v4, vcc
	v_mul_f32_e32 v3, v3, v11
	v_log_f32_e32 v3, v3
	v_mov_b32_e32 v11, 0x41b17218
	v_cndmask_b32_e32 v13, 0, v11, vcc
	v_mul_f32_e32 v14, 0x3f317217, v3
	v_fma_f32 v14, v3, s7, -v14
	v_fmac_f32_e32 v14, 0x3377d1cf, v3
	v_fmac_f32_e32 v14, 0x3f317217, v3
	v_cmp_lt_f32_e64 vcc, |v3|, s9
	s_nop 1
	v_cndmask_b32_e32 v3, v3, v14, vcc
	v_sub_f32_e32 v3, v3, v13
	v_cmp_lt_f16_e32 vcc, s6, v5
	s_nop 1
	v_cndmask_b32_e32 v2, v3, v2, vcc
	v_mul_f32_e32 v3, 0x4f800000, v2
	v_cmp_gt_f32_e32 vcc, s10, v2
	s_nop 1
	v_cndmask_b32_e32 v2, v2, v3, vcc
	v_sqrt_f32_e32 v3, v2
	s_nop 0
	v_add_u32_e32 v13, -1, v3
	v_fma_f32 v14, -v13, v3, v2
	v_cmp_ge_f32_e64 s[4:5], 0, v14
	v_add_u32_e32 v14, 1, v3
	s_nop 0
	v_cndmask_b32_e64 v13, v3, v13, s[4:5]
	v_fma_f32 v3, -v14, v3, v2
	v_cmp_lt_f32_e64 s[4:5], 0, v3
	s_nop 1
	v_cndmask_b32_e64 v3, v13, v14, s[4:5]
	v_mul_f32_e32 v13, 0x37800000, v3
	v_cndmask_b32_e32 v13, v3, v13, vcc
	v_mov_b32_e32 v3, 0x260
	v_cmp_class_f32_e64 s[4:5], v2, v3
	s_and_b64 vcc, exec, s[2:3]
	s_nop 0
	v_cndmask_b32_e64 v2, v13, v2, s[4:5]
	s_cbranch_vccnz .LBB317_10
; %bb.9:
	global_load_dword v13, v10, s[22:23] offset:8
	s_waitcnt vmcnt(0)
	v_add_f32_e32 v2, v2, v13
.LBB317_10:
	v_cvt_f32_f16_sdwa v13, v5 dst_sel:DWORD dst_unused:UNUSED_PAD src0_sel:WORD_1
	v_mul_f32_e32 v14, 0x3fb8aa3b, v13
	v_exp_f32_e32 v14, v14
	s_nop 0
	v_add_f32_e32 v14, 1.0, v14
	v_cmp_gt_f32_e32 vcc, s8, v14
	s_nop 1
	v_cndmask_b32_e32 v4, 1.0, v4, vcc
	v_mul_f32_e32 v4, v14, v4
	v_log_f32_e32 v4, v4
	v_cndmask_b32_e32 v11, 0, v11, vcc
	v_mul_f32_e32 v14, 0x3f317217, v4
	v_fma_f32 v14, v4, s7, -v14
	v_fmac_f32_e32 v14, 0x3377d1cf, v4
	v_fmac_f32_e32 v14, 0x3f317217, v4
	v_cmp_lt_f32_e64 vcc, |v4|, s9
	s_nop 1
	v_cndmask_b32_e32 v4, v4, v14, vcc
	v_sub_f32_e32 v4, v4, v11
	v_cmp_gt_f16_sdwa vcc, v5, s6 src0_sel:WORD_1 src1_sel:DWORD
	s_nop 1
	v_cndmask_b32_e32 v4, v4, v13, vcc
	v_mul_f32_e32 v5, 0x4f800000, v4
	v_cmp_gt_f32_e64 s[4:5], s10, v4
	s_and_b64 vcc, exec, s[2:3]
	s_nop 0
	v_cndmask_b32_e64 v4, v4, v5, s[4:5]
	v_sqrt_f32_e32 v5, v4
	s_nop 0
	v_add_u32_e32 v11, -1, v5
	v_add_u32_e32 v13, 1, v5
	v_fma_f32 v14, -v11, v5, v4
	v_fma_f32 v15, -v13, v5, v4
	v_cmp_ge_f32_e64 s[6:7], 0, v14
	s_nop 1
	v_cndmask_b32_e64 v5, v5, v11, s[6:7]
	v_cmp_lt_f32_e64 s[6:7], 0, v15
	s_nop 1
	v_cndmask_b32_e64 v5, v5, v13, s[6:7]
	v_mul_f32_e32 v11, 0x37800000, v5
	v_cndmask_b32_e64 v5, v5, v11, s[4:5]
	v_cmp_class_f32_e64 s[4:5], v4, v3
	s_nop 1
	v_cndmask_b32_e64 v3, v5, v4, s[4:5]
	s_cbranch_vccnz .LBB317_12
; %bb.11:
	global_load_dword v4, v10, s[22:23] offset:12
	s_waitcnt vmcnt(0)
	v_add_f32_e32 v3, v3, v4
.LBB317_12:
	v_cvt_f32_f16_e32 v4, v6
	v_mov_b32_e32 v11, 0x4f800000
	s_mov_b32 s7, 0x3f317217
	s_movk_i32 s6, 0x4d00
	v_mul_f32_e32 v5, 0x3fb8aa3b, v4
	v_exp_f32_e32 v5, v5
	s_nop 0
	v_add_f32_e32 v5, 1.0, v5
	v_cmp_gt_f32_e32 vcc, s8, v5
	s_nop 1
	v_cndmask_b32_e32 v13, 1.0, v11, vcc
	v_mul_f32_e32 v5, v5, v13
	v_log_f32_e32 v5, v5
	v_mov_b32_e32 v13, 0x41b17218
	v_cndmask_b32_e32 v14, 0, v13, vcc
	v_mul_f32_e32 v15, 0x3f317217, v5
	v_fma_f32 v15, v5, s7, -v15
	v_fmac_f32_e32 v15, 0x3377d1cf, v5
	v_fmac_f32_e32 v15, 0x3f317217, v5
	v_cmp_lt_f32_e64 vcc, |v5|, s9
	s_nop 1
	v_cndmask_b32_e32 v5, v5, v15, vcc
	v_sub_f32_e32 v5, v5, v14
	v_cmp_lt_f16_e32 vcc, s6, v6
	s_nop 1
	v_cndmask_b32_e32 v4, v5, v4, vcc
	v_mul_f32_e32 v5, 0x4f800000, v4
	v_cmp_gt_f32_e32 vcc, s10, v4
	s_nop 1
	v_cndmask_b32_e32 v4, v4, v5, vcc
	v_sqrt_f32_e32 v5, v4
	s_nop 0
	v_add_u32_e32 v14, -1, v5
	v_fma_f32 v15, -v14, v5, v4
	v_cmp_ge_f32_e64 s[4:5], 0, v15
	v_add_u32_e32 v15, 1, v5
	s_nop 0
	v_cndmask_b32_e64 v14, v5, v14, s[4:5]
	v_fma_f32 v5, -v15, v5, v4
	v_cmp_lt_f32_e64 s[4:5], 0, v5
	s_nop 1
	v_cndmask_b32_e64 v5, v14, v15, s[4:5]
	v_mul_f32_e32 v14, 0x37800000, v5
	v_cndmask_b32_e32 v14, v5, v14, vcc
	v_mov_b32_e32 v5, 0x260
	v_cmp_class_f32_e64 s[4:5], v4, v5
	s_and_b64 vcc, exec, s[2:3]
	s_nop 0
	v_cndmask_b32_e64 v4, v14, v4, s[4:5]
	s_cbranch_vccnz .LBB317_14
; %bb.13:
	global_load_dword v14, v10, s[22:23] offset:16
	s_waitcnt vmcnt(0)
	v_add_f32_e32 v4, v4, v14
.LBB317_14:
	v_cvt_f32_f16_sdwa v14, v6 dst_sel:DWORD dst_unused:UNUSED_PAD src0_sel:WORD_1
	v_mul_f32_e32 v15, 0x3fb8aa3b, v14
	v_exp_f32_e32 v15, v15
	s_nop 0
	v_add_f32_e32 v15, 1.0, v15
	v_cmp_gt_f32_e32 vcc, s8, v15
	s_nop 1
	v_cndmask_b32_e32 v11, 1.0, v11, vcc
	v_mul_f32_e32 v11, v15, v11
	v_log_f32_e32 v11, v11
	v_cndmask_b32_e32 v13, 0, v13, vcc
	v_mul_f32_e32 v15, 0x3f317217, v11
	v_fma_f32 v15, v11, s7, -v15
	v_fmac_f32_e32 v15, 0x3377d1cf, v11
	v_fmac_f32_e32 v15, 0x3f317217, v11
	v_cmp_lt_f32_e64 vcc, |v11|, s9
	s_nop 1
	v_cndmask_b32_e32 v11, v11, v15, vcc
	v_sub_f32_e32 v11, v11, v13
	v_cmp_gt_f16_sdwa vcc, v6, s6 src0_sel:WORD_1 src1_sel:DWORD
	s_nop 1
	v_cndmask_b32_e32 v6, v11, v14, vcc
	v_mul_f32_e32 v11, 0x4f800000, v6
	v_cmp_gt_f32_e64 s[4:5], s10, v6
	s_and_b64 vcc, exec, s[2:3]
	s_nop 0
	v_cndmask_b32_e64 v6, v6, v11, s[4:5]
	v_sqrt_f32_e32 v11, v6
	s_nop 0
	v_add_u32_e32 v13, -1, v11
	v_add_u32_e32 v14, 1, v11
	v_fma_f32 v15, -v13, v11, v6
	v_fma_f32 v16, -v14, v11, v6
	v_cmp_ge_f32_e64 s[6:7], 0, v15
	s_nop 1
	v_cndmask_b32_e64 v11, v11, v13, s[6:7]
	v_cmp_lt_f32_e64 s[6:7], 0, v16
	s_nop 1
	v_cndmask_b32_e64 v11, v11, v14, s[6:7]
	v_mul_f32_e32 v13, 0x37800000, v11
	v_cndmask_b32_e64 v11, v11, v13, s[4:5]
	v_cmp_class_f32_e64 s[4:5], v6, v5
	s_nop 1
	v_cndmask_b32_e64 v5, v11, v6, s[4:5]
	s_cbranch_vccnz .LBB317_16
; %bb.15:
	global_load_dword v6, v10, s[22:23] offset:20
	s_waitcnt vmcnt(0)
	v_add_f32_e32 v5, v5, v6
.LBB317_16:
	v_cvt_f32_f16_e32 v6, v7
	v_mov_b32_e32 v13, 0x4f800000
	s_mov_b32 s7, 0x3f317217
	s_movk_i32 s6, 0x4d00
	v_mul_f32_e32 v11, 0x3fb8aa3b, v6
	v_exp_f32_e32 v11, v11
	s_nop 0
	v_add_f32_e32 v11, 1.0, v11
	v_cmp_gt_f32_e32 vcc, s8, v11
	s_nop 1
	v_cndmask_b32_e32 v14, 1.0, v13, vcc
	v_mul_f32_e32 v11, v11, v14
	v_log_f32_e32 v11, v11
	v_mov_b32_e32 v14, 0x41b17218
	v_cndmask_b32_e32 v15, 0, v14, vcc
	v_mul_f32_e32 v16, 0x3f317217, v11
	v_fma_f32 v16, v11, s7, -v16
	v_fmac_f32_e32 v16, 0x3377d1cf, v11
	v_fmac_f32_e32 v16, 0x3f317217, v11
	v_cmp_lt_f32_e64 vcc, |v11|, s9
	s_nop 1
	v_cndmask_b32_e32 v11, v11, v16, vcc
	v_sub_f32_e32 v11, v11, v15
	v_cmp_lt_f16_e32 vcc, s6, v7
	s_nop 1
	v_cndmask_b32_e32 v6, v11, v6, vcc
	v_mul_f32_e32 v11, 0x4f800000, v6
	v_cmp_gt_f32_e32 vcc, s10, v6
	s_nop 1
	v_cndmask_b32_e32 v6, v6, v11, vcc
	v_sqrt_f32_e32 v11, v6
	s_nop 0
	v_add_u32_e32 v15, -1, v11
	v_fma_f32 v16, -v15, v11, v6
	v_cmp_ge_f32_e64 s[4:5], 0, v16
	v_add_u32_e32 v16, 1, v11
	s_nop 0
	v_cndmask_b32_e64 v15, v11, v15, s[4:5]
	v_fma_f32 v11, -v16, v11, v6
	v_cmp_lt_f32_e64 s[4:5], 0, v11
	s_nop 1
	v_cndmask_b32_e64 v11, v15, v16, s[4:5]
	v_mul_f32_e32 v15, 0x37800000, v11
	v_cndmask_b32_e32 v15, v11, v15, vcc
	v_mov_b32_e32 v11, 0x260
	v_cmp_class_f32_e64 s[4:5], v6, v11
	s_and_b64 vcc, exec, s[2:3]
	s_nop 0
	v_cndmask_b32_e64 v6, v15, v6, s[4:5]
	s_cbranch_vccnz .LBB317_18
; %bb.17:
	global_load_dword v15, v10, s[22:23] offset:24
	s_waitcnt vmcnt(0)
	v_add_f32_e32 v6, v6, v15
.LBB317_18:
	v_cvt_f32_f16_sdwa v15, v7 dst_sel:DWORD dst_unused:UNUSED_PAD src0_sel:WORD_1
	v_mul_f32_e32 v16, 0x3fb8aa3b, v15
	v_exp_f32_e32 v16, v16
	s_nop 0
	v_add_f32_e32 v16, 1.0, v16
	v_cmp_gt_f32_e32 vcc, s8, v16
	s_nop 1
	v_cndmask_b32_e32 v13, 1.0, v13, vcc
	v_mul_f32_e32 v13, v16, v13
	v_log_f32_e32 v13, v13
	v_cndmask_b32_e32 v14, 0, v14, vcc
	v_mul_f32_e32 v16, 0x3f317217, v13
	v_fma_f32 v16, v13, s7, -v16
	v_fmac_f32_e32 v16, 0x3377d1cf, v13
	v_fmac_f32_e32 v16, 0x3f317217, v13
	v_cmp_lt_f32_e64 vcc, |v13|, s9
	s_nop 1
	v_cndmask_b32_e32 v13, v13, v16, vcc
	v_sub_f32_e32 v13, v13, v14
	v_cmp_gt_f16_sdwa vcc, v7, s6 src0_sel:WORD_1 src1_sel:DWORD
	s_nop 1
	v_cndmask_b32_e32 v7, v13, v15, vcc
	v_mul_f32_e32 v13, 0x4f800000, v7
	v_cmp_gt_f32_e64 s[4:5], s10, v7
	s_and_b64 vcc, exec, s[2:3]
	s_nop 0
	v_cndmask_b32_e64 v7, v7, v13, s[4:5]
	v_sqrt_f32_e32 v13, v7
	s_nop 0
	v_add_u32_e32 v14, -1, v13
	v_add_u32_e32 v15, 1, v13
	v_fma_f32 v16, -v14, v13, v7
	v_fma_f32 v17, -v15, v13, v7
	v_cmp_ge_f32_e64 s[6:7], 0, v16
	s_nop 1
	v_cndmask_b32_e64 v13, v13, v14, s[6:7]
	v_cmp_lt_f32_e64 s[6:7], 0, v17
	s_nop 1
	v_cndmask_b32_e64 v13, v13, v15, s[6:7]
	v_mul_f32_e32 v14, 0x37800000, v13
	v_cndmask_b32_e64 v13, v13, v14, s[4:5]
	v_cmp_class_f32_e64 s[4:5], v7, v11
	s_nop 1
	v_cndmask_b32_e64 v7, v13, v7, s[4:5]
	s_cbranch_vccnz .LBB317_20
; %bb.19:
	global_load_dword v10, v10, s[22:23] offset:28
	s_waitcnt vmcnt(0)
	v_add_f32_e32 v7, v7, v10
.LBB317_20:
	s_load_dwordx4 s[24:27], s[0:1], 0x30
	s_mov_b32 s42, 0
	v_cmp_eq_u32_e64 s[6:7], 0, v9
	s_waitcnt lgkmcnt(0)
	s_bitcmp1_b32 s27, 0
	s_cselect_b64 s[4:5], -1, 0
	s_cmp_gt_i32 s24, 0
	s_cselect_b64 s[38:39], -1, 0
	s_and_b64 vcc, exec, s[38:39]
	s_cbranch_vccz .LBB317_35
; %bb.21:
	v_mbcnt_lo_u32_b32 v10, -1, 0
	v_mbcnt_hi_u32_b32 v10, -1, v10
	s_load_dwordx4 s[28:31], s[0:1], 0x20
	v_and_b32_e32 v13, 0x7e, v10
	v_xor_b32_e32 v11, 1, v10
	v_add_u32_e32 v13, 2, v13
	v_cmp_lt_i32_e32 vcc, v11, v13
	v_mul_lo_u32 v15, v8, s24
	v_mov_b32_e32 v13, 0
	v_cndmask_b32_e32 v10, v10, v11, vcc
	v_lshlrev_b32_e32 v14, 2, v10
	v_mov_b32_e32 v16, 0xc61c4000
	v_mov_b32_e32 v17, v8
	s_branch .LBB317_24
.LBB317_22:                             ;   in Loop: Header=BB317_24 Depth=1
	s_or_b64 exec, exec, s[40:41]
.LBB317_23:                             ;   in Loop: Header=BB317_24 Depth=1
	s_cmp_eq_u32 s24, s42
	v_add_u32_e32 v17, s33, v17
	s_cbranch_scc1 .LBB317_36
.LBB317_24:                             ; =>This Inner Loop Header: Depth=1
	v_cmp_gt_f32_e32 vcc, v1, v0
	s_nop 1
	v_cndmask_b32_e32 v11, v0, v1, vcc
	v_cndmask_b32_e64 v10, 0, 1, vcc
	v_cmp_gt_f32_e32 vcc, v2, v11
	s_nop 1
	v_cndmask_b32_e32 v11, v11, v2, vcc
	v_cndmask_b32_e64 v10, v10, 2, vcc
	;; [unrolled: 4-line block ×6, first 2 shown]
	v_cmp_gt_f32_e32 vcc, v7, v11
	s_nop 1
	v_cndmask_b32_e64 v10, v10, 7, vcc
	v_cndmask_b32_e32 v18, v11, v7, vcc
	ds_bpermute_b32 v11, v14, v18
	v_or_b32_e32 v10, v12, v10
	ds_bpermute_b32 v19, v14, v10
	s_waitcnt lgkmcnt(0)
	v_cmp_lt_f32_e64 s[8:9], v18, v11
	v_cmp_nlt_f32_e32 vcc, v18, v11
	s_and_saveexec_b64 s[10:11], vcc
	s_cbranch_execnz .LBB317_28
; %bb.25:                               ;   in Loop: Header=BB317_24 Depth=1
	s_or_b64 exec, exec, s[10:11]
	s_and_saveexec_b64 s[0:1], s[8:9]
	s_cbranch_execnz .LBB317_29
.LBB317_26:                             ;   in Loop: Header=BB317_24 Depth=1
	s_or_b64 exec, exec, s[0:1]
	s_and_saveexec_b64 s[8:9], s[6:7]
	s_cbranch_execnz .LBB317_30
.LBB317_27:                             ;   in Loop: Header=BB317_24 Depth=1
	s_or_b64 exec, exec, s[8:9]
	s_add_i32 s42, s42, 1
	s_cmp_ge_i32 s42, s24
	s_cbranch_scc1 .LBB317_23
	s_branch .LBB317_33
.LBB317_28:                             ;   in Loop: Header=BB317_24 Depth=1
	v_cmp_eq_f32_e32 vcc, v18, v11
	v_cmp_lt_i32_e64 s[0:1], v19, v10
	s_and_b64 s[0:1], vcc, s[0:1]
	s_andn2_b64 s[8:9], s[8:9], exec
	s_and_b64 s[0:1], s[0:1], exec
	s_or_b64 s[8:9], s[8:9], s[0:1]
	s_or_b64 exec, exec, s[10:11]
	s_and_saveexec_b64 s[0:1], s[8:9]
	s_cbranch_execz .LBB317_26
.LBB317_29:                             ;   in Loop: Header=BB317_24 Depth=1
	v_mov_b32_e32 v10, v19
	v_mov_b32_e32 v18, v11
	s_or_b64 exec, exec, s[0:1]
	s_and_saveexec_b64 s[8:9], s[6:7]
	s_cbranch_execz .LBB317_27
.LBB317_30:                             ;   in Loop: Header=BB317_24 Depth=1
	s_and_b64 vcc, exec, s[2:3]
	s_cbranch_vccnz .LBB317_32
; %bb.31:                               ;   in Loop: Header=BB317_24 Depth=1
	v_ashrrev_i32_e32 v11, 31, v10
	v_lshl_add_u64 v[20:21], v[10:11], 2, s[22:23]
	global_load_dword v11, v[20:21], off
	s_waitcnt vmcnt(0)
	v_sub_f32_e32 v18, v18, v11
.LBB317_32:                             ;   in Loop: Header=BB317_24 Depth=1
	v_add_u32_e32 v20, s42, v15
	v_cmp_le_i32_e32 vcc, s25, v10
	v_cmp_gt_i32_e64 s[0:1], s26, v10
	v_ashrrev_i32_e32 v21, 31, v20
	s_and_b64 s[0:1], vcc, s[0:1]
	v_lshlrev_b64 v[22:23], 2, v[20:21]
	v_subrev_u32_e32 v11, s25, v10
	v_lshl_add_u64 v[24:25], s[34:35], 0, v[22:23]
	v_ashrrev_i32_e32 v19, 31, v11
	s_and_b64 vcc, s[36:37], s[0:1]
	global_store_dword v[24:25], v18, off
	v_cndmask_b32_e32 v25, 0, v19, vcc
	v_cndmask_b32_e32 v24, 16, v11, vcc
	v_lshl_add_u64 v[20:21], v[20:21], 3, s[28:29]
	v_add_f32_e32 v11, v13, v18
	global_store_dwordx2 v[20:21], v[24:25], off
	v_lshl_add_u64 v[20:21], s[30:31], 0, v[22:23]
	v_cndmask_b32_e64 v13, v13, v11, s[4:5]
	global_store_dword v[20:21], v17, off
	s_or_b64 exec, exec, s[8:9]
	s_add_i32 s42, s42, 1
	s_cmp_ge_i32 s42, s24
	s_cbranch_scc1 .LBB317_23
.LBB317_33:                             ;   in Loop: Header=BB317_24 Depth=1
	v_ashrrev_i32_e32 v18, 31, v10
	v_lshrrev_b32_e32 v11, 29, v18
	v_add_u32_e32 v19, v10, v11
	v_ashrrev_i32_e32 v11, 3, v19
	v_lshrrev_b32_e32 v19, 31, v19
	v_add_u32_e32 v19, v11, v19
	v_and_b32_e32 v19, -2, v19
	v_sub_u32_e32 v19, v11, v19
	v_cmp_eq_u32_e32 vcc, v9, v19
	s_and_saveexec_b64 s[40:41], vcc
	s_cbranch_execz .LBB317_22
; %bb.34:                               ;   in Loop: Header=BB317_24 Depth=1
	v_lshrrev_b32_e32 v18, 28, v18
	v_add_u32_e32 v18, v10, v18
	v_lshlrev_b32_e32 v11, 3, v11
	v_sub_u32_e32 v10, v10, v11
	v_ashrrev_i32_e32 v11, 4, v18
	v_lshl_add_u32 v10, v11, 3, v10
	v_cmp_ne_u32_e32 vcc, 6, v10
	v_cmp_ne_u32_e64 s[0:1], 5, v10
	v_cmp_ne_u32_e64 s[8:9], 4, v10
	;; [unrolled: 1-line block ×7, first 2 shown]
	v_cndmask_b32_e32 v6, v16, v6, vcc
	v_cndmask_b32_e64 v5, v16, v5, s[0:1]
	v_cndmask_b32_e64 v7, v16, v7, s[18:19]
	;; [unrolled: 1-line block ×7, first 2 shown]
	s_branch .LBB317_22
.LBB317_35:
	v_mov_b32_e32 v13, 0
.LBB317_36:
	v_cmp_eq_u32_e32 vcc, 0, v9
	s_and_b64 exec, exec, vcc
	s_cbranch_execz .LBB317_49
; %bb.37:
	s_andn2_b64 vcc, exec, s[4:5]
	v_cvt_f32_f64_e32 v0, s[20:21]
	s_cbranch_vccnz .LBB317_39
; %bb.38:
	v_cmp_lt_f32_e32 vcc, 0, v13
	s_nop 1
	v_cndmask_b32_e32 v1, 1.0, v13, vcc
	v_div_scale_f32 v2, s[0:1], v1, v1, v0
	v_rcp_f32_e32 v3, v2
	s_nop 0
	v_fma_f32 v4, -v2, v3, 1.0
	v_fmac_f32_e32 v3, v4, v3
	v_div_scale_f32 v4, vcc, v0, v1, v0
	v_mul_f32_e32 v5, v4, v3
	v_fma_f32 v6, -v2, v5, v4
	v_fmac_f32_e32 v5, v6, v3
	v_fma_f32 v2, -v2, v5, v4
	v_div_fmas_f32 v2, v2, v3, v5
	v_div_fixup_f32 v0, v2, v1, v0
.LBB317_39:
	s_andn2_b64 vcc, exec, s[38:39]
	s_cbranch_vccnz .LBB317_49
; %bb.40:
	v_mul_lo_u32 v2, v8, s24
	s_cmp_gt_u32 s24, 3
	v_ashrrev_i32_e32 v3, 31, v2
	s_cbranch_scc0 .LBB317_44
; %bb.41:
	s_and_b32 s0, s24, 0x7ffffffc
	v_lshl_add_u64 v[4:5], v[2:3], 2, s[34:35]
	v_mov_b32_e32 v1, v0
	v_lshl_add_u64 v[4:5], v[4:5], 0, 8
	s_mov_b32 s1, s0
.LBB317_42:                             ; =>This Inner Loop Header: Depth=1
	global_load_dwordx4 v[6:9], v[4:5], off offset:-8
	s_add_i32 s1, s1, -4
	s_cmp_lg_u32 s1, 0
	s_waitcnt vmcnt(0)
	v_pk_mul_f32 v[6:7], v[0:1], v[6:7]
	v_pk_mul_f32 v[8:9], v[0:1], v[8:9]
	global_store_dwordx4 v[4:5], v[6:9], off offset:-8
	v_lshl_add_u64 v[4:5], v[4:5], 0, 16
	s_cbranch_scc1 .LBB317_42
; %bb.43:
	s_cmp_lg_u32 s0, s24
	s_cselect_b64 s[2:3], -1, 0
	s_branch .LBB317_46
.LBB317_44:
	s_mov_b64 s[2:3], 0
                                        ; implicit-def: $sgpr0
	s_cbranch_execz .LBB317_46
; %bb.45:
	s_mov_b64 s[2:3], -1
	s_mov_b32 s0, 0
.LBB317_46:
	s_andn2_b64 vcc, exec, s[2:3]
	s_cbranch_vccnz .LBB317_49
; %bb.47:
	s_mov_b32 s1, 0
	v_lshl_add_u64 v[2:3], v[2:3], 0, s[0:1]
	s_sub_i32 s2, s24, s0
	v_lshl_add_u64 v[2:3], v[2:3], 2, s[34:35]
.LBB317_48:                             ; =>This Inner Loop Header: Depth=1
	global_load_dword v1, v[2:3], off
	s_add_i32 s2, s2, -1
	s_cmp_lg_u32 s2, 0
	s_waitcnt vmcnt(0)
	v_mul_f32_e32 v1, v0, v1
	global_store_dword v[2:3], v1, off
	v_lshl_add_u64 v[2:3], v[2:3], 0, 4
	s_cbranch_scc1 .LBB317_48
.LBB317_49:
	s_endpgm
	.section	.rodata,"a",@progbits
	.p2align	6, 0x0
	.amdhsa_kernel _ZN4vllm3moe22topkGatingSoftplusSqrtILi8ELi16ELi4ELi16ELi64ELb0El6__halfEEvPKT6_PKbPfiPT5_PiiiibdPKfPKS9_SF_
		.amdhsa_group_segment_fixed_size 0
		.amdhsa_private_segment_fixed_size 0
		.amdhsa_kernarg_size 96
		.amdhsa_user_sgpr_count 2
		.amdhsa_user_sgpr_dispatch_ptr 0
		.amdhsa_user_sgpr_queue_ptr 0
		.amdhsa_user_sgpr_kernarg_segment_ptr 1
		.amdhsa_user_sgpr_dispatch_id 0
		.amdhsa_user_sgpr_kernarg_preload_length 0
		.amdhsa_user_sgpr_kernarg_preload_offset 0
		.amdhsa_user_sgpr_private_segment_size 0
		.amdhsa_uses_dynamic_stack 0
		.amdhsa_enable_private_segment 0
		.amdhsa_system_sgpr_workgroup_id_x 1
		.amdhsa_system_sgpr_workgroup_id_y 0
		.amdhsa_system_sgpr_workgroup_id_z 0
		.amdhsa_system_sgpr_workgroup_info 0
		.amdhsa_system_vgpr_workitem_id 1
		.amdhsa_next_free_vgpr 26
		.amdhsa_next_free_sgpr 43
		.amdhsa_accum_offset 28
		.amdhsa_reserve_vcc 1
		.amdhsa_float_round_mode_32 0
		.amdhsa_float_round_mode_16_64 0
		.amdhsa_float_denorm_mode_32 3
		.amdhsa_float_denorm_mode_16_64 3
		.amdhsa_dx10_clamp 1
		.amdhsa_ieee_mode 1
		.amdhsa_fp16_overflow 0
		.amdhsa_tg_split 0
		.amdhsa_exception_fp_ieee_invalid_op 0
		.amdhsa_exception_fp_denorm_src 0
		.amdhsa_exception_fp_ieee_div_zero 0
		.amdhsa_exception_fp_ieee_overflow 0
		.amdhsa_exception_fp_ieee_underflow 0
		.amdhsa_exception_fp_ieee_inexact 0
		.amdhsa_exception_int_div_zero 0
	.end_amdhsa_kernel
	.section	.text._ZN4vllm3moe22topkGatingSoftplusSqrtILi8ELi16ELi4ELi16ELi64ELb0El6__halfEEvPKT6_PKbPfiPT5_PiiiibdPKfPKS9_SF_,"axG",@progbits,_ZN4vllm3moe22topkGatingSoftplusSqrtILi8ELi16ELi4ELi16ELi64ELb0El6__halfEEvPKT6_PKbPfiPT5_PiiiibdPKfPKS9_SF_,comdat
.Lfunc_end317:
	.size	_ZN4vllm3moe22topkGatingSoftplusSqrtILi8ELi16ELi4ELi16ELi64ELb0El6__halfEEvPKT6_PKbPfiPT5_PiiiibdPKfPKS9_SF_, .Lfunc_end317-_ZN4vllm3moe22topkGatingSoftplusSqrtILi8ELi16ELi4ELi16ELi64ELb0El6__halfEEvPKT6_PKbPfiPT5_PiiiibdPKfPKS9_SF_
                                        ; -- End function
	.section	.AMDGPU.csdata,"",@progbits
; Kernel info:
; codeLenInByte = 3704
; NumSgprs: 49
; NumVgprs: 26
; NumAgprs: 0
; TotalNumVgprs: 26
; ScratchSize: 0
; MemoryBound: 0
; FloatMode: 240
; IeeeMode: 1
; LDSByteSize: 0 bytes/workgroup (compile time only)
; SGPRBlocks: 6
; VGPRBlocks: 3
; NumSGPRsForWavesPerEU: 49
; NumVGPRsForWavesPerEU: 26
; AccumOffset: 28
; Occupancy: 8
; WaveLimiterHint : 0
; COMPUTE_PGM_RSRC2:SCRATCH_EN: 0
; COMPUTE_PGM_RSRC2:USER_SGPR: 2
; COMPUTE_PGM_RSRC2:TRAP_HANDLER: 0
; COMPUTE_PGM_RSRC2:TGID_X_EN: 1
; COMPUTE_PGM_RSRC2:TGID_Y_EN: 0
; COMPUTE_PGM_RSRC2:TGID_Z_EN: 0
; COMPUTE_PGM_RSRC2:TIDIG_COMP_CNT: 1
; COMPUTE_PGM_RSRC3_GFX90A:ACCUM_OFFSET: 6
; COMPUTE_PGM_RSRC3_GFX90A:TG_SPLIT: 0
	.section	.text._ZN4vllm3moe22topkGatingSoftplusSqrtILi8ELi16ELi4ELi16ELi32ELb1El6__halfEEvPKT6_PKbPfiPT5_PiiiibdPKfPKS9_SF_,"axG",@progbits,_ZN4vllm3moe22topkGatingSoftplusSqrtILi8ELi16ELi4ELi16ELi32ELb1El6__halfEEvPKT6_PKbPfiPT5_PiiiibdPKfPKS9_SF_,comdat
	.protected	_ZN4vllm3moe22topkGatingSoftplusSqrtILi8ELi16ELi4ELi16ELi32ELb1El6__halfEEvPKT6_PKbPfiPT5_PiiiibdPKfPKS9_SF_ ; -- Begin function _ZN4vllm3moe22topkGatingSoftplusSqrtILi8ELi16ELi4ELi16ELi32ELb1El6__halfEEvPKT6_PKbPfiPT5_PiiiibdPKfPKS9_SF_
	.globl	_ZN4vllm3moe22topkGatingSoftplusSqrtILi8ELi16ELi4ELi16ELi32ELb1El6__halfEEvPKT6_PKbPfiPT5_PiiiibdPKfPKS9_SF_
	.p2align	8
	.type	_ZN4vllm3moe22topkGatingSoftplusSqrtILi8ELi16ELi4ELi16ELi32ELb1El6__halfEEvPKT6_PKbPfiPT5_PiiiibdPKfPKS9_SF_,@function
_ZN4vllm3moe22topkGatingSoftplusSqrtILi8ELi16ELi4ELi16ELi32ELb1El6__halfEEvPKT6_PKbPfiPT5_PiiiibdPKfPKS9_SF_: ; @_ZN4vllm3moe22topkGatingSoftplusSqrtILi8ELi16ELi4ELi16ELi32ELb1El6__halfEEvPKT6_PKbPfiPT5_PiiiibdPKfPKS9_SF_
; %bb.0:
	s_load_dword s3, s[0:1], 0x18
	v_bfe_u32 v1, v0, 10, 10
	v_and_b32_e32 v10, 0x3ff, v0
	s_lshl_b32 s2, s2, 6
	v_lshlrev_b32_e32 v1, 4, v1
	v_lshrrev_b32_e32 v0, 1, v10
	v_add3_u32 v6, s2, v1, v0
	s_waitcnt lgkmcnt(0)
	v_cmp_gt_i32_e32 vcc, s3, v6
	s_and_saveexec_b64 s[2:3], vcc
	s_cbranch_execz .LBB318_31
; %bb.1:
	s_load_dwordx4 s[8:11], s[0:1], 0x50
	s_load_dwordx2 s[2:3], s[0:1], 0x0
	s_load_dword s12, s[0:1], 0x30
	v_lshlrev_b32_e32 v0, 4, v6
	v_lshlrev_b32_e32 v4, 3, v10
	v_ashrrev_i32_e32 v1, 31, v0
	v_and_b32_e32 v12, 8, v4
	s_waitcnt lgkmcnt(0)
	v_mov_b32_e32 v2, s8
	v_mov_b32_e32 v3, s9
	v_lshl_add_u64 v[0:1], v[0:1], 1, s[2:3]
	v_lshlrev_b32_e32 v4, 1, v12
	v_mov_b32_e32 v5, 0
	v_ashrrev_i32_e32 v7, 31, v6
	v_lshl_add_u64 v[2:3], v[6:7], 3, v[2:3]
	v_lshl_add_u64 v[0:1], v[0:1], 0, v[4:5]
	global_load_dwordx2 v[8:9], v[2:3], off
	s_mov_b32 s21, 0x800000
	global_load_dwordx4 v[0:3], v[0:1], off
	s_ashr_i32 s13, s12, 31
	v_mov_b32_e32 v4, 0x4f800000
	s_mov_b32 s19, 0x3f317217
	s_mov_b32 s20, 0x7f800000
	v_mov_b32_e32 v7, 0x41b17218
	s_movk_i32 s15, 0x4d00
	s_mov_b32 s18, 0xf800000
	v_mov_b32_e32 v11, 0x260
	v_cmp_lt_i64_e64 s[16:17], s[12:13], 1
	s_mov_b32 s14, 0
	v_cmp_gt_i64_e64 s[8:9], s[12:13], 0
	s_waitcnt vmcnt(1)
	v_mul_lo_u32 v13, v9, s12
	v_mul_lo_u32 v18, v8, s13
	s_waitcnt vmcnt(0)
	v_cvt_f32_f16_e32 v19, v0
	v_cvt_f32_f16_sdwa v20, v0 dst_sel:DWORD dst_unused:UNUSED_PAD src0_sel:WORD_1
	v_cvt_f32_f16_e32 v21, v1
	v_cvt_f32_f16_sdwa v22, v1 dst_sel:DWORD dst_unused:UNUSED_PAD src0_sel:WORD_1
	v_mul_f32_e32 v9, 0x3fb8aa3b, v19
	v_mul_f32_e32 v15, 0x3fb8aa3b, v20
	v_exp_f32_e32 v14, v9
	v_exp_f32_e32 v15, v15
	v_mul_f32_e32 v16, 0x3fb8aa3b, v21
	v_mul_f32_e32 v17, 0x3fb8aa3b, v22
	v_exp_f32_e32 v16, v16
	v_pk_add_f32 v[14:15], v[14:15], 1.0 op_sel_hi:[1,0]
	v_exp_f32_e32 v17, v17
	v_mad_u64_u32 v[8:9], s[2:3], v8, s12, 0
	v_cmp_gt_f32_e32 vcc, s21, v15
	v_add3_u32 v9, v9, v18, v13
	v_cmp_gt_f32_e64 s[2:3], s21, v14
	v_cndmask_b32_e32 v13, 1.0, v4, vcc
	v_mul_f32_e32 v13, v15, v13
	v_cndmask_b32_e64 v18, 1.0, v4, s[2:3]
	v_mul_f32_e32 v14, v14, v18
	v_log_f32_e32 v13, v13
	v_pk_add_f32 v[16:17], v[16:17], 1.0 op_sel_hi:[1,0]
	v_log_f32_e32 v14, v14
	v_cmp_gt_f32_e64 s[6:7], s21, v16
	v_cndmask_b32_e32 v15, 0, v7, vcc
	v_cmp_lt_f32_e64 vcc, |v13|, s20
	v_cndmask_b32_e64 v24, 1.0, v4, s[6:7]
	v_mul_f32_e32 v16, v16, v24
	v_mul_f32_e32 v24, 0x3f317217, v13
	;; [unrolled: 1-line block ×3, first 2 shown]
	v_fma_f32 v24, v13, s19, -v24
	v_fma_f32 v25, v14, s19, -v25
	v_fmac_f32_e32 v24, 0x3377d1cf, v13
	v_fmac_f32_e32 v25, 0x3377d1cf, v14
	;; [unrolled: 1-line block ×4, first 2 shown]
	v_cndmask_b32_e32 v13, v13, v24, vcc
	v_cmp_lt_f32_e64 vcc, |v14|, s20
	v_cndmask_b32_e64 v18, 0, v7, s[2:3]
	v_cmp_gt_f32_e64 s[4:5], s21, v17
	v_cndmask_b32_e32 v14, v14, v25, vcc
	v_sub_f32_e32 v14, v14, v18
	v_cmp_lt_f16_e32 vcc, s15, v0
	v_cndmask_b32_e64 v23, 1.0, v4, s[4:5]
	v_sub_f32_e32 v13, v13, v15
	v_cndmask_b32_e32 v14, v14, v19, vcc
	v_cmp_gt_f16_sdwa vcc, v0, s15 src0_sel:WORD_1 src1_sel:DWORD
	v_mul_f32_e32 v17, v17, v23
	v_log_f32_e32 v17, v17
	v_cndmask_b32_e32 v0, v13, v20, vcc
	v_mul_f32_e32 v13, 0x4f800000, v0
	v_cmp_gt_f32_e32 vcc, s18, v0
	v_mul_f32_e32 v15, 0x4f800000, v14
	v_cmp_gt_f32_e64 s[2:3], s18, v14
	v_cndmask_b32_e32 v0, v0, v13, vcc
	v_mul_f32_e32 v26, 0x3f317217, v17
	v_cndmask_b32_e64 v13, v14, v15, s[2:3]
	v_sqrt_f32_e32 v14, v0
	v_sqrt_f32_e32 v15, v13
	v_fma_f32 v26, v17, s19, -v26
	v_fmac_f32_e32 v26, 0x3377d1cf, v17
	v_add_u32_e32 v18, -1, v14
	v_cndmask_b32_e64 v23, 0, v7, s[4:5]
	v_fmac_f32_e32 v26, 0x3f317217, v17
	v_cmp_lt_f32_e64 s[4:5], |v17|, s20
	v_add_u32_e32 v20, -1, v15
	v_fma_f32 v25, -v18, v14, v0
	v_cndmask_b32_e64 v17, v17, v26, s[4:5]
	v_add_u32_e32 v19, 1, v14
	v_fma_f32 v27, -v20, v15, v13
	v_cmp_ge_f32_e64 s[4:5], 0, v25
	v_add_u32_e32 v24, 1, v15
	v_fma_f32 v26, -v19, v14, v0
	v_cndmask_b32_e64 v14, v14, v18, s[4:5]
	v_cmp_ge_f32_e64 s[4:5], 0, v27
	v_fma_f32 v28, -v24, v15, v13
	v_log_f32_e32 v16, v16
	v_cndmask_b32_e64 v15, v15, v20, s[4:5]
	v_cmp_lt_f32_e64 s[4:5], 0, v26
	v_cvt_f32_f16_sdwa v20, v2 dst_sel:DWORD dst_unused:UNUSED_PAD src0_sel:WORD_1
	s_nop 0
	v_cndmask_b32_e64 v14, v14, v19, s[4:5]
	v_cmp_lt_f32_e64 s[4:5], 0, v28
	v_mul_f32_e32 v18, 0x37800000, v14
	v_cndmask_b32_e32 v14, v14, v18, vcc
	v_cndmask_b32_e64 v15, v15, v24, s[4:5]
	v_mul_f32_e32 v19, 0x37800000, v15
	v_cmp_class_f32_e32 vcc, v0, v11
	v_cndmask_b32_e64 v18, v15, v19, s[2:3]
	v_cmp_lt_f16_e64 s[2:3], s15, v1
	v_cndmask_b32_e32 v15, v14, v0, vcc
	v_cmp_class_f32_e32 vcc, v13, v11
	v_sub_f32_e32 v0, v17, v23
	v_cvt_f32_f16_e32 v19, v2
	v_cndmask_b32_e32 v14, v18, v13, vcc
	v_mul_f32_e32 v13, 0x3f317217, v16
	v_fma_f32 v13, v16, s19, -v13
	v_fmac_f32_e32 v13, 0x3377d1cf, v16
	v_fmac_f32_e32 v13, 0x3f317217, v16
	v_cmp_lt_f32_e64 vcc, |v16|, s20
	s_nop 1
	v_cndmask_b32_e32 v13, v16, v13, vcc
	v_cmp_gt_f16_sdwa vcc, v1, s15 src0_sel:WORD_1 src1_sel:DWORD
	v_cndmask_b32_e64 v16, 0, v7, s[6:7]
	v_sub_f32_e32 v13, v13, v16
	v_cndmask_b32_e32 v0, v0, v22, vcc
	v_mul_f32_e32 v17, 0x4f800000, v0
	v_cmp_gt_f32_e32 vcc, s18, v0
	v_cndmask_b32_e64 v1, v13, v21, s[2:3]
	s_nop 0
	v_cndmask_b32_e32 v0, v0, v17, vcc
	v_sqrt_f32_e32 v17, v0
	s_nop 0
	v_add_u32_e32 v13, -1, v17
	v_fma_f32 v16, -v13, v17, v0
	v_cmp_ge_f32_e64 s[2:3], 0, v16
	v_add_u32_e32 v16, 1, v17
	s_nop 0
	v_cndmask_b32_e64 v13, v17, v13, s[2:3]
	v_fma_f32 v17, -v16, v17, v0
	v_cmp_lt_f32_e64 s[2:3], 0, v17
	v_mul_f32_e32 v17, 0x4f800000, v1
	s_nop 0
	v_cndmask_b32_e64 v13, v13, v16, s[2:3]
	v_cmp_gt_f32_e64 s[2:3], s18, v1
	v_mul_f32_e32 v16, 0x37800000, v13
	v_cndmask_b32_e32 v13, v13, v16, vcc
	v_cndmask_b32_e64 v18, v1, v17, s[2:3]
	v_sqrt_f32_e32 v1, v18
	v_cmp_class_f32_e32 vcc, v0, v11
	v_add_u32_e32 v16, 1, v1
	s_nop 0
	v_cndmask_b32_e32 v17, v13, v0, vcc
	v_add_u32_e32 v0, -1, v1
	v_fma_f32 v13, -v0, v1, v18
	v_cmp_ge_f32_e32 vcc, 0, v13
	v_fma_f32 v21, -v16, v1, v18
	s_nop 0
	v_cndmask_b32_e32 v13, v1, v0, vcc
	v_mul_f32_e32 v0, 0x3fb8aa3b, v19
	v_mul_f32_e32 v1, 0x3fb8aa3b, v20
	v_exp_f32_e32 v0, v0
	v_exp_f32_e32 v1, v1
	v_cmp_lt_f32_e32 vcc, 0, v21
	v_pk_add_f32 v[0:1], v[0:1], 1.0 op_sel_hi:[1,0]
	s_nop 0
	v_cndmask_b32_e32 v13, v13, v16, vcc
	v_mul_f32_e32 v16, 0x37800000, v13
	v_cmp_gt_f32_e32 vcc, s21, v1
	v_cndmask_b32_e64 v13, v13, v16, s[2:3]
	v_cmp_class_f32_e64 s[2:3], v18, v11
	v_cndmask_b32_e32 v16, 1.0, v4, vcc
	v_mul_f32_e32 v1, v1, v16
	v_log_f32_e32 v1, v1
	v_cndmask_b32_e64 v16, v13, v18, s[2:3]
	v_cmp_gt_f32_e64 s[2:3], s21, v0
	scratch_store_dwordx4 off, v[14:17], off
	v_mul_f32_e32 v13, 0x3f317217, v1
	v_fma_f32 v13, v1, s19, -v13
	v_cndmask_b32_e64 v14, 1.0, v4, s[2:3]
	v_mul_f32_e32 v0, v0, v14
	v_log_f32_e32 v0, v0
	v_fmac_f32_e32 v13, 0x3377d1cf, v1
	v_fmac_f32_e32 v13, 0x3f317217, v1
	v_cmp_lt_f32_e64 s[4:5], |v1|, s20
	v_cvt_f32_f16_sdwa v17, v3 dst_sel:DWORD dst_unused:UNUSED_PAD src0_sel:WORD_1
	v_mul_f32_e32 v15, 0x3fb8aa3b, v17
	v_cndmask_b32_e64 v1, v1, v13, s[4:5]
	v_cndmask_b32_e32 v13, 0, v7, vcc
	v_sub_f32_e32 v1, v1, v13
	v_mul_f32_e32 v13, 0x3f317217, v0
	v_fma_f32 v13, v0, s19, -v13
	v_fmac_f32_e32 v13, 0x3377d1cf, v0
	v_fmac_f32_e32 v13, 0x3f317217, v0
	v_cmp_lt_f32_e64 vcc, |v0|, s20
	v_exp_f32_e32 v15, v15
	s_nop 0
	v_cndmask_b32_e32 v0, v0, v13, vcc
	v_cmp_gt_f16_sdwa vcc, v2, s15 src0_sel:WORD_1 src1_sel:DWORD
	v_cndmask_b32_e64 v13, 0, v7, s[2:3]
	v_cmp_lt_f16_e64 s[2:3], s15, v2
	v_cndmask_b32_e32 v1, v1, v20, vcc
	v_mul_f32_e32 v14, 0x4f800000, v1
	v_cmp_gt_f32_e32 vcc, s18, v1
	v_sub_f32_e32 v0, v0, v13
	v_cndmask_b32_e64 v0, v0, v19, s[2:3]
	v_cndmask_b32_e32 v1, v1, v14, vcc
	v_sqrt_f32_e32 v14, v1
	s_nop 0
	v_add_u32_e32 v2, -1, v14
	v_fma_f32 v13, -v2, v14, v1
	v_cmp_ge_f32_e64 s[2:3], 0, v13
	v_add_u32_e32 v13, 1, v14
	s_nop 0
	v_cndmask_b32_e64 v2, v14, v2, s[2:3]
	v_fma_f32 v14, -v13, v14, v1
	v_cmp_lt_f32_e64 s[2:3], 0, v14
	v_mul_f32_e32 v14, 0x4f800000, v0
	s_nop 0
	v_cndmask_b32_e64 v2, v2, v13, s[2:3]
	v_cmp_gt_f32_e64 s[2:3], s18, v0
	v_mul_f32_e32 v13, 0x37800000, v2
	v_cndmask_b32_e32 v2, v2, v13, vcc
	v_cndmask_b32_e64 v0, v0, v14, s[2:3]
	v_sqrt_f32_e32 v14, v0
	v_cmp_class_f32_e32 vcc, v1, v11
	v_add_u32_e32 v16, 1, v14
	s_nop 0
	v_cndmask_b32_e32 v1, v2, v1, vcc
	v_add_u32_e32 v2, -1, v14
	v_fma_f32 v13, -v2, v14, v0
	v_cmp_ge_f32_e32 vcc, 0, v13
	v_cvt_f32_f16_e32 v13, v3
	v_fma_f32 v18, -v16, v14, v0
	v_cndmask_b32_e32 v2, v14, v2, vcc
	v_cmp_lt_f32_e32 vcc, 0, v18
	v_mul_f32_e32 v14, 0x3fb8aa3b, v13
	v_exp_f32_e32 v14, v14
	v_cndmask_b32_e32 v2, v2, v16, vcc
	v_mul_f32_e32 v16, 0x37800000, v2
	v_cndmask_b32_e64 v2, v2, v16, s[2:3]
	v_pk_add_f32 v[14:15], v[14:15], 1.0 op_sel_hi:[1,0]
	v_cmp_class_f32_e64 s[2:3], v0, v11
	v_cmp_gt_f32_e32 vcc, s21, v15
	s_nop 0
	v_cndmask_b32_e64 v0, v2, v0, s[2:3]
	v_cndmask_b32_e32 v18, 1.0, v4, vcc
	v_mul_f32_e32 v15, v15, v18
	v_log_f32_e32 v15, v15
	v_cmp_gt_f32_e64 s[2:3], s21, v14
	v_mul_f32_e32 v2, 0x3f317217, v15
	s_nop 0
	v_cndmask_b32_e64 v4, 1.0, v4, s[2:3]
	v_mul_f32_e32 v4, v14, v4
	v_fma_f32 v2, v15, s19, -v2
	v_log_f32_e32 v4, v4
	v_fmac_f32_e32 v2, 0x3377d1cf, v15
	v_fmac_f32_e32 v2, 0x3f317217, v15
	v_cmp_lt_f32_e64 s[4:5], |v15|, s20
	v_cndmask_b32_e32 v14, 0, v7, vcc
	v_cmp_lt_f32_e64 vcc, |v4|, s20
	v_cndmask_b32_e64 v2, v15, v2, s[4:5]
	v_sub_f32_e32 v2, v2, v14
	v_mul_f32_e32 v14, 0x3f317217, v4
	v_fma_f32 v14, v4, s19, -v14
	v_fmac_f32_e32 v14, 0x3377d1cf, v4
	v_fmac_f32_e32 v14, 0x3f317217, v4
	v_cndmask_b32_e32 v4, v4, v14, vcc
	v_cmp_gt_f16_sdwa vcc, v3, s15 src0_sel:WORD_1 src1_sel:DWORD
	v_cndmask_b32_e64 v7, 0, v7, s[2:3]
	v_sub_f32_e32 v4, v4, v7
	v_cndmask_b32_e32 v2, v2, v17, vcc
	v_mul_f32_e32 v14, 0x4f800000, v2
	v_cmp_gt_f32_e32 vcc, s18, v2
	v_cmp_lt_f16_e64 s[2:3], s15, v3
	s_nop 0
	v_cndmask_b32_e32 v2, v2, v14, vcc
	v_sqrt_f32_e32 v14, v2
	v_cndmask_b32_e64 v3, v4, v13, s[2:3]
	v_add_u32_e32 v4, -1, v14
	v_fma_f32 v7, -v4, v14, v2
	v_cmp_ge_f32_e64 s[2:3], 0, v7
	v_add_u32_e32 v7, 1, v14
	v_fma_f32 v13, -v7, v14, v2
	v_cndmask_b32_e64 v4, v14, v4, s[2:3]
	v_cmp_lt_f32_e64 s[2:3], 0, v13
	v_mul_f32_e32 v13, 0x4f800000, v3
	s_nop 0
	v_cndmask_b32_e64 v4, v4, v7, s[2:3]
	v_cmp_gt_f32_e64 s[2:3], s18, v3
	v_mul_f32_e32 v7, 0x37800000, v4
	s_nop 0
	v_cndmask_b32_e64 v13, v3, v13, s[2:3]
	v_sqrt_f32_e32 v14, v13
	v_cndmask_b32_e32 v3, v4, v7, vcc
	v_cmp_class_f32_e32 vcc, v2, v11
	s_nop 1
	v_cndmask_b32_e32 v3, v3, v2, vcc
	v_add_u32_e32 v2, -1, v14
	v_fma_f32 v4, -v2, v14, v13
	v_cmp_ge_f32_e32 vcc, 0, v4
	v_add_u32_e32 v4, 1, v14
	v_fma_f32 v7, -v4, v14, v13
	v_cndmask_b32_e32 v2, v14, v2, vcc
	v_cmp_lt_f32_e32 vcc, 0, v7
	s_nop 1
	v_cndmask_b32_e32 v2, v2, v4, vcc
	v_mul_f32_e32 v4, 0x37800000, v2
	v_cndmask_b32_e64 v2, v2, v4, s[2:3]
	v_cmp_class_f32_e32 vcc, v13, v11
	s_nop 1
	v_cndmask_b32_e32 v2, v2, v13, vcc
	scratch_store_dwordx4 off, v[0:3], off offset:16
	s_and_b64 vcc, exec, s[16:17]
	s_nop 0
	v_lshl_add_u64 v[2:3], v[8:9], 3, s[10:11]
	v_mul_lo_u32 v0, v6, s12
	s_cbranch_vccnz .LBB318_28
; %bb.2:
	s_load_dwordx2 s[4:5], s[0:1], 0x20
	s_cmp_lt_u32 s12, 4
	v_and_b32_e32 v4, 1, v10
	s_cbranch_scc1 .LBB318_21
; %bb.3:
	v_lshlrev_b32_e32 v5, 3, v4
	s_mov_b32 s7, 0
	s_and_b32 s14, s12, 0x7ffffffc
	v_ashrrev_i32_e32 v1, 31, v0
	v_sub_u32_e32 v13, 0, v5
	v_mov_b32_e32 v5, 0
	s_mov_b32 s6, s7
	s_branch .LBB318_5
.LBB318_4:                              ;   in Loop: Header=BB318_5 Depth=1
	s_or_b64 exec, exec, s[10:11]
	s_add_i32 s6, s6, 4
	s_cmp_eq_u32 s6, s14
	s_cbranch_scc1 .LBB318_21
.LBB318_5:                              ; =>This Loop Header: Depth=1
                                        ;     Child Loop BB318_7 Depth 2
                                        ;     Child Loop BB318_11 Depth 2
	;; [unrolled: 1-line block ×4, first 2 shown]
	v_lshl_add_u64 v[6:7], s[6:7], 3, v[2:3]
	global_load_dwordx2 v[8:9], v[6:7], off
	v_add_u32_e32 v10, s6, v0
	v_ashrrev_i32_e32 v11, 31, v10
	v_mov_b32_e32 v14, 0
	s_mov_b64 s[10:11], 0
	s_waitcnt lgkmcnt(0)
	v_lshl_add_u64 v[10:11], v[10:11], 3, s[4:5]
	s_mov_b32 s13, 0
	s_waitcnt vmcnt(0)
	v_ashrrev_i32_e32 v9, 31, v8
	v_add_u32_e32 v15, v13, v8
	s_branch .LBB318_7
.LBB318_6:                              ;   in Loop: Header=BB318_7 Depth=2
	s_or_b64 exec, exec, s[16:17]
	s_add_i32 s15, s13, 1
	s_cmp_gt_u32 s13, 6
	s_cselect_b64 s[2:3], -1, 0
	s_xor_b64 s[16:17], vcc, -1
	s_or_b64 s[2:3], s[16:17], s[2:3]
	s_and_b64 s[2:3], exec, s[2:3]
	v_add_u32_e32 v14, 4, v14
	s_or_b64 s[10:11], s[2:3], s[10:11]
	s_mov_b32 s13, s15
	s_andn2_b64 exec, exec, s[10:11]
	s_cbranch_execz .LBB318_9
.LBB318_7:                              ;   Parent Loop BB318_5 Depth=1
                                        ; =>  This Inner Loop Header: Depth=2
	v_cmp_ne_u32_e32 vcc, s13, v15
	v_cmp_eq_u32_e64 s[2:3], s13, v15
	s_and_saveexec_b64 s[16:17], s[2:3]
	s_cbranch_execz .LBB318_6
; %bb.8:                                ;   in Loop: Header=BB318_7 Depth=2
	scratch_load_dword v16, v14, off
	s_waitcnt vmcnt(0)
	v_add_f32_e32 v5, v5, v16
	global_store_dwordx2 v[10:11], v[8:9], off
	s_branch .LBB318_6
.LBB318_9:                              ;   in Loop: Header=BB318_5 Depth=1
	s_or_b64 exec, exec, s[10:11]
	global_load_dwordx2 v[10:11], v[6:7], off offset:8
	s_ashr_i32 s3, s6, 31
	s_mov_b32 s2, s6
	v_lshl_add_u64 v[8:9], s[2:3], 0, v[0:1]
	v_mov_b32_e32 v14, 0
	s_mov_b32 s13, 0
	v_lshl_add_u64 v[8:9], v[8:9], 3, s[4:5]
	s_mov_b64 s[10:11], 0
	s_waitcnt vmcnt(0)
	v_ashrrev_i32_e32 v11, 31, v10
	v_add_u32_e32 v15, v13, v10
	s_branch .LBB318_11
.LBB318_10:                             ;   in Loop: Header=BB318_11 Depth=2
	s_or_b64 exec, exec, s[16:17]
	s_add_i32 s15, s13, 1
	s_cmp_gt_u32 s13, 6
	s_cselect_b64 s[2:3], -1, 0
	s_xor_b64 s[16:17], vcc, -1
	s_or_b64 s[2:3], s[16:17], s[2:3]
	s_and_b64 s[2:3], exec, s[2:3]
	v_add_u32_e32 v14, 4, v14
	s_or_b64 s[10:11], s[2:3], s[10:11]
	s_mov_b32 s13, s15
	s_andn2_b64 exec, exec, s[10:11]
	s_cbranch_execz .LBB318_13
.LBB318_11:                             ;   Parent Loop BB318_5 Depth=1
                                        ; =>  This Inner Loop Header: Depth=2
	v_cmp_ne_u32_e32 vcc, s13, v15
	v_cmp_eq_u32_e64 s[2:3], s13, v15
	s_and_saveexec_b64 s[16:17], s[2:3]
	s_cbranch_execz .LBB318_10
; %bb.12:                               ;   in Loop: Header=BB318_11 Depth=2
	scratch_load_dword v16, v14, off
	s_waitcnt vmcnt(0)
	v_add_f32_e32 v5, v5, v16
	global_store_dwordx2 v[8:9], v[10:11], off offset:8
	s_branch .LBB318_10
.LBB318_13:                             ;   in Loop: Header=BB318_5 Depth=1
	s_or_b64 exec, exec, s[10:11]
	global_load_dwordx2 v[10:11], v[6:7], off offset:16
	v_mov_b32_e32 v14, 0
	s_mov_b32 s13, 0
	s_mov_b64 s[10:11], 0
	s_waitcnt vmcnt(0)
	v_ashrrev_i32_e32 v11, 31, v10
	v_add_u32_e32 v15, v13, v10
	s_branch .LBB318_15
.LBB318_14:                             ;   in Loop: Header=BB318_15 Depth=2
	s_or_b64 exec, exec, s[16:17]
	s_add_i32 s15, s13, 1
	s_cmp_gt_u32 s13, 6
	s_cselect_b64 s[2:3], -1, 0
	s_xor_b64 s[16:17], vcc, -1
	s_or_b64 s[2:3], s[16:17], s[2:3]
	s_and_b64 s[2:3], exec, s[2:3]
	v_add_u32_e32 v14, 4, v14
	s_or_b64 s[10:11], s[2:3], s[10:11]
	s_mov_b32 s13, s15
	s_andn2_b64 exec, exec, s[10:11]
	s_cbranch_execz .LBB318_17
.LBB318_15:                             ;   Parent Loop BB318_5 Depth=1
                                        ; =>  This Inner Loop Header: Depth=2
	v_cmp_ne_u32_e32 vcc, s13, v15
	v_cmp_eq_u32_e64 s[2:3], s13, v15
	s_and_saveexec_b64 s[16:17], s[2:3]
	s_cbranch_execz .LBB318_14
; %bb.16:                               ;   in Loop: Header=BB318_15 Depth=2
	scratch_load_dword v16, v14, off
	s_waitcnt vmcnt(0)
	v_add_f32_e32 v5, v5, v16
	global_store_dwordx2 v[8:9], v[10:11], off offset:16
	s_branch .LBB318_14
.LBB318_17:                             ;   in Loop: Header=BB318_5 Depth=1
	s_or_b64 exec, exec, s[10:11]
	global_load_dwordx2 v[6:7], v[6:7], off offset:24
	v_mov_b32_e32 v10, 0
	s_mov_b32 s13, 0
	s_mov_b64 s[10:11], 0
	s_waitcnt vmcnt(0)
	v_ashrrev_i32_e32 v7, 31, v6
	v_add_u32_e32 v11, v13, v6
	s_branch .LBB318_19
.LBB318_18:                             ;   in Loop: Header=BB318_19 Depth=2
	s_or_b64 exec, exec, s[16:17]
	s_add_i32 s15, s13, 1
	s_cmp_gt_u32 s13, 6
	s_cselect_b64 s[2:3], -1, 0
	s_xor_b64 s[16:17], vcc, -1
	s_or_b64 s[2:3], s[16:17], s[2:3]
	s_and_b64 s[2:3], exec, s[2:3]
	v_add_u32_e32 v10, 4, v10
	s_or_b64 s[10:11], s[2:3], s[10:11]
	s_mov_b32 s13, s15
	s_andn2_b64 exec, exec, s[10:11]
	s_cbranch_execz .LBB318_4
.LBB318_19:                             ;   Parent Loop BB318_5 Depth=1
                                        ; =>  This Inner Loop Header: Depth=2
	v_cmp_ne_u32_e32 vcc, s13, v11
	v_cmp_eq_u32_e64 s[2:3], s13, v11
	s_and_saveexec_b64 s[16:17], s[2:3]
	s_cbranch_execz .LBB318_18
; %bb.20:                               ;   in Loop: Header=BB318_19 Depth=2
	scratch_load_dword v14, v10, off
	s_waitcnt vmcnt(0)
	v_add_f32_e32 v5, v5, v14
	global_store_dwordx2 v[8:9], v[6:7], off offset:24
	s_branch .LBB318_18
.LBB318_21:
	s_and_b32 s13, s12, 3
	s_cmp_eq_u32 s13, 0
	s_mov_b32 s15, 0
	s_cbranch_scc1 .LBB318_28
; %bb.22:
	v_lshlrev_b32_e32 v1, 3, v4
	v_sub_u32_e32 v1, 0, v1
	s_mov_b32 s16, s15
	s_branch .LBB318_24
.LBB318_23:                             ;   in Loop: Header=BB318_24 Depth=1
	s_or_b64 exec, exec, s[6:7]
	s_add_i32 s14, s14, 1
	s_add_i32 s16, s16, 1
	s_cmp_lg_u32 s16, s13
	s_cbranch_scc0 .LBB318_28
.LBB318_24:                             ; =>This Loop Header: Depth=1
                                        ;     Child Loop BB318_26 Depth 2
	v_lshl_add_u64 v[6:7], s[14:15], 3, v[2:3]
	global_load_dwordx2 v[6:7], v[6:7], off
	v_add_u32_e32 v8, s14, v0
	v_ashrrev_i32_e32 v9, 31, v8
	v_mov_b32_e32 v4, 0
	s_mov_b32 s17, 0
	s_waitcnt lgkmcnt(0)
	v_lshl_add_u64 v[8:9], v[8:9], 3, s[4:5]
	s_mov_b64 s[6:7], 0
	s_waitcnt vmcnt(0)
	v_ashrrev_i32_e32 v7, 31, v6
	v_add_u32_e32 v10, v1, v6
	s_branch .LBB318_26
.LBB318_25:                             ;   in Loop: Header=BB318_26 Depth=2
	s_or_b64 exec, exec, s[10:11]
	s_add_i32 s18, s17, 1
	s_cmp_gt_u32 s17, 6
	s_cselect_b64 s[2:3], -1, 0
	s_xor_b64 s[10:11], vcc, -1
	s_or_b64 s[2:3], s[10:11], s[2:3]
	s_and_b64 s[2:3], exec, s[2:3]
	v_add_u32_e32 v4, 4, v4
	s_or_b64 s[6:7], s[2:3], s[6:7]
	s_mov_b32 s17, s18
	s_andn2_b64 exec, exec, s[6:7]
	s_cbranch_execz .LBB318_23
.LBB318_26:                             ;   Parent Loop BB318_24 Depth=1
                                        ; =>  This Inner Loop Header: Depth=2
	v_cmp_ne_u32_e32 vcc, s17, v10
	v_cmp_eq_u32_e64 s[2:3], s17, v10
	s_and_saveexec_b64 s[10:11], s[2:3]
	s_cbranch_execz .LBB318_25
; %bb.27:                               ;   in Loop: Header=BB318_26 Depth=2
	scratch_load_dword v11, v4, off
	s_waitcnt vmcnt(0)
	v_add_f32_e32 v5, v5, v11
	global_store_dwordx2 v[8:9], v[6:7], off
	s_branch .LBB318_25
.LBB318_28:
	s_waitcnt lgkmcnt(0)
	s_load_dword s4, s[0:1], 0x3c
	s_waitcnt lgkmcnt(0)
	s_bitcmp1_b32 s4, 0
	s_cselect_b64 s[2:3], -1, 0
	s_bitcmp0_b32 s4, 0
	s_cbranch_scc0 .LBB318_32
; %bb.29:
	s_load_dwordx2 s[4:5], s[0:1], 0x40
	s_andn2_b64 vcc, exec, s[2:3]
	s_waitcnt lgkmcnt(0)
	v_cvt_f32_f64_e32 v8, s[4:5]
	s_cbranch_vccz .LBB318_33
.LBB318_30:
	s_andn2_b64 vcc, exec, s[8:9]
	s_cbranch_vccz .LBB318_34
.LBB318_31:
	s_endpgm
.LBB318_32:
	v_mbcnt_lo_u32_b32 v1, -1, 0
	v_mbcnt_hi_u32_b32 v1, -1, v1
	v_and_b32_e32 v6, 0x7e, v1
	v_xor_b32_e32 v4, 1, v1
	v_add_u32_e32 v6, 2, v6
	v_cmp_lt_i32_e32 vcc, v4, v6
	s_nop 1
	v_cndmask_b32_e32 v1, v1, v4, vcc
	v_lshlrev_b32_e32 v1, 2, v1
	ds_bpermute_b32 v1, v1, v5
	s_waitcnt lgkmcnt(0)
	v_add_f32_e32 v5, v5, v1
	s_load_dwordx2 s[4:5], s[0:1], 0x40
	s_andn2_b64 vcc, exec, s[2:3]
	s_waitcnt lgkmcnt(0)
	v_cvt_f32_f64_e32 v8, s[4:5]
	s_cbranch_vccnz .LBB318_30
.LBB318_33:
	v_cmp_lt_f32_e32 vcc, 0, v5
	s_nop 1
	v_cndmask_b32_e32 v1, 1.0, v5, vcc
	v_div_scale_f32 v4, s[2:3], v1, v1, v8
	v_rcp_f32_e32 v5, v4
	s_nop 0
	v_fma_f32 v6, -v4, v5, 1.0
	v_fmac_f32_e32 v5, v6, v5
	v_div_scale_f32 v6, vcc, v8, v1, v8
	v_mul_f32_e32 v7, v6, v5
	v_fma_f32 v9, -v4, v7, v6
	v_fmac_f32_e32 v7, v9, v5
	v_fma_f32 v4, -v4, v7, v6
	v_div_fmas_f32 v4, v4, v5, v7
	v_div_fixup_f32 v8, v4, v1, v8
	s_andn2_b64 vcc, exec, s[8:9]
	s_cbranch_vccnz .LBB318_31
.LBB318_34:
	s_load_dwordx2 s[14:15], s[0:1], 0x10
	v_mov_b32_e32 v1, 0
	v_or_b32_e32 v20, 4, v1
	v_or_b32_e32 v18, 8, v1
	;; [unrolled: 1-line block ×3, first 2 shown]
	v_add_u32_e32 v14, 16, v1
	v_add_u32_e32 v11, 20, v1
	;; [unrolled: 1-line block ×4, first 2 shown]
	v_or_b32_e32 v23, 1, v12
	v_or_b32_e32 v22, 2, v12
	v_or_b32_e32 v21, 3, v12
	v_or_b32_e32 v19, 4, v12
	v_or_b32_e32 v17, 5, v12
	v_or_b32_e32 v15, 6, v12
	v_or_b32_e32 v13, 7, v12
	s_cmp_eq_u32 s12, 1
	s_mov_b32 s16, 0
	s_cbranch_scc1 .LBB318_69
; %bb.35:
	v_ashrrev_i32_e32 v1, 31, v0
	s_waitcnt lgkmcnt(0)
	v_lshl_add_u64 v[4:5], v[0:1], 2, s[14:15]
	s_and_b32 s16, s12, 0x7ffffffe
	v_lshl_add_u64 v[4:5], v[4:5], 0, 4
	v_lshl_add_u64 v[6:7], v[2:3], 0, 8
	s_mov_b32 s13, 0
	s_branch .LBB318_37
.LBB318_36:                             ;   in Loop: Header=BB318_37 Depth=1
	s_or_b64 exec, exec, s[0:1]
	s_add_i32 s13, s13, 2
	v_lshl_add_u64 v[4:5], v[4:5], 0, 8
	s_cmp_eq_u32 s16, s13
	v_lshl_add_u64 v[6:7], v[6:7], 0, 16
	s_cbranch_scc1 .LBB318_69
.LBB318_37:                             ; =>This Inner Loop Header: Depth=1
	global_load_dword v24, v[6:7], off offset:-8
	v_mov_b32_e32 v1, 0
	s_waitcnt vmcnt(0)
	v_cmp_eq_u32_e32 vcc, v12, v24
	v_cmp_ne_u32_e64 s[0:1], v12, v24
	s_and_saveexec_b64 s[18:19], s[0:1]
	s_cbranch_execz .LBB318_51
; %bb.38:                               ;   in Loop: Header=BB318_37 Depth=1
	v_cmp_eq_u32_e64 s[0:1], v23, v24
	v_cmp_ne_u32_e64 s[2:3], v23, v24
	v_mov_b32_e32 v1, v20
	s_and_saveexec_b64 s[20:21], s[2:3]
	s_cbranch_execz .LBB318_50
; %bb.39:                               ;   in Loop: Header=BB318_37 Depth=1
	v_cmp_eq_u32_e64 s[2:3], v22, v24
	v_cmp_ne_u32_e64 s[4:5], v22, v24
	v_mov_b32_e32 v1, v18
	s_and_saveexec_b64 s[22:23], s[4:5]
	s_cbranch_execz .LBB318_49
; %bb.40:                               ;   in Loop: Header=BB318_37 Depth=1
	v_cmp_eq_u32_e64 s[4:5], v21, v24
	v_cmp_ne_u32_e64 s[6:7], v21, v24
	v_mov_b32_e32 v1, v16
	s_and_saveexec_b64 s[24:25], s[6:7]
	s_cbranch_execz .LBB318_48
; %bb.41:                               ;   in Loop: Header=BB318_37 Depth=1
	v_cmp_eq_u32_e64 s[6:7], v19, v24
	v_cmp_ne_u32_e64 s[8:9], v19, v24
	v_mov_b32_e32 v1, v14
	s_and_saveexec_b64 s[26:27], s[8:9]
	s_cbranch_execz .LBB318_47
; %bb.42:                               ;   in Loop: Header=BB318_37 Depth=1
	v_cmp_eq_u32_e64 s[8:9], v17, v24
	v_cmp_ne_u32_e64 s[10:11], v17, v24
	v_mov_b32_e32 v1, v11
	s_and_saveexec_b64 s[28:29], s[10:11]
	s_cbranch_execz .LBB318_46
; %bb.43:                               ;   in Loop: Header=BB318_37 Depth=1
	v_cmp_eq_u32_e64 s[30:31], v15, v24
	v_cmp_ne_u32_e64 s[10:11], v15, v24
	v_mov_b32_e32 v1, v9
	s_and_saveexec_b64 s[34:35], s[10:11]
	s_xor_b64 s[34:35], exec, s[34:35]
; %bb.44:                               ;   in Loop: Header=BB318_37 Depth=1
	v_cmp_eq_u32_e64 s[10:11], v13, v24
	s_andn2_b64 s[30:31], s[30:31], exec
	s_and_b64 s[10:11], s[10:11], exec
	s_or_b64 s[30:31], s[30:31], s[10:11]
	v_mov_b32_e32 v1, v10
; %bb.45:                               ;   in Loop: Header=BB318_37 Depth=1
	s_or_b64 exec, exec, s[34:35]
	s_andn2_b64 s[8:9], s[8:9], exec
	s_and_b64 s[10:11], s[30:31], exec
	s_or_b64 s[8:9], s[8:9], s[10:11]
.LBB318_46:                             ;   in Loop: Header=BB318_37 Depth=1
	s_or_b64 exec, exec, s[28:29]
	s_andn2_b64 s[6:7], s[6:7], exec
	s_and_b64 s[8:9], s[8:9], exec
	s_or_b64 s[6:7], s[6:7], s[8:9]
.LBB318_47:                             ;   in Loop: Header=BB318_37 Depth=1
	s_or_b64 exec, exec, s[26:27]
	s_andn2_b64 s[4:5], s[4:5], exec
	s_and_b64 s[6:7], s[6:7], exec
	s_or_b64 s[4:5], s[4:5], s[6:7]
.LBB318_48:                             ;   in Loop: Header=BB318_37 Depth=1
	s_or_b64 exec, exec, s[24:25]
	s_andn2_b64 s[2:3], s[2:3], exec
	s_and_b64 s[4:5], s[4:5], exec
	s_or_b64 s[2:3], s[2:3], s[4:5]
.LBB318_49:                             ;   in Loop: Header=BB318_37 Depth=1
	s_or_b64 exec, exec, s[22:23]
	s_andn2_b64 s[0:1], s[0:1], exec
	s_and_b64 s[2:3], s[2:3], exec
	s_or_b64 s[0:1], s[0:1], s[2:3]
.LBB318_50:                             ;   in Loop: Header=BB318_37 Depth=1
	s_or_b64 exec, exec, s[20:21]
	s_andn2_b64 s[2:3], vcc, exec
	s_and_b64 s[0:1], s[0:1], exec
	s_or_b64 vcc, s[2:3], s[0:1]
.LBB318_51:                             ;   in Loop: Header=BB318_37 Depth=1
	s_or_b64 exec, exec, s[18:19]
	s_and_saveexec_b64 s[0:1], vcc
	s_cbranch_execz .LBB318_53
; %bb.52:                               ;   in Loop: Header=BB318_37 Depth=1
	scratch_load_dword v1, v1, off
	v_add_u32_e32 v24, s13, v0
	v_ashrrev_i32_e32 v25, 31, v24
	v_lshl_add_u64 v[24:25], v[24:25], 2, s[14:15]
	s_waitcnt vmcnt(0)
	v_mul_f32_e32 v1, v8, v1
	global_store_dword v[24:25], v1, off
.LBB318_53:                             ;   in Loop: Header=BB318_37 Depth=1
	s_or_b64 exec, exec, s[0:1]
	global_load_dword v24, v[6:7], off
	v_mov_b32_e32 v1, 0
	s_waitcnt vmcnt(0)
	v_cmp_eq_u32_e64 s[8:9], v12, v24
	v_cmp_ne_u32_e32 vcc, v12, v24
	s_and_saveexec_b64 s[10:11], vcc
	s_cbranch_execz .LBB318_67
; %bb.54:                               ;   in Loop: Header=BB318_37 Depth=1
	v_cmp_eq_u32_e32 vcc, v23, v24
	v_cmp_ne_u32_e64 s[0:1], v23, v24
	v_mov_b32_e32 v1, v20
	s_and_saveexec_b64 s[18:19], s[0:1]
	s_cbranch_execz .LBB318_66
; %bb.55:                               ;   in Loop: Header=BB318_37 Depth=1
	v_cmp_eq_u32_e64 s[0:1], v22, v24
	v_cmp_ne_u32_e64 s[2:3], v22, v24
	v_mov_b32_e32 v1, v18
	s_and_saveexec_b64 s[20:21], s[2:3]
	s_cbranch_execz .LBB318_65
; %bb.56:                               ;   in Loop: Header=BB318_37 Depth=1
	v_cmp_eq_u32_e64 s[2:3], v21, v24
	;; [unrolled: 6-line block ×5, first 2 shown]
	v_cmp_ne_u32_e64 s[6:7], v15, v24
	v_mov_b32_e32 v1, v9
	s_and_saveexec_b64 s[34:35], s[6:7]
; %bb.60:                               ;   in Loop: Header=BB318_37 Depth=1
	v_cmp_eq_u32_e64 s[6:7], v13, v24
	s_andn2_b64 s[30:31], s[30:31], exec
	s_and_b64 s[6:7], s[6:7], exec
	s_or_b64 s[30:31], s[30:31], s[6:7]
	v_mov_b32_e32 v1, v10
; %bb.61:                               ;   in Loop: Header=BB318_37 Depth=1
	s_or_b64 exec, exec, s[34:35]
	s_andn2_b64 s[6:7], s[26:27], exec
	s_and_b64 s[26:27], s[30:31], exec
	s_or_b64 s[26:27], s[6:7], s[26:27]
.LBB318_62:                             ;   in Loop: Header=BB318_37 Depth=1
	s_or_b64 exec, exec, s[28:29]
	s_andn2_b64 s[4:5], s[4:5], exec
	s_and_b64 s[6:7], s[26:27], exec
	s_or_b64 s[4:5], s[4:5], s[6:7]
.LBB318_63:                             ;   in Loop: Header=BB318_37 Depth=1
	s_or_b64 exec, exec, s[24:25]
	s_andn2_b64 s[2:3], s[2:3], exec
	s_and_b64 s[4:5], s[4:5], exec
	s_or_b64 s[2:3], s[2:3], s[4:5]
.LBB318_64:                             ;   in Loop: Header=BB318_37 Depth=1
	s_or_b64 exec, exec, s[22:23]
	s_andn2_b64 s[0:1], s[0:1], exec
	s_and_b64 s[2:3], s[2:3], exec
	s_or_b64 s[0:1], s[0:1], s[2:3]
.LBB318_65:                             ;   in Loop: Header=BB318_37 Depth=1
	s_or_b64 exec, exec, s[20:21]
	s_andn2_b64 s[2:3], vcc, exec
	s_and_b64 s[0:1], s[0:1], exec
	s_or_b64 vcc, s[2:3], s[0:1]
.LBB318_66:                             ;   in Loop: Header=BB318_37 Depth=1
	s_or_b64 exec, exec, s[18:19]
	s_andn2_b64 s[0:1], s[8:9], exec
	s_and_b64 s[2:3], vcc, exec
	s_or_b64 s[8:9], s[0:1], s[2:3]
.LBB318_67:                             ;   in Loop: Header=BB318_37 Depth=1
	s_or_b64 exec, exec, s[10:11]
	s_and_saveexec_b64 s[0:1], s[8:9]
	s_cbranch_execz .LBB318_36
; %bb.68:                               ;   in Loop: Header=BB318_37 Depth=1
	scratch_load_dword v1, v1, off
	s_waitcnt vmcnt(0)
	v_mul_f32_e32 v1, v8, v1
	global_store_dword v[4:5], v1, off
	s_branch .LBB318_36
.LBB318_69:
	s_bitcmp0_b32 s12, 0
	s_mov_b32 s17, 0
	s_cbranch_scc1 .LBB318_31
; %bb.70:
	v_lshl_add_u64 v[2:3], s[16:17], 3, v[2:3]
	global_load_dword v1, v[2:3], off
	v_mov_b32_e32 v2, 0
	s_waitcnt vmcnt(0)
	v_cmp_eq_u32_e64 s[8:9], v12, v1
	v_cmp_ne_u32_e32 vcc, v12, v1
	s_and_saveexec_b64 s[10:11], vcc
	s_cbranch_execz .LBB318_84
; %bb.71:
	v_cmp_eq_u32_e32 vcc, v23, v1
	v_cmp_ne_u32_e64 s[0:1], v23, v1
	s_and_saveexec_b64 s[12:13], s[0:1]
	s_cbranch_execz .LBB318_83
; %bb.72:
	v_cmp_eq_u32_e64 s[0:1], v22, v1
	v_cmp_ne_u32_e64 s[2:3], v22, v1
	s_and_saveexec_b64 s[18:19], s[2:3]
	s_cbranch_execz .LBB318_82
; %bb.73:
	v_cmp_eq_u32_e64 s[2:3], v21, v1
	;; [unrolled: 5-line block ×5, first 2 shown]
	v_cmp_ne_u32_e64 s[6:7], v15, v1
	s_and_saveexec_b64 s[30:31], s[6:7]
; %bb.77:
	v_cmp_eq_u32_e64 s[6:7], v13, v1
	s_andn2_b64 s[28:29], s[28:29], exec
	s_and_b64 s[6:7], s[6:7], exec
	s_or_b64 s[28:29], s[28:29], s[6:7]
	v_mov_b32_e32 v9, v10
; %bb.78:
	s_or_b64 exec, exec, s[30:31]
	s_andn2_b64 s[6:7], s[24:25], exec
	s_and_b64 s[24:25], s[28:29], exec
	s_or_b64 s[24:25], s[6:7], s[24:25]
	v_mov_b32_e32 v11, v9
.LBB318_79:
	s_or_b64 exec, exec, s[26:27]
	s_andn2_b64 s[4:5], s[4:5], exec
	s_and_b64 s[6:7], s[24:25], exec
	s_or_b64 s[4:5], s[4:5], s[6:7]
	v_mov_b32_e32 v14, v11
.LBB318_80:
	s_or_b64 exec, exec, s[22:23]
	s_andn2_b64 s[2:3], s[2:3], exec
	s_and_b64 s[4:5], s[4:5], exec
	s_or_b64 s[2:3], s[2:3], s[4:5]
	v_mov_b32_e32 v16, v14
.LBB318_81:
	s_or_b64 exec, exec, s[20:21]
	s_andn2_b64 s[0:1], s[0:1], exec
	s_and_b64 s[2:3], s[2:3], exec
	s_or_b64 s[0:1], s[0:1], s[2:3]
	v_mov_b32_e32 v18, v16
.LBB318_82:
	s_or_b64 exec, exec, s[18:19]
	s_andn2_b64 s[2:3], vcc, exec
	s_and_b64 s[0:1], s[0:1], exec
	s_or_b64 vcc, s[2:3], s[0:1]
	v_mov_b32_e32 v20, v18
.LBB318_83:
	s_or_b64 exec, exec, s[12:13]
	s_andn2_b64 s[0:1], s[8:9], exec
	s_and_b64 s[2:3], vcc, exec
	s_or_b64 s[8:9], s[0:1], s[2:3]
	v_mov_b32_e32 v2, v20
.LBB318_84:
	s_or_b64 exec, exec, s[10:11]
	s_and_b64 exec, exec, s[8:9]
	s_cbranch_execz .LBB318_31
; %bb.85:
	scratch_load_dword v2, v2, off
	v_add_u32_e32 v0, s16, v0
	v_ashrrev_i32_e32 v1, 31, v0
	s_waitcnt lgkmcnt(0)
	v_lshl_add_u64 v[0:1], v[0:1], 2, s[14:15]
	s_waitcnt vmcnt(0)
	v_mul_f32_e32 v2, v8, v2
	global_store_dword v[0:1], v2, off
	s_endpgm
	.section	.rodata,"a",@progbits
	.p2align	6, 0x0
	.amdhsa_kernel _ZN4vllm3moe22topkGatingSoftplusSqrtILi8ELi16ELi4ELi16ELi32ELb1El6__halfEEvPKT6_PKbPfiPT5_PiiiibdPKfPKS9_SF_
		.amdhsa_group_segment_fixed_size 0
		.amdhsa_private_segment_fixed_size 48
		.amdhsa_kernarg_size 96
		.amdhsa_user_sgpr_count 2
		.amdhsa_user_sgpr_dispatch_ptr 0
		.amdhsa_user_sgpr_queue_ptr 0
		.amdhsa_user_sgpr_kernarg_segment_ptr 1
		.amdhsa_user_sgpr_dispatch_id 0
		.amdhsa_user_sgpr_kernarg_preload_length 0
		.amdhsa_user_sgpr_kernarg_preload_offset 0
		.amdhsa_user_sgpr_private_segment_size 0
		.amdhsa_uses_dynamic_stack 0
		.amdhsa_enable_private_segment 1
		.amdhsa_system_sgpr_workgroup_id_x 1
		.amdhsa_system_sgpr_workgroup_id_y 0
		.amdhsa_system_sgpr_workgroup_id_z 0
		.amdhsa_system_sgpr_workgroup_info 0
		.amdhsa_system_vgpr_workitem_id 1
		.amdhsa_next_free_vgpr 29
		.amdhsa_next_free_sgpr 36
		.amdhsa_accum_offset 32
		.amdhsa_reserve_vcc 1
		.amdhsa_float_round_mode_32 0
		.amdhsa_float_round_mode_16_64 0
		.amdhsa_float_denorm_mode_32 3
		.amdhsa_float_denorm_mode_16_64 3
		.amdhsa_dx10_clamp 1
		.amdhsa_ieee_mode 1
		.amdhsa_fp16_overflow 0
		.amdhsa_tg_split 0
		.amdhsa_exception_fp_ieee_invalid_op 0
		.amdhsa_exception_fp_denorm_src 0
		.amdhsa_exception_fp_ieee_div_zero 0
		.amdhsa_exception_fp_ieee_overflow 0
		.amdhsa_exception_fp_ieee_underflow 0
		.amdhsa_exception_fp_ieee_inexact 0
		.amdhsa_exception_int_div_zero 0
	.end_amdhsa_kernel
	.section	.text._ZN4vllm3moe22topkGatingSoftplusSqrtILi8ELi16ELi4ELi16ELi32ELb1El6__halfEEvPKT6_PKbPfiPT5_PiiiibdPKfPKS9_SF_,"axG",@progbits,_ZN4vllm3moe22topkGatingSoftplusSqrtILi8ELi16ELi4ELi16ELi32ELb1El6__halfEEvPKT6_PKbPfiPT5_PiiiibdPKfPKS9_SF_,comdat
.Lfunc_end318:
	.size	_ZN4vllm3moe22topkGatingSoftplusSqrtILi8ELi16ELi4ELi16ELi32ELb1El6__halfEEvPKT6_PKbPfiPT5_PiiiibdPKfPKS9_SF_, .Lfunc_end318-_ZN4vllm3moe22topkGatingSoftplusSqrtILi8ELi16ELi4ELi16ELi32ELb1El6__halfEEvPKT6_PKbPfiPT5_PiiiibdPKfPKS9_SF_
                                        ; -- End function
	.section	.AMDGPU.csdata,"",@progbits
; Kernel info:
; codeLenInByte = 4520
; NumSgprs: 42
; NumVgprs: 29
; NumAgprs: 0
; TotalNumVgprs: 29
; ScratchSize: 48
; MemoryBound: 0
; FloatMode: 240
; IeeeMode: 1
; LDSByteSize: 0 bytes/workgroup (compile time only)
; SGPRBlocks: 5
; VGPRBlocks: 3
; NumSGPRsForWavesPerEU: 42
; NumVGPRsForWavesPerEU: 29
; AccumOffset: 32
; Occupancy: 8
; WaveLimiterHint : 1
; COMPUTE_PGM_RSRC2:SCRATCH_EN: 1
; COMPUTE_PGM_RSRC2:USER_SGPR: 2
; COMPUTE_PGM_RSRC2:TRAP_HANDLER: 0
; COMPUTE_PGM_RSRC2:TGID_X_EN: 1
; COMPUTE_PGM_RSRC2:TGID_Y_EN: 0
; COMPUTE_PGM_RSRC2:TGID_Z_EN: 0
; COMPUTE_PGM_RSRC2:TIDIG_COMP_CNT: 1
; COMPUTE_PGM_RSRC3_GFX90A:ACCUM_OFFSET: 7
; COMPUTE_PGM_RSRC3_GFX90A:TG_SPLIT: 0
	.section	.text._ZN4vllm3moe22topkGatingSoftplusSqrtILi8ELi16ELi4ELi16ELi32ELb0El6__halfEEvPKT6_PKbPfiPT5_PiiiibdPKfPKS9_SF_,"axG",@progbits,_ZN4vllm3moe22topkGatingSoftplusSqrtILi8ELi16ELi4ELi16ELi32ELb0El6__halfEEvPKT6_PKbPfiPT5_PiiiibdPKfPKS9_SF_,comdat
	.protected	_ZN4vllm3moe22topkGatingSoftplusSqrtILi8ELi16ELi4ELi16ELi32ELb0El6__halfEEvPKT6_PKbPfiPT5_PiiiibdPKfPKS9_SF_ ; -- Begin function _ZN4vllm3moe22topkGatingSoftplusSqrtILi8ELi16ELi4ELi16ELi32ELb0El6__halfEEvPKT6_PKbPfiPT5_PiiiibdPKfPKS9_SF_
	.globl	_ZN4vllm3moe22topkGatingSoftplusSqrtILi8ELi16ELi4ELi16ELi32ELb0El6__halfEEvPKT6_PKbPfiPT5_PiiiibdPKfPKS9_SF_
	.p2align	8
	.type	_ZN4vllm3moe22topkGatingSoftplusSqrtILi8ELi16ELi4ELi16ELi32ELb0El6__halfEEvPKT6_PKbPfiPT5_PiiiibdPKfPKS9_SF_,@function
_ZN4vllm3moe22topkGatingSoftplusSqrtILi8ELi16ELi4ELi16ELi32ELb0El6__halfEEvPKT6_PKbPfiPT5_PiiiibdPKfPKS9_SF_: ; @_ZN4vllm3moe22topkGatingSoftplusSqrtILi8ELi16ELi4ELi16ELi32ELb0El6__halfEEvPKT6_PKbPfiPT5_PiiiibdPKfPKS9_SF_
; %bb.0:
	s_load_dword s33, s[0:1], 0x18
	v_bfe_u32 v1, v0, 10, 10
	v_and_b32_e32 v0, 0x3ff, v0
	s_lshl_b32 s2, s2, 6
	v_lshlrev_b32_e32 v1, 4, v1
	v_lshrrev_b32_e32 v2, 1, v0
	v_add3_u32 v8, s2, v1, v2
	s_waitcnt lgkmcnt(0)
	v_cmp_gt_i32_e32 vcc, s33, v8
	s_and_saveexec_b64 s[2:3], vcc
	s_cbranch_execz .LBB319_49
; %bb.1:
	s_load_dwordx4 s[4:7], s[0:1], 0x0
	s_load_dwordx2 s[34:35], s[0:1], 0x10
	s_waitcnt lgkmcnt(0)
	s_cmp_eq_u64 s[6:7], 0
	s_cbranch_scc1 .LBB319_3
; %bb.2:
	v_ashrrev_i32_e32 v9, 31, v8
	v_lshl_add_u64 v[2:3], s[6:7], 0, v[8:9]
	global_load_ubyte v1, v[2:3], off
	s_waitcnt vmcnt(0)
	v_and_b32_e32 v1, 1, v1
	v_cmp_eq_u32_e32 vcc, 1, v1
	s_xor_b64 s[2:3], vcc, -1
	s_orn2_b64 s[36:37], s[2:3], exec
	s_branch .LBB319_4
.LBB319_3:
	s_mov_b64 s[36:37], -1
.LBB319_4:
	v_lshlrev_b32_e32 v4, 4, v8
	v_mov_b32_e32 v2, s4
	v_mov_b32_e32 v3, s5
	v_ashrrev_i32_e32 v5, 31, v4
	v_and_b32_e32 v9, 1, v0
	v_lshl_add_u64 v[2:3], v[4:5], 1, v[2:3]
	v_mov_b32_e32 v1, 0
	v_lshlrev_b32_e32 v0, 4, v9
	v_lshl_add_u64 v[0:1], v[2:3], 0, v[0:1]
	global_load_dwordx4 v[4:7], v[0:1], off
	s_mov_b32 s12, 0x800000
	v_mov_b32_e32 v2, 0x4f800000
	s_mov_b32 s9, 0x3f317217
	s_mov_b32 s10, 0x7f800000
	v_mov_b32_e32 v3, 0x41b17218
	s_movk_i32 s8, 0x4d00
	s_mov_b32 s11, 0xf800000
	s_load_dwordx4 s[20:23], s[0:1], 0x40
	v_lshlrev_b32_e32 v12, 3, v9
	s_waitcnt lgkmcnt(0)
	s_cmp_lg_u64 s[22:23], 0
	s_cselect_b64 s[6:7], -1, 0
	s_and_b64 s[2:3], exec, s[6:7]
	s_waitcnt vmcnt(0)
	v_cvt_f32_f16_e32 v0, v4
	v_mul_f32_e32 v1, 0x3fb8aa3b, v0
	v_exp_f32_e32 v10, v1
	v_mov_b32_e32 v1, 0x260
	v_add_f32_e32 v10, 1.0, v10
	v_cmp_gt_f32_e32 vcc, s12, v10
	s_nop 1
	v_cndmask_b32_e32 v11, 1.0, v2, vcc
	v_mul_f32_e32 v10, v10, v11
	v_log_f32_e32 v11, v10
	v_cndmask_b32_e32 v13, 0, v3, vcc
	v_lshlrev_b32_e32 v10, 2, v12
	v_mul_f32_e32 v14, 0x3f317217, v11
	v_fma_f32 v14, v11, s9, -v14
	v_fmac_f32_e32 v14, 0x3377d1cf, v11
	v_fmac_f32_e32 v14, 0x3f317217, v11
	v_cmp_lt_f32_e64 vcc, |v11|, s10
	s_nop 1
	v_cndmask_b32_e32 v11, v11, v14, vcc
	v_sub_f32_e32 v11, v11, v13
	v_cmp_lt_f16_e32 vcc, s8, v4
	s_nop 1
	v_cndmask_b32_e32 v0, v11, v0, vcc
	v_mul_f32_e32 v11, 0x4f800000, v0
	v_cmp_gt_f32_e32 vcc, s11, v0
	s_nop 1
	v_cndmask_b32_e32 v0, v0, v11, vcc
	v_sqrt_f32_e32 v11, v0
	s_nop 0
	v_add_u32_e32 v13, -1, v11
	v_add_u32_e32 v14, 1, v11
	v_fma_f32 v15, -v13, v11, v0
	v_fma_f32 v16, -v14, v11, v0
	v_cmp_ge_f32_e64 s[4:5], 0, v15
	s_nop 1
	v_cndmask_b32_e64 v11, v11, v13, s[4:5]
	v_cmp_lt_f32_e64 s[4:5], 0, v16
	s_nop 1
	v_cndmask_b32_e64 v11, v11, v14, s[4:5]
	v_mul_f32_e32 v13, 0x37800000, v11
	v_cndmask_b32_e32 v11, v11, v13, vcc
	v_cmp_class_f32_e32 vcc, v0, v1
	s_nop 1
	v_cndmask_b32_e32 v0, v11, v0, vcc
	s_mov_b64 vcc, s[2:3]
	s_cbranch_vccz .LBB319_6
; %bb.5:
	global_load_dword v11, v10, s[22:23]
	s_waitcnt vmcnt(0)
	v_add_f32_e32 v0, v0, v11
.LBB319_6:
	v_cvt_f32_f16_sdwa v11, v4 dst_sel:DWORD dst_unused:UNUSED_PAD src0_sel:WORD_1
	v_mul_f32_e32 v13, 0x3fb8aa3b, v11
	v_exp_f32_e32 v13, v13
	s_nop 0
	v_add_f32_e32 v13, 1.0, v13
	v_cmp_gt_f32_e32 vcc, s12, v13
	s_nop 1
	v_cndmask_b32_e32 v2, 1.0, v2, vcc
	v_mul_f32_e32 v2, v13, v2
	v_log_f32_e32 v2, v2
	v_cndmask_b32_e32 v3, 0, v3, vcc
	v_mul_f32_e32 v13, 0x3f317217, v2
	v_fma_f32 v13, v2, s9, -v13
	v_fmac_f32_e32 v13, 0x3377d1cf, v2
	v_fmac_f32_e32 v13, 0x3f317217, v2
	v_cmp_lt_f32_e64 vcc, |v2|, s10
	s_nop 1
	v_cndmask_b32_e32 v2, v2, v13, vcc
	v_sub_f32_e32 v2, v2, v3
	v_cmp_gt_f16_sdwa vcc, v4, s8 src0_sel:WORD_1 src1_sel:DWORD
	v_cndmask_b32_e64 v4, 0, 1, s[6:7]
	v_cmp_ne_u32_e64 s[2:3], 1, v4
	v_cndmask_b32_e32 v2, v2, v11, vcc
	v_mul_f32_e32 v3, 0x4f800000, v2
	v_cmp_gt_f32_e64 s[4:5], s11, v2
	s_andn2_b64 vcc, exec, s[6:7]
	s_nop 0
	v_cndmask_b32_e64 v2, v2, v3, s[4:5]
	v_sqrt_f32_e32 v3, v2
	s_nop 0
	v_add_u32_e32 v4, -1, v3
	v_add_u32_e32 v11, 1, v3
	v_fma_f32 v13, -v4, v3, v2
	v_fma_f32 v14, -v11, v3, v2
	v_cmp_ge_f32_e64 s[6:7], 0, v13
	s_nop 1
	v_cndmask_b32_e64 v3, v3, v4, s[6:7]
	v_cmp_lt_f32_e64 s[6:7], 0, v14
	s_nop 1
	v_cndmask_b32_e64 v3, v3, v11, s[6:7]
	v_mul_f32_e32 v4, 0x37800000, v3
	v_cndmask_b32_e64 v3, v3, v4, s[4:5]
	v_cmp_class_f32_e64 s[4:5], v2, v1
	s_nop 1
	v_cndmask_b32_e64 v1, v3, v2, s[4:5]
	s_cbranch_vccnz .LBB319_8
; %bb.7:
	global_load_dword v2, v10, s[22:23] offset:4
	s_waitcnt vmcnt(0)
	v_add_f32_e32 v1, v1, v2
.LBB319_8:
	v_cvt_f32_f16_e32 v2, v5
	s_mov_b32 s8, 0x800000
	v_mov_b32_e32 v4, 0x4f800000
	s_mov_b32 s7, 0x3f317217
	v_mul_f32_e32 v3, 0x3fb8aa3b, v2
	v_exp_f32_e32 v3, v3
	s_mov_b32 s9, 0x7f800000
	s_movk_i32 s6, 0x4d00
	s_mov_b32 s10, 0xf800000
	v_add_f32_e32 v3, 1.0, v3
	v_cmp_gt_f32_e32 vcc, s8, v3
	s_nop 1
	v_cndmask_b32_e32 v11, 1.0, v4, vcc
	v_mul_f32_e32 v3, v3, v11
	v_log_f32_e32 v3, v3
	v_mov_b32_e32 v11, 0x41b17218
	v_cndmask_b32_e32 v13, 0, v11, vcc
	v_mul_f32_e32 v14, 0x3f317217, v3
	v_fma_f32 v14, v3, s7, -v14
	v_fmac_f32_e32 v14, 0x3377d1cf, v3
	v_fmac_f32_e32 v14, 0x3f317217, v3
	v_cmp_lt_f32_e64 vcc, |v3|, s9
	s_nop 1
	v_cndmask_b32_e32 v3, v3, v14, vcc
	v_sub_f32_e32 v3, v3, v13
	v_cmp_lt_f16_e32 vcc, s6, v5
	s_nop 1
	v_cndmask_b32_e32 v2, v3, v2, vcc
	v_mul_f32_e32 v3, 0x4f800000, v2
	v_cmp_gt_f32_e32 vcc, s10, v2
	s_nop 1
	v_cndmask_b32_e32 v2, v2, v3, vcc
	v_sqrt_f32_e32 v3, v2
	s_nop 0
	v_add_u32_e32 v13, -1, v3
	v_fma_f32 v14, -v13, v3, v2
	v_cmp_ge_f32_e64 s[4:5], 0, v14
	v_add_u32_e32 v14, 1, v3
	s_nop 0
	v_cndmask_b32_e64 v13, v3, v13, s[4:5]
	v_fma_f32 v3, -v14, v3, v2
	v_cmp_lt_f32_e64 s[4:5], 0, v3
	s_nop 1
	v_cndmask_b32_e64 v3, v13, v14, s[4:5]
	v_mul_f32_e32 v13, 0x37800000, v3
	v_cndmask_b32_e32 v13, v3, v13, vcc
	v_mov_b32_e32 v3, 0x260
	v_cmp_class_f32_e64 s[4:5], v2, v3
	s_and_b64 vcc, exec, s[2:3]
	s_nop 0
	v_cndmask_b32_e64 v2, v13, v2, s[4:5]
	s_cbranch_vccnz .LBB319_10
; %bb.9:
	global_load_dword v13, v10, s[22:23] offset:8
	s_waitcnt vmcnt(0)
	v_add_f32_e32 v2, v2, v13
.LBB319_10:
	v_cvt_f32_f16_sdwa v13, v5 dst_sel:DWORD dst_unused:UNUSED_PAD src0_sel:WORD_1
	v_mul_f32_e32 v14, 0x3fb8aa3b, v13
	v_exp_f32_e32 v14, v14
	s_nop 0
	v_add_f32_e32 v14, 1.0, v14
	v_cmp_gt_f32_e32 vcc, s8, v14
	s_nop 1
	v_cndmask_b32_e32 v4, 1.0, v4, vcc
	v_mul_f32_e32 v4, v14, v4
	v_log_f32_e32 v4, v4
	v_cndmask_b32_e32 v11, 0, v11, vcc
	v_mul_f32_e32 v14, 0x3f317217, v4
	v_fma_f32 v14, v4, s7, -v14
	v_fmac_f32_e32 v14, 0x3377d1cf, v4
	v_fmac_f32_e32 v14, 0x3f317217, v4
	v_cmp_lt_f32_e64 vcc, |v4|, s9
	s_nop 1
	v_cndmask_b32_e32 v4, v4, v14, vcc
	v_sub_f32_e32 v4, v4, v11
	v_cmp_gt_f16_sdwa vcc, v5, s6 src0_sel:WORD_1 src1_sel:DWORD
	s_nop 1
	v_cndmask_b32_e32 v4, v4, v13, vcc
	v_mul_f32_e32 v5, 0x4f800000, v4
	v_cmp_gt_f32_e64 s[4:5], s10, v4
	s_and_b64 vcc, exec, s[2:3]
	s_nop 0
	v_cndmask_b32_e64 v4, v4, v5, s[4:5]
	v_sqrt_f32_e32 v5, v4
	s_nop 0
	v_add_u32_e32 v11, -1, v5
	v_add_u32_e32 v13, 1, v5
	v_fma_f32 v14, -v11, v5, v4
	v_fma_f32 v15, -v13, v5, v4
	v_cmp_ge_f32_e64 s[6:7], 0, v14
	s_nop 1
	v_cndmask_b32_e64 v5, v5, v11, s[6:7]
	v_cmp_lt_f32_e64 s[6:7], 0, v15
	s_nop 1
	v_cndmask_b32_e64 v5, v5, v13, s[6:7]
	v_mul_f32_e32 v11, 0x37800000, v5
	v_cndmask_b32_e64 v5, v5, v11, s[4:5]
	v_cmp_class_f32_e64 s[4:5], v4, v3
	s_nop 1
	v_cndmask_b32_e64 v3, v5, v4, s[4:5]
	s_cbranch_vccnz .LBB319_12
; %bb.11:
	global_load_dword v4, v10, s[22:23] offset:12
	s_waitcnt vmcnt(0)
	v_add_f32_e32 v3, v3, v4
.LBB319_12:
	v_cvt_f32_f16_e32 v4, v6
	v_mov_b32_e32 v11, 0x4f800000
	s_mov_b32 s7, 0x3f317217
	s_movk_i32 s6, 0x4d00
	v_mul_f32_e32 v5, 0x3fb8aa3b, v4
	v_exp_f32_e32 v5, v5
	s_nop 0
	v_add_f32_e32 v5, 1.0, v5
	v_cmp_gt_f32_e32 vcc, s8, v5
	s_nop 1
	v_cndmask_b32_e32 v13, 1.0, v11, vcc
	v_mul_f32_e32 v5, v5, v13
	v_log_f32_e32 v5, v5
	v_mov_b32_e32 v13, 0x41b17218
	v_cndmask_b32_e32 v14, 0, v13, vcc
	v_mul_f32_e32 v15, 0x3f317217, v5
	v_fma_f32 v15, v5, s7, -v15
	v_fmac_f32_e32 v15, 0x3377d1cf, v5
	v_fmac_f32_e32 v15, 0x3f317217, v5
	v_cmp_lt_f32_e64 vcc, |v5|, s9
	s_nop 1
	v_cndmask_b32_e32 v5, v5, v15, vcc
	v_sub_f32_e32 v5, v5, v14
	v_cmp_lt_f16_e32 vcc, s6, v6
	s_nop 1
	v_cndmask_b32_e32 v4, v5, v4, vcc
	v_mul_f32_e32 v5, 0x4f800000, v4
	v_cmp_gt_f32_e32 vcc, s10, v4
	s_nop 1
	v_cndmask_b32_e32 v4, v4, v5, vcc
	v_sqrt_f32_e32 v5, v4
	s_nop 0
	v_add_u32_e32 v14, -1, v5
	v_fma_f32 v15, -v14, v5, v4
	v_cmp_ge_f32_e64 s[4:5], 0, v15
	v_add_u32_e32 v15, 1, v5
	s_nop 0
	v_cndmask_b32_e64 v14, v5, v14, s[4:5]
	v_fma_f32 v5, -v15, v5, v4
	v_cmp_lt_f32_e64 s[4:5], 0, v5
	s_nop 1
	v_cndmask_b32_e64 v5, v14, v15, s[4:5]
	v_mul_f32_e32 v14, 0x37800000, v5
	v_cndmask_b32_e32 v14, v5, v14, vcc
	v_mov_b32_e32 v5, 0x260
	v_cmp_class_f32_e64 s[4:5], v4, v5
	s_and_b64 vcc, exec, s[2:3]
	s_nop 0
	v_cndmask_b32_e64 v4, v14, v4, s[4:5]
	s_cbranch_vccnz .LBB319_14
; %bb.13:
	global_load_dword v14, v10, s[22:23] offset:16
	s_waitcnt vmcnt(0)
	v_add_f32_e32 v4, v4, v14
.LBB319_14:
	v_cvt_f32_f16_sdwa v14, v6 dst_sel:DWORD dst_unused:UNUSED_PAD src0_sel:WORD_1
	v_mul_f32_e32 v15, 0x3fb8aa3b, v14
	v_exp_f32_e32 v15, v15
	s_nop 0
	v_add_f32_e32 v15, 1.0, v15
	v_cmp_gt_f32_e32 vcc, s8, v15
	s_nop 1
	v_cndmask_b32_e32 v11, 1.0, v11, vcc
	v_mul_f32_e32 v11, v15, v11
	v_log_f32_e32 v11, v11
	v_cndmask_b32_e32 v13, 0, v13, vcc
	v_mul_f32_e32 v15, 0x3f317217, v11
	v_fma_f32 v15, v11, s7, -v15
	v_fmac_f32_e32 v15, 0x3377d1cf, v11
	v_fmac_f32_e32 v15, 0x3f317217, v11
	v_cmp_lt_f32_e64 vcc, |v11|, s9
	s_nop 1
	v_cndmask_b32_e32 v11, v11, v15, vcc
	v_sub_f32_e32 v11, v11, v13
	v_cmp_gt_f16_sdwa vcc, v6, s6 src0_sel:WORD_1 src1_sel:DWORD
	s_nop 1
	v_cndmask_b32_e32 v6, v11, v14, vcc
	v_mul_f32_e32 v11, 0x4f800000, v6
	v_cmp_gt_f32_e64 s[4:5], s10, v6
	s_and_b64 vcc, exec, s[2:3]
	s_nop 0
	v_cndmask_b32_e64 v6, v6, v11, s[4:5]
	v_sqrt_f32_e32 v11, v6
	s_nop 0
	v_add_u32_e32 v13, -1, v11
	v_add_u32_e32 v14, 1, v11
	v_fma_f32 v15, -v13, v11, v6
	v_fma_f32 v16, -v14, v11, v6
	v_cmp_ge_f32_e64 s[6:7], 0, v15
	s_nop 1
	v_cndmask_b32_e64 v11, v11, v13, s[6:7]
	v_cmp_lt_f32_e64 s[6:7], 0, v16
	s_nop 1
	v_cndmask_b32_e64 v11, v11, v14, s[6:7]
	v_mul_f32_e32 v13, 0x37800000, v11
	v_cndmask_b32_e64 v11, v11, v13, s[4:5]
	v_cmp_class_f32_e64 s[4:5], v6, v5
	s_nop 1
	v_cndmask_b32_e64 v5, v11, v6, s[4:5]
	s_cbranch_vccnz .LBB319_16
; %bb.15:
	global_load_dword v6, v10, s[22:23] offset:20
	s_waitcnt vmcnt(0)
	v_add_f32_e32 v5, v5, v6
.LBB319_16:
	v_cvt_f32_f16_e32 v6, v7
	v_mov_b32_e32 v13, 0x4f800000
	s_mov_b32 s7, 0x3f317217
	s_movk_i32 s6, 0x4d00
	v_mul_f32_e32 v11, 0x3fb8aa3b, v6
	v_exp_f32_e32 v11, v11
	s_nop 0
	v_add_f32_e32 v11, 1.0, v11
	v_cmp_gt_f32_e32 vcc, s8, v11
	s_nop 1
	v_cndmask_b32_e32 v14, 1.0, v13, vcc
	v_mul_f32_e32 v11, v11, v14
	v_log_f32_e32 v11, v11
	v_mov_b32_e32 v14, 0x41b17218
	v_cndmask_b32_e32 v15, 0, v14, vcc
	v_mul_f32_e32 v16, 0x3f317217, v11
	v_fma_f32 v16, v11, s7, -v16
	v_fmac_f32_e32 v16, 0x3377d1cf, v11
	v_fmac_f32_e32 v16, 0x3f317217, v11
	v_cmp_lt_f32_e64 vcc, |v11|, s9
	s_nop 1
	v_cndmask_b32_e32 v11, v11, v16, vcc
	v_sub_f32_e32 v11, v11, v15
	v_cmp_lt_f16_e32 vcc, s6, v7
	s_nop 1
	v_cndmask_b32_e32 v6, v11, v6, vcc
	v_mul_f32_e32 v11, 0x4f800000, v6
	v_cmp_gt_f32_e32 vcc, s10, v6
	s_nop 1
	v_cndmask_b32_e32 v6, v6, v11, vcc
	v_sqrt_f32_e32 v11, v6
	s_nop 0
	v_add_u32_e32 v15, -1, v11
	v_fma_f32 v16, -v15, v11, v6
	v_cmp_ge_f32_e64 s[4:5], 0, v16
	v_add_u32_e32 v16, 1, v11
	s_nop 0
	v_cndmask_b32_e64 v15, v11, v15, s[4:5]
	v_fma_f32 v11, -v16, v11, v6
	v_cmp_lt_f32_e64 s[4:5], 0, v11
	s_nop 1
	v_cndmask_b32_e64 v11, v15, v16, s[4:5]
	v_mul_f32_e32 v15, 0x37800000, v11
	v_cndmask_b32_e32 v15, v11, v15, vcc
	v_mov_b32_e32 v11, 0x260
	v_cmp_class_f32_e64 s[4:5], v6, v11
	s_and_b64 vcc, exec, s[2:3]
	s_nop 0
	v_cndmask_b32_e64 v6, v15, v6, s[4:5]
	s_cbranch_vccnz .LBB319_18
; %bb.17:
	global_load_dword v15, v10, s[22:23] offset:24
	s_waitcnt vmcnt(0)
	v_add_f32_e32 v6, v6, v15
.LBB319_18:
	v_cvt_f32_f16_sdwa v15, v7 dst_sel:DWORD dst_unused:UNUSED_PAD src0_sel:WORD_1
	v_mul_f32_e32 v16, 0x3fb8aa3b, v15
	v_exp_f32_e32 v16, v16
	s_nop 0
	v_add_f32_e32 v16, 1.0, v16
	v_cmp_gt_f32_e32 vcc, s8, v16
	s_nop 1
	v_cndmask_b32_e32 v13, 1.0, v13, vcc
	v_mul_f32_e32 v13, v16, v13
	v_log_f32_e32 v13, v13
	v_cndmask_b32_e32 v14, 0, v14, vcc
	v_mul_f32_e32 v16, 0x3f317217, v13
	v_fma_f32 v16, v13, s7, -v16
	v_fmac_f32_e32 v16, 0x3377d1cf, v13
	v_fmac_f32_e32 v16, 0x3f317217, v13
	v_cmp_lt_f32_e64 vcc, |v13|, s9
	s_nop 1
	v_cndmask_b32_e32 v13, v13, v16, vcc
	v_sub_f32_e32 v13, v13, v14
	v_cmp_gt_f16_sdwa vcc, v7, s6 src0_sel:WORD_1 src1_sel:DWORD
	s_nop 1
	v_cndmask_b32_e32 v7, v13, v15, vcc
	v_mul_f32_e32 v13, 0x4f800000, v7
	v_cmp_gt_f32_e64 s[4:5], s10, v7
	s_and_b64 vcc, exec, s[2:3]
	s_nop 0
	v_cndmask_b32_e64 v7, v7, v13, s[4:5]
	v_sqrt_f32_e32 v13, v7
	s_nop 0
	v_add_u32_e32 v14, -1, v13
	v_add_u32_e32 v15, 1, v13
	v_fma_f32 v16, -v14, v13, v7
	v_fma_f32 v17, -v15, v13, v7
	v_cmp_ge_f32_e64 s[6:7], 0, v16
	s_nop 1
	v_cndmask_b32_e64 v13, v13, v14, s[6:7]
	v_cmp_lt_f32_e64 s[6:7], 0, v17
	s_nop 1
	v_cndmask_b32_e64 v13, v13, v15, s[6:7]
	v_mul_f32_e32 v14, 0x37800000, v13
	v_cndmask_b32_e64 v13, v13, v14, s[4:5]
	v_cmp_class_f32_e64 s[4:5], v7, v11
	s_nop 1
	v_cndmask_b32_e64 v7, v13, v7, s[4:5]
	s_cbranch_vccnz .LBB319_20
; %bb.19:
	global_load_dword v10, v10, s[22:23] offset:28
	s_waitcnt vmcnt(0)
	v_add_f32_e32 v7, v7, v10
.LBB319_20:
	s_load_dwordx4 s[24:27], s[0:1], 0x30
	s_mov_b32 s42, 0
	v_cmp_eq_u32_e64 s[6:7], 0, v9
	s_waitcnt lgkmcnt(0)
	s_bitcmp1_b32 s27, 0
	s_cselect_b64 s[4:5], -1, 0
	s_cmp_gt_i32 s24, 0
	s_cselect_b64 s[38:39], -1, 0
	s_and_b64 vcc, exec, s[38:39]
	s_cbranch_vccz .LBB319_35
; %bb.21:
	v_mbcnt_lo_u32_b32 v10, -1, 0
	v_mbcnt_hi_u32_b32 v10, -1, v10
	s_load_dwordx4 s[28:31], s[0:1], 0x20
	v_and_b32_e32 v13, 0x7e, v10
	v_xor_b32_e32 v11, 1, v10
	v_add_u32_e32 v13, 2, v13
	v_cmp_lt_i32_e32 vcc, v11, v13
	v_mul_lo_u32 v15, v8, s24
	v_mov_b32_e32 v13, 0
	v_cndmask_b32_e32 v10, v10, v11, vcc
	v_lshlrev_b32_e32 v14, 2, v10
	v_mov_b32_e32 v16, 0xc61c4000
	v_mov_b32_e32 v17, v8
	s_branch .LBB319_24
.LBB319_22:                             ;   in Loop: Header=BB319_24 Depth=1
	s_or_b64 exec, exec, s[40:41]
.LBB319_23:                             ;   in Loop: Header=BB319_24 Depth=1
	s_cmp_eq_u32 s24, s42
	v_add_u32_e32 v17, s33, v17
	s_cbranch_scc1 .LBB319_36
.LBB319_24:                             ; =>This Inner Loop Header: Depth=1
	v_cmp_gt_f32_e32 vcc, v1, v0
	s_nop 1
	v_cndmask_b32_e32 v11, v0, v1, vcc
	v_cndmask_b32_e64 v10, 0, 1, vcc
	v_cmp_gt_f32_e32 vcc, v2, v11
	s_nop 1
	v_cndmask_b32_e32 v11, v11, v2, vcc
	v_cndmask_b32_e64 v10, v10, 2, vcc
	;; [unrolled: 4-line block ×6, first 2 shown]
	v_cmp_gt_f32_e32 vcc, v7, v11
	s_nop 1
	v_cndmask_b32_e64 v10, v10, 7, vcc
	v_cndmask_b32_e32 v18, v11, v7, vcc
	ds_bpermute_b32 v11, v14, v18
	v_or_b32_e32 v10, v12, v10
	ds_bpermute_b32 v19, v14, v10
	s_waitcnt lgkmcnt(0)
	v_cmp_lt_f32_e64 s[8:9], v18, v11
	v_cmp_nlt_f32_e32 vcc, v18, v11
	s_and_saveexec_b64 s[10:11], vcc
	s_cbranch_execnz .LBB319_28
; %bb.25:                               ;   in Loop: Header=BB319_24 Depth=1
	s_or_b64 exec, exec, s[10:11]
	s_and_saveexec_b64 s[0:1], s[8:9]
	s_cbranch_execnz .LBB319_29
.LBB319_26:                             ;   in Loop: Header=BB319_24 Depth=1
	s_or_b64 exec, exec, s[0:1]
	s_and_saveexec_b64 s[8:9], s[6:7]
	s_cbranch_execnz .LBB319_30
.LBB319_27:                             ;   in Loop: Header=BB319_24 Depth=1
	s_or_b64 exec, exec, s[8:9]
	s_add_i32 s42, s42, 1
	s_cmp_ge_i32 s42, s24
	s_cbranch_scc1 .LBB319_23
	s_branch .LBB319_33
.LBB319_28:                             ;   in Loop: Header=BB319_24 Depth=1
	v_cmp_eq_f32_e32 vcc, v18, v11
	v_cmp_lt_i32_e64 s[0:1], v19, v10
	s_and_b64 s[0:1], vcc, s[0:1]
	s_andn2_b64 s[8:9], s[8:9], exec
	s_and_b64 s[0:1], s[0:1], exec
	s_or_b64 s[8:9], s[8:9], s[0:1]
	s_or_b64 exec, exec, s[10:11]
	s_and_saveexec_b64 s[0:1], s[8:9]
	s_cbranch_execz .LBB319_26
.LBB319_29:                             ;   in Loop: Header=BB319_24 Depth=1
	v_mov_b32_e32 v10, v19
	v_mov_b32_e32 v18, v11
	s_or_b64 exec, exec, s[0:1]
	s_and_saveexec_b64 s[8:9], s[6:7]
	s_cbranch_execz .LBB319_27
.LBB319_30:                             ;   in Loop: Header=BB319_24 Depth=1
	s_and_b64 vcc, exec, s[2:3]
	s_cbranch_vccnz .LBB319_32
; %bb.31:                               ;   in Loop: Header=BB319_24 Depth=1
	v_ashrrev_i32_e32 v11, 31, v10
	v_lshl_add_u64 v[20:21], v[10:11], 2, s[22:23]
	global_load_dword v11, v[20:21], off
	s_waitcnt vmcnt(0)
	v_sub_f32_e32 v18, v18, v11
.LBB319_32:                             ;   in Loop: Header=BB319_24 Depth=1
	v_add_u32_e32 v20, s42, v15
	v_cmp_le_i32_e32 vcc, s25, v10
	v_cmp_gt_i32_e64 s[0:1], s26, v10
	v_ashrrev_i32_e32 v21, 31, v20
	s_and_b64 s[0:1], vcc, s[0:1]
	v_lshlrev_b64 v[22:23], 2, v[20:21]
	v_subrev_u32_e32 v11, s25, v10
	v_lshl_add_u64 v[24:25], s[34:35], 0, v[22:23]
	v_ashrrev_i32_e32 v19, 31, v11
	s_and_b64 vcc, s[36:37], s[0:1]
	global_store_dword v[24:25], v18, off
	v_cndmask_b32_e32 v25, 0, v19, vcc
	v_cndmask_b32_e32 v24, 16, v11, vcc
	v_lshl_add_u64 v[20:21], v[20:21], 3, s[28:29]
	v_add_f32_e32 v11, v13, v18
	global_store_dwordx2 v[20:21], v[24:25], off
	v_lshl_add_u64 v[20:21], s[30:31], 0, v[22:23]
	v_cndmask_b32_e64 v13, v13, v11, s[4:5]
	global_store_dword v[20:21], v17, off
	s_or_b64 exec, exec, s[8:9]
	s_add_i32 s42, s42, 1
	s_cmp_ge_i32 s42, s24
	s_cbranch_scc1 .LBB319_23
.LBB319_33:                             ;   in Loop: Header=BB319_24 Depth=1
	v_ashrrev_i32_e32 v18, 31, v10
	v_lshrrev_b32_e32 v11, 29, v18
	v_add_u32_e32 v19, v10, v11
	v_ashrrev_i32_e32 v11, 3, v19
	v_lshrrev_b32_e32 v19, 31, v19
	v_add_u32_e32 v19, v11, v19
	v_and_b32_e32 v19, -2, v19
	v_sub_u32_e32 v19, v11, v19
	v_cmp_eq_u32_e32 vcc, v9, v19
	s_and_saveexec_b64 s[40:41], vcc
	s_cbranch_execz .LBB319_22
; %bb.34:                               ;   in Loop: Header=BB319_24 Depth=1
	v_lshrrev_b32_e32 v18, 28, v18
	v_add_u32_e32 v18, v10, v18
	v_lshlrev_b32_e32 v11, 3, v11
	v_sub_u32_e32 v10, v10, v11
	v_ashrrev_i32_e32 v11, 4, v18
	v_lshl_add_u32 v10, v11, 3, v10
	v_cmp_ne_u32_e32 vcc, 6, v10
	v_cmp_ne_u32_e64 s[0:1], 5, v10
	v_cmp_ne_u32_e64 s[8:9], 4, v10
	;; [unrolled: 1-line block ×7, first 2 shown]
	v_cndmask_b32_e32 v6, v16, v6, vcc
	v_cndmask_b32_e64 v5, v16, v5, s[0:1]
	v_cndmask_b32_e64 v7, v16, v7, s[18:19]
	;; [unrolled: 1-line block ×7, first 2 shown]
	s_branch .LBB319_22
.LBB319_35:
	v_mov_b32_e32 v13, 0
.LBB319_36:
	v_cmp_eq_u32_e32 vcc, 0, v9
	s_and_b64 exec, exec, vcc
	s_cbranch_execz .LBB319_49
; %bb.37:
	s_andn2_b64 vcc, exec, s[4:5]
	v_cvt_f32_f64_e32 v0, s[20:21]
	s_cbranch_vccnz .LBB319_39
; %bb.38:
	v_cmp_lt_f32_e32 vcc, 0, v13
	s_nop 1
	v_cndmask_b32_e32 v1, 1.0, v13, vcc
	v_div_scale_f32 v2, s[0:1], v1, v1, v0
	v_rcp_f32_e32 v3, v2
	s_nop 0
	v_fma_f32 v4, -v2, v3, 1.0
	v_fmac_f32_e32 v3, v4, v3
	v_div_scale_f32 v4, vcc, v0, v1, v0
	v_mul_f32_e32 v5, v4, v3
	v_fma_f32 v6, -v2, v5, v4
	v_fmac_f32_e32 v5, v6, v3
	v_fma_f32 v2, -v2, v5, v4
	v_div_fmas_f32 v2, v2, v3, v5
	v_div_fixup_f32 v0, v2, v1, v0
.LBB319_39:
	s_andn2_b64 vcc, exec, s[38:39]
	s_cbranch_vccnz .LBB319_49
; %bb.40:
	v_mul_lo_u32 v2, v8, s24
	s_cmp_gt_u32 s24, 3
	v_ashrrev_i32_e32 v3, 31, v2
	s_cbranch_scc0 .LBB319_44
; %bb.41:
	s_and_b32 s0, s24, 0x7ffffffc
	v_lshl_add_u64 v[4:5], v[2:3], 2, s[34:35]
	v_mov_b32_e32 v1, v0
	v_lshl_add_u64 v[4:5], v[4:5], 0, 8
	s_mov_b32 s1, s0
.LBB319_42:                             ; =>This Inner Loop Header: Depth=1
	global_load_dwordx4 v[6:9], v[4:5], off offset:-8
	s_add_i32 s1, s1, -4
	s_cmp_lg_u32 s1, 0
	s_waitcnt vmcnt(0)
	v_pk_mul_f32 v[6:7], v[0:1], v[6:7]
	v_pk_mul_f32 v[8:9], v[0:1], v[8:9]
	global_store_dwordx4 v[4:5], v[6:9], off offset:-8
	v_lshl_add_u64 v[4:5], v[4:5], 0, 16
	s_cbranch_scc1 .LBB319_42
; %bb.43:
	s_cmp_lg_u32 s0, s24
	s_cselect_b64 s[2:3], -1, 0
	s_branch .LBB319_46
.LBB319_44:
	s_mov_b64 s[2:3], 0
                                        ; implicit-def: $sgpr0
	s_cbranch_execz .LBB319_46
; %bb.45:
	s_mov_b64 s[2:3], -1
	s_mov_b32 s0, 0
.LBB319_46:
	s_andn2_b64 vcc, exec, s[2:3]
	s_cbranch_vccnz .LBB319_49
; %bb.47:
	s_mov_b32 s1, 0
	v_lshl_add_u64 v[2:3], v[2:3], 0, s[0:1]
	s_sub_i32 s2, s24, s0
	v_lshl_add_u64 v[2:3], v[2:3], 2, s[34:35]
.LBB319_48:                             ; =>This Inner Loop Header: Depth=1
	global_load_dword v1, v[2:3], off
	s_add_i32 s2, s2, -1
	s_cmp_lg_u32 s2, 0
	s_waitcnt vmcnt(0)
	v_mul_f32_e32 v1, v0, v1
	global_store_dword v[2:3], v1, off
	v_lshl_add_u64 v[2:3], v[2:3], 0, 4
	s_cbranch_scc1 .LBB319_48
.LBB319_49:
	s_endpgm
	.section	.rodata,"a",@progbits
	.p2align	6, 0x0
	.amdhsa_kernel _ZN4vllm3moe22topkGatingSoftplusSqrtILi8ELi16ELi4ELi16ELi32ELb0El6__halfEEvPKT6_PKbPfiPT5_PiiiibdPKfPKS9_SF_
		.amdhsa_group_segment_fixed_size 0
		.amdhsa_private_segment_fixed_size 0
		.amdhsa_kernarg_size 96
		.amdhsa_user_sgpr_count 2
		.amdhsa_user_sgpr_dispatch_ptr 0
		.amdhsa_user_sgpr_queue_ptr 0
		.amdhsa_user_sgpr_kernarg_segment_ptr 1
		.amdhsa_user_sgpr_dispatch_id 0
		.amdhsa_user_sgpr_kernarg_preload_length 0
		.amdhsa_user_sgpr_kernarg_preload_offset 0
		.amdhsa_user_sgpr_private_segment_size 0
		.amdhsa_uses_dynamic_stack 0
		.amdhsa_enable_private_segment 0
		.amdhsa_system_sgpr_workgroup_id_x 1
		.amdhsa_system_sgpr_workgroup_id_y 0
		.amdhsa_system_sgpr_workgroup_id_z 0
		.amdhsa_system_sgpr_workgroup_info 0
		.amdhsa_system_vgpr_workitem_id 1
		.amdhsa_next_free_vgpr 26
		.amdhsa_next_free_sgpr 43
		.amdhsa_accum_offset 28
		.amdhsa_reserve_vcc 1
		.amdhsa_float_round_mode_32 0
		.amdhsa_float_round_mode_16_64 0
		.amdhsa_float_denorm_mode_32 3
		.amdhsa_float_denorm_mode_16_64 3
		.amdhsa_dx10_clamp 1
		.amdhsa_ieee_mode 1
		.amdhsa_fp16_overflow 0
		.amdhsa_tg_split 0
		.amdhsa_exception_fp_ieee_invalid_op 0
		.amdhsa_exception_fp_denorm_src 0
		.amdhsa_exception_fp_ieee_div_zero 0
		.amdhsa_exception_fp_ieee_overflow 0
		.amdhsa_exception_fp_ieee_underflow 0
		.amdhsa_exception_fp_ieee_inexact 0
		.amdhsa_exception_int_div_zero 0
	.end_amdhsa_kernel
	.section	.text._ZN4vllm3moe22topkGatingSoftplusSqrtILi8ELi16ELi4ELi16ELi32ELb0El6__halfEEvPKT6_PKbPfiPT5_PiiiibdPKfPKS9_SF_,"axG",@progbits,_ZN4vllm3moe22topkGatingSoftplusSqrtILi8ELi16ELi4ELi16ELi32ELb0El6__halfEEvPKT6_PKbPfiPT5_PiiiibdPKfPKS9_SF_,comdat
.Lfunc_end319:
	.size	_ZN4vllm3moe22topkGatingSoftplusSqrtILi8ELi16ELi4ELi16ELi32ELb0El6__halfEEvPKT6_PKbPfiPT5_PiiiibdPKfPKS9_SF_, .Lfunc_end319-_ZN4vllm3moe22topkGatingSoftplusSqrtILi8ELi16ELi4ELi16ELi32ELb0El6__halfEEvPKT6_PKbPfiPT5_PiiiibdPKfPKS9_SF_
                                        ; -- End function
	.section	.AMDGPU.csdata,"",@progbits
; Kernel info:
; codeLenInByte = 3704
; NumSgprs: 49
; NumVgprs: 26
; NumAgprs: 0
; TotalNumVgprs: 26
; ScratchSize: 0
; MemoryBound: 0
; FloatMode: 240
; IeeeMode: 1
; LDSByteSize: 0 bytes/workgroup (compile time only)
; SGPRBlocks: 6
; VGPRBlocks: 3
; NumSGPRsForWavesPerEU: 49
; NumVGPRsForWavesPerEU: 26
; AccumOffset: 28
; Occupancy: 8
; WaveLimiterHint : 0
; COMPUTE_PGM_RSRC2:SCRATCH_EN: 0
; COMPUTE_PGM_RSRC2:USER_SGPR: 2
; COMPUTE_PGM_RSRC2:TRAP_HANDLER: 0
; COMPUTE_PGM_RSRC2:TGID_X_EN: 1
; COMPUTE_PGM_RSRC2:TGID_Y_EN: 0
; COMPUTE_PGM_RSRC2:TGID_Z_EN: 0
; COMPUTE_PGM_RSRC2:TIDIG_COMP_CNT: 1
; COMPUTE_PGM_RSRC3_GFX90A:ACCUM_OFFSET: 6
; COMPUTE_PGM_RSRC3_GFX90A:TG_SPLIT: 0
	.section	.text._ZN4vllm3moe22topkGatingSoftplusSqrtILi8ELi32ELi4ELi16ELi64ELb1El6__halfEEvPKT6_PKbPfiPT5_PiiiibdPKfPKS9_SF_,"axG",@progbits,_ZN4vllm3moe22topkGatingSoftplusSqrtILi8ELi32ELi4ELi16ELi64ELb1El6__halfEEvPKT6_PKbPfiPT5_PiiiibdPKfPKS9_SF_,comdat
	.protected	_ZN4vllm3moe22topkGatingSoftplusSqrtILi8ELi32ELi4ELi16ELi64ELb1El6__halfEEvPKT6_PKbPfiPT5_PiiiibdPKfPKS9_SF_ ; -- Begin function _ZN4vllm3moe22topkGatingSoftplusSqrtILi8ELi32ELi4ELi16ELi64ELb1El6__halfEEvPKT6_PKbPfiPT5_PiiiibdPKfPKS9_SF_
	.globl	_ZN4vllm3moe22topkGatingSoftplusSqrtILi8ELi32ELi4ELi16ELi64ELb1El6__halfEEvPKT6_PKbPfiPT5_PiiiibdPKfPKS9_SF_
	.p2align	8
	.type	_ZN4vllm3moe22topkGatingSoftplusSqrtILi8ELi32ELi4ELi16ELi64ELb1El6__halfEEvPKT6_PKbPfiPT5_PiiiibdPKfPKS9_SF_,@function
_ZN4vllm3moe22topkGatingSoftplusSqrtILi8ELi32ELi4ELi16ELi64ELb1El6__halfEEvPKT6_PKbPfiPT5_PiiiibdPKfPKS9_SF_: ; @_ZN4vllm3moe22topkGatingSoftplusSqrtILi8ELi32ELi4ELi16ELi64ELb1El6__halfEEvPKT6_PKbPfiPT5_PiiiibdPKfPKS9_SF_
; %bb.0:
	s_load_dword s3, s[0:1], 0x18
	v_bfe_u32 v1, v0, 10, 10
	v_and_b32_e32 v10, 0x3ff, v0
	s_lshl_b32 s2, s2, 6
	v_lshlrev_b32_e32 v1, 4, v1
	v_lshrrev_b32_e32 v0, 2, v10
	v_add3_u32 v6, s2, v1, v0
	s_waitcnt lgkmcnt(0)
	v_cmp_gt_i32_e32 vcc, s3, v6
	s_and_saveexec_b64 s[2:3], vcc
	s_cbranch_execz .LBB320_31
; %bb.1:
	s_load_dwordx4 s[8:11], s[0:1], 0x50
	s_load_dwordx2 s[2:3], s[0:1], 0x0
	s_load_dword s12, s[0:1], 0x30
	v_lshlrev_b32_e32 v0, 5, v6
	v_lshlrev_b32_e32 v4, 3, v10
	v_ashrrev_i32_e32 v1, 31, v0
	v_and_b32_e32 v12, 24, v4
	s_waitcnt lgkmcnt(0)
	v_mov_b32_e32 v2, s8
	v_mov_b32_e32 v3, s9
	v_lshl_add_u64 v[0:1], v[0:1], 1, s[2:3]
	v_lshlrev_b32_e32 v4, 1, v12
	v_mov_b32_e32 v5, 0
	v_ashrrev_i32_e32 v7, 31, v6
	v_lshl_add_u64 v[2:3], v[6:7], 3, v[2:3]
	v_lshl_add_u64 v[0:1], v[0:1], 0, v[4:5]
	global_load_dwordx2 v[8:9], v[2:3], off
	s_mov_b32 s21, 0x800000
	global_load_dwordx4 v[0:3], v[0:1], off
	s_ashr_i32 s13, s12, 31
	v_mov_b32_e32 v4, 0x4f800000
	s_mov_b32 s19, 0x3f317217
	s_mov_b32 s20, 0x7f800000
	v_mov_b32_e32 v7, 0x41b17218
	s_movk_i32 s15, 0x4d00
	s_mov_b32 s18, 0xf800000
	v_mov_b32_e32 v11, 0x260
	v_cmp_lt_i64_e64 s[16:17], s[12:13], 1
	s_mov_b32 s14, 0
	v_cmp_gt_i64_e64 s[8:9], s[12:13], 0
	s_waitcnt vmcnt(1)
	v_mul_lo_u32 v13, v9, s12
	v_mul_lo_u32 v18, v8, s13
	s_waitcnt vmcnt(0)
	v_cvt_f32_f16_e32 v19, v0
	v_cvt_f32_f16_sdwa v20, v0 dst_sel:DWORD dst_unused:UNUSED_PAD src0_sel:WORD_1
	v_cvt_f32_f16_e32 v21, v1
	v_cvt_f32_f16_sdwa v22, v1 dst_sel:DWORD dst_unused:UNUSED_PAD src0_sel:WORD_1
	v_mul_f32_e32 v9, 0x3fb8aa3b, v19
	v_mul_f32_e32 v15, 0x3fb8aa3b, v20
	v_exp_f32_e32 v14, v9
	v_exp_f32_e32 v15, v15
	v_mul_f32_e32 v16, 0x3fb8aa3b, v21
	v_mul_f32_e32 v17, 0x3fb8aa3b, v22
	v_exp_f32_e32 v16, v16
	v_pk_add_f32 v[14:15], v[14:15], 1.0 op_sel_hi:[1,0]
	v_exp_f32_e32 v17, v17
	v_mad_u64_u32 v[8:9], s[2:3], v8, s12, 0
	v_cmp_gt_f32_e32 vcc, s21, v15
	v_add3_u32 v9, v9, v18, v13
	v_cmp_gt_f32_e64 s[2:3], s21, v14
	v_cndmask_b32_e32 v13, 1.0, v4, vcc
	v_mul_f32_e32 v13, v15, v13
	v_cndmask_b32_e64 v18, 1.0, v4, s[2:3]
	v_mul_f32_e32 v14, v14, v18
	v_log_f32_e32 v13, v13
	v_pk_add_f32 v[16:17], v[16:17], 1.0 op_sel_hi:[1,0]
	v_log_f32_e32 v14, v14
	v_cmp_gt_f32_e64 s[6:7], s21, v16
	v_cndmask_b32_e32 v15, 0, v7, vcc
	v_cmp_lt_f32_e64 vcc, |v13|, s20
	v_cndmask_b32_e64 v24, 1.0, v4, s[6:7]
	v_mul_f32_e32 v16, v16, v24
	v_mul_f32_e32 v24, 0x3f317217, v13
	;; [unrolled: 1-line block ×3, first 2 shown]
	v_fma_f32 v24, v13, s19, -v24
	v_fma_f32 v25, v14, s19, -v25
	v_fmac_f32_e32 v24, 0x3377d1cf, v13
	v_fmac_f32_e32 v25, 0x3377d1cf, v14
	;; [unrolled: 1-line block ×4, first 2 shown]
	v_cndmask_b32_e32 v13, v13, v24, vcc
	v_cmp_lt_f32_e64 vcc, |v14|, s20
	v_cndmask_b32_e64 v18, 0, v7, s[2:3]
	v_cmp_gt_f32_e64 s[4:5], s21, v17
	v_cndmask_b32_e32 v14, v14, v25, vcc
	v_sub_f32_e32 v14, v14, v18
	v_cmp_lt_f16_e32 vcc, s15, v0
	v_cndmask_b32_e64 v23, 1.0, v4, s[4:5]
	v_sub_f32_e32 v13, v13, v15
	v_cndmask_b32_e32 v14, v14, v19, vcc
	v_cmp_gt_f16_sdwa vcc, v0, s15 src0_sel:WORD_1 src1_sel:DWORD
	v_mul_f32_e32 v17, v17, v23
	v_log_f32_e32 v17, v17
	v_cndmask_b32_e32 v0, v13, v20, vcc
	v_mul_f32_e32 v13, 0x4f800000, v0
	v_cmp_gt_f32_e32 vcc, s18, v0
	v_mul_f32_e32 v15, 0x4f800000, v14
	v_cmp_gt_f32_e64 s[2:3], s18, v14
	v_cndmask_b32_e32 v0, v0, v13, vcc
	v_mul_f32_e32 v26, 0x3f317217, v17
	v_cndmask_b32_e64 v13, v14, v15, s[2:3]
	v_sqrt_f32_e32 v14, v0
	v_sqrt_f32_e32 v15, v13
	v_fma_f32 v26, v17, s19, -v26
	v_fmac_f32_e32 v26, 0x3377d1cf, v17
	v_add_u32_e32 v18, -1, v14
	v_cndmask_b32_e64 v23, 0, v7, s[4:5]
	v_fmac_f32_e32 v26, 0x3f317217, v17
	v_cmp_lt_f32_e64 s[4:5], |v17|, s20
	v_add_u32_e32 v20, -1, v15
	v_fma_f32 v25, -v18, v14, v0
	v_cndmask_b32_e64 v17, v17, v26, s[4:5]
	v_add_u32_e32 v19, 1, v14
	v_fma_f32 v27, -v20, v15, v13
	v_cmp_ge_f32_e64 s[4:5], 0, v25
	v_add_u32_e32 v24, 1, v15
	v_fma_f32 v26, -v19, v14, v0
	v_cndmask_b32_e64 v14, v14, v18, s[4:5]
	v_cmp_ge_f32_e64 s[4:5], 0, v27
	v_fma_f32 v28, -v24, v15, v13
	v_log_f32_e32 v16, v16
	v_cndmask_b32_e64 v15, v15, v20, s[4:5]
	v_cmp_lt_f32_e64 s[4:5], 0, v26
	v_cvt_f32_f16_sdwa v20, v2 dst_sel:DWORD dst_unused:UNUSED_PAD src0_sel:WORD_1
	s_nop 0
	v_cndmask_b32_e64 v14, v14, v19, s[4:5]
	v_cmp_lt_f32_e64 s[4:5], 0, v28
	v_mul_f32_e32 v18, 0x37800000, v14
	v_cndmask_b32_e32 v14, v14, v18, vcc
	v_cndmask_b32_e64 v15, v15, v24, s[4:5]
	v_mul_f32_e32 v19, 0x37800000, v15
	v_cmp_class_f32_e32 vcc, v0, v11
	v_cndmask_b32_e64 v18, v15, v19, s[2:3]
	v_cmp_lt_f16_e64 s[2:3], s15, v1
	v_cndmask_b32_e32 v15, v14, v0, vcc
	v_cmp_class_f32_e32 vcc, v13, v11
	v_sub_f32_e32 v0, v17, v23
	v_cvt_f32_f16_e32 v19, v2
	v_cndmask_b32_e32 v14, v18, v13, vcc
	v_mul_f32_e32 v13, 0x3f317217, v16
	v_fma_f32 v13, v16, s19, -v13
	v_fmac_f32_e32 v13, 0x3377d1cf, v16
	v_fmac_f32_e32 v13, 0x3f317217, v16
	v_cmp_lt_f32_e64 vcc, |v16|, s20
	s_nop 1
	v_cndmask_b32_e32 v13, v16, v13, vcc
	v_cmp_gt_f16_sdwa vcc, v1, s15 src0_sel:WORD_1 src1_sel:DWORD
	v_cndmask_b32_e64 v16, 0, v7, s[6:7]
	v_sub_f32_e32 v13, v13, v16
	v_cndmask_b32_e32 v0, v0, v22, vcc
	v_mul_f32_e32 v17, 0x4f800000, v0
	v_cmp_gt_f32_e32 vcc, s18, v0
	v_cndmask_b32_e64 v1, v13, v21, s[2:3]
	s_nop 0
	v_cndmask_b32_e32 v0, v0, v17, vcc
	v_sqrt_f32_e32 v17, v0
	s_nop 0
	v_add_u32_e32 v13, -1, v17
	v_fma_f32 v16, -v13, v17, v0
	v_cmp_ge_f32_e64 s[2:3], 0, v16
	v_add_u32_e32 v16, 1, v17
	s_nop 0
	v_cndmask_b32_e64 v13, v17, v13, s[2:3]
	v_fma_f32 v17, -v16, v17, v0
	v_cmp_lt_f32_e64 s[2:3], 0, v17
	v_mul_f32_e32 v17, 0x4f800000, v1
	s_nop 0
	v_cndmask_b32_e64 v13, v13, v16, s[2:3]
	v_cmp_gt_f32_e64 s[2:3], s18, v1
	v_mul_f32_e32 v16, 0x37800000, v13
	v_cndmask_b32_e32 v13, v13, v16, vcc
	v_cndmask_b32_e64 v18, v1, v17, s[2:3]
	v_sqrt_f32_e32 v1, v18
	v_cmp_class_f32_e32 vcc, v0, v11
	v_add_u32_e32 v16, 1, v1
	s_nop 0
	v_cndmask_b32_e32 v17, v13, v0, vcc
	v_add_u32_e32 v0, -1, v1
	v_fma_f32 v13, -v0, v1, v18
	v_cmp_ge_f32_e32 vcc, 0, v13
	v_fma_f32 v21, -v16, v1, v18
	s_nop 0
	v_cndmask_b32_e32 v13, v1, v0, vcc
	v_mul_f32_e32 v0, 0x3fb8aa3b, v19
	v_mul_f32_e32 v1, 0x3fb8aa3b, v20
	v_exp_f32_e32 v0, v0
	v_exp_f32_e32 v1, v1
	v_cmp_lt_f32_e32 vcc, 0, v21
	v_pk_add_f32 v[0:1], v[0:1], 1.0 op_sel_hi:[1,0]
	s_nop 0
	v_cndmask_b32_e32 v13, v13, v16, vcc
	v_mul_f32_e32 v16, 0x37800000, v13
	v_cmp_gt_f32_e32 vcc, s21, v1
	v_cndmask_b32_e64 v13, v13, v16, s[2:3]
	v_cmp_class_f32_e64 s[2:3], v18, v11
	v_cndmask_b32_e32 v16, 1.0, v4, vcc
	v_mul_f32_e32 v1, v1, v16
	v_log_f32_e32 v1, v1
	v_cndmask_b32_e64 v16, v13, v18, s[2:3]
	v_cmp_gt_f32_e64 s[2:3], s21, v0
	scratch_store_dwordx4 off, v[14:17], off
	v_mul_f32_e32 v13, 0x3f317217, v1
	v_fma_f32 v13, v1, s19, -v13
	v_cndmask_b32_e64 v14, 1.0, v4, s[2:3]
	v_mul_f32_e32 v0, v0, v14
	v_log_f32_e32 v0, v0
	v_fmac_f32_e32 v13, 0x3377d1cf, v1
	v_fmac_f32_e32 v13, 0x3f317217, v1
	v_cmp_lt_f32_e64 s[4:5], |v1|, s20
	v_cvt_f32_f16_sdwa v17, v3 dst_sel:DWORD dst_unused:UNUSED_PAD src0_sel:WORD_1
	v_mul_f32_e32 v15, 0x3fb8aa3b, v17
	v_cndmask_b32_e64 v1, v1, v13, s[4:5]
	v_cndmask_b32_e32 v13, 0, v7, vcc
	v_sub_f32_e32 v1, v1, v13
	v_mul_f32_e32 v13, 0x3f317217, v0
	v_fma_f32 v13, v0, s19, -v13
	v_fmac_f32_e32 v13, 0x3377d1cf, v0
	v_fmac_f32_e32 v13, 0x3f317217, v0
	v_cmp_lt_f32_e64 vcc, |v0|, s20
	v_exp_f32_e32 v15, v15
	s_nop 0
	v_cndmask_b32_e32 v0, v0, v13, vcc
	v_cmp_gt_f16_sdwa vcc, v2, s15 src0_sel:WORD_1 src1_sel:DWORD
	v_cndmask_b32_e64 v13, 0, v7, s[2:3]
	v_cmp_lt_f16_e64 s[2:3], s15, v2
	v_cndmask_b32_e32 v1, v1, v20, vcc
	v_mul_f32_e32 v14, 0x4f800000, v1
	v_cmp_gt_f32_e32 vcc, s18, v1
	v_sub_f32_e32 v0, v0, v13
	v_cndmask_b32_e64 v0, v0, v19, s[2:3]
	v_cndmask_b32_e32 v1, v1, v14, vcc
	v_sqrt_f32_e32 v14, v1
	s_nop 0
	v_add_u32_e32 v2, -1, v14
	v_fma_f32 v13, -v2, v14, v1
	v_cmp_ge_f32_e64 s[2:3], 0, v13
	v_add_u32_e32 v13, 1, v14
	s_nop 0
	v_cndmask_b32_e64 v2, v14, v2, s[2:3]
	v_fma_f32 v14, -v13, v14, v1
	v_cmp_lt_f32_e64 s[2:3], 0, v14
	v_mul_f32_e32 v14, 0x4f800000, v0
	s_nop 0
	v_cndmask_b32_e64 v2, v2, v13, s[2:3]
	v_cmp_gt_f32_e64 s[2:3], s18, v0
	v_mul_f32_e32 v13, 0x37800000, v2
	v_cndmask_b32_e32 v2, v2, v13, vcc
	v_cndmask_b32_e64 v0, v0, v14, s[2:3]
	v_sqrt_f32_e32 v14, v0
	v_cmp_class_f32_e32 vcc, v1, v11
	v_add_u32_e32 v16, 1, v14
	s_nop 0
	v_cndmask_b32_e32 v1, v2, v1, vcc
	v_add_u32_e32 v2, -1, v14
	v_fma_f32 v13, -v2, v14, v0
	v_cmp_ge_f32_e32 vcc, 0, v13
	v_cvt_f32_f16_e32 v13, v3
	v_fma_f32 v18, -v16, v14, v0
	v_cndmask_b32_e32 v2, v14, v2, vcc
	v_cmp_lt_f32_e32 vcc, 0, v18
	v_mul_f32_e32 v14, 0x3fb8aa3b, v13
	v_exp_f32_e32 v14, v14
	v_cndmask_b32_e32 v2, v2, v16, vcc
	v_mul_f32_e32 v16, 0x37800000, v2
	v_cndmask_b32_e64 v2, v2, v16, s[2:3]
	v_pk_add_f32 v[14:15], v[14:15], 1.0 op_sel_hi:[1,0]
	v_cmp_class_f32_e64 s[2:3], v0, v11
	v_cmp_gt_f32_e32 vcc, s21, v15
	s_nop 0
	v_cndmask_b32_e64 v0, v2, v0, s[2:3]
	v_cndmask_b32_e32 v18, 1.0, v4, vcc
	v_mul_f32_e32 v15, v15, v18
	v_log_f32_e32 v15, v15
	v_cmp_gt_f32_e64 s[2:3], s21, v14
	v_mul_f32_e32 v2, 0x3f317217, v15
	s_nop 0
	v_cndmask_b32_e64 v4, 1.0, v4, s[2:3]
	v_mul_f32_e32 v4, v14, v4
	v_fma_f32 v2, v15, s19, -v2
	v_log_f32_e32 v4, v4
	v_fmac_f32_e32 v2, 0x3377d1cf, v15
	v_fmac_f32_e32 v2, 0x3f317217, v15
	v_cmp_lt_f32_e64 s[4:5], |v15|, s20
	v_cndmask_b32_e32 v14, 0, v7, vcc
	v_cmp_lt_f32_e64 vcc, |v4|, s20
	v_cndmask_b32_e64 v2, v15, v2, s[4:5]
	v_sub_f32_e32 v2, v2, v14
	v_mul_f32_e32 v14, 0x3f317217, v4
	v_fma_f32 v14, v4, s19, -v14
	v_fmac_f32_e32 v14, 0x3377d1cf, v4
	v_fmac_f32_e32 v14, 0x3f317217, v4
	v_cndmask_b32_e32 v4, v4, v14, vcc
	v_cmp_gt_f16_sdwa vcc, v3, s15 src0_sel:WORD_1 src1_sel:DWORD
	v_cndmask_b32_e64 v7, 0, v7, s[2:3]
	v_sub_f32_e32 v4, v4, v7
	v_cndmask_b32_e32 v2, v2, v17, vcc
	v_mul_f32_e32 v14, 0x4f800000, v2
	v_cmp_gt_f32_e32 vcc, s18, v2
	v_cmp_lt_f16_e64 s[2:3], s15, v3
	s_nop 0
	v_cndmask_b32_e32 v2, v2, v14, vcc
	v_sqrt_f32_e32 v14, v2
	v_cndmask_b32_e64 v3, v4, v13, s[2:3]
	v_add_u32_e32 v4, -1, v14
	v_fma_f32 v7, -v4, v14, v2
	v_cmp_ge_f32_e64 s[2:3], 0, v7
	v_add_u32_e32 v7, 1, v14
	v_fma_f32 v13, -v7, v14, v2
	v_cndmask_b32_e64 v4, v14, v4, s[2:3]
	v_cmp_lt_f32_e64 s[2:3], 0, v13
	v_mul_f32_e32 v13, 0x4f800000, v3
	s_nop 0
	v_cndmask_b32_e64 v4, v4, v7, s[2:3]
	v_cmp_gt_f32_e64 s[2:3], s18, v3
	v_mul_f32_e32 v7, 0x37800000, v4
	s_nop 0
	v_cndmask_b32_e64 v13, v3, v13, s[2:3]
	v_sqrt_f32_e32 v14, v13
	v_cndmask_b32_e32 v3, v4, v7, vcc
	v_cmp_class_f32_e32 vcc, v2, v11
	s_nop 1
	v_cndmask_b32_e32 v3, v3, v2, vcc
	v_add_u32_e32 v2, -1, v14
	v_fma_f32 v4, -v2, v14, v13
	v_cmp_ge_f32_e32 vcc, 0, v4
	v_add_u32_e32 v4, 1, v14
	v_fma_f32 v7, -v4, v14, v13
	v_cndmask_b32_e32 v2, v14, v2, vcc
	v_cmp_lt_f32_e32 vcc, 0, v7
	s_nop 1
	v_cndmask_b32_e32 v2, v2, v4, vcc
	v_mul_f32_e32 v4, 0x37800000, v2
	v_cndmask_b32_e64 v2, v2, v4, s[2:3]
	v_cmp_class_f32_e32 vcc, v13, v11
	s_nop 1
	v_cndmask_b32_e32 v2, v2, v13, vcc
	scratch_store_dwordx4 off, v[0:3], off offset:16
	s_and_b64 vcc, exec, s[16:17]
	s_nop 0
	v_lshl_add_u64 v[2:3], v[8:9], 3, s[10:11]
	v_mul_lo_u32 v0, v6, s12
	s_cbranch_vccnz .LBB320_28
; %bb.2:
	s_load_dwordx2 s[4:5], s[0:1], 0x20
	s_cmp_lt_u32 s12, 4
	v_and_b32_e32 v4, 3, v10
	s_cbranch_scc1 .LBB320_21
; %bb.3:
	v_lshlrev_b32_e32 v5, 3, v4
	s_mov_b32 s7, 0
	s_and_b32 s14, s12, 0x7ffffffc
	v_ashrrev_i32_e32 v1, 31, v0
	v_sub_u32_e32 v13, 0, v5
	v_mov_b32_e32 v5, 0
	s_mov_b32 s6, s7
	s_branch .LBB320_5
.LBB320_4:                              ;   in Loop: Header=BB320_5 Depth=1
	s_or_b64 exec, exec, s[10:11]
	s_add_i32 s6, s6, 4
	s_cmp_eq_u32 s6, s14
	s_cbranch_scc1 .LBB320_21
.LBB320_5:                              ; =>This Loop Header: Depth=1
                                        ;     Child Loop BB320_7 Depth 2
                                        ;     Child Loop BB320_11 Depth 2
	;; [unrolled: 1-line block ×4, first 2 shown]
	v_lshl_add_u64 v[6:7], s[6:7], 3, v[2:3]
	global_load_dwordx2 v[8:9], v[6:7], off
	v_add_u32_e32 v10, s6, v0
	v_ashrrev_i32_e32 v11, 31, v10
	v_mov_b32_e32 v14, 0
	s_mov_b64 s[10:11], 0
	s_waitcnt lgkmcnt(0)
	v_lshl_add_u64 v[10:11], v[10:11], 3, s[4:5]
	s_mov_b32 s13, 0
	s_waitcnt vmcnt(0)
	v_ashrrev_i32_e32 v9, 31, v8
	v_add_u32_e32 v15, v13, v8
	s_branch .LBB320_7
.LBB320_6:                              ;   in Loop: Header=BB320_7 Depth=2
	s_or_b64 exec, exec, s[16:17]
	s_add_i32 s15, s13, 1
	s_cmp_gt_u32 s13, 6
	s_cselect_b64 s[2:3], -1, 0
	s_xor_b64 s[16:17], vcc, -1
	s_or_b64 s[2:3], s[16:17], s[2:3]
	s_and_b64 s[2:3], exec, s[2:3]
	v_add_u32_e32 v14, 4, v14
	s_or_b64 s[10:11], s[2:3], s[10:11]
	s_mov_b32 s13, s15
	s_andn2_b64 exec, exec, s[10:11]
	s_cbranch_execz .LBB320_9
.LBB320_7:                              ;   Parent Loop BB320_5 Depth=1
                                        ; =>  This Inner Loop Header: Depth=2
	v_cmp_ne_u32_e32 vcc, s13, v15
	v_cmp_eq_u32_e64 s[2:3], s13, v15
	s_and_saveexec_b64 s[16:17], s[2:3]
	s_cbranch_execz .LBB320_6
; %bb.8:                                ;   in Loop: Header=BB320_7 Depth=2
	scratch_load_dword v16, v14, off
	s_waitcnt vmcnt(0)
	v_add_f32_e32 v5, v5, v16
	global_store_dwordx2 v[10:11], v[8:9], off
	s_branch .LBB320_6
.LBB320_9:                              ;   in Loop: Header=BB320_5 Depth=1
	s_or_b64 exec, exec, s[10:11]
	global_load_dwordx2 v[10:11], v[6:7], off offset:8
	s_ashr_i32 s3, s6, 31
	s_mov_b32 s2, s6
	v_lshl_add_u64 v[8:9], s[2:3], 0, v[0:1]
	v_mov_b32_e32 v14, 0
	s_mov_b32 s13, 0
	v_lshl_add_u64 v[8:9], v[8:9], 3, s[4:5]
	s_mov_b64 s[10:11], 0
	s_waitcnt vmcnt(0)
	v_ashrrev_i32_e32 v11, 31, v10
	v_add_u32_e32 v15, v13, v10
	s_branch .LBB320_11
.LBB320_10:                             ;   in Loop: Header=BB320_11 Depth=2
	s_or_b64 exec, exec, s[16:17]
	s_add_i32 s15, s13, 1
	s_cmp_gt_u32 s13, 6
	s_cselect_b64 s[2:3], -1, 0
	s_xor_b64 s[16:17], vcc, -1
	s_or_b64 s[2:3], s[16:17], s[2:3]
	s_and_b64 s[2:3], exec, s[2:3]
	v_add_u32_e32 v14, 4, v14
	s_or_b64 s[10:11], s[2:3], s[10:11]
	s_mov_b32 s13, s15
	s_andn2_b64 exec, exec, s[10:11]
	s_cbranch_execz .LBB320_13
.LBB320_11:                             ;   Parent Loop BB320_5 Depth=1
                                        ; =>  This Inner Loop Header: Depth=2
	v_cmp_ne_u32_e32 vcc, s13, v15
	v_cmp_eq_u32_e64 s[2:3], s13, v15
	s_and_saveexec_b64 s[16:17], s[2:3]
	s_cbranch_execz .LBB320_10
; %bb.12:                               ;   in Loop: Header=BB320_11 Depth=2
	scratch_load_dword v16, v14, off
	s_waitcnt vmcnt(0)
	v_add_f32_e32 v5, v5, v16
	global_store_dwordx2 v[8:9], v[10:11], off offset:8
	s_branch .LBB320_10
.LBB320_13:                             ;   in Loop: Header=BB320_5 Depth=1
	s_or_b64 exec, exec, s[10:11]
	global_load_dwordx2 v[10:11], v[6:7], off offset:16
	v_mov_b32_e32 v14, 0
	s_mov_b32 s13, 0
	s_mov_b64 s[10:11], 0
	s_waitcnt vmcnt(0)
	v_ashrrev_i32_e32 v11, 31, v10
	v_add_u32_e32 v15, v13, v10
	s_branch .LBB320_15
.LBB320_14:                             ;   in Loop: Header=BB320_15 Depth=2
	s_or_b64 exec, exec, s[16:17]
	s_add_i32 s15, s13, 1
	s_cmp_gt_u32 s13, 6
	s_cselect_b64 s[2:3], -1, 0
	s_xor_b64 s[16:17], vcc, -1
	s_or_b64 s[2:3], s[16:17], s[2:3]
	s_and_b64 s[2:3], exec, s[2:3]
	v_add_u32_e32 v14, 4, v14
	s_or_b64 s[10:11], s[2:3], s[10:11]
	s_mov_b32 s13, s15
	s_andn2_b64 exec, exec, s[10:11]
	s_cbranch_execz .LBB320_17
.LBB320_15:                             ;   Parent Loop BB320_5 Depth=1
                                        ; =>  This Inner Loop Header: Depth=2
	v_cmp_ne_u32_e32 vcc, s13, v15
	v_cmp_eq_u32_e64 s[2:3], s13, v15
	s_and_saveexec_b64 s[16:17], s[2:3]
	s_cbranch_execz .LBB320_14
; %bb.16:                               ;   in Loop: Header=BB320_15 Depth=2
	scratch_load_dword v16, v14, off
	s_waitcnt vmcnt(0)
	v_add_f32_e32 v5, v5, v16
	global_store_dwordx2 v[8:9], v[10:11], off offset:16
	s_branch .LBB320_14
.LBB320_17:                             ;   in Loop: Header=BB320_5 Depth=1
	s_or_b64 exec, exec, s[10:11]
	global_load_dwordx2 v[6:7], v[6:7], off offset:24
	v_mov_b32_e32 v10, 0
	s_mov_b32 s13, 0
	s_mov_b64 s[10:11], 0
	s_waitcnt vmcnt(0)
	v_ashrrev_i32_e32 v7, 31, v6
	v_add_u32_e32 v11, v13, v6
	s_branch .LBB320_19
.LBB320_18:                             ;   in Loop: Header=BB320_19 Depth=2
	s_or_b64 exec, exec, s[16:17]
	s_add_i32 s15, s13, 1
	s_cmp_gt_u32 s13, 6
	s_cselect_b64 s[2:3], -1, 0
	s_xor_b64 s[16:17], vcc, -1
	s_or_b64 s[2:3], s[16:17], s[2:3]
	s_and_b64 s[2:3], exec, s[2:3]
	v_add_u32_e32 v10, 4, v10
	s_or_b64 s[10:11], s[2:3], s[10:11]
	s_mov_b32 s13, s15
	s_andn2_b64 exec, exec, s[10:11]
	s_cbranch_execz .LBB320_4
.LBB320_19:                             ;   Parent Loop BB320_5 Depth=1
                                        ; =>  This Inner Loop Header: Depth=2
	v_cmp_ne_u32_e32 vcc, s13, v11
	v_cmp_eq_u32_e64 s[2:3], s13, v11
	s_and_saveexec_b64 s[16:17], s[2:3]
	s_cbranch_execz .LBB320_18
; %bb.20:                               ;   in Loop: Header=BB320_19 Depth=2
	scratch_load_dword v14, v10, off
	s_waitcnt vmcnt(0)
	v_add_f32_e32 v5, v5, v14
	global_store_dwordx2 v[8:9], v[6:7], off offset:24
	s_branch .LBB320_18
.LBB320_21:
	s_and_b32 s13, s12, 3
	s_cmp_eq_u32 s13, 0
	s_mov_b32 s15, 0
	s_cbranch_scc1 .LBB320_28
; %bb.22:
	v_lshlrev_b32_e32 v1, 3, v4
	v_sub_u32_e32 v1, 0, v1
	s_mov_b32 s16, s15
	s_branch .LBB320_24
.LBB320_23:                             ;   in Loop: Header=BB320_24 Depth=1
	s_or_b64 exec, exec, s[6:7]
	s_add_i32 s14, s14, 1
	s_add_i32 s16, s16, 1
	s_cmp_lg_u32 s16, s13
	s_cbranch_scc0 .LBB320_28
.LBB320_24:                             ; =>This Loop Header: Depth=1
                                        ;     Child Loop BB320_26 Depth 2
	v_lshl_add_u64 v[6:7], s[14:15], 3, v[2:3]
	global_load_dwordx2 v[6:7], v[6:7], off
	v_add_u32_e32 v8, s14, v0
	v_ashrrev_i32_e32 v9, 31, v8
	v_mov_b32_e32 v4, 0
	s_mov_b32 s17, 0
	s_waitcnt lgkmcnt(0)
	v_lshl_add_u64 v[8:9], v[8:9], 3, s[4:5]
	s_mov_b64 s[6:7], 0
	s_waitcnt vmcnt(0)
	v_ashrrev_i32_e32 v7, 31, v6
	v_add_u32_e32 v10, v1, v6
	s_branch .LBB320_26
.LBB320_25:                             ;   in Loop: Header=BB320_26 Depth=2
	s_or_b64 exec, exec, s[10:11]
	s_add_i32 s18, s17, 1
	s_cmp_gt_u32 s17, 6
	s_cselect_b64 s[2:3], -1, 0
	s_xor_b64 s[10:11], vcc, -1
	s_or_b64 s[2:3], s[10:11], s[2:3]
	s_and_b64 s[2:3], exec, s[2:3]
	v_add_u32_e32 v4, 4, v4
	s_or_b64 s[6:7], s[2:3], s[6:7]
	s_mov_b32 s17, s18
	s_andn2_b64 exec, exec, s[6:7]
	s_cbranch_execz .LBB320_23
.LBB320_26:                             ;   Parent Loop BB320_24 Depth=1
                                        ; =>  This Inner Loop Header: Depth=2
	v_cmp_ne_u32_e32 vcc, s17, v10
	v_cmp_eq_u32_e64 s[2:3], s17, v10
	s_and_saveexec_b64 s[10:11], s[2:3]
	s_cbranch_execz .LBB320_25
; %bb.27:                               ;   in Loop: Header=BB320_26 Depth=2
	scratch_load_dword v11, v4, off
	s_waitcnt vmcnt(0)
	v_add_f32_e32 v5, v5, v11
	global_store_dwordx2 v[8:9], v[6:7], off
	s_branch .LBB320_25
.LBB320_28:
	s_waitcnt lgkmcnt(0)
	s_load_dword s4, s[0:1], 0x3c
	s_waitcnt lgkmcnt(0)
	s_bitcmp1_b32 s4, 0
	s_cselect_b64 s[2:3], -1, 0
	s_bitcmp0_b32 s4, 0
	s_cbranch_scc0 .LBB320_32
; %bb.29:
	s_load_dwordx2 s[4:5], s[0:1], 0x40
	s_andn2_b64 vcc, exec, s[2:3]
	s_waitcnt lgkmcnt(0)
	v_cvt_f32_f64_e32 v8, s[4:5]
	s_cbranch_vccz .LBB320_33
.LBB320_30:
	s_andn2_b64 vcc, exec, s[8:9]
	s_cbranch_vccz .LBB320_34
.LBB320_31:
	s_endpgm
.LBB320_32:
	v_mbcnt_lo_u32_b32 v1, -1, 0
	v_mbcnt_hi_u32_b32 v1, -1, v1
	v_and_b32_e32 v4, 0x7c, v1
	v_add_u32_e32 v4, 4, v4
	v_xor_b32_e32 v6, 2, v1
	v_cmp_lt_i32_e32 vcc, v6, v4
	v_xor_b32_e32 v7, 1, v1
	s_nop 0
	v_cndmask_b32_e32 v6, v1, v6, vcc
	v_lshlrev_b32_e32 v6, 2, v6
	ds_bpermute_b32 v6, v6, v5
	v_cmp_lt_i32_e32 vcc, v7, v4
	s_waitcnt lgkmcnt(0)
	v_add_f32_e32 v5, v5, v6
	v_cndmask_b32_e32 v1, v1, v7, vcc
	v_lshlrev_b32_e32 v1, 2, v1
	ds_bpermute_b32 v1, v1, v5
	s_waitcnt lgkmcnt(0)
	v_add_f32_e32 v5, v5, v1
	s_load_dwordx2 s[4:5], s[0:1], 0x40
	s_andn2_b64 vcc, exec, s[2:3]
	s_waitcnt lgkmcnt(0)
	v_cvt_f32_f64_e32 v8, s[4:5]
	s_cbranch_vccnz .LBB320_30
.LBB320_33:
	v_cmp_lt_f32_e32 vcc, 0, v5
	s_nop 1
	v_cndmask_b32_e32 v1, 1.0, v5, vcc
	v_div_scale_f32 v4, s[2:3], v1, v1, v8
	v_rcp_f32_e32 v5, v4
	s_nop 0
	v_fma_f32 v6, -v4, v5, 1.0
	v_fmac_f32_e32 v5, v6, v5
	v_div_scale_f32 v6, vcc, v8, v1, v8
	v_mul_f32_e32 v7, v6, v5
	v_fma_f32 v9, -v4, v7, v6
	v_fmac_f32_e32 v7, v9, v5
	v_fma_f32 v4, -v4, v7, v6
	v_div_fmas_f32 v4, v4, v5, v7
	v_div_fixup_f32 v8, v4, v1, v8
	s_andn2_b64 vcc, exec, s[8:9]
	s_cbranch_vccnz .LBB320_31
.LBB320_34:
	s_load_dwordx2 s[14:15], s[0:1], 0x10
	v_mov_b32_e32 v1, 0
	v_or_b32_e32 v20, 4, v1
	v_or_b32_e32 v18, 8, v1
	;; [unrolled: 1-line block ×3, first 2 shown]
	v_add_u32_e32 v14, 16, v1
	v_add_u32_e32 v11, 20, v1
	;; [unrolled: 1-line block ×4, first 2 shown]
	v_or_b32_e32 v23, 1, v12
	v_or_b32_e32 v22, 2, v12
	;; [unrolled: 1-line block ×7, first 2 shown]
	s_cmp_eq_u32 s12, 1
	s_mov_b32 s16, 0
	s_cbranch_scc1 .LBB320_69
; %bb.35:
	v_ashrrev_i32_e32 v1, 31, v0
	s_waitcnt lgkmcnt(0)
	v_lshl_add_u64 v[4:5], v[0:1], 2, s[14:15]
	s_and_b32 s16, s12, 0x7ffffffe
	v_lshl_add_u64 v[4:5], v[4:5], 0, 4
	v_lshl_add_u64 v[6:7], v[2:3], 0, 8
	s_mov_b32 s13, 0
	s_branch .LBB320_37
.LBB320_36:                             ;   in Loop: Header=BB320_37 Depth=1
	s_or_b64 exec, exec, s[0:1]
	s_add_i32 s13, s13, 2
	v_lshl_add_u64 v[4:5], v[4:5], 0, 8
	s_cmp_eq_u32 s16, s13
	v_lshl_add_u64 v[6:7], v[6:7], 0, 16
	s_cbranch_scc1 .LBB320_69
.LBB320_37:                             ; =>This Inner Loop Header: Depth=1
	global_load_dword v24, v[6:7], off offset:-8
	v_mov_b32_e32 v1, 0
	s_waitcnt vmcnt(0)
	v_cmp_eq_u32_e32 vcc, v12, v24
	v_cmp_ne_u32_e64 s[0:1], v12, v24
	s_and_saveexec_b64 s[18:19], s[0:1]
	s_cbranch_execz .LBB320_51
; %bb.38:                               ;   in Loop: Header=BB320_37 Depth=1
	v_cmp_eq_u32_e64 s[0:1], v23, v24
	v_cmp_ne_u32_e64 s[2:3], v23, v24
	v_mov_b32_e32 v1, v20
	s_and_saveexec_b64 s[20:21], s[2:3]
	s_cbranch_execz .LBB320_50
; %bb.39:                               ;   in Loop: Header=BB320_37 Depth=1
	v_cmp_eq_u32_e64 s[2:3], v22, v24
	v_cmp_ne_u32_e64 s[4:5], v22, v24
	v_mov_b32_e32 v1, v18
	;; [unrolled: 6-line block ×6, first 2 shown]
	s_and_saveexec_b64 s[34:35], s[10:11]
	s_xor_b64 s[34:35], exec, s[34:35]
; %bb.44:                               ;   in Loop: Header=BB320_37 Depth=1
	v_cmp_eq_u32_e64 s[10:11], v13, v24
	s_andn2_b64 s[30:31], s[30:31], exec
	s_and_b64 s[10:11], s[10:11], exec
	s_or_b64 s[30:31], s[30:31], s[10:11]
	v_mov_b32_e32 v1, v10
; %bb.45:                               ;   in Loop: Header=BB320_37 Depth=1
	s_or_b64 exec, exec, s[34:35]
	s_andn2_b64 s[8:9], s[8:9], exec
	s_and_b64 s[10:11], s[30:31], exec
	s_or_b64 s[8:9], s[8:9], s[10:11]
.LBB320_46:                             ;   in Loop: Header=BB320_37 Depth=1
	s_or_b64 exec, exec, s[28:29]
	s_andn2_b64 s[6:7], s[6:7], exec
	s_and_b64 s[8:9], s[8:9], exec
	s_or_b64 s[6:7], s[6:7], s[8:9]
.LBB320_47:                             ;   in Loop: Header=BB320_37 Depth=1
	s_or_b64 exec, exec, s[26:27]
	s_andn2_b64 s[4:5], s[4:5], exec
	s_and_b64 s[6:7], s[6:7], exec
	s_or_b64 s[4:5], s[4:5], s[6:7]
.LBB320_48:                             ;   in Loop: Header=BB320_37 Depth=1
	s_or_b64 exec, exec, s[24:25]
	s_andn2_b64 s[2:3], s[2:3], exec
	s_and_b64 s[4:5], s[4:5], exec
	s_or_b64 s[2:3], s[2:3], s[4:5]
.LBB320_49:                             ;   in Loop: Header=BB320_37 Depth=1
	s_or_b64 exec, exec, s[22:23]
	s_andn2_b64 s[0:1], s[0:1], exec
	s_and_b64 s[2:3], s[2:3], exec
	s_or_b64 s[0:1], s[0:1], s[2:3]
.LBB320_50:                             ;   in Loop: Header=BB320_37 Depth=1
	s_or_b64 exec, exec, s[20:21]
	s_andn2_b64 s[2:3], vcc, exec
	s_and_b64 s[0:1], s[0:1], exec
	s_or_b64 vcc, s[2:3], s[0:1]
.LBB320_51:                             ;   in Loop: Header=BB320_37 Depth=1
	s_or_b64 exec, exec, s[18:19]
	s_and_saveexec_b64 s[0:1], vcc
	s_cbranch_execz .LBB320_53
; %bb.52:                               ;   in Loop: Header=BB320_37 Depth=1
	scratch_load_dword v1, v1, off
	v_add_u32_e32 v24, s13, v0
	v_ashrrev_i32_e32 v25, 31, v24
	v_lshl_add_u64 v[24:25], v[24:25], 2, s[14:15]
	s_waitcnt vmcnt(0)
	v_mul_f32_e32 v1, v8, v1
	global_store_dword v[24:25], v1, off
.LBB320_53:                             ;   in Loop: Header=BB320_37 Depth=1
	s_or_b64 exec, exec, s[0:1]
	global_load_dword v24, v[6:7], off
	v_mov_b32_e32 v1, 0
	s_waitcnt vmcnt(0)
	v_cmp_eq_u32_e64 s[8:9], v12, v24
	v_cmp_ne_u32_e32 vcc, v12, v24
	s_and_saveexec_b64 s[10:11], vcc
	s_cbranch_execz .LBB320_67
; %bb.54:                               ;   in Loop: Header=BB320_37 Depth=1
	v_cmp_eq_u32_e32 vcc, v23, v24
	v_cmp_ne_u32_e64 s[0:1], v23, v24
	v_mov_b32_e32 v1, v20
	s_and_saveexec_b64 s[18:19], s[0:1]
	s_cbranch_execz .LBB320_66
; %bb.55:                               ;   in Loop: Header=BB320_37 Depth=1
	v_cmp_eq_u32_e64 s[0:1], v22, v24
	v_cmp_ne_u32_e64 s[2:3], v22, v24
	v_mov_b32_e32 v1, v18
	s_and_saveexec_b64 s[20:21], s[2:3]
	s_cbranch_execz .LBB320_65
; %bb.56:                               ;   in Loop: Header=BB320_37 Depth=1
	v_cmp_eq_u32_e64 s[2:3], v21, v24
	;; [unrolled: 6-line block ×5, first 2 shown]
	v_cmp_ne_u32_e64 s[6:7], v15, v24
	v_mov_b32_e32 v1, v9
	s_and_saveexec_b64 s[34:35], s[6:7]
; %bb.60:                               ;   in Loop: Header=BB320_37 Depth=1
	v_cmp_eq_u32_e64 s[6:7], v13, v24
	s_andn2_b64 s[30:31], s[30:31], exec
	s_and_b64 s[6:7], s[6:7], exec
	s_or_b64 s[30:31], s[30:31], s[6:7]
	v_mov_b32_e32 v1, v10
; %bb.61:                               ;   in Loop: Header=BB320_37 Depth=1
	s_or_b64 exec, exec, s[34:35]
	s_andn2_b64 s[6:7], s[26:27], exec
	s_and_b64 s[26:27], s[30:31], exec
	s_or_b64 s[26:27], s[6:7], s[26:27]
.LBB320_62:                             ;   in Loop: Header=BB320_37 Depth=1
	s_or_b64 exec, exec, s[28:29]
	s_andn2_b64 s[4:5], s[4:5], exec
	s_and_b64 s[6:7], s[26:27], exec
	s_or_b64 s[4:5], s[4:5], s[6:7]
.LBB320_63:                             ;   in Loop: Header=BB320_37 Depth=1
	s_or_b64 exec, exec, s[24:25]
	s_andn2_b64 s[2:3], s[2:3], exec
	s_and_b64 s[4:5], s[4:5], exec
	s_or_b64 s[2:3], s[2:3], s[4:5]
.LBB320_64:                             ;   in Loop: Header=BB320_37 Depth=1
	s_or_b64 exec, exec, s[22:23]
	s_andn2_b64 s[0:1], s[0:1], exec
	s_and_b64 s[2:3], s[2:3], exec
	s_or_b64 s[0:1], s[0:1], s[2:3]
.LBB320_65:                             ;   in Loop: Header=BB320_37 Depth=1
	s_or_b64 exec, exec, s[20:21]
	s_andn2_b64 s[2:3], vcc, exec
	s_and_b64 s[0:1], s[0:1], exec
	s_or_b64 vcc, s[2:3], s[0:1]
.LBB320_66:                             ;   in Loop: Header=BB320_37 Depth=1
	s_or_b64 exec, exec, s[18:19]
	s_andn2_b64 s[0:1], s[8:9], exec
	s_and_b64 s[2:3], vcc, exec
	s_or_b64 s[8:9], s[0:1], s[2:3]
.LBB320_67:                             ;   in Loop: Header=BB320_37 Depth=1
	s_or_b64 exec, exec, s[10:11]
	s_and_saveexec_b64 s[0:1], s[8:9]
	s_cbranch_execz .LBB320_36
; %bb.68:                               ;   in Loop: Header=BB320_37 Depth=1
	scratch_load_dword v1, v1, off
	s_waitcnt vmcnt(0)
	v_mul_f32_e32 v1, v8, v1
	global_store_dword v[4:5], v1, off
	s_branch .LBB320_36
.LBB320_69:
	s_bitcmp0_b32 s12, 0
	s_mov_b32 s17, 0
	s_cbranch_scc1 .LBB320_31
; %bb.70:
	v_lshl_add_u64 v[2:3], s[16:17], 3, v[2:3]
	global_load_dword v1, v[2:3], off
	v_mov_b32_e32 v2, 0
	s_waitcnt vmcnt(0)
	v_cmp_eq_u32_e64 s[8:9], v12, v1
	v_cmp_ne_u32_e32 vcc, v12, v1
	s_and_saveexec_b64 s[10:11], vcc
	s_cbranch_execz .LBB320_84
; %bb.71:
	v_cmp_eq_u32_e32 vcc, v23, v1
	v_cmp_ne_u32_e64 s[0:1], v23, v1
	s_and_saveexec_b64 s[12:13], s[0:1]
	s_cbranch_execz .LBB320_83
; %bb.72:
	v_cmp_eq_u32_e64 s[0:1], v22, v1
	v_cmp_ne_u32_e64 s[2:3], v22, v1
	s_and_saveexec_b64 s[18:19], s[2:3]
	s_cbranch_execz .LBB320_82
; %bb.73:
	v_cmp_eq_u32_e64 s[2:3], v21, v1
	;; [unrolled: 5-line block ×5, first 2 shown]
	v_cmp_ne_u32_e64 s[6:7], v15, v1
	s_and_saveexec_b64 s[30:31], s[6:7]
; %bb.77:
	v_cmp_eq_u32_e64 s[6:7], v13, v1
	s_andn2_b64 s[28:29], s[28:29], exec
	s_and_b64 s[6:7], s[6:7], exec
	s_or_b64 s[28:29], s[28:29], s[6:7]
	v_mov_b32_e32 v9, v10
; %bb.78:
	s_or_b64 exec, exec, s[30:31]
	s_andn2_b64 s[6:7], s[24:25], exec
	s_and_b64 s[24:25], s[28:29], exec
	s_or_b64 s[24:25], s[6:7], s[24:25]
	v_mov_b32_e32 v11, v9
.LBB320_79:
	s_or_b64 exec, exec, s[26:27]
	s_andn2_b64 s[4:5], s[4:5], exec
	s_and_b64 s[6:7], s[24:25], exec
	s_or_b64 s[4:5], s[4:5], s[6:7]
	v_mov_b32_e32 v14, v11
.LBB320_80:
	s_or_b64 exec, exec, s[22:23]
	s_andn2_b64 s[2:3], s[2:3], exec
	s_and_b64 s[4:5], s[4:5], exec
	s_or_b64 s[2:3], s[2:3], s[4:5]
	v_mov_b32_e32 v16, v14
.LBB320_81:
	s_or_b64 exec, exec, s[20:21]
	s_andn2_b64 s[0:1], s[0:1], exec
	s_and_b64 s[2:3], s[2:3], exec
	s_or_b64 s[0:1], s[0:1], s[2:3]
	v_mov_b32_e32 v18, v16
.LBB320_82:
	s_or_b64 exec, exec, s[18:19]
	s_andn2_b64 s[2:3], vcc, exec
	s_and_b64 s[0:1], s[0:1], exec
	s_or_b64 vcc, s[2:3], s[0:1]
	v_mov_b32_e32 v20, v18
.LBB320_83:
	s_or_b64 exec, exec, s[12:13]
	s_andn2_b64 s[0:1], s[8:9], exec
	s_and_b64 s[2:3], vcc, exec
	s_or_b64 s[8:9], s[0:1], s[2:3]
	v_mov_b32_e32 v2, v20
.LBB320_84:
	s_or_b64 exec, exec, s[10:11]
	s_and_b64 exec, exec, s[8:9]
	s_cbranch_execz .LBB320_31
; %bb.85:
	scratch_load_dword v2, v2, off
	v_add_u32_e32 v0, s16, v0
	v_ashrrev_i32_e32 v1, 31, v0
	s_waitcnt lgkmcnt(0)
	v_lshl_add_u64 v[0:1], v[0:1], 2, s[14:15]
	s_waitcnt vmcnt(0)
	v_mul_f32_e32 v2, v8, v2
	global_store_dword v[0:1], v2, off
	s_endpgm
	.section	.rodata,"a",@progbits
	.p2align	6, 0x0
	.amdhsa_kernel _ZN4vllm3moe22topkGatingSoftplusSqrtILi8ELi32ELi4ELi16ELi64ELb1El6__halfEEvPKT6_PKbPfiPT5_PiiiibdPKfPKS9_SF_
		.amdhsa_group_segment_fixed_size 0
		.amdhsa_private_segment_fixed_size 48
		.amdhsa_kernarg_size 96
		.amdhsa_user_sgpr_count 2
		.amdhsa_user_sgpr_dispatch_ptr 0
		.amdhsa_user_sgpr_queue_ptr 0
		.amdhsa_user_sgpr_kernarg_segment_ptr 1
		.amdhsa_user_sgpr_dispatch_id 0
		.amdhsa_user_sgpr_kernarg_preload_length 0
		.amdhsa_user_sgpr_kernarg_preload_offset 0
		.amdhsa_user_sgpr_private_segment_size 0
		.amdhsa_uses_dynamic_stack 0
		.amdhsa_enable_private_segment 1
		.amdhsa_system_sgpr_workgroup_id_x 1
		.amdhsa_system_sgpr_workgroup_id_y 0
		.amdhsa_system_sgpr_workgroup_id_z 0
		.amdhsa_system_sgpr_workgroup_info 0
		.amdhsa_system_vgpr_workitem_id 1
		.amdhsa_next_free_vgpr 29
		.amdhsa_next_free_sgpr 36
		.amdhsa_accum_offset 32
		.amdhsa_reserve_vcc 1
		.amdhsa_float_round_mode_32 0
		.amdhsa_float_round_mode_16_64 0
		.amdhsa_float_denorm_mode_32 3
		.amdhsa_float_denorm_mode_16_64 3
		.amdhsa_dx10_clamp 1
		.amdhsa_ieee_mode 1
		.amdhsa_fp16_overflow 0
		.amdhsa_tg_split 0
		.amdhsa_exception_fp_ieee_invalid_op 0
		.amdhsa_exception_fp_denorm_src 0
		.amdhsa_exception_fp_ieee_div_zero 0
		.amdhsa_exception_fp_ieee_overflow 0
		.amdhsa_exception_fp_ieee_underflow 0
		.amdhsa_exception_fp_ieee_inexact 0
		.amdhsa_exception_int_div_zero 0
	.end_amdhsa_kernel
	.section	.text._ZN4vllm3moe22topkGatingSoftplusSqrtILi8ELi32ELi4ELi16ELi64ELb1El6__halfEEvPKT6_PKbPfiPT5_PiiiibdPKfPKS9_SF_,"axG",@progbits,_ZN4vllm3moe22topkGatingSoftplusSqrtILi8ELi32ELi4ELi16ELi64ELb1El6__halfEEvPKT6_PKbPfiPT5_PiiiibdPKfPKS9_SF_,comdat
.Lfunc_end320:
	.size	_ZN4vllm3moe22topkGatingSoftplusSqrtILi8ELi32ELi4ELi16ELi64ELb1El6__halfEEvPKT6_PKbPfiPT5_PiiiibdPKfPKS9_SF_, .Lfunc_end320-_ZN4vllm3moe22topkGatingSoftplusSqrtILi8ELi32ELi4ELi16ELi64ELb1El6__halfEEvPKT6_PKbPfiPT5_PiiiibdPKfPKS9_SF_
                                        ; -- End function
	.section	.AMDGPU.csdata,"",@progbits
; Kernel info:
; codeLenInByte = 4552
; NumSgprs: 42
; NumVgprs: 29
; NumAgprs: 0
; TotalNumVgprs: 29
; ScratchSize: 48
; MemoryBound: 0
; FloatMode: 240
; IeeeMode: 1
; LDSByteSize: 0 bytes/workgroup (compile time only)
; SGPRBlocks: 5
; VGPRBlocks: 3
; NumSGPRsForWavesPerEU: 42
; NumVGPRsForWavesPerEU: 29
; AccumOffset: 32
; Occupancy: 8
; WaveLimiterHint : 1
; COMPUTE_PGM_RSRC2:SCRATCH_EN: 1
; COMPUTE_PGM_RSRC2:USER_SGPR: 2
; COMPUTE_PGM_RSRC2:TRAP_HANDLER: 0
; COMPUTE_PGM_RSRC2:TGID_X_EN: 1
; COMPUTE_PGM_RSRC2:TGID_Y_EN: 0
; COMPUTE_PGM_RSRC2:TGID_Z_EN: 0
; COMPUTE_PGM_RSRC2:TIDIG_COMP_CNT: 1
; COMPUTE_PGM_RSRC3_GFX90A:ACCUM_OFFSET: 7
; COMPUTE_PGM_RSRC3_GFX90A:TG_SPLIT: 0
	.section	.text._ZN4vllm3moe22topkGatingSoftplusSqrtILi8ELi32ELi4ELi16ELi64ELb0El6__halfEEvPKT6_PKbPfiPT5_PiiiibdPKfPKS9_SF_,"axG",@progbits,_ZN4vllm3moe22topkGatingSoftplusSqrtILi8ELi32ELi4ELi16ELi64ELb0El6__halfEEvPKT6_PKbPfiPT5_PiiiibdPKfPKS9_SF_,comdat
	.protected	_ZN4vllm3moe22topkGatingSoftplusSqrtILi8ELi32ELi4ELi16ELi64ELb0El6__halfEEvPKT6_PKbPfiPT5_PiiiibdPKfPKS9_SF_ ; -- Begin function _ZN4vllm3moe22topkGatingSoftplusSqrtILi8ELi32ELi4ELi16ELi64ELb0El6__halfEEvPKT6_PKbPfiPT5_PiiiibdPKfPKS9_SF_
	.globl	_ZN4vllm3moe22topkGatingSoftplusSqrtILi8ELi32ELi4ELi16ELi64ELb0El6__halfEEvPKT6_PKbPfiPT5_PiiiibdPKfPKS9_SF_
	.p2align	8
	.type	_ZN4vllm3moe22topkGatingSoftplusSqrtILi8ELi32ELi4ELi16ELi64ELb0El6__halfEEvPKT6_PKbPfiPT5_PiiiibdPKfPKS9_SF_,@function
_ZN4vllm3moe22topkGatingSoftplusSqrtILi8ELi32ELi4ELi16ELi64ELb0El6__halfEEvPKT6_PKbPfiPT5_PiiiibdPKfPKS9_SF_: ; @_ZN4vllm3moe22topkGatingSoftplusSqrtILi8ELi32ELi4ELi16ELi64ELb0El6__halfEEvPKT6_PKbPfiPT5_PiiiibdPKfPKS9_SF_
; %bb.0:
	s_load_dword s33, s[0:1], 0x18
	v_bfe_u32 v1, v0, 10, 10
	v_and_b32_e32 v0, 0x3ff, v0
	s_lshl_b32 s2, s2, 6
	v_lshlrev_b32_e32 v1, 4, v1
	v_lshrrev_b32_e32 v2, 2, v0
	v_add3_u32 v8, s2, v1, v2
	s_waitcnt lgkmcnt(0)
	v_cmp_gt_i32_e32 vcc, s33, v8
	s_and_saveexec_b64 s[2:3], vcc
	s_cbranch_execz .LBB321_53
; %bb.1:
	s_load_dwordx4 s[4:7], s[0:1], 0x0
	s_load_dwordx2 s[34:35], s[0:1], 0x10
	s_waitcnt lgkmcnt(0)
	s_cmp_eq_u64 s[6:7], 0
	s_cbranch_scc1 .LBB321_3
; %bb.2:
	v_ashrrev_i32_e32 v9, 31, v8
	v_lshl_add_u64 v[2:3], s[6:7], 0, v[8:9]
	global_load_ubyte v1, v[2:3], off
	s_waitcnt vmcnt(0)
	v_and_b32_e32 v1, 1, v1
	v_cmp_eq_u32_e32 vcc, 1, v1
	s_xor_b64 s[2:3], vcc, -1
	s_orn2_b64 s[36:37], s[2:3], exec
	s_branch .LBB321_4
.LBB321_3:
	s_mov_b64 s[36:37], -1
.LBB321_4:
	v_lshlrev_b32_e32 v4, 5, v8
	v_mov_b32_e32 v2, s4
	v_mov_b32_e32 v3, s5
	v_ashrrev_i32_e32 v5, 31, v4
	v_and_b32_e32 v9, 3, v0
	v_lshl_add_u64 v[2:3], v[4:5], 1, v[2:3]
	v_mov_b32_e32 v1, 0
	v_lshlrev_b32_e32 v0, 4, v9
	v_lshl_add_u64 v[0:1], v[2:3], 0, v[0:1]
	global_load_dwordx4 v[4:7], v[0:1], off
	s_mov_b32 s12, 0x800000
	v_mov_b32_e32 v2, 0x4f800000
	s_mov_b32 s9, 0x3f317217
	s_mov_b32 s10, 0x7f800000
	v_mov_b32_e32 v3, 0x41b17218
	s_movk_i32 s8, 0x4d00
	s_mov_b32 s11, 0xf800000
	s_load_dwordx4 s[20:23], s[0:1], 0x40
	v_lshlrev_b32_e32 v12, 3, v9
	s_waitcnt lgkmcnt(0)
	s_cmp_lg_u64 s[22:23], 0
	s_cselect_b64 s[6:7], -1, 0
	s_and_b64 s[2:3], exec, s[6:7]
	s_waitcnt vmcnt(0)
	v_cvt_f32_f16_e32 v0, v4
	v_mul_f32_e32 v1, 0x3fb8aa3b, v0
	v_exp_f32_e32 v10, v1
	v_mov_b32_e32 v1, 0x260
	v_add_f32_e32 v10, 1.0, v10
	v_cmp_gt_f32_e32 vcc, s12, v10
	s_nop 1
	v_cndmask_b32_e32 v11, 1.0, v2, vcc
	v_mul_f32_e32 v10, v10, v11
	v_log_f32_e32 v11, v10
	v_cndmask_b32_e32 v13, 0, v3, vcc
	v_lshlrev_b32_e32 v10, 2, v12
	v_mul_f32_e32 v14, 0x3f317217, v11
	v_fma_f32 v14, v11, s9, -v14
	v_fmac_f32_e32 v14, 0x3377d1cf, v11
	v_fmac_f32_e32 v14, 0x3f317217, v11
	v_cmp_lt_f32_e64 vcc, |v11|, s10
	s_nop 1
	v_cndmask_b32_e32 v11, v11, v14, vcc
	v_sub_f32_e32 v11, v11, v13
	v_cmp_lt_f16_e32 vcc, s8, v4
	s_nop 1
	v_cndmask_b32_e32 v0, v11, v0, vcc
	v_mul_f32_e32 v11, 0x4f800000, v0
	v_cmp_gt_f32_e32 vcc, s11, v0
	s_nop 1
	v_cndmask_b32_e32 v0, v0, v11, vcc
	v_sqrt_f32_e32 v11, v0
	s_nop 0
	v_add_u32_e32 v13, -1, v11
	v_add_u32_e32 v14, 1, v11
	v_fma_f32 v15, -v13, v11, v0
	v_fma_f32 v16, -v14, v11, v0
	v_cmp_ge_f32_e64 s[4:5], 0, v15
	s_nop 1
	v_cndmask_b32_e64 v11, v11, v13, s[4:5]
	v_cmp_lt_f32_e64 s[4:5], 0, v16
	s_nop 1
	v_cndmask_b32_e64 v11, v11, v14, s[4:5]
	v_mul_f32_e32 v13, 0x37800000, v11
	v_cndmask_b32_e32 v11, v11, v13, vcc
	v_cmp_class_f32_e32 vcc, v0, v1
	s_nop 1
	v_cndmask_b32_e32 v0, v11, v0, vcc
	s_mov_b64 vcc, s[2:3]
	s_cbranch_vccz .LBB321_6
; %bb.5:
	global_load_dword v11, v10, s[22:23]
	s_waitcnt vmcnt(0)
	v_add_f32_e32 v0, v0, v11
.LBB321_6:
	v_cvt_f32_f16_sdwa v11, v4 dst_sel:DWORD dst_unused:UNUSED_PAD src0_sel:WORD_1
	v_mul_f32_e32 v13, 0x3fb8aa3b, v11
	v_exp_f32_e32 v13, v13
	s_nop 0
	v_add_f32_e32 v13, 1.0, v13
	v_cmp_gt_f32_e32 vcc, s12, v13
	s_nop 1
	v_cndmask_b32_e32 v2, 1.0, v2, vcc
	v_mul_f32_e32 v2, v13, v2
	v_log_f32_e32 v2, v2
	v_cndmask_b32_e32 v3, 0, v3, vcc
	v_mul_f32_e32 v13, 0x3f317217, v2
	v_fma_f32 v13, v2, s9, -v13
	v_fmac_f32_e32 v13, 0x3377d1cf, v2
	v_fmac_f32_e32 v13, 0x3f317217, v2
	v_cmp_lt_f32_e64 vcc, |v2|, s10
	s_nop 1
	v_cndmask_b32_e32 v2, v2, v13, vcc
	v_sub_f32_e32 v2, v2, v3
	v_cmp_gt_f16_sdwa vcc, v4, s8 src0_sel:WORD_1 src1_sel:DWORD
	v_cndmask_b32_e64 v4, 0, 1, s[6:7]
	v_cmp_ne_u32_e64 s[2:3], 1, v4
	v_cndmask_b32_e32 v2, v2, v11, vcc
	v_mul_f32_e32 v3, 0x4f800000, v2
	v_cmp_gt_f32_e64 s[4:5], s11, v2
	s_andn2_b64 vcc, exec, s[6:7]
	s_nop 0
	v_cndmask_b32_e64 v2, v2, v3, s[4:5]
	v_sqrt_f32_e32 v3, v2
	s_nop 0
	v_add_u32_e32 v4, -1, v3
	v_add_u32_e32 v11, 1, v3
	v_fma_f32 v13, -v4, v3, v2
	v_fma_f32 v14, -v11, v3, v2
	v_cmp_ge_f32_e64 s[6:7], 0, v13
	s_nop 1
	v_cndmask_b32_e64 v3, v3, v4, s[6:7]
	v_cmp_lt_f32_e64 s[6:7], 0, v14
	s_nop 1
	v_cndmask_b32_e64 v3, v3, v11, s[6:7]
	v_mul_f32_e32 v4, 0x37800000, v3
	v_cndmask_b32_e64 v3, v3, v4, s[4:5]
	v_cmp_class_f32_e64 s[4:5], v2, v1
	s_nop 1
	v_cndmask_b32_e64 v1, v3, v2, s[4:5]
	s_cbranch_vccnz .LBB321_8
; %bb.7:
	global_load_dword v2, v10, s[22:23] offset:4
	s_waitcnt vmcnt(0)
	v_add_f32_e32 v1, v1, v2
.LBB321_8:
	v_cvt_f32_f16_e32 v2, v5
	s_mov_b32 s8, 0x800000
	v_mov_b32_e32 v4, 0x4f800000
	s_mov_b32 s7, 0x3f317217
	v_mul_f32_e32 v3, 0x3fb8aa3b, v2
	v_exp_f32_e32 v3, v3
	s_mov_b32 s9, 0x7f800000
	s_movk_i32 s6, 0x4d00
	s_mov_b32 s10, 0xf800000
	v_add_f32_e32 v3, 1.0, v3
	v_cmp_gt_f32_e32 vcc, s8, v3
	s_nop 1
	v_cndmask_b32_e32 v11, 1.0, v4, vcc
	v_mul_f32_e32 v3, v3, v11
	v_log_f32_e32 v3, v3
	v_mov_b32_e32 v11, 0x41b17218
	v_cndmask_b32_e32 v13, 0, v11, vcc
	v_mul_f32_e32 v14, 0x3f317217, v3
	v_fma_f32 v14, v3, s7, -v14
	v_fmac_f32_e32 v14, 0x3377d1cf, v3
	v_fmac_f32_e32 v14, 0x3f317217, v3
	v_cmp_lt_f32_e64 vcc, |v3|, s9
	s_nop 1
	v_cndmask_b32_e32 v3, v3, v14, vcc
	v_sub_f32_e32 v3, v3, v13
	v_cmp_lt_f16_e32 vcc, s6, v5
	s_nop 1
	v_cndmask_b32_e32 v2, v3, v2, vcc
	v_mul_f32_e32 v3, 0x4f800000, v2
	v_cmp_gt_f32_e32 vcc, s10, v2
	s_nop 1
	v_cndmask_b32_e32 v2, v2, v3, vcc
	v_sqrt_f32_e32 v3, v2
	s_nop 0
	v_add_u32_e32 v13, -1, v3
	v_fma_f32 v14, -v13, v3, v2
	v_cmp_ge_f32_e64 s[4:5], 0, v14
	v_add_u32_e32 v14, 1, v3
	s_nop 0
	v_cndmask_b32_e64 v13, v3, v13, s[4:5]
	v_fma_f32 v3, -v14, v3, v2
	v_cmp_lt_f32_e64 s[4:5], 0, v3
	s_nop 1
	v_cndmask_b32_e64 v3, v13, v14, s[4:5]
	v_mul_f32_e32 v13, 0x37800000, v3
	v_cndmask_b32_e32 v13, v3, v13, vcc
	v_mov_b32_e32 v3, 0x260
	v_cmp_class_f32_e64 s[4:5], v2, v3
	s_and_b64 vcc, exec, s[2:3]
	s_nop 0
	v_cndmask_b32_e64 v2, v13, v2, s[4:5]
	s_cbranch_vccnz .LBB321_10
; %bb.9:
	global_load_dword v13, v10, s[22:23] offset:8
	s_waitcnt vmcnt(0)
	v_add_f32_e32 v2, v2, v13
.LBB321_10:
	v_cvt_f32_f16_sdwa v13, v5 dst_sel:DWORD dst_unused:UNUSED_PAD src0_sel:WORD_1
	v_mul_f32_e32 v14, 0x3fb8aa3b, v13
	v_exp_f32_e32 v14, v14
	s_nop 0
	v_add_f32_e32 v14, 1.0, v14
	v_cmp_gt_f32_e32 vcc, s8, v14
	s_nop 1
	v_cndmask_b32_e32 v4, 1.0, v4, vcc
	v_mul_f32_e32 v4, v14, v4
	v_log_f32_e32 v4, v4
	v_cndmask_b32_e32 v11, 0, v11, vcc
	v_mul_f32_e32 v14, 0x3f317217, v4
	v_fma_f32 v14, v4, s7, -v14
	v_fmac_f32_e32 v14, 0x3377d1cf, v4
	v_fmac_f32_e32 v14, 0x3f317217, v4
	v_cmp_lt_f32_e64 vcc, |v4|, s9
	s_nop 1
	v_cndmask_b32_e32 v4, v4, v14, vcc
	v_sub_f32_e32 v4, v4, v11
	v_cmp_gt_f16_sdwa vcc, v5, s6 src0_sel:WORD_1 src1_sel:DWORD
	s_nop 1
	v_cndmask_b32_e32 v4, v4, v13, vcc
	v_mul_f32_e32 v5, 0x4f800000, v4
	v_cmp_gt_f32_e64 s[4:5], s10, v4
	s_and_b64 vcc, exec, s[2:3]
	s_nop 0
	v_cndmask_b32_e64 v4, v4, v5, s[4:5]
	v_sqrt_f32_e32 v5, v4
	s_nop 0
	v_add_u32_e32 v11, -1, v5
	v_add_u32_e32 v13, 1, v5
	v_fma_f32 v14, -v11, v5, v4
	v_fma_f32 v15, -v13, v5, v4
	v_cmp_ge_f32_e64 s[6:7], 0, v14
	s_nop 1
	v_cndmask_b32_e64 v5, v5, v11, s[6:7]
	v_cmp_lt_f32_e64 s[6:7], 0, v15
	s_nop 1
	v_cndmask_b32_e64 v5, v5, v13, s[6:7]
	v_mul_f32_e32 v11, 0x37800000, v5
	v_cndmask_b32_e64 v5, v5, v11, s[4:5]
	v_cmp_class_f32_e64 s[4:5], v4, v3
	s_nop 1
	v_cndmask_b32_e64 v3, v5, v4, s[4:5]
	s_cbranch_vccnz .LBB321_12
; %bb.11:
	global_load_dword v4, v10, s[22:23] offset:12
	s_waitcnt vmcnt(0)
	v_add_f32_e32 v3, v3, v4
.LBB321_12:
	v_cvt_f32_f16_e32 v4, v6
	v_mov_b32_e32 v11, 0x4f800000
	s_mov_b32 s7, 0x3f317217
	s_movk_i32 s6, 0x4d00
	v_mul_f32_e32 v5, 0x3fb8aa3b, v4
	v_exp_f32_e32 v5, v5
	s_nop 0
	v_add_f32_e32 v5, 1.0, v5
	v_cmp_gt_f32_e32 vcc, s8, v5
	s_nop 1
	v_cndmask_b32_e32 v13, 1.0, v11, vcc
	v_mul_f32_e32 v5, v5, v13
	v_log_f32_e32 v5, v5
	v_mov_b32_e32 v13, 0x41b17218
	v_cndmask_b32_e32 v14, 0, v13, vcc
	v_mul_f32_e32 v15, 0x3f317217, v5
	v_fma_f32 v15, v5, s7, -v15
	v_fmac_f32_e32 v15, 0x3377d1cf, v5
	v_fmac_f32_e32 v15, 0x3f317217, v5
	v_cmp_lt_f32_e64 vcc, |v5|, s9
	s_nop 1
	v_cndmask_b32_e32 v5, v5, v15, vcc
	v_sub_f32_e32 v5, v5, v14
	v_cmp_lt_f16_e32 vcc, s6, v6
	s_nop 1
	v_cndmask_b32_e32 v4, v5, v4, vcc
	v_mul_f32_e32 v5, 0x4f800000, v4
	v_cmp_gt_f32_e32 vcc, s10, v4
	s_nop 1
	v_cndmask_b32_e32 v4, v4, v5, vcc
	v_sqrt_f32_e32 v5, v4
	s_nop 0
	v_add_u32_e32 v14, -1, v5
	v_fma_f32 v15, -v14, v5, v4
	v_cmp_ge_f32_e64 s[4:5], 0, v15
	v_add_u32_e32 v15, 1, v5
	s_nop 0
	v_cndmask_b32_e64 v14, v5, v14, s[4:5]
	v_fma_f32 v5, -v15, v5, v4
	v_cmp_lt_f32_e64 s[4:5], 0, v5
	s_nop 1
	v_cndmask_b32_e64 v5, v14, v15, s[4:5]
	v_mul_f32_e32 v14, 0x37800000, v5
	v_cndmask_b32_e32 v14, v5, v14, vcc
	v_mov_b32_e32 v5, 0x260
	v_cmp_class_f32_e64 s[4:5], v4, v5
	s_and_b64 vcc, exec, s[2:3]
	s_nop 0
	v_cndmask_b32_e64 v4, v14, v4, s[4:5]
	s_cbranch_vccnz .LBB321_14
; %bb.13:
	global_load_dword v14, v10, s[22:23] offset:16
	s_waitcnt vmcnt(0)
	v_add_f32_e32 v4, v4, v14
.LBB321_14:
	v_cvt_f32_f16_sdwa v14, v6 dst_sel:DWORD dst_unused:UNUSED_PAD src0_sel:WORD_1
	v_mul_f32_e32 v15, 0x3fb8aa3b, v14
	v_exp_f32_e32 v15, v15
	s_nop 0
	v_add_f32_e32 v15, 1.0, v15
	v_cmp_gt_f32_e32 vcc, s8, v15
	s_nop 1
	v_cndmask_b32_e32 v11, 1.0, v11, vcc
	v_mul_f32_e32 v11, v15, v11
	v_log_f32_e32 v11, v11
	v_cndmask_b32_e32 v13, 0, v13, vcc
	v_mul_f32_e32 v15, 0x3f317217, v11
	v_fma_f32 v15, v11, s7, -v15
	v_fmac_f32_e32 v15, 0x3377d1cf, v11
	v_fmac_f32_e32 v15, 0x3f317217, v11
	v_cmp_lt_f32_e64 vcc, |v11|, s9
	s_nop 1
	v_cndmask_b32_e32 v11, v11, v15, vcc
	v_sub_f32_e32 v11, v11, v13
	v_cmp_gt_f16_sdwa vcc, v6, s6 src0_sel:WORD_1 src1_sel:DWORD
	s_nop 1
	v_cndmask_b32_e32 v6, v11, v14, vcc
	v_mul_f32_e32 v11, 0x4f800000, v6
	v_cmp_gt_f32_e64 s[4:5], s10, v6
	s_and_b64 vcc, exec, s[2:3]
	s_nop 0
	v_cndmask_b32_e64 v6, v6, v11, s[4:5]
	v_sqrt_f32_e32 v11, v6
	s_nop 0
	v_add_u32_e32 v13, -1, v11
	v_add_u32_e32 v14, 1, v11
	v_fma_f32 v15, -v13, v11, v6
	v_fma_f32 v16, -v14, v11, v6
	v_cmp_ge_f32_e64 s[6:7], 0, v15
	s_nop 1
	v_cndmask_b32_e64 v11, v11, v13, s[6:7]
	v_cmp_lt_f32_e64 s[6:7], 0, v16
	s_nop 1
	v_cndmask_b32_e64 v11, v11, v14, s[6:7]
	v_mul_f32_e32 v13, 0x37800000, v11
	v_cndmask_b32_e64 v11, v11, v13, s[4:5]
	v_cmp_class_f32_e64 s[4:5], v6, v5
	s_nop 1
	v_cndmask_b32_e64 v5, v11, v6, s[4:5]
	s_cbranch_vccnz .LBB321_16
; %bb.15:
	global_load_dword v6, v10, s[22:23] offset:20
	s_waitcnt vmcnt(0)
	v_add_f32_e32 v5, v5, v6
.LBB321_16:
	v_cvt_f32_f16_e32 v6, v7
	v_mov_b32_e32 v13, 0x4f800000
	s_mov_b32 s7, 0x3f317217
	s_movk_i32 s6, 0x4d00
	v_mul_f32_e32 v11, 0x3fb8aa3b, v6
	v_exp_f32_e32 v11, v11
	s_nop 0
	v_add_f32_e32 v11, 1.0, v11
	v_cmp_gt_f32_e32 vcc, s8, v11
	s_nop 1
	v_cndmask_b32_e32 v14, 1.0, v13, vcc
	v_mul_f32_e32 v11, v11, v14
	v_log_f32_e32 v11, v11
	v_mov_b32_e32 v14, 0x41b17218
	v_cndmask_b32_e32 v15, 0, v14, vcc
	v_mul_f32_e32 v16, 0x3f317217, v11
	v_fma_f32 v16, v11, s7, -v16
	v_fmac_f32_e32 v16, 0x3377d1cf, v11
	v_fmac_f32_e32 v16, 0x3f317217, v11
	v_cmp_lt_f32_e64 vcc, |v11|, s9
	s_nop 1
	v_cndmask_b32_e32 v11, v11, v16, vcc
	v_sub_f32_e32 v11, v11, v15
	v_cmp_lt_f16_e32 vcc, s6, v7
	s_nop 1
	v_cndmask_b32_e32 v6, v11, v6, vcc
	v_mul_f32_e32 v11, 0x4f800000, v6
	v_cmp_gt_f32_e32 vcc, s10, v6
	s_nop 1
	v_cndmask_b32_e32 v6, v6, v11, vcc
	v_sqrt_f32_e32 v11, v6
	s_nop 0
	v_add_u32_e32 v15, -1, v11
	v_fma_f32 v16, -v15, v11, v6
	v_cmp_ge_f32_e64 s[4:5], 0, v16
	v_add_u32_e32 v16, 1, v11
	s_nop 0
	v_cndmask_b32_e64 v15, v11, v15, s[4:5]
	v_fma_f32 v11, -v16, v11, v6
	v_cmp_lt_f32_e64 s[4:5], 0, v11
	s_nop 1
	v_cndmask_b32_e64 v11, v15, v16, s[4:5]
	v_mul_f32_e32 v15, 0x37800000, v11
	v_cndmask_b32_e32 v15, v11, v15, vcc
	v_mov_b32_e32 v11, 0x260
	v_cmp_class_f32_e64 s[4:5], v6, v11
	s_and_b64 vcc, exec, s[2:3]
	s_nop 0
	v_cndmask_b32_e64 v6, v15, v6, s[4:5]
	s_cbranch_vccnz .LBB321_18
; %bb.17:
	global_load_dword v15, v10, s[22:23] offset:24
	s_waitcnt vmcnt(0)
	v_add_f32_e32 v6, v6, v15
.LBB321_18:
	v_cvt_f32_f16_sdwa v15, v7 dst_sel:DWORD dst_unused:UNUSED_PAD src0_sel:WORD_1
	v_mul_f32_e32 v16, 0x3fb8aa3b, v15
	v_exp_f32_e32 v16, v16
	s_nop 0
	v_add_f32_e32 v16, 1.0, v16
	v_cmp_gt_f32_e32 vcc, s8, v16
	s_nop 1
	v_cndmask_b32_e32 v13, 1.0, v13, vcc
	v_mul_f32_e32 v13, v16, v13
	v_log_f32_e32 v13, v13
	v_cndmask_b32_e32 v14, 0, v14, vcc
	v_mul_f32_e32 v16, 0x3f317217, v13
	v_fma_f32 v16, v13, s7, -v16
	v_fmac_f32_e32 v16, 0x3377d1cf, v13
	v_fmac_f32_e32 v16, 0x3f317217, v13
	v_cmp_lt_f32_e64 vcc, |v13|, s9
	s_nop 1
	v_cndmask_b32_e32 v13, v13, v16, vcc
	v_sub_f32_e32 v13, v13, v14
	v_cmp_gt_f16_sdwa vcc, v7, s6 src0_sel:WORD_1 src1_sel:DWORD
	s_nop 1
	v_cndmask_b32_e32 v7, v13, v15, vcc
	v_mul_f32_e32 v13, 0x4f800000, v7
	v_cmp_gt_f32_e64 s[4:5], s10, v7
	s_and_b64 vcc, exec, s[2:3]
	s_nop 0
	v_cndmask_b32_e64 v7, v7, v13, s[4:5]
	v_sqrt_f32_e32 v13, v7
	s_nop 0
	v_add_u32_e32 v14, -1, v13
	v_add_u32_e32 v15, 1, v13
	v_fma_f32 v16, -v14, v13, v7
	v_fma_f32 v17, -v15, v13, v7
	v_cmp_ge_f32_e64 s[6:7], 0, v16
	s_nop 1
	v_cndmask_b32_e64 v13, v13, v14, s[6:7]
	v_cmp_lt_f32_e64 s[6:7], 0, v17
	s_nop 1
	v_cndmask_b32_e64 v13, v13, v15, s[6:7]
	v_mul_f32_e32 v14, 0x37800000, v13
	v_cndmask_b32_e64 v13, v13, v14, s[4:5]
	v_cmp_class_f32_e64 s[4:5], v7, v11
	s_nop 1
	v_cndmask_b32_e64 v7, v13, v7, s[4:5]
	s_cbranch_vccnz .LBB321_20
; %bb.19:
	global_load_dword v10, v10, s[22:23] offset:28
	s_waitcnt vmcnt(0)
	v_add_f32_e32 v7, v7, v10
.LBB321_20:
	s_load_dwordx4 s[24:27], s[0:1], 0x30
	s_mov_b32 s42, 0
	v_cmp_eq_u32_e64 s[6:7], 0, v9
	s_waitcnt lgkmcnt(0)
	s_bitcmp1_b32 s27, 0
	s_cselect_b64 s[4:5], -1, 0
	s_cmp_gt_i32 s24, 0
	s_cselect_b64 s[38:39], -1, 0
	s_and_b64 vcc, exec, s[38:39]
	s_cbranch_vccz .LBB321_39
; %bb.21:
	v_mbcnt_lo_u32_b32 v10, -1, 0
	v_mbcnt_hi_u32_b32 v10, -1, v10
	v_and_b32_e32 v11, 0x7c, v10
	v_add_u32_e32 v11, 4, v11
	v_xor_b32_e32 v13, 2, v10
	v_cmp_lt_i32_e32 vcc, v13, v11
	s_load_dwordx4 s[28:31], s[0:1], 0x20
	v_mul_lo_u32 v14, v8, s24
	v_cndmask_b32_e32 v13, v10, v13, vcc
	v_lshlrev_b32_e32 v15, 2, v13
	v_xor_b32_e32 v13, 1, v10
	v_cmp_lt_i32_e32 vcc, v13, v11
	v_mov_b32_e32 v17, 0xc61c4000
	v_mov_b32_e32 v18, v8
	v_cndmask_b32_e32 v10, v10, v13, vcc
	v_lshlrev_b32_e32 v16, 2, v10
	v_mov_b32_e32 v13, 0
	s_branch .LBB321_24
.LBB321_22:                             ;   in Loop: Header=BB321_24 Depth=1
	s_or_b64 exec, exec, s[40:41]
.LBB321_23:                             ;   in Loop: Header=BB321_24 Depth=1
	s_cmp_eq_u32 s24, s42
	v_add_u32_e32 v18, s33, v18
	s_cbranch_scc1 .LBB321_40
.LBB321_24:                             ; =>This Inner Loop Header: Depth=1
	v_cmp_gt_f32_e32 vcc, v1, v0
	s_nop 1
	v_cndmask_b32_e32 v11, v0, v1, vcc
	v_cndmask_b32_e64 v10, 0, 1, vcc
	v_cmp_gt_f32_e32 vcc, v2, v11
	s_nop 1
	v_cndmask_b32_e32 v11, v11, v2, vcc
	v_cndmask_b32_e64 v10, v10, 2, vcc
	;; [unrolled: 4-line block ×6, first 2 shown]
	v_cmp_gt_f32_e32 vcc, v7, v11
	s_nop 1
	v_cndmask_b32_e64 v10, v10, 7, vcc
	v_cndmask_b32_e32 v19, v11, v7, vcc
	ds_bpermute_b32 v11, v15, v19
	v_or_b32_e32 v10, v12, v10
	s_waitcnt lgkmcnt(0)
	ds_bpermute_b32 v20, v15, v10
	s_waitcnt lgkmcnt(0)
	v_cmp_lt_f32_e64 s[8:9], v19, v11
	v_cmp_nlt_f32_e32 vcc, v19, v11
	s_and_saveexec_b64 s[10:11], vcc
; %bb.25:                               ;   in Loop: Header=BB321_24 Depth=1
	v_cmp_eq_f32_e32 vcc, v19, v11
	v_cmp_lt_i32_e64 s[0:1], v20, v10
	s_and_b64 s[0:1], vcc, s[0:1]
	s_andn2_b64 s[8:9], s[8:9], exec
	s_and_b64 s[0:1], s[0:1], exec
	s_or_b64 s[8:9], s[8:9], s[0:1]
; %bb.26:                               ;   in Loop: Header=BB321_24 Depth=1
	s_or_b64 exec, exec, s[10:11]
	s_and_saveexec_b64 s[0:1], s[8:9]
; %bb.27:                               ;   in Loop: Header=BB321_24 Depth=1
	v_mov_b32_e32 v19, v11
	v_mov_b32_e32 v10, v20
; %bb.28:                               ;   in Loop: Header=BB321_24 Depth=1
	s_or_b64 exec, exec, s[0:1]
	ds_bpermute_b32 v11, v16, v19
	ds_bpermute_b32 v20, v16, v10
	s_waitcnt lgkmcnt(1)
	v_cmp_lt_f32_e64 s[8:9], v19, v11
	v_cmp_nlt_f32_e32 vcc, v19, v11
	s_and_saveexec_b64 s[10:11], vcc
	s_cbranch_execnz .LBB321_32
; %bb.29:                               ;   in Loop: Header=BB321_24 Depth=1
	s_or_b64 exec, exec, s[10:11]
	s_and_saveexec_b64 s[0:1], s[8:9]
	s_cbranch_execnz .LBB321_33
.LBB321_30:                             ;   in Loop: Header=BB321_24 Depth=1
	s_or_b64 exec, exec, s[0:1]
	s_and_saveexec_b64 s[8:9], s[6:7]
	s_cbranch_execnz .LBB321_34
.LBB321_31:                             ;   in Loop: Header=BB321_24 Depth=1
	s_or_b64 exec, exec, s[8:9]
	s_add_i32 s42, s42, 1
	s_cmp_ge_i32 s42, s24
	s_cbranch_scc1 .LBB321_23
	s_branch .LBB321_37
.LBB321_32:                             ;   in Loop: Header=BB321_24 Depth=1
	v_cmp_eq_f32_e32 vcc, v19, v11
	s_waitcnt lgkmcnt(0)
	v_cmp_lt_i32_e64 s[0:1], v20, v10
	s_and_b64 s[0:1], vcc, s[0:1]
	s_andn2_b64 s[8:9], s[8:9], exec
	s_and_b64 s[0:1], s[0:1], exec
	s_or_b64 s[8:9], s[8:9], s[0:1]
	s_or_b64 exec, exec, s[10:11]
	s_and_saveexec_b64 s[0:1], s[8:9]
	s_cbranch_execz .LBB321_30
.LBB321_33:                             ;   in Loop: Header=BB321_24 Depth=1
	s_waitcnt lgkmcnt(0)
	v_mov_b32_e32 v10, v20
	v_mov_b32_e32 v19, v11
	s_or_b64 exec, exec, s[0:1]
	s_and_saveexec_b64 s[8:9], s[6:7]
	s_cbranch_execz .LBB321_31
.LBB321_34:                             ;   in Loop: Header=BB321_24 Depth=1
	s_and_b64 vcc, exec, s[2:3]
	s_cbranch_vccnz .LBB321_36
; %bb.35:                               ;   in Loop: Header=BB321_24 Depth=1
	v_ashrrev_i32_e32 v11, 31, v10
	s_waitcnt lgkmcnt(0)
	v_lshl_add_u64 v[20:21], v[10:11], 2, s[22:23]
	global_load_dword v11, v[20:21], off
	s_waitcnt vmcnt(0)
	v_sub_f32_e32 v19, v19, v11
.LBB321_36:                             ;   in Loop: Header=BB321_24 Depth=1
	s_waitcnt lgkmcnt(0)
	v_add_u32_e32 v20, s42, v14
	v_ashrrev_i32_e32 v21, 31, v20
	v_cmp_le_i32_e32 vcc, s25, v10
	v_cmp_gt_i32_e64 s[0:1], s26, v10
	v_lshlrev_b64 v[22:23], 2, v[20:21]
	s_and_b64 s[0:1], vcc, s[0:1]
	v_lshl_add_u64 v[24:25], s[34:35], 0, v[22:23]
	v_subrev_u32_e32 v11, s25, v10
	global_store_dword v[24:25], v19, off
	v_ashrrev_i32_e32 v24, 31, v11
	s_and_b64 vcc, s[36:37], s[0:1]
	v_cndmask_b32_e32 v25, 0, v24, vcc
	v_cndmask_b32_e32 v24, 32, v11, vcc
	v_lshl_add_u64 v[20:21], v[20:21], 3, s[28:29]
	v_add_f32_e32 v11, v13, v19
	global_store_dwordx2 v[20:21], v[24:25], off
	v_lshl_add_u64 v[20:21], s[30:31], 0, v[22:23]
	v_cndmask_b32_e64 v13, v13, v11, s[4:5]
	global_store_dword v[20:21], v18, off
	s_or_b64 exec, exec, s[8:9]
	s_add_i32 s42, s42, 1
	s_cmp_ge_i32 s42, s24
	s_cbranch_scc1 .LBB321_23
.LBB321_37:                             ;   in Loop: Header=BB321_24 Depth=1
	v_ashrrev_i32_e32 v19, 31, v10
	v_lshrrev_b32_e32 v11, 29, v19
	v_add_u32_e32 v11, v10, v11
	v_ashrrev_i32_e32 v11, 3, v11
	s_waitcnt lgkmcnt(0)
	v_lshrrev_b32_e32 v20, 30, v11
	v_add_u32_e32 v20, v11, v20
	v_and_b32_e32 v20, -4, v20
	v_sub_u32_e32 v20, v11, v20
	v_cmp_eq_u32_e32 vcc, v9, v20
	s_and_saveexec_b64 s[40:41], vcc
	s_cbranch_execz .LBB321_22
; %bb.38:                               ;   in Loop: Header=BB321_24 Depth=1
	v_lshrrev_b32_e32 v19, 27, v19
	v_add_u32_e32 v19, v10, v19
	v_lshlrev_b32_e32 v11, 3, v11
	v_sub_u32_e32 v10, v10, v11
	v_ashrrev_i32_e32 v11, 5, v19
	v_lshl_add_u32 v10, v11, 3, v10
	v_cmp_ne_u32_e32 vcc, 6, v10
	v_cmp_ne_u32_e64 s[0:1], 5, v10
	v_cmp_ne_u32_e64 s[8:9], 4, v10
	v_cmp_ne_u32_e64 s[10:11], 3, v10
	v_cmp_ne_u32_e64 s[12:13], 2, v10
	v_cmp_ne_u32_e64 s[14:15], 1, v10
	v_cmp_ne_u32_e64 s[16:17], 0, v10
	v_cmp_ne_u32_e64 s[18:19], 7, v10
	v_cndmask_b32_e32 v6, v17, v6, vcc
	v_cndmask_b32_e64 v5, v17, v5, s[0:1]
	v_cndmask_b32_e64 v7, v17, v7, s[18:19]
	;; [unrolled: 1-line block ×7, first 2 shown]
	s_branch .LBB321_22
.LBB321_39:
	v_mov_b32_e32 v13, 0
.LBB321_40:
	v_cmp_eq_u32_e32 vcc, 0, v9
	s_and_b64 exec, exec, vcc
	s_cbranch_execz .LBB321_53
; %bb.41:
	s_andn2_b64 vcc, exec, s[4:5]
	v_cvt_f32_f64_e32 v0, s[20:21]
	s_cbranch_vccnz .LBB321_43
; %bb.42:
	v_cmp_lt_f32_e32 vcc, 0, v13
	s_nop 1
	v_cndmask_b32_e32 v1, 1.0, v13, vcc
	v_div_scale_f32 v2, s[0:1], v1, v1, v0
	v_rcp_f32_e32 v3, v2
	s_nop 0
	v_fma_f32 v4, -v2, v3, 1.0
	v_fmac_f32_e32 v3, v4, v3
	v_div_scale_f32 v4, vcc, v0, v1, v0
	v_mul_f32_e32 v5, v4, v3
	v_fma_f32 v6, -v2, v5, v4
	v_fmac_f32_e32 v5, v6, v3
	v_fma_f32 v2, -v2, v5, v4
	v_div_fmas_f32 v2, v2, v3, v5
	v_div_fixup_f32 v0, v2, v1, v0
.LBB321_43:
	s_andn2_b64 vcc, exec, s[38:39]
	s_cbranch_vccnz .LBB321_53
; %bb.44:
	v_mul_lo_u32 v2, v8, s24
	s_cmp_gt_u32 s24, 3
	v_ashrrev_i32_e32 v3, 31, v2
	s_cbranch_scc0 .LBB321_48
; %bb.45:
	s_and_b32 s0, s24, 0x7ffffffc
	v_lshl_add_u64 v[4:5], v[2:3], 2, s[34:35]
	v_mov_b32_e32 v1, v0
	v_lshl_add_u64 v[4:5], v[4:5], 0, 8
	s_mov_b32 s1, s0
.LBB321_46:                             ; =>This Inner Loop Header: Depth=1
	global_load_dwordx4 v[6:9], v[4:5], off offset:-8
	s_add_i32 s1, s1, -4
	s_cmp_lg_u32 s1, 0
	s_waitcnt vmcnt(0)
	v_pk_mul_f32 v[6:7], v[0:1], v[6:7]
	v_pk_mul_f32 v[8:9], v[0:1], v[8:9]
	global_store_dwordx4 v[4:5], v[6:9], off offset:-8
	v_lshl_add_u64 v[4:5], v[4:5], 0, 16
	s_cbranch_scc1 .LBB321_46
; %bb.47:
	s_cmp_lg_u32 s0, s24
	s_cselect_b64 s[2:3], -1, 0
	s_branch .LBB321_50
.LBB321_48:
	s_mov_b64 s[2:3], 0
                                        ; implicit-def: $sgpr0
	s_cbranch_execz .LBB321_50
; %bb.49:
	s_mov_b64 s[2:3], -1
	s_mov_b32 s0, 0
.LBB321_50:
	s_andn2_b64 vcc, exec, s[2:3]
	s_cbranch_vccnz .LBB321_53
; %bb.51:
	s_mov_b32 s1, 0
	v_lshl_add_u64 v[2:3], v[2:3], 0, s[0:1]
	s_sub_i32 s2, s24, s0
	v_lshl_add_u64 v[2:3], v[2:3], 2, s[34:35]
.LBB321_52:                             ; =>This Inner Loop Header: Depth=1
	global_load_dword v1, v[2:3], off
	s_add_i32 s2, s2, -1
	s_cmp_lg_u32 s2, 0
	s_waitcnt vmcnt(0)
	v_mul_f32_e32 v1, v0, v1
	global_store_dword v[2:3], v1, off
	v_lshl_add_u64 v[2:3], v[2:3], 0, 4
	s_cbranch_scc1 .LBB321_52
.LBB321_53:
	s_endpgm
	.section	.rodata,"a",@progbits
	.p2align	6, 0x0
	.amdhsa_kernel _ZN4vllm3moe22topkGatingSoftplusSqrtILi8ELi32ELi4ELi16ELi64ELb0El6__halfEEvPKT6_PKbPfiPT5_PiiiibdPKfPKS9_SF_
		.amdhsa_group_segment_fixed_size 0
		.amdhsa_private_segment_fixed_size 0
		.amdhsa_kernarg_size 96
		.amdhsa_user_sgpr_count 2
		.amdhsa_user_sgpr_dispatch_ptr 0
		.amdhsa_user_sgpr_queue_ptr 0
		.amdhsa_user_sgpr_kernarg_segment_ptr 1
		.amdhsa_user_sgpr_dispatch_id 0
		.amdhsa_user_sgpr_kernarg_preload_length 0
		.amdhsa_user_sgpr_kernarg_preload_offset 0
		.amdhsa_user_sgpr_private_segment_size 0
		.amdhsa_uses_dynamic_stack 0
		.amdhsa_enable_private_segment 0
		.amdhsa_system_sgpr_workgroup_id_x 1
		.amdhsa_system_sgpr_workgroup_id_y 0
		.amdhsa_system_sgpr_workgroup_id_z 0
		.amdhsa_system_sgpr_workgroup_info 0
		.amdhsa_system_vgpr_workitem_id 1
		.amdhsa_next_free_vgpr 26
		.amdhsa_next_free_sgpr 43
		.amdhsa_accum_offset 28
		.amdhsa_reserve_vcc 1
		.amdhsa_float_round_mode_32 0
		.amdhsa_float_round_mode_16_64 0
		.amdhsa_float_denorm_mode_32 3
		.amdhsa_float_denorm_mode_16_64 3
		.amdhsa_dx10_clamp 1
		.amdhsa_ieee_mode 1
		.amdhsa_fp16_overflow 0
		.amdhsa_tg_split 0
		.amdhsa_exception_fp_ieee_invalid_op 0
		.amdhsa_exception_fp_denorm_src 0
		.amdhsa_exception_fp_ieee_div_zero 0
		.amdhsa_exception_fp_ieee_overflow 0
		.amdhsa_exception_fp_ieee_underflow 0
		.amdhsa_exception_fp_ieee_inexact 0
		.amdhsa_exception_int_div_zero 0
	.end_amdhsa_kernel
	.section	.text._ZN4vllm3moe22topkGatingSoftplusSqrtILi8ELi32ELi4ELi16ELi64ELb0El6__halfEEvPKT6_PKbPfiPT5_PiiiibdPKfPKS9_SF_,"axG",@progbits,_ZN4vllm3moe22topkGatingSoftplusSqrtILi8ELi32ELi4ELi16ELi64ELb0El6__halfEEvPKT6_PKbPfiPT5_PiiiibdPKfPKS9_SF_,comdat
.Lfunc_end321:
	.size	_ZN4vllm3moe22topkGatingSoftplusSqrtILi8ELi32ELi4ELi16ELi64ELb0El6__halfEEvPKT6_PKbPfiPT5_PiiiibdPKfPKS9_SF_, .Lfunc_end321-_ZN4vllm3moe22topkGatingSoftplusSqrtILi8ELi32ELi4ELi16ELi64ELb0El6__halfEEvPKT6_PKbPfiPT5_PiiiibdPKfPKS9_SF_
                                        ; -- End function
	.section	.AMDGPU.csdata,"",@progbits
; Kernel info:
; codeLenInByte = 3828
; NumSgprs: 49
; NumVgprs: 26
; NumAgprs: 0
; TotalNumVgprs: 26
; ScratchSize: 0
; MemoryBound: 0
; FloatMode: 240
; IeeeMode: 1
; LDSByteSize: 0 bytes/workgroup (compile time only)
; SGPRBlocks: 6
; VGPRBlocks: 3
; NumSGPRsForWavesPerEU: 49
; NumVGPRsForWavesPerEU: 26
; AccumOffset: 28
; Occupancy: 8
; WaveLimiterHint : 0
; COMPUTE_PGM_RSRC2:SCRATCH_EN: 0
; COMPUTE_PGM_RSRC2:USER_SGPR: 2
; COMPUTE_PGM_RSRC2:TRAP_HANDLER: 0
; COMPUTE_PGM_RSRC2:TGID_X_EN: 1
; COMPUTE_PGM_RSRC2:TGID_Y_EN: 0
; COMPUTE_PGM_RSRC2:TGID_Z_EN: 0
; COMPUTE_PGM_RSRC2:TIDIG_COMP_CNT: 1
; COMPUTE_PGM_RSRC3_GFX90A:ACCUM_OFFSET: 6
; COMPUTE_PGM_RSRC3_GFX90A:TG_SPLIT: 0
	.section	.text._ZN4vllm3moe22topkGatingSoftplusSqrtILi8ELi32ELi4ELi16ELi32ELb1El6__halfEEvPKT6_PKbPfiPT5_PiiiibdPKfPKS9_SF_,"axG",@progbits,_ZN4vllm3moe22topkGatingSoftplusSqrtILi8ELi32ELi4ELi16ELi32ELb1El6__halfEEvPKT6_PKbPfiPT5_PiiiibdPKfPKS9_SF_,comdat
	.protected	_ZN4vllm3moe22topkGatingSoftplusSqrtILi8ELi32ELi4ELi16ELi32ELb1El6__halfEEvPKT6_PKbPfiPT5_PiiiibdPKfPKS9_SF_ ; -- Begin function _ZN4vllm3moe22topkGatingSoftplusSqrtILi8ELi32ELi4ELi16ELi32ELb1El6__halfEEvPKT6_PKbPfiPT5_PiiiibdPKfPKS9_SF_
	.globl	_ZN4vllm3moe22topkGatingSoftplusSqrtILi8ELi32ELi4ELi16ELi32ELb1El6__halfEEvPKT6_PKbPfiPT5_PiiiibdPKfPKS9_SF_
	.p2align	8
	.type	_ZN4vllm3moe22topkGatingSoftplusSqrtILi8ELi32ELi4ELi16ELi32ELb1El6__halfEEvPKT6_PKbPfiPT5_PiiiibdPKfPKS9_SF_,@function
_ZN4vllm3moe22topkGatingSoftplusSqrtILi8ELi32ELi4ELi16ELi32ELb1El6__halfEEvPKT6_PKbPfiPT5_PiiiibdPKfPKS9_SF_: ; @_ZN4vllm3moe22topkGatingSoftplusSqrtILi8ELi32ELi4ELi16ELi32ELb1El6__halfEEvPKT6_PKbPfiPT5_PiiiibdPKfPKS9_SF_
; %bb.0:
	s_load_dword s3, s[0:1], 0x18
	v_bfe_u32 v1, v0, 10, 10
	v_and_b32_e32 v10, 0x3ff, v0
	s_lshl_b32 s2, s2, 5
	v_lshlrev_b32_e32 v1, 3, v1
	v_lshrrev_b32_e32 v0, 2, v10
	v_add3_u32 v6, s2, v1, v0
	s_waitcnt lgkmcnt(0)
	v_cmp_gt_i32_e32 vcc, s3, v6
	s_and_saveexec_b64 s[2:3], vcc
	s_cbranch_execz .LBB322_31
; %bb.1:
	s_load_dwordx4 s[8:11], s[0:1], 0x50
	s_load_dwordx2 s[2:3], s[0:1], 0x0
	s_load_dword s12, s[0:1], 0x30
	v_lshlrev_b32_e32 v0, 5, v6
	v_lshlrev_b32_e32 v4, 3, v10
	v_ashrrev_i32_e32 v1, 31, v0
	v_and_b32_e32 v12, 24, v4
	s_waitcnt lgkmcnt(0)
	v_mov_b32_e32 v2, s8
	v_mov_b32_e32 v3, s9
	v_lshl_add_u64 v[0:1], v[0:1], 1, s[2:3]
	v_lshlrev_b32_e32 v4, 1, v12
	v_mov_b32_e32 v5, 0
	v_ashrrev_i32_e32 v7, 31, v6
	v_lshl_add_u64 v[2:3], v[6:7], 3, v[2:3]
	v_lshl_add_u64 v[0:1], v[0:1], 0, v[4:5]
	global_load_dwordx2 v[8:9], v[2:3], off
	s_mov_b32 s21, 0x800000
	global_load_dwordx4 v[0:3], v[0:1], off
	s_ashr_i32 s13, s12, 31
	v_mov_b32_e32 v4, 0x4f800000
	s_mov_b32 s19, 0x3f317217
	s_mov_b32 s20, 0x7f800000
	v_mov_b32_e32 v7, 0x41b17218
	s_movk_i32 s15, 0x4d00
	s_mov_b32 s18, 0xf800000
	v_mov_b32_e32 v11, 0x260
	v_cmp_lt_i64_e64 s[16:17], s[12:13], 1
	s_mov_b32 s14, 0
	v_cmp_gt_i64_e64 s[8:9], s[12:13], 0
	s_waitcnt vmcnt(1)
	v_mul_lo_u32 v13, v9, s12
	v_mul_lo_u32 v18, v8, s13
	s_waitcnt vmcnt(0)
	v_cvt_f32_f16_e32 v19, v0
	v_cvt_f32_f16_sdwa v20, v0 dst_sel:DWORD dst_unused:UNUSED_PAD src0_sel:WORD_1
	v_cvt_f32_f16_e32 v21, v1
	v_cvt_f32_f16_sdwa v22, v1 dst_sel:DWORD dst_unused:UNUSED_PAD src0_sel:WORD_1
	v_mul_f32_e32 v9, 0x3fb8aa3b, v19
	v_mul_f32_e32 v15, 0x3fb8aa3b, v20
	v_exp_f32_e32 v14, v9
	v_exp_f32_e32 v15, v15
	v_mul_f32_e32 v16, 0x3fb8aa3b, v21
	v_mul_f32_e32 v17, 0x3fb8aa3b, v22
	v_exp_f32_e32 v16, v16
	v_pk_add_f32 v[14:15], v[14:15], 1.0 op_sel_hi:[1,0]
	v_exp_f32_e32 v17, v17
	v_mad_u64_u32 v[8:9], s[2:3], v8, s12, 0
	v_cmp_gt_f32_e32 vcc, s21, v15
	v_add3_u32 v9, v9, v18, v13
	v_cmp_gt_f32_e64 s[2:3], s21, v14
	v_cndmask_b32_e32 v13, 1.0, v4, vcc
	v_mul_f32_e32 v13, v15, v13
	v_cndmask_b32_e64 v18, 1.0, v4, s[2:3]
	v_mul_f32_e32 v14, v14, v18
	v_log_f32_e32 v13, v13
	v_pk_add_f32 v[16:17], v[16:17], 1.0 op_sel_hi:[1,0]
	v_log_f32_e32 v14, v14
	v_cmp_gt_f32_e64 s[6:7], s21, v16
	v_cndmask_b32_e32 v15, 0, v7, vcc
	v_cmp_lt_f32_e64 vcc, |v13|, s20
	v_cndmask_b32_e64 v24, 1.0, v4, s[6:7]
	v_mul_f32_e32 v16, v16, v24
	v_mul_f32_e32 v24, 0x3f317217, v13
	;; [unrolled: 1-line block ×3, first 2 shown]
	v_fma_f32 v24, v13, s19, -v24
	v_fma_f32 v25, v14, s19, -v25
	v_fmac_f32_e32 v24, 0x3377d1cf, v13
	v_fmac_f32_e32 v25, 0x3377d1cf, v14
	;; [unrolled: 1-line block ×4, first 2 shown]
	v_cndmask_b32_e32 v13, v13, v24, vcc
	v_cmp_lt_f32_e64 vcc, |v14|, s20
	v_cndmask_b32_e64 v18, 0, v7, s[2:3]
	v_cmp_gt_f32_e64 s[4:5], s21, v17
	v_cndmask_b32_e32 v14, v14, v25, vcc
	v_sub_f32_e32 v14, v14, v18
	v_cmp_lt_f16_e32 vcc, s15, v0
	v_cndmask_b32_e64 v23, 1.0, v4, s[4:5]
	v_sub_f32_e32 v13, v13, v15
	v_cndmask_b32_e32 v14, v14, v19, vcc
	v_cmp_gt_f16_sdwa vcc, v0, s15 src0_sel:WORD_1 src1_sel:DWORD
	v_mul_f32_e32 v17, v17, v23
	v_log_f32_e32 v17, v17
	v_cndmask_b32_e32 v0, v13, v20, vcc
	v_mul_f32_e32 v13, 0x4f800000, v0
	v_cmp_gt_f32_e32 vcc, s18, v0
	v_mul_f32_e32 v15, 0x4f800000, v14
	v_cmp_gt_f32_e64 s[2:3], s18, v14
	v_cndmask_b32_e32 v0, v0, v13, vcc
	v_mul_f32_e32 v26, 0x3f317217, v17
	v_cndmask_b32_e64 v13, v14, v15, s[2:3]
	v_sqrt_f32_e32 v14, v0
	v_sqrt_f32_e32 v15, v13
	v_fma_f32 v26, v17, s19, -v26
	v_fmac_f32_e32 v26, 0x3377d1cf, v17
	v_add_u32_e32 v18, -1, v14
	v_cndmask_b32_e64 v23, 0, v7, s[4:5]
	v_fmac_f32_e32 v26, 0x3f317217, v17
	v_cmp_lt_f32_e64 s[4:5], |v17|, s20
	v_add_u32_e32 v20, -1, v15
	v_fma_f32 v25, -v18, v14, v0
	v_cndmask_b32_e64 v17, v17, v26, s[4:5]
	v_add_u32_e32 v19, 1, v14
	v_fma_f32 v27, -v20, v15, v13
	v_cmp_ge_f32_e64 s[4:5], 0, v25
	v_add_u32_e32 v24, 1, v15
	v_fma_f32 v26, -v19, v14, v0
	v_cndmask_b32_e64 v14, v14, v18, s[4:5]
	v_cmp_ge_f32_e64 s[4:5], 0, v27
	v_fma_f32 v28, -v24, v15, v13
	v_log_f32_e32 v16, v16
	v_cndmask_b32_e64 v15, v15, v20, s[4:5]
	v_cmp_lt_f32_e64 s[4:5], 0, v26
	v_cvt_f32_f16_sdwa v20, v2 dst_sel:DWORD dst_unused:UNUSED_PAD src0_sel:WORD_1
	s_nop 0
	v_cndmask_b32_e64 v14, v14, v19, s[4:5]
	v_cmp_lt_f32_e64 s[4:5], 0, v28
	v_mul_f32_e32 v18, 0x37800000, v14
	v_cndmask_b32_e32 v14, v14, v18, vcc
	v_cndmask_b32_e64 v15, v15, v24, s[4:5]
	v_mul_f32_e32 v19, 0x37800000, v15
	v_cmp_class_f32_e32 vcc, v0, v11
	v_cndmask_b32_e64 v18, v15, v19, s[2:3]
	v_cmp_lt_f16_e64 s[2:3], s15, v1
	v_cndmask_b32_e32 v15, v14, v0, vcc
	v_cmp_class_f32_e32 vcc, v13, v11
	v_sub_f32_e32 v0, v17, v23
	v_cvt_f32_f16_e32 v19, v2
	v_cndmask_b32_e32 v14, v18, v13, vcc
	v_mul_f32_e32 v13, 0x3f317217, v16
	v_fma_f32 v13, v16, s19, -v13
	v_fmac_f32_e32 v13, 0x3377d1cf, v16
	v_fmac_f32_e32 v13, 0x3f317217, v16
	v_cmp_lt_f32_e64 vcc, |v16|, s20
	s_nop 1
	v_cndmask_b32_e32 v13, v16, v13, vcc
	v_cmp_gt_f16_sdwa vcc, v1, s15 src0_sel:WORD_1 src1_sel:DWORD
	v_cndmask_b32_e64 v16, 0, v7, s[6:7]
	v_sub_f32_e32 v13, v13, v16
	v_cndmask_b32_e32 v0, v0, v22, vcc
	v_mul_f32_e32 v17, 0x4f800000, v0
	v_cmp_gt_f32_e32 vcc, s18, v0
	v_cndmask_b32_e64 v1, v13, v21, s[2:3]
	s_nop 0
	v_cndmask_b32_e32 v0, v0, v17, vcc
	v_sqrt_f32_e32 v17, v0
	s_nop 0
	v_add_u32_e32 v13, -1, v17
	v_fma_f32 v16, -v13, v17, v0
	v_cmp_ge_f32_e64 s[2:3], 0, v16
	v_add_u32_e32 v16, 1, v17
	s_nop 0
	v_cndmask_b32_e64 v13, v17, v13, s[2:3]
	v_fma_f32 v17, -v16, v17, v0
	v_cmp_lt_f32_e64 s[2:3], 0, v17
	v_mul_f32_e32 v17, 0x4f800000, v1
	s_nop 0
	v_cndmask_b32_e64 v13, v13, v16, s[2:3]
	v_cmp_gt_f32_e64 s[2:3], s18, v1
	v_mul_f32_e32 v16, 0x37800000, v13
	v_cndmask_b32_e32 v13, v13, v16, vcc
	v_cndmask_b32_e64 v18, v1, v17, s[2:3]
	v_sqrt_f32_e32 v1, v18
	v_cmp_class_f32_e32 vcc, v0, v11
	v_add_u32_e32 v16, 1, v1
	s_nop 0
	v_cndmask_b32_e32 v17, v13, v0, vcc
	v_add_u32_e32 v0, -1, v1
	v_fma_f32 v13, -v0, v1, v18
	v_cmp_ge_f32_e32 vcc, 0, v13
	v_fma_f32 v21, -v16, v1, v18
	s_nop 0
	v_cndmask_b32_e32 v13, v1, v0, vcc
	v_mul_f32_e32 v0, 0x3fb8aa3b, v19
	v_mul_f32_e32 v1, 0x3fb8aa3b, v20
	v_exp_f32_e32 v0, v0
	v_exp_f32_e32 v1, v1
	v_cmp_lt_f32_e32 vcc, 0, v21
	v_pk_add_f32 v[0:1], v[0:1], 1.0 op_sel_hi:[1,0]
	s_nop 0
	v_cndmask_b32_e32 v13, v13, v16, vcc
	v_mul_f32_e32 v16, 0x37800000, v13
	v_cmp_gt_f32_e32 vcc, s21, v1
	v_cndmask_b32_e64 v13, v13, v16, s[2:3]
	v_cmp_class_f32_e64 s[2:3], v18, v11
	v_cndmask_b32_e32 v16, 1.0, v4, vcc
	v_mul_f32_e32 v1, v1, v16
	v_log_f32_e32 v1, v1
	v_cndmask_b32_e64 v16, v13, v18, s[2:3]
	v_cmp_gt_f32_e64 s[2:3], s21, v0
	scratch_store_dwordx4 off, v[14:17], off
	v_mul_f32_e32 v13, 0x3f317217, v1
	v_fma_f32 v13, v1, s19, -v13
	v_cndmask_b32_e64 v14, 1.0, v4, s[2:3]
	v_mul_f32_e32 v0, v0, v14
	v_log_f32_e32 v0, v0
	v_fmac_f32_e32 v13, 0x3377d1cf, v1
	v_fmac_f32_e32 v13, 0x3f317217, v1
	v_cmp_lt_f32_e64 s[4:5], |v1|, s20
	v_cvt_f32_f16_sdwa v17, v3 dst_sel:DWORD dst_unused:UNUSED_PAD src0_sel:WORD_1
	v_mul_f32_e32 v15, 0x3fb8aa3b, v17
	v_cndmask_b32_e64 v1, v1, v13, s[4:5]
	v_cndmask_b32_e32 v13, 0, v7, vcc
	v_sub_f32_e32 v1, v1, v13
	v_mul_f32_e32 v13, 0x3f317217, v0
	v_fma_f32 v13, v0, s19, -v13
	v_fmac_f32_e32 v13, 0x3377d1cf, v0
	v_fmac_f32_e32 v13, 0x3f317217, v0
	v_cmp_lt_f32_e64 vcc, |v0|, s20
	v_exp_f32_e32 v15, v15
	s_nop 0
	v_cndmask_b32_e32 v0, v0, v13, vcc
	v_cmp_gt_f16_sdwa vcc, v2, s15 src0_sel:WORD_1 src1_sel:DWORD
	v_cndmask_b32_e64 v13, 0, v7, s[2:3]
	v_cmp_lt_f16_e64 s[2:3], s15, v2
	v_cndmask_b32_e32 v1, v1, v20, vcc
	v_mul_f32_e32 v14, 0x4f800000, v1
	v_cmp_gt_f32_e32 vcc, s18, v1
	v_sub_f32_e32 v0, v0, v13
	v_cndmask_b32_e64 v0, v0, v19, s[2:3]
	v_cndmask_b32_e32 v1, v1, v14, vcc
	v_sqrt_f32_e32 v14, v1
	s_nop 0
	v_add_u32_e32 v2, -1, v14
	v_fma_f32 v13, -v2, v14, v1
	v_cmp_ge_f32_e64 s[2:3], 0, v13
	v_add_u32_e32 v13, 1, v14
	s_nop 0
	v_cndmask_b32_e64 v2, v14, v2, s[2:3]
	v_fma_f32 v14, -v13, v14, v1
	v_cmp_lt_f32_e64 s[2:3], 0, v14
	v_mul_f32_e32 v14, 0x4f800000, v0
	s_nop 0
	v_cndmask_b32_e64 v2, v2, v13, s[2:3]
	v_cmp_gt_f32_e64 s[2:3], s18, v0
	v_mul_f32_e32 v13, 0x37800000, v2
	v_cndmask_b32_e32 v2, v2, v13, vcc
	v_cndmask_b32_e64 v0, v0, v14, s[2:3]
	v_sqrt_f32_e32 v14, v0
	v_cmp_class_f32_e32 vcc, v1, v11
	v_add_u32_e32 v16, 1, v14
	s_nop 0
	v_cndmask_b32_e32 v1, v2, v1, vcc
	v_add_u32_e32 v2, -1, v14
	v_fma_f32 v13, -v2, v14, v0
	v_cmp_ge_f32_e32 vcc, 0, v13
	v_cvt_f32_f16_e32 v13, v3
	v_fma_f32 v18, -v16, v14, v0
	v_cndmask_b32_e32 v2, v14, v2, vcc
	v_cmp_lt_f32_e32 vcc, 0, v18
	v_mul_f32_e32 v14, 0x3fb8aa3b, v13
	v_exp_f32_e32 v14, v14
	v_cndmask_b32_e32 v2, v2, v16, vcc
	v_mul_f32_e32 v16, 0x37800000, v2
	v_cndmask_b32_e64 v2, v2, v16, s[2:3]
	v_pk_add_f32 v[14:15], v[14:15], 1.0 op_sel_hi:[1,0]
	v_cmp_class_f32_e64 s[2:3], v0, v11
	v_cmp_gt_f32_e32 vcc, s21, v15
	s_nop 0
	v_cndmask_b32_e64 v0, v2, v0, s[2:3]
	v_cndmask_b32_e32 v18, 1.0, v4, vcc
	v_mul_f32_e32 v15, v15, v18
	v_log_f32_e32 v15, v15
	v_cmp_gt_f32_e64 s[2:3], s21, v14
	v_mul_f32_e32 v2, 0x3f317217, v15
	s_nop 0
	v_cndmask_b32_e64 v4, 1.0, v4, s[2:3]
	v_mul_f32_e32 v4, v14, v4
	v_fma_f32 v2, v15, s19, -v2
	v_log_f32_e32 v4, v4
	v_fmac_f32_e32 v2, 0x3377d1cf, v15
	v_fmac_f32_e32 v2, 0x3f317217, v15
	v_cmp_lt_f32_e64 s[4:5], |v15|, s20
	v_cndmask_b32_e32 v14, 0, v7, vcc
	v_cmp_lt_f32_e64 vcc, |v4|, s20
	v_cndmask_b32_e64 v2, v15, v2, s[4:5]
	v_sub_f32_e32 v2, v2, v14
	v_mul_f32_e32 v14, 0x3f317217, v4
	v_fma_f32 v14, v4, s19, -v14
	v_fmac_f32_e32 v14, 0x3377d1cf, v4
	v_fmac_f32_e32 v14, 0x3f317217, v4
	v_cndmask_b32_e32 v4, v4, v14, vcc
	v_cmp_gt_f16_sdwa vcc, v3, s15 src0_sel:WORD_1 src1_sel:DWORD
	v_cndmask_b32_e64 v7, 0, v7, s[2:3]
	v_sub_f32_e32 v4, v4, v7
	v_cndmask_b32_e32 v2, v2, v17, vcc
	v_mul_f32_e32 v14, 0x4f800000, v2
	v_cmp_gt_f32_e32 vcc, s18, v2
	v_cmp_lt_f16_e64 s[2:3], s15, v3
	s_nop 0
	v_cndmask_b32_e32 v2, v2, v14, vcc
	v_sqrt_f32_e32 v14, v2
	v_cndmask_b32_e64 v3, v4, v13, s[2:3]
	v_add_u32_e32 v4, -1, v14
	v_fma_f32 v7, -v4, v14, v2
	v_cmp_ge_f32_e64 s[2:3], 0, v7
	v_add_u32_e32 v7, 1, v14
	v_fma_f32 v13, -v7, v14, v2
	v_cndmask_b32_e64 v4, v14, v4, s[2:3]
	v_cmp_lt_f32_e64 s[2:3], 0, v13
	v_mul_f32_e32 v13, 0x4f800000, v3
	s_nop 0
	v_cndmask_b32_e64 v4, v4, v7, s[2:3]
	v_cmp_gt_f32_e64 s[2:3], s18, v3
	v_mul_f32_e32 v7, 0x37800000, v4
	s_nop 0
	v_cndmask_b32_e64 v13, v3, v13, s[2:3]
	v_sqrt_f32_e32 v14, v13
	v_cndmask_b32_e32 v3, v4, v7, vcc
	v_cmp_class_f32_e32 vcc, v2, v11
	s_nop 1
	v_cndmask_b32_e32 v3, v3, v2, vcc
	v_add_u32_e32 v2, -1, v14
	v_fma_f32 v4, -v2, v14, v13
	v_cmp_ge_f32_e32 vcc, 0, v4
	v_add_u32_e32 v4, 1, v14
	v_fma_f32 v7, -v4, v14, v13
	v_cndmask_b32_e32 v2, v14, v2, vcc
	v_cmp_lt_f32_e32 vcc, 0, v7
	s_nop 1
	v_cndmask_b32_e32 v2, v2, v4, vcc
	v_mul_f32_e32 v4, 0x37800000, v2
	v_cndmask_b32_e64 v2, v2, v4, s[2:3]
	v_cmp_class_f32_e32 vcc, v13, v11
	s_nop 1
	v_cndmask_b32_e32 v2, v2, v13, vcc
	scratch_store_dwordx4 off, v[0:3], off offset:16
	s_and_b64 vcc, exec, s[16:17]
	s_nop 0
	v_lshl_add_u64 v[2:3], v[8:9], 3, s[10:11]
	v_mul_lo_u32 v0, v6, s12
	s_cbranch_vccnz .LBB322_28
; %bb.2:
	s_load_dwordx2 s[4:5], s[0:1], 0x20
	s_cmp_lt_u32 s12, 4
	v_and_b32_e32 v4, 3, v10
	s_cbranch_scc1 .LBB322_21
; %bb.3:
	v_lshlrev_b32_e32 v5, 3, v4
	s_mov_b32 s7, 0
	s_and_b32 s14, s12, 0x7ffffffc
	v_ashrrev_i32_e32 v1, 31, v0
	v_sub_u32_e32 v13, 0, v5
	v_mov_b32_e32 v5, 0
	s_mov_b32 s6, s7
	s_branch .LBB322_5
.LBB322_4:                              ;   in Loop: Header=BB322_5 Depth=1
	s_or_b64 exec, exec, s[10:11]
	s_add_i32 s6, s6, 4
	s_cmp_eq_u32 s6, s14
	s_cbranch_scc1 .LBB322_21
.LBB322_5:                              ; =>This Loop Header: Depth=1
                                        ;     Child Loop BB322_7 Depth 2
                                        ;     Child Loop BB322_11 Depth 2
	;; [unrolled: 1-line block ×4, first 2 shown]
	v_lshl_add_u64 v[6:7], s[6:7], 3, v[2:3]
	global_load_dwordx2 v[8:9], v[6:7], off
	v_add_u32_e32 v10, s6, v0
	v_ashrrev_i32_e32 v11, 31, v10
	v_mov_b32_e32 v14, 0
	s_mov_b64 s[10:11], 0
	s_waitcnt lgkmcnt(0)
	v_lshl_add_u64 v[10:11], v[10:11], 3, s[4:5]
	s_mov_b32 s13, 0
	s_waitcnt vmcnt(0)
	v_ashrrev_i32_e32 v9, 31, v8
	v_add_u32_e32 v15, v13, v8
	s_branch .LBB322_7
.LBB322_6:                              ;   in Loop: Header=BB322_7 Depth=2
	s_or_b64 exec, exec, s[16:17]
	s_add_i32 s15, s13, 1
	s_cmp_gt_u32 s13, 6
	s_cselect_b64 s[2:3], -1, 0
	s_xor_b64 s[16:17], vcc, -1
	s_or_b64 s[2:3], s[16:17], s[2:3]
	s_and_b64 s[2:3], exec, s[2:3]
	v_add_u32_e32 v14, 4, v14
	s_or_b64 s[10:11], s[2:3], s[10:11]
	s_mov_b32 s13, s15
	s_andn2_b64 exec, exec, s[10:11]
	s_cbranch_execz .LBB322_9
.LBB322_7:                              ;   Parent Loop BB322_5 Depth=1
                                        ; =>  This Inner Loop Header: Depth=2
	v_cmp_ne_u32_e32 vcc, s13, v15
	v_cmp_eq_u32_e64 s[2:3], s13, v15
	s_and_saveexec_b64 s[16:17], s[2:3]
	s_cbranch_execz .LBB322_6
; %bb.8:                                ;   in Loop: Header=BB322_7 Depth=2
	scratch_load_dword v16, v14, off
	s_waitcnt vmcnt(0)
	v_add_f32_e32 v5, v5, v16
	global_store_dwordx2 v[10:11], v[8:9], off
	s_branch .LBB322_6
.LBB322_9:                              ;   in Loop: Header=BB322_5 Depth=1
	s_or_b64 exec, exec, s[10:11]
	global_load_dwordx2 v[10:11], v[6:7], off offset:8
	s_ashr_i32 s3, s6, 31
	s_mov_b32 s2, s6
	v_lshl_add_u64 v[8:9], s[2:3], 0, v[0:1]
	v_mov_b32_e32 v14, 0
	s_mov_b32 s13, 0
	v_lshl_add_u64 v[8:9], v[8:9], 3, s[4:5]
	s_mov_b64 s[10:11], 0
	s_waitcnt vmcnt(0)
	v_ashrrev_i32_e32 v11, 31, v10
	v_add_u32_e32 v15, v13, v10
	s_branch .LBB322_11
.LBB322_10:                             ;   in Loop: Header=BB322_11 Depth=2
	s_or_b64 exec, exec, s[16:17]
	s_add_i32 s15, s13, 1
	s_cmp_gt_u32 s13, 6
	s_cselect_b64 s[2:3], -1, 0
	s_xor_b64 s[16:17], vcc, -1
	s_or_b64 s[2:3], s[16:17], s[2:3]
	s_and_b64 s[2:3], exec, s[2:3]
	v_add_u32_e32 v14, 4, v14
	s_or_b64 s[10:11], s[2:3], s[10:11]
	s_mov_b32 s13, s15
	s_andn2_b64 exec, exec, s[10:11]
	s_cbranch_execz .LBB322_13
.LBB322_11:                             ;   Parent Loop BB322_5 Depth=1
                                        ; =>  This Inner Loop Header: Depth=2
	v_cmp_ne_u32_e32 vcc, s13, v15
	v_cmp_eq_u32_e64 s[2:3], s13, v15
	s_and_saveexec_b64 s[16:17], s[2:3]
	s_cbranch_execz .LBB322_10
; %bb.12:                               ;   in Loop: Header=BB322_11 Depth=2
	scratch_load_dword v16, v14, off
	s_waitcnt vmcnt(0)
	v_add_f32_e32 v5, v5, v16
	global_store_dwordx2 v[8:9], v[10:11], off offset:8
	s_branch .LBB322_10
.LBB322_13:                             ;   in Loop: Header=BB322_5 Depth=1
	s_or_b64 exec, exec, s[10:11]
	global_load_dwordx2 v[10:11], v[6:7], off offset:16
	v_mov_b32_e32 v14, 0
	s_mov_b32 s13, 0
	s_mov_b64 s[10:11], 0
	s_waitcnt vmcnt(0)
	v_ashrrev_i32_e32 v11, 31, v10
	v_add_u32_e32 v15, v13, v10
	s_branch .LBB322_15
.LBB322_14:                             ;   in Loop: Header=BB322_15 Depth=2
	s_or_b64 exec, exec, s[16:17]
	s_add_i32 s15, s13, 1
	s_cmp_gt_u32 s13, 6
	s_cselect_b64 s[2:3], -1, 0
	s_xor_b64 s[16:17], vcc, -1
	s_or_b64 s[2:3], s[16:17], s[2:3]
	s_and_b64 s[2:3], exec, s[2:3]
	v_add_u32_e32 v14, 4, v14
	s_or_b64 s[10:11], s[2:3], s[10:11]
	s_mov_b32 s13, s15
	s_andn2_b64 exec, exec, s[10:11]
	s_cbranch_execz .LBB322_17
.LBB322_15:                             ;   Parent Loop BB322_5 Depth=1
                                        ; =>  This Inner Loop Header: Depth=2
	v_cmp_ne_u32_e32 vcc, s13, v15
	v_cmp_eq_u32_e64 s[2:3], s13, v15
	s_and_saveexec_b64 s[16:17], s[2:3]
	s_cbranch_execz .LBB322_14
; %bb.16:                               ;   in Loop: Header=BB322_15 Depth=2
	scratch_load_dword v16, v14, off
	s_waitcnt vmcnt(0)
	v_add_f32_e32 v5, v5, v16
	global_store_dwordx2 v[8:9], v[10:11], off offset:16
	s_branch .LBB322_14
.LBB322_17:                             ;   in Loop: Header=BB322_5 Depth=1
	s_or_b64 exec, exec, s[10:11]
	global_load_dwordx2 v[6:7], v[6:7], off offset:24
	v_mov_b32_e32 v10, 0
	s_mov_b32 s13, 0
	s_mov_b64 s[10:11], 0
	s_waitcnt vmcnt(0)
	v_ashrrev_i32_e32 v7, 31, v6
	v_add_u32_e32 v11, v13, v6
	s_branch .LBB322_19
.LBB322_18:                             ;   in Loop: Header=BB322_19 Depth=2
	s_or_b64 exec, exec, s[16:17]
	s_add_i32 s15, s13, 1
	s_cmp_gt_u32 s13, 6
	s_cselect_b64 s[2:3], -1, 0
	s_xor_b64 s[16:17], vcc, -1
	s_or_b64 s[2:3], s[16:17], s[2:3]
	s_and_b64 s[2:3], exec, s[2:3]
	v_add_u32_e32 v10, 4, v10
	s_or_b64 s[10:11], s[2:3], s[10:11]
	s_mov_b32 s13, s15
	s_andn2_b64 exec, exec, s[10:11]
	s_cbranch_execz .LBB322_4
.LBB322_19:                             ;   Parent Loop BB322_5 Depth=1
                                        ; =>  This Inner Loop Header: Depth=2
	v_cmp_ne_u32_e32 vcc, s13, v11
	v_cmp_eq_u32_e64 s[2:3], s13, v11
	s_and_saveexec_b64 s[16:17], s[2:3]
	s_cbranch_execz .LBB322_18
; %bb.20:                               ;   in Loop: Header=BB322_19 Depth=2
	scratch_load_dword v14, v10, off
	s_waitcnt vmcnt(0)
	v_add_f32_e32 v5, v5, v14
	global_store_dwordx2 v[8:9], v[6:7], off offset:24
	s_branch .LBB322_18
.LBB322_21:
	s_and_b32 s13, s12, 3
	s_cmp_eq_u32 s13, 0
	s_mov_b32 s15, 0
	s_cbranch_scc1 .LBB322_28
; %bb.22:
	v_lshlrev_b32_e32 v1, 3, v4
	v_sub_u32_e32 v1, 0, v1
	s_mov_b32 s16, s15
	s_branch .LBB322_24
.LBB322_23:                             ;   in Loop: Header=BB322_24 Depth=1
	s_or_b64 exec, exec, s[6:7]
	s_add_i32 s14, s14, 1
	s_add_i32 s16, s16, 1
	s_cmp_lg_u32 s16, s13
	s_cbranch_scc0 .LBB322_28
.LBB322_24:                             ; =>This Loop Header: Depth=1
                                        ;     Child Loop BB322_26 Depth 2
	v_lshl_add_u64 v[6:7], s[14:15], 3, v[2:3]
	global_load_dwordx2 v[6:7], v[6:7], off
	v_add_u32_e32 v8, s14, v0
	v_ashrrev_i32_e32 v9, 31, v8
	v_mov_b32_e32 v4, 0
	s_mov_b32 s17, 0
	s_waitcnt lgkmcnt(0)
	v_lshl_add_u64 v[8:9], v[8:9], 3, s[4:5]
	s_mov_b64 s[6:7], 0
	s_waitcnt vmcnt(0)
	v_ashrrev_i32_e32 v7, 31, v6
	v_add_u32_e32 v10, v1, v6
	s_branch .LBB322_26
.LBB322_25:                             ;   in Loop: Header=BB322_26 Depth=2
	s_or_b64 exec, exec, s[10:11]
	s_add_i32 s18, s17, 1
	s_cmp_gt_u32 s17, 6
	s_cselect_b64 s[2:3], -1, 0
	s_xor_b64 s[10:11], vcc, -1
	s_or_b64 s[2:3], s[10:11], s[2:3]
	s_and_b64 s[2:3], exec, s[2:3]
	v_add_u32_e32 v4, 4, v4
	s_or_b64 s[6:7], s[2:3], s[6:7]
	s_mov_b32 s17, s18
	s_andn2_b64 exec, exec, s[6:7]
	s_cbranch_execz .LBB322_23
.LBB322_26:                             ;   Parent Loop BB322_24 Depth=1
                                        ; =>  This Inner Loop Header: Depth=2
	v_cmp_ne_u32_e32 vcc, s17, v10
	v_cmp_eq_u32_e64 s[2:3], s17, v10
	s_and_saveexec_b64 s[10:11], s[2:3]
	s_cbranch_execz .LBB322_25
; %bb.27:                               ;   in Loop: Header=BB322_26 Depth=2
	scratch_load_dword v11, v4, off
	s_waitcnt vmcnt(0)
	v_add_f32_e32 v5, v5, v11
	global_store_dwordx2 v[8:9], v[6:7], off
	s_branch .LBB322_25
.LBB322_28:
	s_waitcnt lgkmcnt(0)
	s_load_dword s4, s[0:1], 0x3c
	s_waitcnt lgkmcnt(0)
	s_bitcmp1_b32 s4, 0
	s_cselect_b64 s[2:3], -1, 0
	s_bitcmp0_b32 s4, 0
	s_cbranch_scc0 .LBB322_32
; %bb.29:
	s_load_dwordx2 s[4:5], s[0:1], 0x40
	s_andn2_b64 vcc, exec, s[2:3]
	s_waitcnt lgkmcnt(0)
	v_cvt_f32_f64_e32 v8, s[4:5]
	s_cbranch_vccz .LBB322_33
.LBB322_30:
	s_andn2_b64 vcc, exec, s[8:9]
	s_cbranch_vccz .LBB322_34
.LBB322_31:
	s_endpgm
.LBB322_32:
	v_mbcnt_lo_u32_b32 v1, -1, 0
	v_mbcnt_hi_u32_b32 v1, -1, v1
	v_and_b32_e32 v4, 0x7c, v1
	v_add_u32_e32 v4, 4, v4
	v_xor_b32_e32 v6, 2, v1
	v_cmp_lt_i32_e32 vcc, v6, v4
	v_xor_b32_e32 v7, 1, v1
	s_nop 0
	v_cndmask_b32_e32 v6, v1, v6, vcc
	v_lshlrev_b32_e32 v6, 2, v6
	ds_bpermute_b32 v6, v6, v5
	v_cmp_lt_i32_e32 vcc, v7, v4
	s_waitcnt lgkmcnt(0)
	v_add_f32_e32 v5, v5, v6
	v_cndmask_b32_e32 v1, v1, v7, vcc
	v_lshlrev_b32_e32 v1, 2, v1
	ds_bpermute_b32 v1, v1, v5
	s_waitcnt lgkmcnt(0)
	v_add_f32_e32 v5, v5, v1
	s_load_dwordx2 s[4:5], s[0:1], 0x40
	s_andn2_b64 vcc, exec, s[2:3]
	s_waitcnt lgkmcnt(0)
	v_cvt_f32_f64_e32 v8, s[4:5]
	s_cbranch_vccnz .LBB322_30
.LBB322_33:
	v_cmp_lt_f32_e32 vcc, 0, v5
	s_nop 1
	v_cndmask_b32_e32 v1, 1.0, v5, vcc
	v_div_scale_f32 v4, s[2:3], v1, v1, v8
	v_rcp_f32_e32 v5, v4
	s_nop 0
	v_fma_f32 v6, -v4, v5, 1.0
	v_fmac_f32_e32 v5, v6, v5
	v_div_scale_f32 v6, vcc, v8, v1, v8
	v_mul_f32_e32 v7, v6, v5
	v_fma_f32 v9, -v4, v7, v6
	v_fmac_f32_e32 v7, v9, v5
	v_fma_f32 v4, -v4, v7, v6
	v_div_fmas_f32 v4, v4, v5, v7
	v_div_fixup_f32 v8, v4, v1, v8
	s_andn2_b64 vcc, exec, s[8:9]
	s_cbranch_vccnz .LBB322_31
.LBB322_34:
	s_load_dwordx2 s[14:15], s[0:1], 0x10
	v_mov_b32_e32 v1, 0
	v_or_b32_e32 v20, 4, v1
	v_or_b32_e32 v18, 8, v1
	;; [unrolled: 1-line block ×3, first 2 shown]
	v_add_u32_e32 v14, 16, v1
	v_add_u32_e32 v11, 20, v1
	;; [unrolled: 1-line block ×4, first 2 shown]
	v_or_b32_e32 v23, 1, v12
	v_or_b32_e32 v22, 2, v12
	;; [unrolled: 1-line block ×7, first 2 shown]
	s_cmp_eq_u32 s12, 1
	s_mov_b32 s16, 0
	s_cbranch_scc1 .LBB322_69
; %bb.35:
	v_ashrrev_i32_e32 v1, 31, v0
	s_waitcnt lgkmcnt(0)
	v_lshl_add_u64 v[4:5], v[0:1], 2, s[14:15]
	s_and_b32 s16, s12, 0x7ffffffe
	v_lshl_add_u64 v[4:5], v[4:5], 0, 4
	v_lshl_add_u64 v[6:7], v[2:3], 0, 8
	s_mov_b32 s13, 0
	s_branch .LBB322_37
.LBB322_36:                             ;   in Loop: Header=BB322_37 Depth=1
	s_or_b64 exec, exec, s[0:1]
	s_add_i32 s13, s13, 2
	v_lshl_add_u64 v[4:5], v[4:5], 0, 8
	s_cmp_eq_u32 s16, s13
	v_lshl_add_u64 v[6:7], v[6:7], 0, 16
	s_cbranch_scc1 .LBB322_69
.LBB322_37:                             ; =>This Inner Loop Header: Depth=1
	global_load_dword v24, v[6:7], off offset:-8
	v_mov_b32_e32 v1, 0
	s_waitcnt vmcnt(0)
	v_cmp_eq_u32_e32 vcc, v12, v24
	v_cmp_ne_u32_e64 s[0:1], v12, v24
	s_and_saveexec_b64 s[18:19], s[0:1]
	s_cbranch_execz .LBB322_51
; %bb.38:                               ;   in Loop: Header=BB322_37 Depth=1
	v_cmp_eq_u32_e64 s[0:1], v23, v24
	v_cmp_ne_u32_e64 s[2:3], v23, v24
	v_mov_b32_e32 v1, v20
	s_and_saveexec_b64 s[20:21], s[2:3]
	s_cbranch_execz .LBB322_50
; %bb.39:                               ;   in Loop: Header=BB322_37 Depth=1
	v_cmp_eq_u32_e64 s[2:3], v22, v24
	v_cmp_ne_u32_e64 s[4:5], v22, v24
	v_mov_b32_e32 v1, v18
	;; [unrolled: 6-line block ×6, first 2 shown]
	s_and_saveexec_b64 s[34:35], s[10:11]
	s_xor_b64 s[34:35], exec, s[34:35]
; %bb.44:                               ;   in Loop: Header=BB322_37 Depth=1
	v_cmp_eq_u32_e64 s[10:11], v13, v24
	s_andn2_b64 s[30:31], s[30:31], exec
	s_and_b64 s[10:11], s[10:11], exec
	s_or_b64 s[30:31], s[30:31], s[10:11]
	v_mov_b32_e32 v1, v10
; %bb.45:                               ;   in Loop: Header=BB322_37 Depth=1
	s_or_b64 exec, exec, s[34:35]
	s_andn2_b64 s[8:9], s[8:9], exec
	s_and_b64 s[10:11], s[30:31], exec
	s_or_b64 s[8:9], s[8:9], s[10:11]
.LBB322_46:                             ;   in Loop: Header=BB322_37 Depth=1
	s_or_b64 exec, exec, s[28:29]
	s_andn2_b64 s[6:7], s[6:7], exec
	s_and_b64 s[8:9], s[8:9], exec
	s_or_b64 s[6:7], s[6:7], s[8:9]
.LBB322_47:                             ;   in Loop: Header=BB322_37 Depth=1
	s_or_b64 exec, exec, s[26:27]
	s_andn2_b64 s[4:5], s[4:5], exec
	s_and_b64 s[6:7], s[6:7], exec
	s_or_b64 s[4:5], s[4:5], s[6:7]
.LBB322_48:                             ;   in Loop: Header=BB322_37 Depth=1
	s_or_b64 exec, exec, s[24:25]
	s_andn2_b64 s[2:3], s[2:3], exec
	s_and_b64 s[4:5], s[4:5], exec
	s_or_b64 s[2:3], s[2:3], s[4:5]
.LBB322_49:                             ;   in Loop: Header=BB322_37 Depth=1
	s_or_b64 exec, exec, s[22:23]
	s_andn2_b64 s[0:1], s[0:1], exec
	s_and_b64 s[2:3], s[2:3], exec
	s_or_b64 s[0:1], s[0:1], s[2:3]
.LBB322_50:                             ;   in Loop: Header=BB322_37 Depth=1
	s_or_b64 exec, exec, s[20:21]
	s_andn2_b64 s[2:3], vcc, exec
	s_and_b64 s[0:1], s[0:1], exec
	s_or_b64 vcc, s[2:3], s[0:1]
.LBB322_51:                             ;   in Loop: Header=BB322_37 Depth=1
	s_or_b64 exec, exec, s[18:19]
	s_and_saveexec_b64 s[0:1], vcc
	s_cbranch_execz .LBB322_53
; %bb.52:                               ;   in Loop: Header=BB322_37 Depth=1
	scratch_load_dword v1, v1, off
	v_add_u32_e32 v24, s13, v0
	v_ashrrev_i32_e32 v25, 31, v24
	v_lshl_add_u64 v[24:25], v[24:25], 2, s[14:15]
	s_waitcnt vmcnt(0)
	v_mul_f32_e32 v1, v8, v1
	global_store_dword v[24:25], v1, off
.LBB322_53:                             ;   in Loop: Header=BB322_37 Depth=1
	s_or_b64 exec, exec, s[0:1]
	global_load_dword v24, v[6:7], off
	v_mov_b32_e32 v1, 0
	s_waitcnt vmcnt(0)
	v_cmp_eq_u32_e64 s[8:9], v12, v24
	v_cmp_ne_u32_e32 vcc, v12, v24
	s_and_saveexec_b64 s[10:11], vcc
	s_cbranch_execz .LBB322_67
; %bb.54:                               ;   in Loop: Header=BB322_37 Depth=1
	v_cmp_eq_u32_e32 vcc, v23, v24
	v_cmp_ne_u32_e64 s[0:1], v23, v24
	v_mov_b32_e32 v1, v20
	s_and_saveexec_b64 s[18:19], s[0:1]
	s_cbranch_execz .LBB322_66
; %bb.55:                               ;   in Loop: Header=BB322_37 Depth=1
	v_cmp_eq_u32_e64 s[0:1], v22, v24
	v_cmp_ne_u32_e64 s[2:3], v22, v24
	v_mov_b32_e32 v1, v18
	s_and_saveexec_b64 s[20:21], s[2:3]
	s_cbranch_execz .LBB322_65
; %bb.56:                               ;   in Loop: Header=BB322_37 Depth=1
	v_cmp_eq_u32_e64 s[2:3], v21, v24
	;; [unrolled: 6-line block ×5, first 2 shown]
	v_cmp_ne_u32_e64 s[6:7], v15, v24
	v_mov_b32_e32 v1, v9
	s_and_saveexec_b64 s[34:35], s[6:7]
; %bb.60:                               ;   in Loop: Header=BB322_37 Depth=1
	v_cmp_eq_u32_e64 s[6:7], v13, v24
	s_andn2_b64 s[30:31], s[30:31], exec
	s_and_b64 s[6:7], s[6:7], exec
	s_or_b64 s[30:31], s[30:31], s[6:7]
	v_mov_b32_e32 v1, v10
; %bb.61:                               ;   in Loop: Header=BB322_37 Depth=1
	s_or_b64 exec, exec, s[34:35]
	s_andn2_b64 s[6:7], s[26:27], exec
	s_and_b64 s[26:27], s[30:31], exec
	s_or_b64 s[26:27], s[6:7], s[26:27]
.LBB322_62:                             ;   in Loop: Header=BB322_37 Depth=1
	s_or_b64 exec, exec, s[28:29]
	s_andn2_b64 s[4:5], s[4:5], exec
	s_and_b64 s[6:7], s[26:27], exec
	s_or_b64 s[4:5], s[4:5], s[6:7]
.LBB322_63:                             ;   in Loop: Header=BB322_37 Depth=1
	s_or_b64 exec, exec, s[24:25]
	s_andn2_b64 s[2:3], s[2:3], exec
	s_and_b64 s[4:5], s[4:5], exec
	s_or_b64 s[2:3], s[2:3], s[4:5]
.LBB322_64:                             ;   in Loop: Header=BB322_37 Depth=1
	s_or_b64 exec, exec, s[22:23]
	s_andn2_b64 s[0:1], s[0:1], exec
	s_and_b64 s[2:3], s[2:3], exec
	s_or_b64 s[0:1], s[0:1], s[2:3]
.LBB322_65:                             ;   in Loop: Header=BB322_37 Depth=1
	s_or_b64 exec, exec, s[20:21]
	s_andn2_b64 s[2:3], vcc, exec
	s_and_b64 s[0:1], s[0:1], exec
	s_or_b64 vcc, s[2:3], s[0:1]
.LBB322_66:                             ;   in Loop: Header=BB322_37 Depth=1
	s_or_b64 exec, exec, s[18:19]
	s_andn2_b64 s[0:1], s[8:9], exec
	s_and_b64 s[2:3], vcc, exec
	s_or_b64 s[8:9], s[0:1], s[2:3]
.LBB322_67:                             ;   in Loop: Header=BB322_37 Depth=1
	s_or_b64 exec, exec, s[10:11]
	s_and_saveexec_b64 s[0:1], s[8:9]
	s_cbranch_execz .LBB322_36
; %bb.68:                               ;   in Loop: Header=BB322_37 Depth=1
	scratch_load_dword v1, v1, off
	s_waitcnt vmcnt(0)
	v_mul_f32_e32 v1, v8, v1
	global_store_dword v[4:5], v1, off
	s_branch .LBB322_36
.LBB322_69:
	s_bitcmp0_b32 s12, 0
	s_mov_b32 s17, 0
	s_cbranch_scc1 .LBB322_31
; %bb.70:
	v_lshl_add_u64 v[2:3], s[16:17], 3, v[2:3]
	global_load_dword v1, v[2:3], off
	v_mov_b32_e32 v2, 0
	s_waitcnt vmcnt(0)
	v_cmp_eq_u32_e64 s[8:9], v12, v1
	v_cmp_ne_u32_e32 vcc, v12, v1
	s_and_saveexec_b64 s[10:11], vcc
	s_cbranch_execz .LBB322_84
; %bb.71:
	v_cmp_eq_u32_e32 vcc, v23, v1
	v_cmp_ne_u32_e64 s[0:1], v23, v1
	s_and_saveexec_b64 s[12:13], s[0:1]
	s_cbranch_execz .LBB322_83
; %bb.72:
	v_cmp_eq_u32_e64 s[0:1], v22, v1
	v_cmp_ne_u32_e64 s[2:3], v22, v1
	s_and_saveexec_b64 s[18:19], s[2:3]
	s_cbranch_execz .LBB322_82
; %bb.73:
	v_cmp_eq_u32_e64 s[2:3], v21, v1
	;; [unrolled: 5-line block ×5, first 2 shown]
	v_cmp_ne_u32_e64 s[6:7], v15, v1
	s_and_saveexec_b64 s[30:31], s[6:7]
; %bb.77:
	v_cmp_eq_u32_e64 s[6:7], v13, v1
	s_andn2_b64 s[28:29], s[28:29], exec
	s_and_b64 s[6:7], s[6:7], exec
	s_or_b64 s[28:29], s[28:29], s[6:7]
	v_mov_b32_e32 v9, v10
; %bb.78:
	s_or_b64 exec, exec, s[30:31]
	s_andn2_b64 s[6:7], s[24:25], exec
	s_and_b64 s[24:25], s[28:29], exec
	s_or_b64 s[24:25], s[6:7], s[24:25]
	v_mov_b32_e32 v11, v9
.LBB322_79:
	s_or_b64 exec, exec, s[26:27]
	s_andn2_b64 s[4:5], s[4:5], exec
	s_and_b64 s[6:7], s[24:25], exec
	s_or_b64 s[4:5], s[4:5], s[6:7]
	v_mov_b32_e32 v14, v11
.LBB322_80:
	s_or_b64 exec, exec, s[22:23]
	s_andn2_b64 s[2:3], s[2:3], exec
	s_and_b64 s[4:5], s[4:5], exec
	s_or_b64 s[2:3], s[2:3], s[4:5]
	v_mov_b32_e32 v16, v14
.LBB322_81:
	s_or_b64 exec, exec, s[20:21]
	s_andn2_b64 s[0:1], s[0:1], exec
	s_and_b64 s[2:3], s[2:3], exec
	s_or_b64 s[0:1], s[0:1], s[2:3]
	v_mov_b32_e32 v18, v16
.LBB322_82:
	s_or_b64 exec, exec, s[18:19]
	s_andn2_b64 s[2:3], vcc, exec
	s_and_b64 s[0:1], s[0:1], exec
	s_or_b64 vcc, s[2:3], s[0:1]
	v_mov_b32_e32 v20, v18
.LBB322_83:
	s_or_b64 exec, exec, s[12:13]
	s_andn2_b64 s[0:1], s[8:9], exec
	s_and_b64 s[2:3], vcc, exec
	s_or_b64 s[8:9], s[0:1], s[2:3]
	v_mov_b32_e32 v2, v20
.LBB322_84:
	s_or_b64 exec, exec, s[10:11]
	s_and_b64 exec, exec, s[8:9]
	s_cbranch_execz .LBB322_31
; %bb.85:
	scratch_load_dword v2, v2, off
	v_add_u32_e32 v0, s16, v0
	v_ashrrev_i32_e32 v1, 31, v0
	s_waitcnt lgkmcnt(0)
	v_lshl_add_u64 v[0:1], v[0:1], 2, s[14:15]
	s_waitcnt vmcnt(0)
	v_mul_f32_e32 v2, v8, v2
	global_store_dword v[0:1], v2, off
	s_endpgm
	.section	.rodata,"a",@progbits
	.p2align	6, 0x0
	.amdhsa_kernel _ZN4vllm3moe22topkGatingSoftplusSqrtILi8ELi32ELi4ELi16ELi32ELb1El6__halfEEvPKT6_PKbPfiPT5_PiiiibdPKfPKS9_SF_
		.amdhsa_group_segment_fixed_size 0
		.amdhsa_private_segment_fixed_size 48
		.amdhsa_kernarg_size 96
		.amdhsa_user_sgpr_count 2
		.amdhsa_user_sgpr_dispatch_ptr 0
		.amdhsa_user_sgpr_queue_ptr 0
		.amdhsa_user_sgpr_kernarg_segment_ptr 1
		.amdhsa_user_sgpr_dispatch_id 0
		.amdhsa_user_sgpr_kernarg_preload_length 0
		.amdhsa_user_sgpr_kernarg_preload_offset 0
		.amdhsa_user_sgpr_private_segment_size 0
		.amdhsa_uses_dynamic_stack 0
		.amdhsa_enable_private_segment 1
		.amdhsa_system_sgpr_workgroup_id_x 1
		.amdhsa_system_sgpr_workgroup_id_y 0
		.amdhsa_system_sgpr_workgroup_id_z 0
		.amdhsa_system_sgpr_workgroup_info 0
		.amdhsa_system_vgpr_workitem_id 1
		.amdhsa_next_free_vgpr 29
		.amdhsa_next_free_sgpr 36
		.amdhsa_accum_offset 32
		.amdhsa_reserve_vcc 1
		.amdhsa_float_round_mode_32 0
		.amdhsa_float_round_mode_16_64 0
		.amdhsa_float_denorm_mode_32 3
		.amdhsa_float_denorm_mode_16_64 3
		.amdhsa_dx10_clamp 1
		.amdhsa_ieee_mode 1
		.amdhsa_fp16_overflow 0
		.amdhsa_tg_split 0
		.amdhsa_exception_fp_ieee_invalid_op 0
		.amdhsa_exception_fp_denorm_src 0
		.amdhsa_exception_fp_ieee_div_zero 0
		.amdhsa_exception_fp_ieee_overflow 0
		.amdhsa_exception_fp_ieee_underflow 0
		.amdhsa_exception_fp_ieee_inexact 0
		.amdhsa_exception_int_div_zero 0
	.end_amdhsa_kernel
	.section	.text._ZN4vllm3moe22topkGatingSoftplusSqrtILi8ELi32ELi4ELi16ELi32ELb1El6__halfEEvPKT6_PKbPfiPT5_PiiiibdPKfPKS9_SF_,"axG",@progbits,_ZN4vllm3moe22topkGatingSoftplusSqrtILi8ELi32ELi4ELi16ELi32ELb1El6__halfEEvPKT6_PKbPfiPT5_PiiiibdPKfPKS9_SF_,comdat
.Lfunc_end322:
	.size	_ZN4vllm3moe22topkGatingSoftplusSqrtILi8ELi32ELi4ELi16ELi32ELb1El6__halfEEvPKT6_PKbPfiPT5_PiiiibdPKfPKS9_SF_, .Lfunc_end322-_ZN4vllm3moe22topkGatingSoftplusSqrtILi8ELi32ELi4ELi16ELi32ELb1El6__halfEEvPKT6_PKbPfiPT5_PiiiibdPKfPKS9_SF_
                                        ; -- End function
	.section	.AMDGPU.csdata,"",@progbits
; Kernel info:
; codeLenInByte = 4552
; NumSgprs: 42
; NumVgprs: 29
; NumAgprs: 0
; TotalNumVgprs: 29
; ScratchSize: 48
; MemoryBound: 0
; FloatMode: 240
; IeeeMode: 1
; LDSByteSize: 0 bytes/workgroup (compile time only)
; SGPRBlocks: 5
; VGPRBlocks: 3
; NumSGPRsForWavesPerEU: 42
; NumVGPRsForWavesPerEU: 29
; AccumOffset: 32
; Occupancy: 8
; WaveLimiterHint : 1
; COMPUTE_PGM_RSRC2:SCRATCH_EN: 1
; COMPUTE_PGM_RSRC2:USER_SGPR: 2
; COMPUTE_PGM_RSRC2:TRAP_HANDLER: 0
; COMPUTE_PGM_RSRC2:TGID_X_EN: 1
; COMPUTE_PGM_RSRC2:TGID_Y_EN: 0
; COMPUTE_PGM_RSRC2:TGID_Z_EN: 0
; COMPUTE_PGM_RSRC2:TIDIG_COMP_CNT: 1
; COMPUTE_PGM_RSRC3_GFX90A:ACCUM_OFFSET: 7
; COMPUTE_PGM_RSRC3_GFX90A:TG_SPLIT: 0
	.section	.text._ZN4vllm3moe22topkGatingSoftplusSqrtILi8ELi32ELi4ELi16ELi32ELb0El6__halfEEvPKT6_PKbPfiPT5_PiiiibdPKfPKS9_SF_,"axG",@progbits,_ZN4vllm3moe22topkGatingSoftplusSqrtILi8ELi32ELi4ELi16ELi32ELb0El6__halfEEvPKT6_PKbPfiPT5_PiiiibdPKfPKS9_SF_,comdat
	.protected	_ZN4vllm3moe22topkGatingSoftplusSqrtILi8ELi32ELi4ELi16ELi32ELb0El6__halfEEvPKT6_PKbPfiPT5_PiiiibdPKfPKS9_SF_ ; -- Begin function _ZN4vllm3moe22topkGatingSoftplusSqrtILi8ELi32ELi4ELi16ELi32ELb0El6__halfEEvPKT6_PKbPfiPT5_PiiiibdPKfPKS9_SF_
	.globl	_ZN4vllm3moe22topkGatingSoftplusSqrtILi8ELi32ELi4ELi16ELi32ELb0El6__halfEEvPKT6_PKbPfiPT5_PiiiibdPKfPKS9_SF_
	.p2align	8
	.type	_ZN4vllm3moe22topkGatingSoftplusSqrtILi8ELi32ELi4ELi16ELi32ELb0El6__halfEEvPKT6_PKbPfiPT5_PiiiibdPKfPKS9_SF_,@function
_ZN4vllm3moe22topkGatingSoftplusSqrtILi8ELi32ELi4ELi16ELi32ELb0El6__halfEEvPKT6_PKbPfiPT5_PiiiibdPKfPKS9_SF_: ; @_ZN4vllm3moe22topkGatingSoftplusSqrtILi8ELi32ELi4ELi16ELi32ELb0El6__halfEEvPKT6_PKbPfiPT5_PiiiibdPKfPKS9_SF_
; %bb.0:
	s_load_dword s33, s[0:1], 0x18
	v_bfe_u32 v1, v0, 10, 10
	v_and_b32_e32 v0, 0x3ff, v0
	s_lshl_b32 s2, s2, 5
	v_lshlrev_b32_e32 v1, 3, v1
	v_lshrrev_b32_e32 v2, 2, v0
	v_add3_u32 v8, s2, v1, v2
	s_waitcnt lgkmcnt(0)
	v_cmp_gt_i32_e32 vcc, s33, v8
	s_and_saveexec_b64 s[2:3], vcc
	s_cbranch_execz .LBB323_53
; %bb.1:
	s_load_dwordx4 s[4:7], s[0:1], 0x0
	s_load_dwordx2 s[34:35], s[0:1], 0x10
	s_waitcnt lgkmcnt(0)
	s_cmp_eq_u64 s[6:7], 0
	s_cbranch_scc1 .LBB323_3
; %bb.2:
	v_ashrrev_i32_e32 v9, 31, v8
	v_lshl_add_u64 v[2:3], s[6:7], 0, v[8:9]
	global_load_ubyte v1, v[2:3], off
	s_waitcnt vmcnt(0)
	v_and_b32_e32 v1, 1, v1
	v_cmp_eq_u32_e32 vcc, 1, v1
	s_xor_b64 s[2:3], vcc, -1
	s_orn2_b64 s[36:37], s[2:3], exec
	s_branch .LBB323_4
.LBB323_3:
	s_mov_b64 s[36:37], -1
.LBB323_4:
	v_lshlrev_b32_e32 v4, 5, v8
	v_mov_b32_e32 v2, s4
	v_mov_b32_e32 v3, s5
	v_ashrrev_i32_e32 v5, 31, v4
	v_and_b32_e32 v9, 3, v0
	v_lshl_add_u64 v[2:3], v[4:5], 1, v[2:3]
	v_mov_b32_e32 v1, 0
	v_lshlrev_b32_e32 v0, 4, v9
	v_lshl_add_u64 v[0:1], v[2:3], 0, v[0:1]
	global_load_dwordx4 v[4:7], v[0:1], off
	s_mov_b32 s12, 0x800000
	v_mov_b32_e32 v2, 0x4f800000
	s_mov_b32 s9, 0x3f317217
	s_mov_b32 s10, 0x7f800000
	v_mov_b32_e32 v3, 0x41b17218
	s_movk_i32 s8, 0x4d00
	s_mov_b32 s11, 0xf800000
	s_load_dwordx4 s[20:23], s[0:1], 0x40
	v_lshlrev_b32_e32 v12, 3, v9
	s_waitcnt lgkmcnt(0)
	s_cmp_lg_u64 s[22:23], 0
	s_cselect_b64 s[6:7], -1, 0
	s_and_b64 s[2:3], exec, s[6:7]
	s_waitcnt vmcnt(0)
	v_cvt_f32_f16_e32 v0, v4
	v_mul_f32_e32 v1, 0x3fb8aa3b, v0
	v_exp_f32_e32 v10, v1
	v_mov_b32_e32 v1, 0x260
	v_add_f32_e32 v10, 1.0, v10
	v_cmp_gt_f32_e32 vcc, s12, v10
	s_nop 1
	v_cndmask_b32_e32 v11, 1.0, v2, vcc
	v_mul_f32_e32 v10, v10, v11
	v_log_f32_e32 v11, v10
	v_cndmask_b32_e32 v13, 0, v3, vcc
	v_lshlrev_b32_e32 v10, 2, v12
	v_mul_f32_e32 v14, 0x3f317217, v11
	v_fma_f32 v14, v11, s9, -v14
	v_fmac_f32_e32 v14, 0x3377d1cf, v11
	v_fmac_f32_e32 v14, 0x3f317217, v11
	v_cmp_lt_f32_e64 vcc, |v11|, s10
	s_nop 1
	v_cndmask_b32_e32 v11, v11, v14, vcc
	v_sub_f32_e32 v11, v11, v13
	v_cmp_lt_f16_e32 vcc, s8, v4
	s_nop 1
	v_cndmask_b32_e32 v0, v11, v0, vcc
	v_mul_f32_e32 v11, 0x4f800000, v0
	v_cmp_gt_f32_e32 vcc, s11, v0
	s_nop 1
	v_cndmask_b32_e32 v0, v0, v11, vcc
	v_sqrt_f32_e32 v11, v0
	s_nop 0
	v_add_u32_e32 v13, -1, v11
	v_add_u32_e32 v14, 1, v11
	v_fma_f32 v15, -v13, v11, v0
	v_fma_f32 v16, -v14, v11, v0
	v_cmp_ge_f32_e64 s[4:5], 0, v15
	s_nop 1
	v_cndmask_b32_e64 v11, v11, v13, s[4:5]
	v_cmp_lt_f32_e64 s[4:5], 0, v16
	s_nop 1
	v_cndmask_b32_e64 v11, v11, v14, s[4:5]
	v_mul_f32_e32 v13, 0x37800000, v11
	v_cndmask_b32_e32 v11, v11, v13, vcc
	v_cmp_class_f32_e32 vcc, v0, v1
	s_nop 1
	v_cndmask_b32_e32 v0, v11, v0, vcc
	s_mov_b64 vcc, s[2:3]
	s_cbranch_vccz .LBB323_6
; %bb.5:
	global_load_dword v11, v10, s[22:23]
	s_waitcnt vmcnt(0)
	v_add_f32_e32 v0, v0, v11
.LBB323_6:
	v_cvt_f32_f16_sdwa v11, v4 dst_sel:DWORD dst_unused:UNUSED_PAD src0_sel:WORD_1
	v_mul_f32_e32 v13, 0x3fb8aa3b, v11
	v_exp_f32_e32 v13, v13
	s_nop 0
	v_add_f32_e32 v13, 1.0, v13
	v_cmp_gt_f32_e32 vcc, s12, v13
	s_nop 1
	v_cndmask_b32_e32 v2, 1.0, v2, vcc
	v_mul_f32_e32 v2, v13, v2
	v_log_f32_e32 v2, v2
	v_cndmask_b32_e32 v3, 0, v3, vcc
	v_mul_f32_e32 v13, 0x3f317217, v2
	v_fma_f32 v13, v2, s9, -v13
	v_fmac_f32_e32 v13, 0x3377d1cf, v2
	v_fmac_f32_e32 v13, 0x3f317217, v2
	v_cmp_lt_f32_e64 vcc, |v2|, s10
	s_nop 1
	v_cndmask_b32_e32 v2, v2, v13, vcc
	v_sub_f32_e32 v2, v2, v3
	v_cmp_gt_f16_sdwa vcc, v4, s8 src0_sel:WORD_1 src1_sel:DWORD
	v_cndmask_b32_e64 v4, 0, 1, s[6:7]
	v_cmp_ne_u32_e64 s[2:3], 1, v4
	v_cndmask_b32_e32 v2, v2, v11, vcc
	v_mul_f32_e32 v3, 0x4f800000, v2
	v_cmp_gt_f32_e64 s[4:5], s11, v2
	s_andn2_b64 vcc, exec, s[6:7]
	s_nop 0
	v_cndmask_b32_e64 v2, v2, v3, s[4:5]
	v_sqrt_f32_e32 v3, v2
	s_nop 0
	v_add_u32_e32 v4, -1, v3
	v_add_u32_e32 v11, 1, v3
	v_fma_f32 v13, -v4, v3, v2
	v_fma_f32 v14, -v11, v3, v2
	v_cmp_ge_f32_e64 s[6:7], 0, v13
	s_nop 1
	v_cndmask_b32_e64 v3, v3, v4, s[6:7]
	v_cmp_lt_f32_e64 s[6:7], 0, v14
	s_nop 1
	v_cndmask_b32_e64 v3, v3, v11, s[6:7]
	v_mul_f32_e32 v4, 0x37800000, v3
	v_cndmask_b32_e64 v3, v3, v4, s[4:5]
	v_cmp_class_f32_e64 s[4:5], v2, v1
	s_nop 1
	v_cndmask_b32_e64 v1, v3, v2, s[4:5]
	s_cbranch_vccnz .LBB323_8
; %bb.7:
	global_load_dword v2, v10, s[22:23] offset:4
	s_waitcnt vmcnt(0)
	v_add_f32_e32 v1, v1, v2
.LBB323_8:
	v_cvt_f32_f16_e32 v2, v5
	s_mov_b32 s8, 0x800000
	v_mov_b32_e32 v4, 0x4f800000
	s_mov_b32 s7, 0x3f317217
	v_mul_f32_e32 v3, 0x3fb8aa3b, v2
	v_exp_f32_e32 v3, v3
	s_mov_b32 s9, 0x7f800000
	s_movk_i32 s6, 0x4d00
	s_mov_b32 s10, 0xf800000
	v_add_f32_e32 v3, 1.0, v3
	v_cmp_gt_f32_e32 vcc, s8, v3
	s_nop 1
	v_cndmask_b32_e32 v11, 1.0, v4, vcc
	v_mul_f32_e32 v3, v3, v11
	v_log_f32_e32 v3, v3
	v_mov_b32_e32 v11, 0x41b17218
	v_cndmask_b32_e32 v13, 0, v11, vcc
	v_mul_f32_e32 v14, 0x3f317217, v3
	v_fma_f32 v14, v3, s7, -v14
	v_fmac_f32_e32 v14, 0x3377d1cf, v3
	v_fmac_f32_e32 v14, 0x3f317217, v3
	v_cmp_lt_f32_e64 vcc, |v3|, s9
	s_nop 1
	v_cndmask_b32_e32 v3, v3, v14, vcc
	v_sub_f32_e32 v3, v3, v13
	v_cmp_lt_f16_e32 vcc, s6, v5
	s_nop 1
	v_cndmask_b32_e32 v2, v3, v2, vcc
	v_mul_f32_e32 v3, 0x4f800000, v2
	v_cmp_gt_f32_e32 vcc, s10, v2
	s_nop 1
	v_cndmask_b32_e32 v2, v2, v3, vcc
	v_sqrt_f32_e32 v3, v2
	s_nop 0
	v_add_u32_e32 v13, -1, v3
	v_fma_f32 v14, -v13, v3, v2
	v_cmp_ge_f32_e64 s[4:5], 0, v14
	v_add_u32_e32 v14, 1, v3
	s_nop 0
	v_cndmask_b32_e64 v13, v3, v13, s[4:5]
	v_fma_f32 v3, -v14, v3, v2
	v_cmp_lt_f32_e64 s[4:5], 0, v3
	s_nop 1
	v_cndmask_b32_e64 v3, v13, v14, s[4:5]
	v_mul_f32_e32 v13, 0x37800000, v3
	v_cndmask_b32_e32 v13, v3, v13, vcc
	v_mov_b32_e32 v3, 0x260
	v_cmp_class_f32_e64 s[4:5], v2, v3
	s_and_b64 vcc, exec, s[2:3]
	s_nop 0
	v_cndmask_b32_e64 v2, v13, v2, s[4:5]
	s_cbranch_vccnz .LBB323_10
; %bb.9:
	global_load_dword v13, v10, s[22:23] offset:8
	s_waitcnt vmcnt(0)
	v_add_f32_e32 v2, v2, v13
.LBB323_10:
	v_cvt_f32_f16_sdwa v13, v5 dst_sel:DWORD dst_unused:UNUSED_PAD src0_sel:WORD_1
	v_mul_f32_e32 v14, 0x3fb8aa3b, v13
	v_exp_f32_e32 v14, v14
	s_nop 0
	v_add_f32_e32 v14, 1.0, v14
	v_cmp_gt_f32_e32 vcc, s8, v14
	s_nop 1
	v_cndmask_b32_e32 v4, 1.0, v4, vcc
	v_mul_f32_e32 v4, v14, v4
	v_log_f32_e32 v4, v4
	v_cndmask_b32_e32 v11, 0, v11, vcc
	v_mul_f32_e32 v14, 0x3f317217, v4
	v_fma_f32 v14, v4, s7, -v14
	v_fmac_f32_e32 v14, 0x3377d1cf, v4
	v_fmac_f32_e32 v14, 0x3f317217, v4
	v_cmp_lt_f32_e64 vcc, |v4|, s9
	s_nop 1
	v_cndmask_b32_e32 v4, v4, v14, vcc
	v_sub_f32_e32 v4, v4, v11
	v_cmp_gt_f16_sdwa vcc, v5, s6 src0_sel:WORD_1 src1_sel:DWORD
	s_nop 1
	v_cndmask_b32_e32 v4, v4, v13, vcc
	v_mul_f32_e32 v5, 0x4f800000, v4
	v_cmp_gt_f32_e64 s[4:5], s10, v4
	s_and_b64 vcc, exec, s[2:3]
	s_nop 0
	v_cndmask_b32_e64 v4, v4, v5, s[4:5]
	v_sqrt_f32_e32 v5, v4
	s_nop 0
	v_add_u32_e32 v11, -1, v5
	v_add_u32_e32 v13, 1, v5
	v_fma_f32 v14, -v11, v5, v4
	v_fma_f32 v15, -v13, v5, v4
	v_cmp_ge_f32_e64 s[6:7], 0, v14
	s_nop 1
	v_cndmask_b32_e64 v5, v5, v11, s[6:7]
	v_cmp_lt_f32_e64 s[6:7], 0, v15
	s_nop 1
	v_cndmask_b32_e64 v5, v5, v13, s[6:7]
	v_mul_f32_e32 v11, 0x37800000, v5
	v_cndmask_b32_e64 v5, v5, v11, s[4:5]
	v_cmp_class_f32_e64 s[4:5], v4, v3
	s_nop 1
	v_cndmask_b32_e64 v3, v5, v4, s[4:5]
	s_cbranch_vccnz .LBB323_12
; %bb.11:
	global_load_dword v4, v10, s[22:23] offset:12
	s_waitcnt vmcnt(0)
	v_add_f32_e32 v3, v3, v4
.LBB323_12:
	v_cvt_f32_f16_e32 v4, v6
	v_mov_b32_e32 v11, 0x4f800000
	s_mov_b32 s7, 0x3f317217
	s_movk_i32 s6, 0x4d00
	v_mul_f32_e32 v5, 0x3fb8aa3b, v4
	v_exp_f32_e32 v5, v5
	s_nop 0
	v_add_f32_e32 v5, 1.0, v5
	v_cmp_gt_f32_e32 vcc, s8, v5
	s_nop 1
	v_cndmask_b32_e32 v13, 1.0, v11, vcc
	v_mul_f32_e32 v5, v5, v13
	v_log_f32_e32 v5, v5
	v_mov_b32_e32 v13, 0x41b17218
	v_cndmask_b32_e32 v14, 0, v13, vcc
	v_mul_f32_e32 v15, 0x3f317217, v5
	v_fma_f32 v15, v5, s7, -v15
	v_fmac_f32_e32 v15, 0x3377d1cf, v5
	v_fmac_f32_e32 v15, 0x3f317217, v5
	v_cmp_lt_f32_e64 vcc, |v5|, s9
	s_nop 1
	v_cndmask_b32_e32 v5, v5, v15, vcc
	v_sub_f32_e32 v5, v5, v14
	v_cmp_lt_f16_e32 vcc, s6, v6
	s_nop 1
	v_cndmask_b32_e32 v4, v5, v4, vcc
	v_mul_f32_e32 v5, 0x4f800000, v4
	v_cmp_gt_f32_e32 vcc, s10, v4
	s_nop 1
	v_cndmask_b32_e32 v4, v4, v5, vcc
	v_sqrt_f32_e32 v5, v4
	s_nop 0
	v_add_u32_e32 v14, -1, v5
	v_fma_f32 v15, -v14, v5, v4
	v_cmp_ge_f32_e64 s[4:5], 0, v15
	v_add_u32_e32 v15, 1, v5
	s_nop 0
	v_cndmask_b32_e64 v14, v5, v14, s[4:5]
	v_fma_f32 v5, -v15, v5, v4
	v_cmp_lt_f32_e64 s[4:5], 0, v5
	s_nop 1
	v_cndmask_b32_e64 v5, v14, v15, s[4:5]
	v_mul_f32_e32 v14, 0x37800000, v5
	v_cndmask_b32_e32 v14, v5, v14, vcc
	v_mov_b32_e32 v5, 0x260
	v_cmp_class_f32_e64 s[4:5], v4, v5
	s_and_b64 vcc, exec, s[2:3]
	s_nop 0
	v_cndmask_b32_e64 v4, v14, v4, s[4:5]
	s_cbranch_vccnz .LBB323_14
; %bb.13:
	global_load_dword v14, v10, s[22:23] offset:16
	s_waitcnt vmcnt(0)
	v_add_f32_e32 v4, v4, v14
.LBB323_14:
	v_cvt_f32_f16_sdwa v14, v6 dst_sel:DWORD dst_unused:UNUSED_PAD src0_sel:WORD_1
	v_mul_f32_e32 v15, 0x3fb8aa3b, v14
	v_exp_f32_e32 v15, v15
	s_nop 0
	v_add_f32_e32 v15, 1.0, v15
	v_cmp_gt_f32_e32 vcc, s8, v15
	s_nop 1
	v_cndmask_b32_e32 v11, 1.0, v11, vcc
	v_mul_f32_e32 v11, v15, v11
	v_log_f32_e32 v11, v11
	v_cndmask_b32_e32 v13, 0, v13, vcc
	v_mul_f32_e32 v15, 0x3f317217, v11
	v_fma_f32 v15, v11, s7, -v15
	v_fmac_f32_e32 v15, 0x3377d1cf, v11
	v_fmac_f32_e32 v15, 0x3f317217, v11
	v_cmp_lt_f32_e64 vcc, |v11|, s9
	s_nop 1
	v_cndmask_b32_e32 v11, v11, v15, vcc
	v_sub_f32_e32 v11, v11, v13
	v_cmp_gt_f16_sdwa vcc, v6, s6 src0_sel:WORD_1 src1_sel:DWORD
	s_nop 1
	v_cndmask_b32_e32 v6, v11, v14, vcc
	v_mul_f32_e32 v11, 0x4f800000, v6
	v_cmp_gt_f32_e64 s[4:5], s10, v6
	s_and_b64 vcc, exec, s[2:3]
	s_nop 0
	v_cndmask_b32_e64 v6, v6, v11, s[4:5]
	v_sqrt_f32_e32 v11, v6
	s_nop 0
	v_add_u32_e32 v13, -1, v11
	v_add_u32_e32 v14, 1, v11
	v_fma_f32 v15, -v13, v11, v6
	v_fma_f32 v16, -v14, v11, v6
	v_cmp_ge_f32_e64 s[6:7], 0, v15
	s_nop 1
	v_cndmask_b32_e64 v11, v11, v13, s[6:7]
	v_cmp_lt_f32_e64 s[6:7], 0, v16
	s_nop 1
	v_cndmask_b32_e64 v11, v11, v14, s[6:7]
	v_mul_f32_e32 v13, 0x37800000, v11
	v_cndmask_b32_e64 v11, v11, v13, s[4:5]
	v_cmp_class_f32_e64 s[4:5], v6, v5
	s_nop 1
	v_cndmask_b32_e64 v5, v11, v6, s[4:5]
	s_cbranch_vccnz .LBB323_16
; %bb.15:
	global_load_dword v6, v10, s[22:23] offset:20
	s_waitcnt vmcnt(0)
	v_add_f32_e32 v5, v5, v6
.LBB323_16:
	v_cvt_f32_f16_e32 v6, v7
	v_mov_b32_e32 v13, 0x4f800000
	s_mov_b32 s7, 0x3f317217
	s_movk_i32 s6, 0x4d00
	v_mul_f32_e32 v11, 0x3fb8aa3b, v6
	v_exp_f32_e32 v11, v11
	s_nop 0
	v_add_f32_e32 v11, 1.0, v11
	v_cmp_gt_f32_e32 vcc, s8, v11
	s_nop 1
	v_cndmask_b32_e32 v14, 1.0, v13, vcc
	v_mul_f32_e32 v11, v11, v14
	v_log_f32_e32 v11, v11
	v_mov_b32_e32 v14, 0x41b17218
	v_cndmask_b32_e32 v15, 0, v14, vcc
	v_mul_f32_e32 v16, 0x3f317217, v11
	v_fma_f32 v16, v11, s7, -v16
	v_fmac_f32_e32 v16, 0x3377d1cf, v11
	v_fmac_f32_e32 v16, 0x3f317217, v11
	v_cmp_lt_f32_e64 vcc, |v11|, s9
	s_nop 1
	v_cndmask_b32_e32 v11, v11, v16, vcc
	v_sub_f32_e32 v11, v11, v15
	v_cmp_lt_f16_e32 vcc, s6, v7
	s_nop 1
	v_cndmask_b32_e32 v6, v11, v6, vcc
	v_mul_f32_e32 v11, 0x4f800000, v6
	v_cmp_gt_f32_e32 vcc, s10, v6
	s_nop 1
	v_cndmask_b32_e32 v6, v6, v11, vcc
	v_sqrt_f32_e32 v11, v6
	s_nop 0
	v_add_u32_e32 v15, -1, v11
	v_fma_f32 v16, -v15, v11, v6
	v_cmp_ge_f32_e64 s[4:5], 0, v16
	v_add_u32_e32 v16, 1, v11
	s_nop 0
	v_cndmask_b32_e64 v15, v11, v15, s[4:5]
	v_fma_f32 v11, -v16, v11, v6
	v_cmp_lt_f32_e64 s[4:5], 0, v11
	s_nop 1
	v_cndmask_b32_e64 v11, v15, v16, s[4:5]
	v_mul_f32_e32 v15, 0x37800000, v11
	v_cndmask_b32_e32 v15, v11, v15, vcc
	v_mov_b32_e32 v11, 0x260
	v_cmp_class_f32_e64 s[4:5], v6, v11
	s_and_b64 vcc, exec, s[2:3]
	s_nop 0
	v_cndmask_b32_e64 v6, v15, v6, s[4:5]
	s_cbranch_vccnz .LBB323_18
; %bb.17:
	global_load_dword v15, v10, s[22:23] offset:24
	s_waitcnt vmcnt(0)
	v_add_f32_e32 v6, v6, v15
.LBB323_18:
	v_cvt_f32_f16_sdwa v15, v7 dst_sel:DWORD dst_unused:UNUSED_PAD src0_sel:WORD_1
	v_mul_f32_e32 v16, 0x3fb8aa3b, v15
	v_exp_f32_e32 v16, v16
	s_nop 0
	v_add_f32_e32 v16, 1.0, v16
	v_cmp_gt_f32_e32 vcc, s8, v16
	s_nop 1
	v_cndmask_b32_e32 v13, 1.0, v13, vcc
	v_mul_f32_e32 v13, v16, v13
	v_log_f32_e32 v13, v13
	v_cndmask_b32_e32 v14, 0, v14, vcc
	v_mul_f32_e32 v16, 0x3f317217, v13
	v_fma_f32 v16, v13, s7, -v16
	v_fmac_f32_e32 v16, 0x3377d1cf, v13
	v_fmac_f32_e32 v16, 0x3f317217, v13
	v_cmp_lt_f32_e64 vcc, |v13|, s9
	s_nop 1
	v_cndmask_b32_e32 v13, v13, v16, vcc
	v_sub_f32_e32 v13, v13, v14
	v_cmp_gt_f16_sdwa vcc, v7, s6 src0_sel:WORD_1 src1_sel:DWORD
	s_nop 1
	v_cndmask_b32_e32 v7, v13, v15, vcc
	v_mul_f32_e32 v13, 0x4f800000, v7
	v_cmp_gt_f32_e64 s[4:5], s10, v7
	s_and_b64 vcc, exec, s[2:3]
	s_nop 0
	v_cndmask_b32_e64 v7, v7, v13, s[4:5]
	v_sqrt_f32_e32 v13, v7
	s_nop 0
	v_add_u32_e32 v14, -1, v13
	v_add_u32_e32 v15, 1, v13
	v_fma_f32 v16, -v14, v13, v7
	v_fma_f32 v17, -v15, v13, v7
	v_cmp_ge_f32_e64 s[6:7], 0, v16
	s_nop 1
	v_cndmask_b32_e64 v13, v13, v14, s[6:7]
	v_cmp_lt_f32_e64 s[6:7], 0, v17
	s_nop 1
	v_cndmask_b32_e64 v13, v13, v15, s[6:7]
	v_mul_f32_e32 v14, 0x37800000, v13
	v_cndmask_b32_e64 v13, v13, v14, s[4:5]
	v_cmp_class_f32_e64 s[4:5], v7, v11
	s_nop 1
	v_cndmask_b32_e64 v7, v13, v7, s[4:5]
	s_cbranch_vccnz .LBB323_20
; %bb.19:
	global_load_dword v10, v10, s[22:23] offset:28
	s_waitcnt vmcnt(0)
	v_add_f32_e32 v7, v7, v10
.LBB323_20:
	s_load_dwordx4 s[24:27], s[0:1], 0x30
	s_mov_b32 s42, 0
	v_cmp_eq_u32_e64 s[6:7], 0, v9
	s_waitcnt lgkmcnt(0)
	s_bitcmp1_b32 s27, 0
	s_cselect_b64 s[4:5], -1, 0
	s_cmp_gt_i32 s24, 0
	s_cselect_b64 s[38:39], -1, 0
	s_and_b64 vcc, exec, s[38:39]
	s_cbranch_vccz .LBB323_39
; %bb.21:
	v_mbcnt_lo_u32_b32 v10, -1, 0
	v_mbcnt_hi_u32_b32 v10, -1, v10
	v_and_b32_e32 v11, 0x7c, v10
	v_add_u32_e32 v11, 4, v11
	v_xor_b32_e32 v13, 2, v10
	v_cmp_lt_i32_e32 vcc, v13, v11
	s_load_dwordx4 s[28:31], s[0:1], 0x20
	v_mul_lo_u32 v14, v8, s24
	v_cndmask_b32_e32 v13, v10, v13, vcc
	v_lshlrev_b32_e32 v15, 2, v13
	v_xor_b32_e32 v13, 1, v10
	v_cmp_lt_i32_e32 vcc, v13, v11
	v_mov_b32_e32 v17, 0xc61c4000
	v_mov_b32_e32 v18, v8
	v_cndmask_b32_e32 v10, v10, v13, vcc
	v_lshlrev_b32_e32 v16, 2, v10
	v_mov_b32_e32 v13, 0
	s_branch .LBB323_24
.LBB323_22:                             ;   in Loop: Header=BB323_24 Depth=1
	s_or_b64 exec, exec, s[40:41]
.LBB323_23:                             ;   in Loop: Header=BB323_24 Depth=1
	s_cmp_eq_u32 s24, s42
	v_add_u32_e32 v18, s33, v18
	s_cbranch_scc1 .LBB323_40
.LBB323_24:                             ; =>This Inner Loop Header: Depth=1
	v_cmp_gt_f32_e32 vcc, v1, v0
	s_nop 1
	v_cndmask_b32_e32 v11, v0, v1, vcc
	v_cndmask_b32_e64 v10, 0, 1, vcc
	v_cmp_gt_f32_e32 vcc, v2, v11
	s_nop 1
	v_cndmask_b32_e32 v11, v11, v2, vcc
	v_cndmask_b32_e64 v10, v10, 2, vcc
	;; [unrolled: 4-line block ×6, first 2 shown]
	v_cmp_gt_f32_e32 vcc, v7, v11
	s_nop 1
	v_cndmask_b32_e64 v10, v10, 7, vcc
	v_cndmask_b32_e32 v19, v11, v7, vcc
	ds_bpermute_b32 v11, v15, v19
	v_or_b32_e32 v10, v12, v10
	s_waitcnt lgkmcnt(0)
	ds_bpermute_b32 v20, v15, v10
	s_waitcnt lgkmcnt(0)
	v_cmp_lt_f32_e64 s[8:9], v19, v11
	v_cmp_nlt_f32_e32 vcc, v19, v11
	s_and_saveexec_b64 s[10:11], vcc
; %bb.25:                               ;   in Loop: Header=BB323_24 Depth=1
	v_cmp_eq_f32_e32 vcc, v19, v11
	v_cmp_lt_i32_e64 s[0:1], v20, v10
	s_and_b64 s[0:1], vcc, s[0:1]
	s_andn2_b64 s[8:9], s[8:9], exec
	s_and_b64 s[0:1], s[0:1], exec
	s_or_b64 s[8:9], s[8:9], s[0:1]
; %bb.26:                               ;   in Loop: Header=BB323_24 Depth=1
	s_or_b64 exec, exec, s[10:11]
	s_and_saveexec_b64 s[0:1], s[8:9]
; %bb.27:                               ;   in Loop: Header=BB323_24 Depth=1
	v_mov_b32_e32 v19, v11
	v_mov_b32_e32 v10, v20
; %bb.28:                               ;   in Loop: Header=BB323_24 Depth=1
	s_or_b64 exec, exec, s[0:1]
	ds_bpermute_b32 v11, v16, v19
	ds_bpermute_b32 v20, v16, v10
	s_waitcnt lgkmcnt(1)
	v_cmp_lt_f32_e64 s[8:9], v19, v11
	v_cmp_nlt_f32_e32 vcc, v19, v11
	s_and_saveexec_b64 s[10:11], vcc
	s_cbranch_execnz .LBB323_32
; %bb.29:                               ;   in Loop: Header=BB323_24 Depth=1
	s_or_b64 exec, exec, s[10:11]
	s_and_saveexec_b64 s[0:1], s[8:9]
	s_cbranch_execnz .LBB323_33
.LBB323_30:                             ;   in Loop: Header=BB323_24 Depth=1
	s_or_b64 exec, exec, s[0:1]
	s_and_saveexec_b64 s[8:9], s[6:7]
	s_cbranch_execnz .LBB323_34
.LBB323_31:                             ;   in Loop: Header=BB323_24 Depth=1
	s_or_b64 exec, exec, s[8:9]
	s_add_i32 s42, s42, 1
	s_cmp_ge_i32 s42, s24
	s_cbranch_scc1 .LBB323_23
	s_branch .LBB323_37
.LBB323_32:                             ;   in Loop: Header=BB323_24 Depth=1
	v_cmp_eq_f32_e32 vcc, v19, v11
	s_waitcnt lgkmcnt(0)
	v_cmp_lt_i32_e64 s[0:1], v20, v10
	s_and_b64 s[0:1], vcc, s[0:1]
	s_andn2_b64 s[8:9], s[8:9], exec
	s_and_b64 s[0:1], s[0:1], exec
	s_or_b64 s[8:9], s[8:9], s[0:1]
	s_or_b64 exec, exec, s[10:11]
	s_and_saveexec_b64 s[0:1], s[8:9]
	s_cbranch_execz .LBB323_30
.LBB323_33:                             ;   in Loop: Header=BB323_24 Depth=1
	s_waitcnt lgkmcnt(0)
	v_mov_b32_e32 v10, v20
	v_mov_b32_e32 v19, v11
	s_or_b64 exec, exec, s[0:1]
	s_and_saveexec_b64 s[8:9], s[6:7]
	s_cbranch_execz .LBB323_31
.LBB323_34:                             ;   in Loop: Header=BB323_24 Depth=1
	s_and_b64 vcc, exec, s[2:3]
	s_cbranch_vccnz .LBB323_36
; %bb.35:                               ;   in Loop: Header=BB323_24 Depth=1
	v_ashrrev_i32_e32 v11, 31, v10
	s_waitcnt lgkmcnt(0)
	v_lshl_add_u64 v[20:21], v[10:11], 2, s[22:23]
	global_load_dword v11, v[20:21], off
	s_waitcnt vmcnt(0)
	v_sub_f32_e32 v19, v19, v11
.LBB323_36:                             ;   in Loop: Header=BB323_24 Depth=1
	s_waitcnt lgkmcnt(0)
	v_add_u32_e32 v20, s42, v14
	v_ashrrev_i32_e32 v21, 31, v20
	v_cmp_le_i32_e32 vcc, s25, v10
	v_cmp_gt_i32_e64 s[0:1], s26, v10
	v_lshlrev_b64 v[22:23], 2, v[20:21]
	s_and_b64 s[0:1], vcc, s[0:1]
	v_lshl_add_u64 v[24:25], s[34:35], 0, v[22:23]
	v_subrev_u32_e32 v11, s25, v10
	global_store_dword v[24:25], v19, off
	v_ashrrev_i32_e32 v24, 31, v11
	s_and_b64 vcc, s[36:37], s[0:1]
	v_cndmask_b32_e32 v25, 0, v24, vcc
	v_cndmask_b32_e32 v24, 32, v11, vcc
	v_lshl_add_u64 v[20:21], v[20:21], 3, s[28:29]
	v_add_f32_e32 v11, v13, v19
	global_store_dwordx2 v[20:21], v[24:25], off
	v_lshl_add_u64 v[20:21], s[30:31], 0, v[22:23]
	v_cndmask_b32_e64 v13, v13, v11, s[4:5]
	global_store_dword v[20:21], v18, off
	s_or_b64 exec, exec, s[8:9]
	s_add_i32 s42, s42, 1
	s_cmp_ge_i32 s42, s24
	s_cbranch_scc1 .LBB323_23
.LBB323_37:                             ;   in Loop: Header=BB323_24 Depth=1
	v_ashrrev_i32_e32 v19, 31, v10
	v_lshrrev_b32_e32 v11, 29, v19
	v_add_u32_e32 v11, v10, v11
	v_ashrrev_i32_e32 v11, 3, v11
	s_waitcnt lgkmcnt(0)
	v_lshrrev_b32_e32 v20, 30, v11
	v_add_u32_e32 v20, v11, v20
	v_and_b32_e32 v20, -4, v20
	v_sub_u32_e32 v20, v11, v20
	v_cmp_eq_u32_e32 vcc, v9, v20
	s_and_saveexec_b64 s[40:41], vcc
	s_cbranch_execz .LBB323_22
; %bb.38:                               ;   in Loop: Header=BB323_24 Depth=1
	v_lshrrev_b32_e32 v19, 27, v19
	v_add_u32_e32 v19, v10, v19
	v_lshlrev_b32_e32 v11, 3, v11
	v_sub_u32_e32 v10, v10, v11
	v_ashrrev_i32_e32 v11, 5, v19
	v_lshl_add_u32 v10, v11, 3, v10
	v_cmp_ne_u32_e32 vcc, 6, v10
	v_cmp_ne_u32_e64 s[0:1], 5, v10
	v_cmp_ne_u32_e64 s[8:9], 4, v10
	;; [unrolled: 1-line block ×7, first 2 shown]
	v_cndmask_b32_e32 v6, v17, v6, vcc
	v_cndmask_b32_e64 v5, v17, v5, s[0:1]
	v_cndmask_b32_e64 v7, v17, v7, s[18:19]
	;; [unrolled: 1-line block ×7, first 2 shown]
	s_branch .LBB323_22
.LBB323_39:
	v_mov_b32_e32 v13, 0
.LBB323_40:
	v_cmp_eq_u32_e32 vcc, 0, v9
	s_and_b64 exec, exec, vcc
	s_cbranch_execz .LBB323_53
; %bb.41:
	s_andn2_b64 vcc, exec, s[4:5]
	v_cvt_f32_f64_e32 v0, s[20:21]
	s_cbranch_vccnz .LBB323_43
; %bb.42:
	v_cmp_lt_f32_e32 vcc, 0, v13
	s_nop 1
	v_cndmask_b32_e32 v1, 1.0, v13, vcc
	v_div_scale_f32 v2, s[0:1], v1, v1, v0
	v_rcp_f32_e32 v3, v2
	s_nop 0
	v_fma_f32 v4, -v2, v3, 1.0
	v_fmac_f32_e32 v3, v4, v3
	v_div_scale_f32 v4, vcc, v0, v1, v0
	v_mul_f32_e32 v5, v4, v3
	v_fma_f32 v6, -v2, v5, v4
	v_fmac_f32_e32 v5, v6, v3
	v_fma_f32 v2, -v2, v5, v4
	v_div_fmas_f32 v2, v2, v3, v5
	v_div_fixup_f32 v0, v2, v1, v0
.LBB323_43:
	s_andn2_b64 vcc, exec, s[38:39]
	s_cbranch_vccnz .LBB323_53
; %bb.44:
	v_mul_lo_u32 v2, v8, s24
	s_cmp_gt_u32 s24, 3
	v_ashrrev_i32_e32 v3, 31, v2
	s_cbranch_scc0 .LBB323_48
; %bb.45:
	s_and_b32 s0, s24, 0x7ffffffc
	v_lshl_add_u64 v[4:5], v[2:3], 2, s[34:35]
	v_mov_b32_e32 v1, v0
	v_lshl_add_u64 v[4:5], v[4:5], 0, 8
	s_mov_b32 s1, s0
.LBB323_46:                             ; =>This Inner Loop Header: Depth=1
	global_load_dwordx4 v[6:9], v[4:5], off offset:-8
	s_add_i32 s1, s1, -4
	s_cmp_lg_u32 s1, 0
	s_waitcnt vmcnt(0)
	v_pk_mul_f32 v[6:7], v[0:1], v[6:7]
	v_pk_mul_f32 v[8:9], v[0:1], v[8:9]
	global_store_dwordx4 v[4:5], v[6:9], off offset:-8
	v_lshl_add_u64 v[4:5], v[4:5], 0, 16
	s_cbranch_scc1 .LBB323_46
; %bb.47:
	s_cmp_lg_u32 s0, s24
	s_cselect_b64 s[2:3], -1, 0
	s_branch .LBB323_50
.LBB323_48:
	s_mov_b64 s[2:3], 0
                                        ; implicit-def: $sgpr0
	s_cbranch_execz .LBB323_50
; %bb.49:
	s_mov_b64 s[2:3], -1
	s_mov_b32 s0, 0
.LBB323_50:
	s_andn2_b64 vcc, exec, s[2:3]
	s_cbranch_vccnz .LBB323_53
; %bb.51:
	s_mov_b32 s1, 0
	v_lshl_add_u64 v[2:3], v[2:3], 0, s[0:1]
	s_sub_i32 s2, s24, s0
	v_lshl_add_u64 v[2:3], v[2:3], 2, s[34:35]
.LBB323_52:                             ; =>This Inner Loop Header: Depth=1
	global_load_dword v1, v[2:3], off
	s_add_i32 s2, s2, -1
	s_cmp_lg_u32 s2, 0
	s_waitcnt vmcnt(0)
	v_mul_f32_e32 v1, v0, v1
	global_store_dword v[2:3], v1, off
	v_lshl_add_u64 v[2:3], v[2:3], 0, 4
	s_cbranch_scc1 .LBB323_52
.LBB323_53:
	s_endpgm
	.section	.rodata,"a",@progbits
	.p2align	6, 0x0
	.amdhsa_kernel _ZN4vllm3moe22topkGatingSoftplusSqrtILi8ELi32ELi4ELi16ELi32ELb0El6__halfEEvPKT6_PKbPfiPT5_PiiiibdPKfPKS9_SF_
		.amdhsa_group_segment_fixed_size 0
		.amdhsa_private_segment_fixed_size 0
		.amdhsa_kernarg_size 96
		.amdhsa_user_sgpr_count 2
		.amdhsa_user_sgpr_dispatch_ptr 0
		.amdhsa_user_sgpr_queue_ptr 0
		.amdhsa_user_sgpr_kernarg_segment_ptr 1
		.amdhsa_user_sgpr_dispatch_id 0
		.amdhsa_user_sgpr_kernarg_preload_length 0
		.amdhsa_user_sgpr_kernarg_preload_offset 0
		.amdhsa_user_sgpr_private_segment_size 0
		.amdhsa_uses_dynamic_stack 0
		.amdhsa_enable_private_segment 0
		.amdhsa_system_sgpr_workgroup_id_x 1
		.amdhsa_system_sgpr_workgroup_id_y 0
		.amdhsa_system_sgpr_workgroup_id_z 0
		.amdhsa_system_sgpr_workgroup_info 0
		.amdhsa_system_vgpr_workitem_id 1
		.amdhsa_next_free_vgpr 26
		.amdhsa_next_free_sgpr 43
		.amdhsa_accum_offset 28
		.amdhsa_reserve_vcc 1
		.amdhsa_float_round_mode_32 0
		.amdhsa_float_round_mode_16_64 0
		.amdhsa_float_denorm_mode_32 3
		.amdhsa_float_denorm_mode_16_64 3
		.amdhsa_dx10_clamp 1
		.amdhsa_ieee_mode 1
		.amdhsa_fp16_overflow 0
		.amdhsa_tg_split 0
		.amdhsa_exception_fp_ieee_invalid_op 0
		.amdhsa_exception_fp_denorm_src 0
		.amdhsa_exception_fp_ieee_div_zero 0
		.amdhsa_exception_fp_ieee_overflow 0
		.amdhsa_exception_fp_ieee_underflow 0
		.amdhsa_exception_fp_ieee_inexact 0
		.amdhsa_exception_int_div_zero 0
	.end_amdhsa_kernel
	.section	.text._ZN4vllm3moe22topkGatingSoftplusSqrtILi8ELi32ELi4ELi16ELi32ELb0El6__halfEEvPKT6_PKbPfiPT5_PiiiibdPKfPKS9_SF_,"axG",@progbits,_ZN4vllm3moe22topkGatingSoftplusSqrtILi8ELi32ELi4ELi16ELi32ELb0El6__halfEEvPKT6_PKbPfiPT5_PiiiibdPKfPKS9_SF_,comdat
.Lfunc_end323:
	.size	_ZN4vllm3moe22topkGatingSoftplusSqrtILi8ELi32ELi4ELi16ELi32ELb0El6__halfEEvPKT6_PKbPfiPT5_PiiiibdPKfPKS9_SF_, .Lfunc_end323-_ZN4vllm3moe22topkGatingSoftplusSqrtILi8ELi32ELi4ELi16ELi32ELb0El6__halfEEvPKT6_PKbPfiPT5_PiiiibdPKfPKS9_SF_
                                        ; -- End function
	.section	.AMDGPU.csdata,"",@progbits
; Kernel info:
; codeLenInByte = 3828
; NumSgprs: 49
; NumVgprs: 26
; NumAgprs: 0
; TotalNumVgprs: 26
; ScratchSize: 0
; MemoryBound: 0
; FloatMode: 240
; IeeeMode: 1
; LDSByteSize: 0 bytes/workgroup (compile time only)
; SGPRBlocks: 6
; VGPRBlocks: 3
; NumSGPRsForWavesPerEU: 49
; NumVGPRsForWavesPerEU: 26
; AccumOffset: 28
; Occupancy: 8
; WaveLimiterHint : 0
; COMPUTE_PGM_RSRC2:SCRATCH_EN: 0
; COMPUTE_PGM_RSRC2:USER_SGPR: 2
; COMPUTE_PGM_RSRC2:TRAP_HANDLER: 0
; COMPUTE_PGM_RSRC2:TGID_X_EN: 1
; COMPUTE_PGM_RSRC2:TGID_Y_EN: 0
; COMPUTE_PGM_RSRC2:TGID_Z_EN: 0
; COMPUTE_PGM_RSRC2:TIDIG_COMP_CNT: 1
; COMPUTE_PGM_RSRC3_GFX90A:ACCUM_OFFSET: 6
; COMPUTE_PGM_RSRC3_GFX90A:TG_SPLIT: 0
	.section	.text._ZN4vllm3moe22topkGatingSoftplusSqrtILi8ELi64ELi4ELi16ELi64ELb1El6__halfEEvPKT6_PKbPfiPT5_PiiiibdPKfPKS9_SF_,"axG",@progbits,_ZN4vllm3moe22topkGatingSoftplusSqrtILi8ELi64ELi4ELi16ELi64ELb1El6__halfEEvPKT6_PKbPfiPT5_PiiiibdPKfPKS9_SF_,comdat
	.protected	_ZN4vllm3moe22topkGatingSoftplusSqrtILi8ELi64ELi4ELi16ELi64ELb1El6__halfEEvPKT6_PKbPfiPT5_PiiiibdPKfPKS9_SF_ ; -- Begin function _ZN4vllm3moe22topkGatingSoftplusSqrtILi8ELi64ELi4ELi16ELi64ELb1El6__halfEEvPKT6_PKbPfiPT5_PiiiibdPKfPKS9_SF_
	.globl	_ZN4vllm3moe22topkGatingSoftplusSqrtILi8ELi64ELi4ELi16ELi64ELb1El6__halfEEvPKT6_PKbPfiPT5_PiiiibdPKfPKS9_SF_
	.p2align	8
	.type	_ZN4vllm3moe22topkGatingSoftplusSqrtILi8ELi64ELi4ELi16ELi64ELb1El6__halfEEvPKT6_PKbPfiPT5_PiiiibdPKfPKS9_SF_,@function
_ZN4vllm3moe22topkGatingSoftplusSqrtILi8ELi64ELi4ELi16ELi64ELb1El6__halfEEvPKT6_PKbPfiPT5_PiiiibdPKfPKS9_SF_: ; @_ZN4vllm3moe22topkGatingSoftplusSqrtILi8ELi64ELi4ELi16ELi64ELb1El6__halfEEvPKT6_PKbPfiPT5_PiiiibdPKfPKS9_SF_
; %bb.0:
	s_load_dword s3, s[0:1], 0x18
	v_bfe_u32 v1, v0, 10, 10
	v_and_b32_e32 v10, 0x3ff, v0
	s_lshl_b32 s2, s2, 5
	v_lshlrev_b32_e32 v1, 3, v1
	v_lshrrev_b32_e32 v0, 3, v10
	v_add3_u32 v6, s2, v1, v0
	s_waitcnt lgkmcnt(0)
	v_cmp_gt_i32_e32 vcc, s3, v6
	s_and_saveexec_b64 s[2:3], vcc
	s_cbranch_execz .LBB324_31
; %bb.1:
	s_load_dwordx4 s[8:11], s[0:1], 0x50
	s_load_dwordx2 s[2:3], s[0:1], 0x0
	s_load_dword s12, s[0:1], 0x30
	v_lshlrev_b32_e32 v0, 6, v6
	v_lshlrev_b32_e32 v4, 3, v10
	v_ashrrev_i32_e32 v1, 31, v0
	v_and_b32_e32 v12, 56, v4
	s_waitcnt lgkmcnt(0)
	v_mov_b32_e32 v2, s8
	v_mov_b32_e32 v3, s9
	v_lshl_add_u64 v[0:1], v[0:1], 1, s[2:3]
	v_lshlrev_b32_e32 v4, 1, v12
	v_mov_b32_e32 v5, 0
	v_ashrrev_i32_e32 v7, 31, v6
	v_lshl_add_u64 v[2:3], v[6:7], 3, v[2:3]
	v_lshl_add_u64 v[0:1], v[0:1], 0, v[4:5]
	global_load_dwordx2 v[8:9], v[2:3], off
	s_mov_b32 s21, 0x800000
	global_load_dwordx4 v[0:3], v[0:1], off
	s_ashr_i32 s13, s12, 31
	v_mov_b32_e32 v4, 0x4f800000
	s_mov_b32 s19, 0x3f317217
	s_mov_b32 s20, 0x7f800000
	v_mov_b32_e32 v7, 0x41b17218
	s_movk_i32 s15, 0x4d00
	s_mov_b32 s18, 0xf800000
	v_mov_b32_e32 v11, 0x260
	v_cmp_lt_i64_e64 s[16:17], s[12:13], 1
	s_mov_b32 s14, 0
	v_cmp_gt_i64_e64 s[8:9], s[12:13], 0
	s_waitcnt vmcnt(1)
	v_mul_lo_u32 v13, v9, s12
	v_mul_lo_u32 v18, v8, s13
	s_waitcnt vmcnt(0)
	v_cvt_f32_f16_e32 v19, v0
	v_cvt_f32_f16_sdwa v20, v0 dst_sel:DWORD dst_unused:UNUSED_PAD src0_sel:WORD_1
	v_cvt_f32_f16_e32 v21, v1
	v_cvt_f32_f16_sdwa v22, v1 dst_sel:DWORD dst_unused:UNUSED_PAD src0_sel:WORD_1
	v_mul_f32_e32 v9, 0x3fb8aa3b, v19
	v_mul_f32_e32 v15, 0x3fb8aa3b, v20
	v_exp_f32_e32 v14, v9
	v_exp_f32_e32 v15, v15
	v_mul_f32_e32 v16, 0x3fb8aa3b, v21
	v_mul_f32_e32 v17, 0x3fb8aa3b, v22
	v_exp_f32_e32 v16, v16
	v_pk_add_f32 v[14:15], v[14:15], 1.0 op_sel_hi:[1,0]
	v_exp_f32_e32 v17, v17
	v_mad_u64_u32 v[8:9], s[2:3], v8, s12, 0
	v_cmp_gt_f32_e32 vcc, s21, v15
	v_add3_u32 v9, v9, v18, v13
	v_cmp_gt_f32_e64 s[2:3], s21, v14
	v_cndmask_b32_e32 v13, 1.0, v4, vcc
	v_mul_f32_e32 v13, v15, v13
	v_cndmask_b32_e64 v18, 1.0, v4, s[2:3]
	v_mul_f32_e32 v14, v14, v18
	v_log_f32_e32 v13, v13
	v_pk_add_f32 v[16:17], v[16:17], 1.0 op_sel_hi:[1,0]
	v_log_f32_e32 v14, v14
	v_cmp_gt_f32_e64 s[6:7], s21, v16
	v_cndmask_b32_e32 v15, 0, v7, vcc
	v_cmp_lt_f32_e64 vcc, |v13|, s20
	v_cndmask_b32_e64 v24, 1.0, v4, s[6:7]
	v_mul_f32_e32 v16, v16, v24
	v_mul_f32_e32 v24, 0x3f317217, v13
	;; [unrolled: 1-line block ×3, first 2 shown]
	v_fma_f32 v24, v13, s19, -v24
	v_fma_f32 v25, v14, s19, -v25
	v_fmac_f32_e32 v24, 0x3377d1cf, v13
	v_fmac_f32_e32 v25, 0x3377d1cf, v14
	v_fmac_f32_e32 v24, 0x3f317217, v13
	v_fmac_f32_e32 v25, 0x3f317217, v14
	v_cndmask_b32_e32 v13, v13, v24, vcc
	v_cmp_lt_f32_e64 vcc, |v14|, s20
	v_cndmask_b32_e64 v18, 0, v7, s[2:3]
	v_cmp_gt_f32_e64 s[4:5], s21, v17
	v_cndmask_b32_e32 v14, v14, v25, vcc
	v_sub_f32_e32 v14, v14, v18
	v_cmp_lt_f16_e32 vcc, s15, v0
	v_cndmask_b32_e64 v23, 1.0, v4, s[4:5]
	v_sub_f32_e32 v13, v13, v15
	v_cndmask_b32_e32 v14, v14, v19, vcc
	v_cmp_gt_f16_sdwa vcc, v0, s15 src0_sel:WORD_1 src1_sel:DWORD
	v_mul_f32_e32 v17, v17, v23
	v_log_f32_e32 v17, v17
	v_cndmask_b32_e32 v0, v13, v20, vcc
	v_mul_f32_e32 v13, 0x4f800000, v0
	v_cmp_gt_f32_e32 vcc, s18, v0
	v_mul_f32_e32 v15, 0x4f800000, v14
	v_cmp_gt_f32_e64 s[2:3], s18, v14
	v_cndmask_b32_e32 v0, v0, v13, vcc
	v_mul_f32_e32 v26, 0x3f317217, v17
	v_cndmask_b32_e64 v13, v14, v15, s[2:3]
	v_sqrt_f32_e32 v14, v0
	v_sqrt_f32_e32 v15, v13
	v_fma_f32 v26, v17, s19, -v26
	v_fmac_f32_e32 v26, 0x3377d1cf, v17
	v_add_u32_e32 v18, -1, v14
	v_cndmask_b32_e64 v23, 0, v7, s[4:5]
	v_fmac_f32_e32 v26, 0x3f317217, v17
	v_cmp_lt_f32_e64 s[4:5], |v17|, s20
	v_add_u32_e32 v20, -1, v15
	v_fma_f32 v25, -v18, v14, v0
	v_cndmask_b32_e64 v17, v17, v26, s[4:5]
	v_add_u32_e32 v19, 1, v14
	v_fma_f32 v27, -v20, v15, v13
	v_cmp_ge_f32_e64 s[4:5], 0, v25
	v_add_u32_e32 v24, 1, v15
	v_fma_f32 v26, -v19, v14, v0
	v_cndmask_b32_e64 v14, v14, v18, s[4:5]
	v_cmp_ge_f32_e64 s[4:5], 0, v27
	v_fma_f32 v28, -v24, v15, v13
	v_log_f32_e32 v16, v16
	v_cndmask_b32_e64 v15, v15, v20, s[4:5]
	v_cmp_lt_f32_e64 s[4:5], 0, v26
	v_cvt_f32_f16_sdwa v20, v2 dst_sel:DWORD dst_unused:UNUSED_PAD src0_sel:WORD_1
	s_nop 0
	v_cndmask_b32_e64 v14, v14, v19, s[4:5]
	v_cmp_lt_f32_e64 s[4:5], 0, v28
	v_mul_f32_e32 v18, 0x37800000, v14
	v_cndmask_b32_e32 v14, v14, v18, vcc
	v_cndmask_b32_e64 v15, v15, v24, s[4:5]
	v_mul_f32_e32 v19, 0x37800000, v15
	v_cmp_class_f32_e32 vcc, v0, v11
	v_cndmask_b32_e64 v18, v15, v19, s[2:3]
	v_cmp_lt_f16_e64 s[2:3], s15, v1
	v_cndmask_b32_e32 v15, v14, v0, vcc
	v_cmp_class_f32_e32 vcc, v13, v11
	v_sub_f32_e32 v0, v17, v23
	v_cvt_f32_f16_e32 v19, v2
	v_cndmask_b32_e32 v14, v18, v13, vcc
	v_mul_f32_e32 v13, 0x3f317217, v16
	v_fma_f32 v13, v16, s19, -v13
	v_fmac_f32_e32 v13, 0x3377d1cf, v16
	v_fmac_f32_e32 v13, 0x3f317217, v16
	v_cmp_lt_f32_e64 vcc, |v16|, s20
	s_nop 1
	v_cndmask_b32_e32 v13, v16, v13, vcc
	v_cmp_gt_f16_sdwa vcc, v1, s15 src0_sel:WORD_1 src1_sel:DWORD
	v_cndmask_b32_e64 v16, 0, v7, s[6:7]
	v_sub_f32_e32 v13, v13, v16
	v_cndmask_b32_e32 v0, v0, v22, vcc
	v_mul_f32_e32 v17, 0x4f800000, v0
	v_cmp_gt_f32_e32 vcc, s18, v0
	v_cndmask_b32_e64 v1, v13, v21, s[2:3]
	s_nop 0
	v_cndmask_b32_e32 v0, v0, v17, vcc
	v_sqrt_f32_e32 v17, v0
	s_nop 0
	v_add_u32_e32 v13, -1, v17
	v_fma_f32 v16, -v13, v17, v0
	v_cmp_ge_f32_e64 s[2:3], 0, v16
	v_add_u32_e32 v16, 1, v17
	s_nop 0
	v_cndmask_b32_e64 v13, v17, v13, s[2:3]
	v_fma_f32 v17, -v16, v17, v0
	v_cmp_lt_f32_e64 s[2:3], 0, v17
	v_mul_f32_e32 v17, 0x4f800000, v1
	s_nop 0
	v_cndmask_b32_e64 v13, v13, v16, s[2:3]
	v_cmp_gt_f32_e64 s[2:3], s18, v1
	v_mul_f32_e32 v16, 0x37800000, v13
	v_cndmask_b32_e32 v13, v13, v16, vcc
	v_cndmask_b32_e64 v18, v1, v17, s[2:3]
	v_sqrt_f32_e32 v1, v18
	v_cmp_class_f32_e32 vcc, v0, v11
	v_add_u32_e32 v16, 1, v1
	s_nop 0
	v_cndmask_b32_e32 v17, v13, v0, vcc
	v_add_u32_e32 v0, -1, v1
	v_fma_f32 v13, -v0, v1, v18
	v_cmp_ge_f32_e32 vcc, 0, v13
	v_fma_f32 v21, -v16, v1, v18
	s_nop 0
	v_cndmask_b32_e32 v13, v1, v0, vcc
	v_mul_f32_e32 v0, 0x3fb8aa3b, v19
	v_mul_f32_e32 v1, 0x3fb8aa3b, v20
	v_exp_f32_e32 v0, v0
	v_exp_f32_e32 v1, v1
	v_cmp_lt_f32_e32 vcc, 0, v21
	v_pk_add_f32 v[0:1], v[0:1], 1.0 op_sel_hi:[1,0]
	s_nop 0
	v_cndmask_b32_e32 v13, v13, v16, vcc
	v_mul_f32_e32 v16, 0x37800000, v13
	v_cmp_gt_f32_e32 vcc, s21, v1
	v_cndmask_b32_e64 v13, v13, v16, s[2:3]
	v_cmp_class_f32_e64 s[2:3], v18, v11
	v_cndmask_b32_e32 v16, 1.0, v4, vcc
	v_mul_f32_e32 v1, v1, v16
	v_log_f32_e32 v1, v1
	v_cndmask_b32_e64 v16, v13, v18, s[2:3]
	v_cmp_gt_f32_e64 s[2:3], s21, v0
	scratch_store_dwordx4 off, v[14:17], off
	v_mul_f32_e32 v13, 0x3f317217, v1
	v_fma_f32 v13, v1, s19, -v13
	v_cndmask_b32_e64 v14, 1.0, v4, s[2:3]
	v_mul_f32_e32 v0, v0, v14
	v_log_f32_e32 v0, v0
	v_fmac_f32_e32 v13, 0x3377d1cf, v1
	v_fmac_f32_e32 v13, 0x3f317217, v1
	v_cmp_lt_f32_e64 s[4:5], |v1|, s20
	v_cvt_f32_f16_sdwa v17, v3 dst_sel:DWORD dst_unused:UNUSED_PAD src0_sel:WORD_1
	v_mul_f32_e32 v15, 0x3fb8aa3b, v17
	v_cndmask_b32_e64 v1, v1, v13, s[4:5]
	v_cndmask_b32_e32 v13, 0, v7, vcc
	v_sub_f32_e32 v1, v1, v13
	v_mul_f32_e32 v13, 0x3f317217, v0
	v_fma_f32 v13, v0, s19, -v13
	v_fmac_f32_e32 v13, 0x3377d1cf, v0
	v_fmac_f32_e32 v13, 0x3f317217, v0
	v_cmp_lt_f32_e64 vcc, |v0|, s20
	v_exp_f32_e32 v15, v15
	s_nop 0
	v_cndmask_b32_e32 v0, v0, v13, vcc
	v_cmp_gt_f16_sdwa vcc, v2, s15 src0_sel:WORD_1 src1_sel:DWORD
	v_cndmask_b32_e64 v13, 0, v7, s[2:3]
	v_cmp_lt_f16_e64 s[2:3], s15, v2
	v_cndmask_b32_e32 v1, v1, v20, vcc
	v_mul_f32_e32 v14, 0x4f800000, v1
	v_cmp_gt_f32_e32 vcc, s18, v1
	v_sub_f32_e32 v0, v0, v13
	v_cndmask_b32_e64 v0, v0, v19, s[2:3]
	v_cndmask_b32_e32 v1, v1, v14, vcc
	v_sqrt_f32_e32 v14, v1
	s_nop 0
	v_add_u32_e32 v2, -1, v14
	v_fma_f32 v13, -v2, v14, v1
	v_cmp_ge_f32_e64 s[2:3], 0, v13
	v_add_u32_e32 v13, 1, v14
	s_nop 0
	v_cndmask_b32_e64 v2, v14, v2, s[2:3]
	v_fma_f32 v14, -v13, v14, v1
	v_cmp_lt_f32_e64 s[2:3], 0, v14
	v_mul_f32_e32 v14, 0x4f800000, v0
	s_nop 0
	v_cndmask_b32_e64 v2, v2, v13, s[2:3]
	v_cmp_gt_f32_e64 s[2:3], s18, v0
	v_mul_f32_e32 v13, 0x37800000, v2
	v_cndmask_b32_e32 v2, v2, v13, vcc
	v_cndmask_b32_e64 v0, v0, v14, s[2:3]
	v_sqrt_f32_e32 v14, v0
	v_cmp_class_f32_e32 vcc, v1, v11
	v_add_u32_e32 v16, 1, v14
	s_nop 0
	v_cndmask_b32_e32 v1, v2, v1, vcc
	v_add_u32_e32 v2, -1, v14
	v_fma_f32 v13, -v2, v14, v0
	v_cmp_ge_f32_e32 vcc, 0, v13
	v_cvt_f32_f16_e32 v13, v3
	v_fma_f32 v18, -v16, v14, v0
	v_cndmask_b32_e32 v2, v14, v2, vcc
	v_cmp_lt_f32_e32 vcc, 0, v18
	v_mul_f32_e32 v14, 0x3fb8aa3b, v13
	v_exp_f32_e32 v14, v14
	v_cndmask_b32_e32 v2, v2, v16, vcc
	v_mul_f32_e32 v16, 0x37800000, v2
	v_cndmask_b32_e64 v2, v2, v16, s[2:3]
	v_pk_add_f32 v[14:15], v[14:15], 1.0 op_sel_hi:[1,0]
	v_cmp_class_f32_e64 s[2:3], v0, v11
	v_cmp_gt_f32_e32 vcc, s21, v15
	s_nop 0
	v_cndmask_b32_e64 v0, v2, v0, s[2:3]
	v_cndmask_b32_e32 v18, 1.0, v4, vcc
	v_mul_f32_e32 v15, v15, v18
	v_log_f32_e32 v15, v15
	v_cmp_gt_f32_e64 s[2:3], s21, v14
	v_mul_f32_e32 v2, 0x3f317217, v15
	s_nop 0
	v_cndmask_b32_e64 v4, 1.0, v4, s[2:3]
	v_mul_f32_e32 v4, v14, v4
	v_fma_f32 v2, v15, s19, -v2
	v_log_f32_e32 v4, v4
	v_fmac_f32_e32 v2, 0x3377d1cf, v15
	v_fmac_f32_e32 v2, 0x3f317217, v15
	v_cmp_lt_f32_e64 s[4:5], |v15|, s20
	v_cndmask_b32_e32 v14, 0, v7, vcc
	v_cmp_lt_f32_e64 vcc, |v4|, s20
	v_cndmask_b32_e64 v2, v15, v2, s[4:5]
	v_sub_f32_e32 v2, v2, v14
	v_mul_f32_e32 v14, 0x3f317217, v4
	v_fma_f32 v14, v4, s19, -v14
	v_fmac_f32_e32 v14, 0x3377d1cf, v4
	v_fmac_f32_e32 v14, 0x3f317217, v4
	v_cndmask_b32_e32 v4, v4, v14, vcc
	v_cmp_gt_f16_sdwa vcc, v3, s15 src0_sel:WORD_1 src1_sel:DWORD
	v_cndmask_b32_e64 v7, 0, v7, s[2:3]
	v_sub_f32_e32 v4, v4, v7
	v_cndmask_b32_e32 v2, v2, v17, vcc
	v_mul_f32_e32 v14, 0x4f800000, v2
	v_cmp_gt_f32_e32 vcc, s18, v2
	v_cmp_lt_f16_e64 s[2:3], s15, v3
	s_nop 0
	v_cndmask_b32_e32 v2, v2, v14, vcc
	v_sqrt_f32_e32 v14, v2
	v_cndmask_b32_e64 v3, v4, v13, s[2:3]
	v_add_u32_e32 v4, -1, v14
	v_fma_f32 v7, -v4, v14, v2
	v_cmp_ge_f32_e64 s[2:3], 0, v7
	v_add_u32_e32 v7, 1, v14
	v_fma_f32 v13, -v7, v14, v2
	v_cndmask_b32_e64 v4, v14, v4, s[2:3]
	v_cmp_lt_f32_e64 s[2:3], 0, v13
	v_mul_f32_e32 v13, 0x4f800000, v3
	s_nop 0
	v_cndmask_b32_e64 v4, v4, v7, s[2:3]
	v_cmp_gt_f32_e64 s[2:3], s18, v3
	v_mul_f32_e32 v7, 0x37800000, v4
	s_nop 0
	v_cndmask_b32_e64 v13, v3, v13, s[2:3]
	v_sqrt_f32_e32 v14, v13
	v_cndmask_b32_e32 v3, v4, v7, vcc
	v_cmp_class_f32_e32 vcc, v2, v11
	s_nop 1
	v_cndmask_b32_e32 v3, v3, v2, vcc
	v_add_u32_e32 v2, -1, v14
	v_fma_f32 v4, -v2, v14, v13
	v_cmp_ge_f32_e32 vcc, 0, v4
	v_add_u32_e32 v4, 1, v14
	v_fma_f32 v7, -v4, v14, v13
	v_cndmask_b32_e32 v2, v14, v2, vcc
	v_cmp_lt_f32_e32 vcc, 0, v7
	s_nop 1
	v_cndmask_b32_e32 v2, v2, v4, vcc
	v_mul_f32_e32 v4, 0x37800000, v2
	v_cndmask_b32_e64 v2, v2, v4, s[2:3]
	v_cmp_class_f32_e32 vcc, v13, v11
	s_nop 1
	v_cndmask_b32_e32 v2, v2, v13, vcc
	scratch_store_dwordx4 off, v[0:3], off offset:16
	s_and_b64 vcc, exec, s[16:17]
	s_nop 0
	v_lshl_add_u64 v[2:3], v[8:9], 3, s[10:11]
	v_mul_lo_u32 v0, v6, s12
	s_cbranch_vccnz .LBB324_28
; %bb.2:
	s_load_dwordx2 s[4:5], s[0:1], 0x20
	s_cmp_lt_u32 s12, 4
	v_and_b32_e32 v4, 7, v10
	s_cbranch_scc1 .LBB324_21
; %bb.3:
	v_lshlrev_b32_e32 v5, 3, v4
	s_mov_b32 s7, 0
	s_and_b32 s14, s12, 0x7ffffffc
	v_ashrrev_i32_e32 v1, 31, v0
	v_sub_u32_e32 v13, 0, v5
	v_mov_b32_e32 v5, 0
	s_mov_b32 s6, s7
	s_branch .LBB324_5
.LBB324_4:                              ;   in Loop: Header=BB324_5 Depth=1
	s_or_b64 exec, exec, s[10:11]
	s_add_i32 s6, s6, 4
	s_cmp_eq_u32 s6, s14
	s_cbranch_scc1 .LBB324_21
.LBB324_5:                              ; =>This Loop Header: Depth=1
                                        ;     Child Loop BB324_7 Depth 2
                                        ;     Child Loop BB324_11 Depth 2
	;; [unrolled: 1-line block ×4, first 2 shown]
	v_lshl_add_u64 v[6:7], s[6:7], 3, v[2:3]
	global_load_dwordx2 v[8:9], v[6:7], off
	v_add_u32_e32 v10, s6, v0
	v_ashrrev_i32_e32 v11, 31, v10
	v_mov_b32_e32 v14, 0
	s_mov_b64 s[10:11], 0
	s_waitcnt lgkmcnt(0)
	v_lshl_add_u64 v[10:11], v[10:11], 3, s[4:5]
	s_mov_b32 s13, 0
	s_waitcnt vmcnt(0)
	v_ashrrev_i32_e32 v9, 31, v8
	v_add_u32_e32 v15, v13, v8
	s_branch .LBB324_7
.LBB324_6:                              ;   in Loop: Header=BB324_7 Depth=2
	s_or_b64 exec, exec, s[16:17]
	s_add_i32 s15, s13, 1
	s_cmp_gt_u32 s13, 6
	s_cselect_b64 s[2:3], -1, 0
	s_xor_b64 s[16:17], vcc, -1
	s_or_b64 s[2:3], s[16:17], s[2:3]
	s_and_b64 s[2:3], exec, s[2:3]
	v_add_u32_e32 v14, 4, v14
	s_or_b64 s[10:11], s[2:3], s[10:11]
	s_mov_b32 s13, s15
	s_andn2_b64 exec, exec, s[10:11]
	s_cbranch_execz .LBB324_9
.LBB324_7:                              ;   Parent Loop BB324_5 Depth=1
                                        ; =>  This Inner Loop Header: Depth=2
	v_cmp_ne_u32_e32 vcc, s13, v15
	v_cmp_eq_u32_e64 s[2:3], s13, v15
	s_and_saveexec_b64 s[16:17], s[2:3]
	s_cbranch_execz .LBB324_6
; %bb.8:                                ;   in Loop: Header=BB324_7 Depth=2
	scratch_load_dword v16, v14, off
	s_waitcnt vmcnt(0)
	v_add_f32_e32 v5, v5, v16
	global_store_dwordx2 v[10:11], v[8:9], off
	s_branch .LBB324_6
.LBB324_9:                              ;   in Loop: Header=BB324_5 Depth=1
	s_or_b64 exec, exec, s[10:11]
	global_load_dwordx2 v[10:11], v[6:7], off offset:8
	s_ashr_i32 s3, s6, 31
	s_mov_b32 s2, s6
	v_lshl_add_u64 v[8:9], s[2:3], 0, v[0:1]
	v_mov_b32_e32 v14, 0
	s_mov_b32 s13, 0
	v_lshl_add_u64 v[8:9], v[8:9], 3, s[4:5]
	s_mov_b64 s[10:11], 0
	s_waitcnt vmcnt(0)
	v_ashrrev_i32_e32 v11, 31, v10
	v_add_u32_e32 v15, v13, v10
	s_branch .LBB324_11
.LBB324_10:                             ;   in Loop: Header=BB324_11 Depth=2
	s_or_b64 exec, exec, s[16:17]
	s_add_i32 s15, s13, 1
	s_cmp_gt_u32 s13, 6
	s_cselect_b64 s[2:3], -1, 0
	s_xor_b64 s[16:17], vcc, -1
	s_or_b64 s[2:3], s[16:17], s[2:3]
	s_and_b64 s[2:3], exec, s[2:3]
	v_add_u32_e32 v14, 4, v14
	s_or_b64 s[10:11], s[2:3], s[10:11]
	s_mov_b32 s13, s15
	s_andn2_b64 exec, exec, s[10:11]
	s_cbranch_execz .LBB324_13
.LBB324_11:                             ;   Parent Loop BB324_5 Depth=1
                                        ; =>  This Inner Loop Header: Depth=2
	v_cmp_ne_u32_e32 vcc, s13, v15
	v_cmp_eq_u32_e64 s[2:3], s13, v15
	s_and_saveexec_b64 s[16:17], s[2:3]
	s_cbranch_execz .LBB324_10
; %bb.12:                               ;   in Loop: Header=BB324_11 Depth=2
	scratch_load_dword v16, v14, off
	s_waitcnt vmcnt(0)
	v_add_f32_e32 v5, v5, v16
	global_store_dwordx2 v[8:9], v[10:11], off offset:8
	s_branch .LBB324_10
.LBB324_13:                             ;   in Loop: Header=BB324_5 Depth=1
	s_or_b64 exec, exec, s[10:11]
	global_load_dwordx2 v[10:11], v[6:7], off offset:16
	v_mov_b32_e32 v14, 0
	s_mov_b32 s13, 0
	s_mov_b64 s[10:11], 0
	s_waitcnt vmcnt(0)
	v_ashrrev_i32_e32 v11, 31, v10
	v_add_u32_e32 v15, v13, v10
	s_branch .LBB324_15
.LBB324_14:                             ;   in Loop: Header=BB324_15 Depth=2
	s_or_b64 exec, exec, s[16:17]
	s_add_i32 s15, s13, 1
	s_cmp_gt_u32 s13, 6
	s_cselect_b64 s[2:3], -1, 0
	s_xor_b64 s[16:17], vcc, -1
	s_or_b64 s[2:3], s[16:17], s[2:3]
	s_and_b64 s[2:3], exec, s[2:3]
	v_add_u32_e32 v14, 4, v14
	s_or_b64 s[10:11], s[2:3], s[10:11]
	s_mov_b32 s13, s15
	s_andn2_b64 exec, exec, s[10:11]
	s_cbranch_execz .LBB324_17
.LBB324_15:                             ;   Parent Loop BB324_5 Depth=1
                                        ; =>  This Inner Loop Header: Depth=2
	v_cmp_ne_u32_e32 vcc, s13, v15
	v_cmp_eq_u32_e64 s[2:3], s13, v15
	s_and_saveexec_b64 s[16:17], s[2:3]
	s_cbranch_execz .LBB324_14
; %bb.16:                               ;   in Loop: Header=BB324_15 Depth=2
	scratch_load_dword v16, v14, off
	s_waitcnt vmcnt(0)
	v_add_f32_e32 v5, v5, v16
	global_store_dwordx2 v[8:9], v[10:11], off offset:16
	s_branch .LBB324_14
.LBB324_17:                             ;   in Loop: Header=BB324_5 Depth=1
	s_or_b64 exec, exec, s[10:11]
	global_load_dwordx2 v[6:7], v[6:7], off offset:24
	v_mov_b32_e32 v10, 0
	s_mov_b32 s13, 0
	s_mov_b64 s[10:11], 0
	s_waitcnt vmcnt(0)
	v_ashrrev_i32_e32 v7, 31, v6
	v_add_u32_e32 v11, v13, v6
	s_branch .LBB324_19
.LBB324_18:                             ;   in Loop: Header=BB324_19 Depth=2
	s_or_b64 exec, exec, s[16:17]
	s_add_i32 s15, s13, 1
	s_cmp_gt_u32 s13, 6
	s_cselect_b64 s[2:3], -1, 0
	s_xor_b64 s[16:17], vcc, -1
	s_or_b64 s[2:3], s[16:17], s[2:3]
	s_and_b64 s[2:3], exec, s[2:3]
	v_add_u32_e32 v10, 4, v10
	s_or_b64 s[10:11], s[2:3], s[10:11]
	s_mov_b32 s13, s15
	s_andn2_b64 exec, exec, s[10:11]
	s_cbranch_execz .LBB324_4
.LBB324_19:                             ;   Parent Loop BB324_5 Depth=1
                                        ; =>  This Inner Loop Header: Depth=2
	v_cmp_ne_u32_e32 vcc, s13, v11
	v_cmp_eq_u32_e64 s[2:3], s13, v11
	s_and_saveexec_b64 s[16:17], s[2:3]
	s_cbranch_execz .LBB324_18
; %bb.20:                               ;   in Loop: Header=BB324_19 Depth=2
	scratch_load_dword v14, v10, off
	s_waitcnt vmcnt(0)
	v_add_f32_e32 v5, v5, v14
	global_store_dwordx2 v[8:9], v[6:7], off offset:24
	s_branch .LBB324_18
.LBB324_21:
	s_and_b32 s13, s12, 3
	s_cmp_eq_u32 s13, 0
	s_mov_b32 s15, 0
	s_cbranch_scc1 .LBB324_28
; %bb.22:
	v_lshlrev_b32_e32 v1, 3, v4
	v_sub_u32_e32 v1, 0, v1
	s_mov_b32 s16, s15
	s_branch .LBB324_24
.LBB324_23:                             ;   in Loop: Header=BB324_24 Depth=1
	s_or_b64 exec, exec, s[6:7]
	s_add_i32 s14, s14, 1
	s_add_i32 s16, s16, 1
	s_cmp_lg_u32 s16, s13
	s_cbranch_scc0 .LBB324_28
.LBB324_24:                             ; =>This Loop Header: Depth=1
                                        ;     Child Loop BB324_26 Depth 2
	v_lshl_add_u64 v[6:7], s[14:15], 3, v[2:3]
	global_load_dwordx2 v[6:7], v[6:7], off
	v_add_u32_e32 v8, s14, v0
	v_ashrrev_i32_e32 v9, 31, v8
	v_mov_b32_e32 v4, 0
	s_mov_b32 s17, 0
	s_waitcnt lgkmcnt(0)
	v_lshl_add_u64 v[8:9], v[8:9], 3, s[4:5]
	s_mov_b64 s[6:7], 0
	s_waitcnt vmcnt(0)
	v_ashrrev_i32_e32 v7, 31, v6
	v_add_u32_e32 v10, v1, v6
	s_branch .LBB324_26
.LBB324_25:                             ;   in Loop: Header=BB324_26 Depth=2
	s_or_b64 exec, exec, s[10:11]
	s_add_i32 s18, s17, 1
	s_cmp_gt_u32 s17, 6
	s_cselect_b64 s[2:3], -1, 0
	s_xor_b64 s[10:11], vcc, -1
	s_or_b64 s[2:3], s[10:11], s[2:3]
	s_and_b64 s[2:3], exec, s[2:3]
	v_add_u32_e32 v4, 4, v4
	s_or_b64 s[6:7], s[2:3], s[6:7]
	s_mov_b32 s17, s18
	s_andn2_b64 exec, exec, s[6:7]
	s_cbranch_execz .LBB324_23
.LBB324_26:                             ;   Parent Loop BB324_24 Depth=1
                                        ; =>  This Inner Loop Header: Depth=2
	v_cmp_ne_u32_e32 vcc, s17, v10
	v_cmp_eq_u32_e64 s[2:3], s17, v10
	s_and_saveexec_b64 s[10:11], s[2:3]
	s_cbranch_execz .LBB324_25
; %bb.27:                               ;   in Loop: Header=BB324_26 Depth=2
	scratch_load_dword v11, v4, off
	s_waitcnt vmcnt(0)
	v_add_f32_e32 v5, v5, v11
	global_store_dwordx2 v[8:9], v[6:7], off
	s_branch .LBB324_25
.LBB324_28:
	s_waitcnt lgkmcnt(0)
	s_load_dword s4, s[0:1], 0x3c
	s_waitcnt lgkmcnt(0)
	s_bitcmp1_b32 s4, 0
	s_cselect_b64 s[2:3], -1, 0
	s_bitcmp0_b32 s4, 0
	s_cbranch_scc0 .LBB324_32
; %bb.29:
	s_load_dwordx2 s[4:5], s[0:1], 0x40
	s_andn2_b64 vcc, exec, s[2:3]
	s_waitcnt lgkmcnt(0)
	v_cvt_f32_f64_e32 v8, s[4:5]
	s_cbranch_vccz .LBB324_33
.LBB324_30:
	s_andn2_b64 vcc, exec, s[8:9]
	s_cbranch_vccz .LBB324_34
.LBB324_31:
	s_endpgm
.LBB324_32:
	v_mbcnt_lo_u32_b32 v1, -1, 0
	v_mbcnt_hi_u32_b32 v1, -1, v1
	v_and_b32_e32 v4, 0x78, v1
	v_add_u32_e32 v4, 8, v4
	v_xor_b32_e32 v6, 4, v1
	v_cmp_lt_i32_e32 vcc, v6, v4
	v_xor_b32_e32 v7, 2, v1
	s_nop 0
	v_cndmask_b32_e32 v6, v1, v6, vcc
	v_lshlrev_b32_e32 v6, 2, v6
	ds_bpermute_b32 v6, v6, v5
	v_cmp_lt_i32_e32 vcc, v7, v4
	s_waitcnt lgkmcnt(0)
	v_add_f32_e32 v5, v5, v6
	v_cndmask_b32_e32 v6, v1, v7, vcc
	v_lshlrev_b32_e32 v6, 2, v6
	ds_bpermute_b32 v6, v6, v5
	v_xor_b32_e32 v7, 1, v1
	v_cmp_lt_i32_e32 vcc, v7, v4
	s_waitcnt lgkmcnt(0)
	v_add_f32_e32 v5, v5, v6
	v_cndmask_b32_e32 v1, v1, v7, vcc
	v_lshlrev_b32_e32 v1, 2, v1
	ds_bpermute_b32 v1, v1, v5
	s_waitcnt lgkmcnt(0)
	v_add_f32_e32 v5, v5, v1
	s_load_dwordx2 s[4:5], s[0:1], 0x40
	s_andn2_b64 vcc, exec, s[2:3]
	s_waitcnt lgkmcnt(0)
	v_cvt_f32_f64_e32 v8, s[4:5]
	s_cbranch_vccnz .LBB324_30
.LBB324_33:
	v_cmp_lt_f32_e32 vcc, 0, v5
	s_nop 1
	v_cndmask_b32_e32 v1, 1.0, v5, vcc
	v_div_scale_f32 v4, s[2:3], v1, v1, v8
	v_rcp_f32_e32 v5, v4
	s_nop 0
	v_fma_f32 v6, -v4, v5, 1.0
	v_fmac_f32_e32 v5, v6, v5
	v_div_scale_f32 v6, vcc, v8, v1, v8
	v_mul_f32_e32 v7, v6, v5
	v_fma_f32 v9, -v4, v7, v6
	v_fmac_f32_e32 v7, v9, v5
	v_fma_f32 v4, -v4, v7, v6
	v_div_fmas_f32 v4, v4, v5, v7
	v_div_fixup_f32 v8, v4, v1, v8
	s_andn2_b64 vcc, exec, s[8:9]
	s_cbranch_vccnz .LBB324_31
.LBB324_34:
	s_load_dwordx2 s[14:15], s[0:1], 0x10
	v_mov_b32_e32 v1, 0
	v_or_b32_e32 v20, 4, v1
	v_or_b32_e32 v18, 8, v1
	;; [unrolled: 1-line block ×3, first 2 shown]
	v_add_u32_e32 v14, 16, v1
	v_add_u32_e32 v11, 20, v1
	v_add_u32_e32 v9, 24, v1
	v_add_u32_e32 v10, 28, v1
	v_or_b32_e32 v23, 1, v12
	v_or_b32_e32 v22, 2, v12
	;; [unrolled: 1-line block ×7, first 2 shown]
	s_cmp_eq_u32 s12, 1
	s_mov_b32 s16, 0
	s_cbranch_scc1 .LBB324_69
; %bb.35:
	v_ashrrev_i32_e32 v1, 31, v0
	s_waitcnt lgkmcnt(0)
	v_lshl_add_u64 v[4:5], v[0:1], 2, s[14:15]
	s_and_b32 s16, s12, 0x7ffffffe
	v_lshl_add_u64 v[4:5], v[4:5], 0, 4
	v_lshl_add_u64 v[6:7], v[2:3], 0, 8
	s_mov_b32 s13, 0
	s_branch .LBB324_37
.LBB324_36:                             ;   in Loop: Header=BB324_37 Depth=1
	s_or_b64 exec, exec, s[0:1]
	s_add_i32 s13, s13, 2
	v_lshl_add_u64 v[4:5], v[4:5], 0, 8
	s_cmp_eq_u32 s16, s13
	v_lshl_add_u64 v[6:7], v[6:7], 0, 16
	s_cbranch_scc1 .LBB324_69
.LBB324_37:                             ; =>This Inner Loop Header: Depth=1
	global_load_dword v24, v[6:7], off offset:-8
	v_mov_b32_e32 v1, 0
	s_waitcnt vmcnt(0)
	v_cmp_eq_u32_e32 vcc, v12, v24
	v_cmp_ne_u32_e64 s[0:1], v12, v24
	s_and_saveexec_b64 s[18:19], s[0:1]
	s_cbranch_execz .LBB324_51
; %bb.38:                               ;   in Loop: Header=BB324_37 Depth=1
	v_cmp_eq_u32_e64 s[0:1], v23, v24
	v_cmp_ne_u32_e64 s[2:3], v23, v24
	v_mov_b32_e32 v1, v20
	s_and_saveexec_b64 s[20:21], s[2:3]
	s_cbranch_execz .LBB324_50
; %bb.39:                               ;   in Loop: Header=BB324_37 Depth=1
	v_cmp_eq_u32_e64 s[2:3], v22, v24
	v_cmp_ne_u32_e64 s[4:5], v22, v24
	v_mov_b32_e32 v1, v18
	;; [unrolled: 6-line block ×6, first 2 shown]
	s_and_saveexec_b64 s[34:35], s[10:11]
	s_xor_b64 s[34:35], exec, s[34:35]
; %bb.44:                               ;   in Loop: Header=BB324_37 Depth=1
	v_cmp_eq_u32_e64 s[10:11], v13, v24
	s_andn2_b64 s[30:31], s[30:31], exec
	s_and_b64 s[10:11], s[10:11], exec
	s_or_b64 s[30:31], s[30:31], s[10:11]
	v_mov_b32_e32 v1, v10
; %bb.45:                               ;   in Loop: Header=BB324_37 Depth=1
	s_or_b64 exec, exec, s[34:35]
	s_andn2_b64 s[8:9], s[8:9], exec
	s_and_b64 s[10:11], s[30:31], exec
	s_or_b64 s[8:9], s[8:9], s[10:11]
.LBB324_46:                             ;   in Loop: Header=BB324_37 Depth=1
	s_or_b64 exec, exec, s[28:29]
	s_andn2_b64 s[6:7], s[6:7], exec
	s_and_b64 s[8:9], s[8:9], exec
	s_or_b64 s[6:7], s[6:7], s[8:9]
.LBB324_47:                             ;   in Loop: Header=BB324_37 Depth=1
	s_or_b64 exec, exec, s[26:27]
	s_andn2_b64 s[4:5], s[4:5], exec
	s_and_b64 s[6:7], s[6:7], exec
	s_or_b64 s[4:5], s[4:5], s[6:7]
.LBB324_48:                             ;   in Loop: Header=BB324_37 Depth=1
	s_or_b64 exec, exec, s[24:25]
	s_andn2_b64 s[2:3], s[2:3], exec
	s_and_b64 s[4:5], s[4:5], exec
	s_or_b64 s[2:3], s[2:3], s[4:5]
.LBB324_49:                             ;   in Loop: Header=BB324_37 Depth=1
	s_or_b64 exec, exec, s[22:23]
	s_andn2_b64 s[0:1], s[0:1], exec
	s_and_b64 s[2:3], s[2:3], exec
	s_or_b64 s[0:1], s[0:1], s[2:3]
.LBB324_50:                             ;   in Loop: Header=BB324_37 Depth=1
	s_or_b64 exec, exec, s[20:21]
	s_andn2_b64 s[2:3], vcc, exec
	s_and_b64 s[0:1], s[0:1], exec
	s_or_b64 vcc, s[2:3], s[0:1]
.LBB324_51:                             ;   in Loop: Header=BB324_37 Depth=1
	s_or_b64 exec, exec, s[18:19]
	s_and_saveexec_b64 s[0:1], vcc
	s_cbranch_execz .LBB324_53
; %bb.52:                               ;   in Loop: Header=BB324_37 Depth=1
	scratch_load_dword v1, v1, off
	v_add_u32_e32 v24, s13, v0
	v_ashrrev_i32_e32 v25, 31, v24
	v_lshl_add_u64 v[24:25], v[24:25], 2, s[14:15]
	s_waitcnt vmcnt(0)
	v_mul_f32_e32 v1, v8, v1
	global_store_dword v[24:25], v1, off
.LBB324_53:                             ;   in Loop: Header=BB324_37 Depth=1
	s_or_b64 exec, exec, s[0:1]
	global_load_dword v24, v[6:7], off
	v_mov_b32_e32 v1, 0
	s_waitcnt vmcnt(0)
	v_cmp_eq_u32_e64 s[8:9], v12, v24
	v_cmp_ne_u32_e32 vcc, v12, v24
	s_and_saveexec_b64 s[10:11], vcc
	s_cbranch_execz .LBB324_67
; %bb.54:                               ;   in Loop: Header=BB324_37 Depth=1
	v_cmp_eq_u32_e32 vcc, v23, v24
	v_cmp_ne_u32_e64 s[0:1], v23, v24
	v_mov_b32_e32 v1, v20
	s_and_saveexec_b64 s[18:19], s[0:1]
	s_cbranch_execz .LBB324_66
; %bb.55:                               ;   in Loop: Header=BB324_37 Depth=1
	v_cmp_eq_u32_e64 s[0:1], v22, v24
	v_cmp_ne_u32_e64 s[2:3], v22, v24
	v_mov_b32_e32 v1, v18
	s_and_saveexec_b64 s[20:21], s[2:3]
	s_cbranch_execz .LBB324_65
; %bb.56:                               ;   in Loop: Header=BB324_37 Depth=1
	v_cmp_eq_u32_e64 s[2:3], v21, v24
	;; [unrolled: 6-line block ×5, first 2 shown]
	v_cmp_ne_u32_e64 s[6:7], v15, v24
	v_mov_b32_e32 v1, v9
	s_and_saveexec_b64 s[34:35], s[6:7]
; %bb.60:                               ;   in Loop: Header=BB324_37 Depth=1
	v_cmp_eq_u32_e64 s[6:7], v13, v24
	s_andn2_b64 s[30:31], s[30:31], exec
	s_and_b64 s[6:7], s[6:7], exec
	s_or_b64 s[30:31], s[30:31], s[6:7]
	v_mov_b32_e32 v1, v10
; %bb.61:                               ;   in Loop: Header=BB324_37 Depth=1
	s_or_b64 exec, exec, s[34:35]
	s_andn2_b64 s[6:7], s[26:27], exec
	s_and_b64 s[26:27], s[30:31], exec
	s_or_b64 s[26:27], s[6:7], s[26:27]
.LBB324_62:                             ;   in Loop: Header=BB324_37 Depth=1
	s_or_b64 exec, exec, s[28:29]
	s_andn2_b64 s[4:5], s[4:5], exec
	s_and_b64 s[6:7], s[26:27], exec
	s_or_b64 s[4:5], s[4:5], s[6:7]
.LBB324_63:                             ;   in Loop: Header=BB324_37 Depth=1
	s_or_b64 exec, exec, s[24:25]
	s_andn2_b64 s[2:3], s[2:3], exec
	s_and_b64 s[4:5], s[4:5], exec
	s_or_b64 s[2:3], s[2:3], s[4:5]
.LBB324_64:                             ;   in Loop: Header=BB324_37 Depth=1
	s_or_b64 exec, exec, s[22:23]
	s_andn2_b64 s[0:1], s[0:1], exec
	s_and_b64 s[2:3], s[2:3], exec
	s_or_b64 s[0:1], s[0:1], s[2:3]
.LBB324_65:                             ;   in Loop: Header=BB324_37 Depth=1
	s_or_b64 exec, exec, s[20:21]
	s_andn2_b64 s[2:3], vcc, exec
	s_and_b64 s[0:1], s[0:1], exec
	s_or_b64 vcc, s[2:3], s[0:1]
.LBB324_66:                             ;   in Loop: Header=BB324_37 Depth=1
	s_or_b64 exec, exec, s[18:19]
	s_andn2_b64 s[0:1], s[8:9], exec
	s_and_b64 s[2:3], vcc, exec
	s_or_b64 s[8:9], s[0:1], s[2:3]
.LBB324_67:                             ;   in Loop: Header=BB324_37 Depth=1
	s_or_b64 exec, exec, s[10:11]
	s_and_saveexec_b64 s[0:1], s[8:9]
	s_cbranch_execz .LBB324_36
; %bb.68:                               ;   in Loop: Header=BB324_37 Depth=1
	scratch_load_dword v1, v1, off
	s_waitcnt vmcnt(0)
	v_mul_f32_e32 v1, v8, v1
	global_store_dword v[4:5], v1, off
	s_branch .LBB324_36
.LBB324_69:
	s_bitcmp0_b32 s12, 0
	s_mov_b32 s17, 0
	s_cbranch_scc1 .LBB324_31
; %bb.70:
	v_lshl_add_u64 v[2:3], s[16:17], 3, v[2:3]
	global_load_dword v1, v[2:3], off
	v_mov_b32_e32 v2, 0
	s_waitcnt vmcnt(0)
	v_cmp_eq_u32_e64 s[8:9], v12, v1
	v_cmp_ne_u32_e32 vcc, v12, v1
	s_and_saveexec_b64 s[10:11], vcc
	s_cbranch_execz .LBB324_84
; %bb.71:
	v_cmp_eq_u32_e32 vcc, v23, v1
	v_cmp_ne_u32_e64 s[0:1], v23, v1
	s_and_saveexec_b64 s[12:13], s[0:1]
	s_cbranch_execz .LBB324_83
; %bb.72:
	v_cmp_eq_u32_e64 s[0:1], v22, v1
	v_cmp_ne_u32_e64 s[2:3], v22, v1
	s_and_saveexec_b64 s[18:19], s[2:3]
	s_cbranch_execz .LBB324_82
; %bb.73:
	v_cmp_eq_u32_e64 s[2:3], v21, v1
	;; [unrolled: 5-line block ×5, first 2 shown]
	v_cmp_ne_u32_e64 s[6:7], v15, v1
	s_and_saveexec_b64 s[30:31], s[6:7]
; %bb.77:
	v_cmp_eq_u32_e64 s[6:7], v13, v1
	s_andn2_b64 s[28:29], s[28:29], exec
	s_and_b64 s[6:7], s[6:7], exec
	s_or_b64 s[28:29], s[28:29], s[6:7]
	v_mov_b32_e32 v9, v10
; %bb.78:
	s_or_b64 exec, exec, s[30:31]
	s_andn2_b64 s[6:7], s[24:25], exec
	s_and_b64 s[24:25], s[28:29], exec
	s_or_b64 s[24:25], s[6:7], s[24:25]
	v_mov_b32_e32 v11, v9
.LBB324_79:
	s_or_b64 exec, exec, s[26:27]
	s_andn2_b64 s[4:5], s[4:5], exec
	s_and_b64 s[6:7], s[24:25], exec
	s_or_b64 s[4:5], s[4:5], s[6:7]
	v_mov_b32_e32 v14, v11
.LBB324_80:
	s_or_b64 exec, exec, s[22:23]
	s_andn2_b64 s[2:3], s[2:3], exec
	s_and_b64 s[4:5], s[4:5], exec
	s_or_b64 s[2:3], s[2:3], s[4:5]
	v_mov_b32_e32 v16, v14
.LBB324_81:
	s_or_b64 exec, exec, s[20:21]
	s_andn2_b64 s[0:1], s[0:1], exec
	s_and_b64 s[2:3], s[2:3], exec
	s_or_b64 s[0:1], s[0:1], s[2:3]
	v_mov_b32_e32 v18, v16
.LBB324_82:
	s_or_b64 exec, exec, s[18:19]
	s_andn2_b64 s[2:3], vcc, exec
	s_and_b64 s[0:1], s[0:1], exec
	s_or_b64 vcc, s[2:3], s[0:1]
	v_mov_b32_e32 v20, v18
.LBB324_83:
	s_or_b64 exec, exec, s[12:13]
	s_andn2_b64 s[0:1], s[8:9], exec
	s_and_b64 s[2:3], vcc, exec
	s_or_b64 s[8:9], s[0:1], s[2:3]
	v_mov_b32_e32 v2, v20
.LBB324_84:
	s_or_b64 exec, exec, s[10:11]
	s_and_b64 exec, exec, s[8:9]
	s_cbranch_execz .LBB324_31
; %bb.85:
	scratch_load_dword v2, v2, off
	v_add_u32_e32 v0, s16, v0
	v_ashrrev_i32_e32 v1, 31, v0
	s_waitcnt lgkmcnt(0)
	v_lshl_add_u64 v[0:1], v[0:1], 2, s[14:15]
	s_waitcnt vmcnt(0)
	v_mul_f32_e32 v2, v8, v2
	global_store_dword v[0:1], v2, off
	s_endpgm
	.section	.rodata,"a",@progbits
	.p2align	6, 0x0
	.amdhsa_kernel _ZN4vllm3moe22topkGatingSoftplusSqrtILi8ELi64ELi4ELi16ELi64ELb1El6__halfEEvPKT6_PKbPfiPT5_PiiiibdPKfPKS9_SF_
		.amdhsa_group_segment_fixed_size 0
		.amdhsa_private_segment_fixed_size 48
		.amdhsa_kernarg_size 96
		.amdhsa_user_sgpr_count 2
		.amdhsa_user_sgpr_dispatch_ptr 0
		.amdhsa_user_sgpr_queue_ptr 0
		.amdhsa_user_sgpr_kernarg_segment_ptr 1
		.amdhsa_user_sgpr_dispatch_id 0
		.amdhsa_user_sgpr_kernarg_preload_length 0
		.amdhsa_user_sgpr_kernarg_preload_offset 0
		.amdhsa_user_sgpr_private_segment_size 0
		.amdhsa_uses_dynamic_stack 0
		.amdhsa_enable_private_segment 1
		.amdhsa_system_sgpr_workgroup_id_x 1
		.amdhsa_system_sgpr_workgroup_id_y 0
		.amdhsa_system_sgpr_workgroup_id_z 0
		.amdhsa_system_sgpr_workgroup_info 0
		.amdhsa_system_vgpr_workitem_id 1
		.amdhsa_next_free_vgpr 29
		.amdhsa_next_free_sgpr 36
		.amdhsa_accum_offset 32
		.amdhsa_reserve_vcc 1
		.amdhsa_float_round_mode_32 0
		.amdhsa_float_round_mode_16_64 0
		.amdhsa_float_denorm_mode_32 3
		.amdhsa_float_denorm_mode_16_64 3
		.amdhsa_dx10_clamp 1
		.amdhsa_ieee_mode 1
		.amdhsa_fp16_overflow 0
		.amdhsa_tg_split 0
		.amdhsa_exception_fp_ieee_invalid_op 0
		.amdhsa_exception_fp_denorm_src 0
		.amdhsa_exception_fp_ieee_div_zero 0
		.amdhsa_exception_fp_ieee_overflow 0
		.amdhsa_exception_fp_ieee_underflow 0
		.amdhsa_exception_fp_ieee_inexact 0
		.amdhsa_exception_int_div_zero 0
	.end_amdhsa_kernel
	.section	.text._ZN4vllm3moe22topkGatingSoftplusSqrtILi8ELi64ELi4ELi16ELi64ELb1El6__halfEEvPKT6_PKbPfiPT5_PiiiibdPKfPKS9_SF_,"axG",@progbits,_ZN4vllm3moe22topkGatingSoftplusSqrtILi8ELi64ELi4ELi16ELi64ELb1El6__halfEEvPKT6_PKbPfiPT5_PiiiibdPKfPKS9_SF_,comdat
.Lfunc_end324:
	.size	_ZN4vllm3moe22topkGatingSoftplusSqrtILi8ELi64ELi4ELi16ELi64ELb1El6__halfEEvPKT6_PKbPfiPT5_PiiiibdPKfPKS9_SF_, .Lfunc_end324-_ZN4vllm3moe22topkGatingSoftplusSqrtILi8ELi64ELi4ELi16ELi64ELb1El6__halfEEvPKT6_PKbPfiPT5_PiiiibdPKfPKS9_SF_
                                        ; -- End function
	.section	.AMDGPU.csdata,"",@progbits
; Kernel info:
; codeLenInByte = 4584
; NumSgprs: 42
; NumVgprs: 29
; NumAgprs: 0
; TotalNumVgprs: 29
; ScratchSize: 48
; MemoryBound: 0
; FloatMode: 240
; IeeeMode: 1
; LDSByteSize: 0 bytes/workgroup (compile time only)
; SGPRBlocks: 5
; VGPRBlocks: 3
; NumSGPRsForWavesPerEU: 42
; NumVGPRsForWavesPerEU: 29
; AccumOffset: 32
; Occupancy: 8
; WaveLimiterHint : 1
; COMPUTE_PGM_RSRC2:SCRATCH_EN: 1
; COMPUTE_PGM_RSRC2:USER_SGPR: 2
; COMPUTE_PGM_RSRC2:TRAP_HANDLER: 0
; COMPUTE_PGM_RSRC2:TGID_X_EN: 1
; COMPUTE_PGM_RSRC2:TGID_Y_EN: 0
; COMPUTE_PGM_RSRC2:TGID_Z_EN: 0
; COMPUTE_PGM_RSRC2:TIDIG_COMP_CNT: 1
; COMPUTE_PGM_RSRC3_GFX90A:ACCUM_OFFSET: 7
; COMPUTE_PGM_RSRC3_GFX90A:TG_SPLIT: 0
	.section	.text._ZN4vllm3moe22topkGatingSoftplusSqrtILi8ELi64ELi4ELi16ELi64ELb0El6__halfEEvPKT6_PKbPfiPT5_PiiiibdPKfPKS9_SF_,"axG",@progbits,_ZN4vllm3moe22topkGatingSoftplusSqrtILi8ELi64ELi4ELi16ELi64ELb0El6__halfEEvPKT6_PKbPfiPT5_PiiiibdPKfPKS9_SF_,comdat
	.protected	_ZN4vllm3moe22topkGatingSoftplusSqrtILi8ELi64ELi4ELi16ELi64ELb0El6__halfEEvPKT6_PKbPfiPT5_PiiiibdPKfPKS9_SF_ ; -- Begin function _ZN4vllm3moe22topkGatingSoftplusSqrtILi8ELi64ELi4ELi16ELi64ELb0El6__halfEEvPKT6_PKbPfiPT5_PiiiibdPKfPKS9_SF_
	.globl	_ZN4vllm3moe22topkGatingSoftplusSqrtILi8ELi64ELi4ELi16ELi64ELb0El6__halfEEvPKT6_PKbPfiPT5_PiiiibdPKfPKS9_SF_
	.p2align	8
	.type	_ZN4vllm3moe22topkGatingSoftplusSqrtILi8ELi64ELi4ELi16ELi64ELb0El6__halfEEvPKT6_PKbPfiPT5_PiiiibdPKfPKS9_SF_,@function
_ZN4vllm3moe22topkGatingSoftplusSqrtILi8ELi64ELi4ELi16ELi64ELb0El6__halfEEvPKT6_PKbPfiPT5_PiiiibdPKfPKS9_SF_: ; @_ZN4vllm3moe22topkGatingSoftplusSqrtILi8ELi64ELi4ELi16ELi64ELb0El6__halfEEvPKT6_PKbPfiPT5_PiiiibdPKfPKS9_SF_
; %bb.0:
	s_load_dword s33, s[0:1], 0x18
	v_bfe_u32 v1, v0, 10, 10
	v_and_b32_e32 v0, 0x3ff, v0
	s_lshl_b32 s2, s2, 5
	v_lshlrev_b32_e32 v1, 3, v1
	v_lshrrev_b32_e32 v2, 3, v0
	v_add3_u32 v8, s2, v1, v2
	s_waitcnt lgkmcnt(0)
	v_cmp_gt_i32_e32 vcc, s33, v8
	s_and_saveexec_b64 s[2:3], vcc
	s_cbranch_execz .LBB325_57
; %bb.1:
	s_load_dwordx4 s[4:7], s[0:1], 0x0
	s_load_dwordx2 s[34:35], s[0:1], 0x10
	s_waitcnt lgkmcnt(0)
	s_cmp_eq_u64 s[6:7], 0
	s_cbranch_scc1 .LBB325_3
; %bb.2:
	v_ashrrev_i32_e32 v9, 31, v8
	v_lshl_add_u64 v[2:3], s[6:7], 0, v[8:9]
	global_load_ubyte v1, v[2:3], off
	s_waitcnt vmcnt(0)
	v_and_b32_e32 v1, 1, v1
	v_cmp_eq_u32_e32 vcc, 1, v1
	s_xor_b64 s[2:3], vcc, -1
	s_orn2_b64 s[36:37], s[2:3], exec
	s_branch .LBB325_4
.LBB325_3:
	s_mov_b64 s[36:37], -1
.LBB325_4:
	v_lshlrev_b32_e32 v4, 6, v8
	v_mov_b32_e32 v2, s4
	v_mov_b32_e32 v3, s5
	v_ashrrev_i32_e32 v5, 31, v4
	v_and_b32_e32 v9, 7, v0
	v_lshl_add_u64 v[2:3], v[4:5], 1, v[2:3]
	v_mov_b32_e32 v1, 0
	v_lshlrev_b32_e32 v0, 4, v9
	v_lshl_add_u64 v[0:1], v[2:3], 0, v[0:1]
	global_load_dwordx4 v[4:7], v[0:1], off
	s_mov_b32 s12, 0x800000
	v_mov_b32_e32 v2, 0x4f800000
	s_mov_b32 s9, 0x3f317217
	s_mov_b32 s10, 0x7f800000
	v_mov_b32_e32 v3, 0x41b17218
	s_movk_i32 s8, 0x4d00
	s_mov_b32 s11, 0xf800000
	s_load_dwordx4 s[20:23], s[0:1], 0x40
	v_lshlrev_b32_e32 v12, 3, v9
	s_waitcnt lgkmcnt(0)
	s_cmp_lg_u64 s[22:23], 0
	s_cselect_b64 s[6:7], -1, 0
	s_and_b64 s[2:3], exec, s[6:7]
	s_waitcnt vmcnt(0)
	v_cvt_f32_f16_e32 v0, v4
	v_mul_f32_e32 v1, 0x3fb8aa3b, v0
	v_exp_f32_e32 v10, v1
	v_mov_b32_e32 v1, 0x260
	v_add_f32_e32 v10, 1.0, v10
	v_cmp_gt_f32_e32 vcc, s12, v10
	s_nop 1
	v_cndmask_b32_e32 v11, 1.0, v2, vcc
	v_mul_f32_e32 v10, v10, v11
	v_log_f32_e32 v11, v10
	v_cndmask_b32_e32 v13, 0, v3, vcc
	v_lshlrev_b32_e32 v10, 2, v12
	v_mul_f32_e32 v14, 0x3f317217, v11
	v_fma_f32 v14, v11, s9, -v14
	v_fmac_f32_e32 v14, 0x3377d1cf, v11
	v_fmac_f32_e32 v14, 0x3f317217, v11
	v_cmp_lt_f32_e64 vcc, |v11|, s10
	s_nop 1
	v_cndmask_b32_e32 v11, v11, v14, vcc
	v_sub_f32_e32 v11, v11, v13
	v_cmp_lt_f16_e32 vcc, s8, v4
	s_nop 1
	v_cndmask_b32_e32 v0, v11, v0, vcc
	v_mul_f32_e32 v11, 0x4f800000, v0
	v_cmp_gt_f32_e32 vcc, s11, v0
	s_nop 1
	v_cndmask_b32_e32 v0, v0, v11, vcc
	v_sqrt_f32_e32 v11, v0
	s_nop 0
	v_add_u32_e32 v13, -1, v11
	v_add_u32_e32 v14, 1, v11
	v_fma_f32 v15, -v13, v11, v0
	v_fma_f32 v16, -v14, v11, v0
	v_cmp_ge_f32_e64 s[4:5], 0, v15
	s_nop 1
	v_cndmask_b32_e64 v11, v11, v13, s[4:5]
	v_cmp_lt_f32_e64 s[4:5], 0, v16
	s_nop 1
	v_cndmask_b32_e64 v11, v11, v14, s[4:5]
	v_mul_f32_e32 v13, 0x37800000, v11
	v_cndmask_b32_e32 v11, v11, v13, vcc
	v_cmp_class_f32_e32 vcc, v0, v1
	s_nop 1
	v_cndmask_b32_e32 v0, v11, v0, vcc
	s_mov_b64 vcc, s[2:3]
	s_cbranch_vccz .LBB325_6
; %bb.5:
	global_load_dword v11, v10, s[22:23]
	s_waitcnt vmcnt(0)
	v_add_f32_e32 v0, v0, v11
.LBB325_6:
	v_cvt_f32_f16_sdwa v11, v4 dst_sel:DWORD dst_unused:UNUSED_PAD src0_sel:WORD_1
	v_mul_f32_e32 v13, 0x3fb8aa3b, v11
	v_exp_f32_e32 v13, v13
	s_nop 0
	v_add_f32_e32 v13, 1.0, v13
	v_cmp_gt_f32_e32 vcc, s12, v13
	s_nop 1
	v_cndmask_b32_e32 v2, 1.0, v2, vcc
	v_mul_f32_e32 v2, v13, v2
	v_log_f32_e32 v2, v2
	v_cndmask_b32_e32 v3, 0, v3, vcc
	v_mul_f32_e32 v13, 0x3f317217, v2
	v_fma_f32 v13, v2, s9, -v13
	v_fmac_f32_e32 v13, 0x3377d1cf, v2
	v_fmac_f32_e32 v13, 0x3f317217, v2
	v_cmp_lt_f32_e64 vcc, |v2|, s10
	s_nop 1
	v_cndmask_b32_e32 v2, v2, v13, vcc
	v_sub_f32_e32 v2, v2, v3
	v_cmp_gt_f16_sdwa vcc, v4, s8 src0_sel:WORD_1 src1_sel:DWORD
	v_cndmask_b32_e64 v4, 0, 1, s[6:7]
	v_cmp_ne_u32_e64 s[2:3], 1, v4
	v_cndmask_b32_e32 v2, v2, v11, vcc
	v_mul_f32_e32 v3, 0x4f800000, v2
	v_cmp_gt_f32_e64 s[4:5], s11, v2
	s_andn2_b64 vcc, exec, s[6:7]
	s_nop 0
	v_cndmask_b32_e64 v2, v2, v3, s[4:5]
	v_sqrt_f32_e32 v3, v2
	s_nop 0
	v_add_u32_e32 v4, -1, v3
	v_add_u32_e32 v11, 1, v3
	v_fma_f32 v13, -v4, v3, v2
	v_fma_f32 v14, -v11, v3, v2
	v_cmp_ge_f32_e64 s[6:7], 0, v13
	s_nop 1
	v_cndmask_b32_e64 v3, v3, v4, s[6:7]
	v_cmp_lt_f32_e64 s[6:7], 0, v14
	s_nop 1
	v_cndmask_b32_e64 v3, v3, v11, s[6:7]
	v_mul_f32_e32 v4, 0x37800000, v3
	v_cndmask_b32_e64 v3, v3, v4, s[4:5]
	v_cmp_class_f32_e64 s[4:5], v2, v1
	s_nop 1
	v_cndmask_b32_e64 v1, v3, v2, s[4:5]
	s_cbranch_vccnz .LBB325_8
; %bb.7:
	global_load_dword v2, v10, s[22:23] offset:4
	s_waitcnt vmcnt(0)
	v_add_f32_e32 v1, v1, v2
.LBB325_8:
	v_cvt_f32_f16_e32 v2, v5
	s_mov_b32 s8, 0x800000
	v_mov_b32_e32 v4, 0x4f800000
	s_mov_b32 s7, 0x3f317217
	v_mul_f32_e32 v3, 0x3fb8aa3b, v2
	v_exp_f32_e32 v3, v3
	s_mov_b32 s9, 0x7f800000
	s_movk_i32 s6, 0x4d00
	s_mov_b32 s10, 0xf800000
	v_add_f32_e32 v3, 1.0, v3
	v_cmp_gt_f32_e32 vcc, s8, v3
	s_nop 1
	v_cndmask_b32_e32 v11, 1.0, v4, vcc
	v_mul_f32_e32 v3, v3, v11
	v_log_f32_e32 v3, v3
	v_mov_b32_e32 v11, 0x41b17218
	v_cndmask_b32_e32 v13, 0, v11, vcc
	v_mul_f32_e32 v14, 0x3f317217, v3
	v_fma_f32 v14, v3, s7, -v14
	v_fmac_f32_e32 v14, 0x3377d1cf, v3
	v_fmac_f32_e32 v14, 0x3f317217, v3
	v_cmp_lt_f32_e64 vcc, |v3|, s9
	s_nop 1
	v_cndmask_b32_e32 v3, v3, v14, vcc
	v_sub_f32_e32 v3, v3, v13
	v_cmp_lt_f16_e32 vcc, s6, v5
	s_nop 1
	v_cndmask_b32_e32 v2, v3, v2, vcc
	v_mul_f32_e32 v3, 0x4f800000, v2
	v_cmp_gt_f32_e32 vcc, s10, v2
	s_nop 1
	v_cndmask_b32_e32 v2, v2, v3, vcc
	v_sqrt_f32_e32 v3, v2
	s_nop 0
	v_add_u32_e32 v13, -1, v3
	v_fma_f32 v14, -v13, v3, v2
	v_cmp_ge_f32_e64 s[4:5], 0, v14
	v_add_u32_e32 v14, 1, v3
	s_nop 0
	v_cndmask_b32_e64 v13, v3, v13, s[4:5]
	v_fma_f32 v3, -v14, v3, v2
	v_cmp_lt_f32_e64 s[4:5], 0, v3
	s_nop 1
	v_cndmask_b32_e64 v3, v13, v14, s[4:5]
	v_mul_f32_e32 v13, 0x37800000, v3
	v_cndmask_b32_e32 v13, v3, v13, vcc
	v_mov_b32_e32 v3, 0x260
	v_cmp_class_f32_e64 s[4:5], v2, v3
	s_and_b64 vcc, exec, s[2:3]
	s_nop 0
	v_cndmask_b32_e64 v2, v13, v2, s[4:5]
	s_cbranch_vccnz .LBB325_10
; %bb.9:
	global_load_dword v13, v10, s[22:23] offset:8
	s_waitcnt vmcnt(0)
	v_add_f32_e32 v2, v2, v13
.LBB325_10:
	v_cvt_f32_f16_sdwa v13, v5 dst_sel:DWORD dst_unused:UNUSED_PAD src0_sel:WORD_1
	v_mul_f32_e32 v14, 0x3fb8aa3b, v13
	v_exp_f32_e32 v14, v14
	s_nop 0
	v_add_f32_e32 v14, 1.0, v14
	v_cmp_gt_f32_e32 vcc, s8, v14
	s_nop 1
	v_cndmask_b32_e32 v4, 1.0, v4, vcc
	v_mul_f32_e32 v4, v14, v4
	v_log_f32_e32 v4, v4
	v_cndmask_b32_e32 v11, 0, v11, vcc
	v_mul_f32_e32 v14, 0x3f317217, v4
	v_fma_f32 v14, v4, s7, -v14
	v_fmac_f32_e32 v14, 0x3377d1cf, v4
	v_fmac_f32_e32 v14, 0x3f317217, v4
	v_cmp_lt_f32_e64 vcc, |v4|, s9
	s_nop 1
	v_cndmask_b32_e32 v4, v4, v14, vcc
	v_sub_f32_e32 v4, v4, v11
	v_cmp_gt_f16_sdwa vcc, v5, s6 src0_sel:WORD_1 src1_sel:DWORD
	s_nop 1
	v_cndmask_b32_e32 v4, v4, v13, vcc
	v_mul_f32_e32 v5, 0x4f800000, v4
	v_cmp_gt_f32_e64 s[4:5], s10, v4
	s_and_b64 vcc, exec, s[2:3]
	s_nop 0
	v_cndmask_b32_e64 v4, v4, v5, s[4:5]
	v_sqrt_f32_e32 v5, v4
	s_nop 0
	v_add_u32_e32 v11, -1, v5
	v_add_u32_e32 v13, 1, v5
	v_fma_f32 v14, -v11, v5, v4
	v_fma_f32 v15, -v13, v5, v4
	v_cmp_ge_f32_e64 s[6:7], 0, v14
	s_nop 1
	v_cndmask_b32_e64 v5, v5, v11, s[6:7]
	v_cmp_lt_f32_e64 s[6:7], 0, v15
	s_nop 1
	v_cndmask_b32_e64 v5, v5, v13, s[6:7]
	v_mul_f32_e32 v11, 0x37800000, v5
	v_cndmask_b32_e64 v5, v5, v11, s[4:5]
	v_cmp_class_f32_e64 s[4:5], v4, v3
	s_nop 1
	v_cndmask_b32_e64 v3, v5, v4, s[4:5]
	s_cbranch_vccnz .LBB325_12
; %bb.11:
	global_load_dword v4, v10, s[22:23] offset:12
	s_waitcnt vmcnt(0)
	v_add_f32_e32 v3, v3, v4
.LBB325_12:
	v_cvt_f32_f16_e32 v4, v6
	v_mov_b32_e32 v11, 0x4f800000
	s_mov_b32 s7, 0x3f317217
	s_movk_i32 s6, 0x4d00
	v_mul_f32_e32 v5, 0x3fb8aa3b, v4
	v_exp_f32_e32 v5, v5
	s_nop 0
	v_add_f32_e32 v5, 1.0, v5
	v_cmp_gt_f32_e32 vcc, s8, v5
	s_nop 1
	v_cndmask_b32_e32 v13, 1.0, v11, vcc
	v_mul_f32_e32 v5, v5, v13
	v_log_f32_e32 v5, v5
	v_mov_b32_e32 v13, 0x41b17218
	v_cndmask_b32_e32 v14, 0, v13, vcc
	v_mul_f32_e32 v15, 0x3f317217, v5
	v_fma_f32 v15, v5, s7, -v15
	v_fmac_f32_e32 v15, 0x3377d1cf, v5
	v_fmac_f32_e32 v15, 0x3f317217, v5
	v_cmp_lt_f32_e64 vcc, |v5|, s9
	s_nop 1
	v_cndmask_b32_e32 v5, v5, v15, vcc
	v_sub_f32_e32 v5, v5, v14
	v_cmp_lt_f16_e32 vcc, s6, v6
	s_nop 1
	v_cndmask_b32_e32 v4, v5, v4, vcc
	v_mul_f32_e32 v5, 0x4f800000, v4
	v_cmp_gt_f32_e32 vcc, s10, v4
	s_nop 1
	v_cndmask_b32_e32 v4, v4, v5, vcc
	v_sqrt_f32_e32 v5, v4
	s_nop 0
	v_add_u32_e32 v14, -1, v5
	v_fma_f32 v15, -v14, v5, v4
	v_cmp_ge_f32_e64 s[4:5], 0, v15
	v_add_u32_e32 v15, 1, v5
	s_nop 0
	v_cndmask_b32_e64 v14, v5, v14, s[4:5]
	v_fma_f32 v5, -v15, v5, v4
	v_cmp_lt_f32_e64 s[4:5], 0, v5
	s_nop 1
	v_cndmask_b32_e64 v5, v14, v15, s[4:5]
	v_mul_f32_e32 v14, 0x37800000, v5
	v_cndmask_b32_e32 v14, v5, v14, vcc
	v_mov_b32_e32 v5, 0x260
	v_cmp_class_f32_e64 s[4:5], v4, v5
	s_and_b64 vcc, exec, s[2:3]
	s_nop 0
	v_cndmask_b32_e64 v4, v14, v4, s[4:5]
	s_cbranch_vccnz .LBB325_14
; %bb.13:
	global_load_dword v14, v10, s[22:23] offset:16
	s_waitcnt vmcnt(0)
	v_add_f32_e32 v4, v4, v14
.LBB325_14:
	v_cvt_f32_f16_sdwa v14, v6 dst_sel:DWORD dst_unused:UNUSED_PAD src0_sel:WORD_1
	v_mul_f32_e32 v15, 0x3fb8aa3b, v14
	v_exp_f32_e32 v15, v15
	s_nop 0
	v_add_f32_e32 v15, 1.0, v15
	v_cmp_gt_f32_e32 vcc, s8, v15
	s_nop 1
	v_cndmask_b32_e32 v11, 1.0, v11, vcc
	v_mul_f32_e32 v11, v15, v11
	v_log_f32_e32 v11, v11
	v_cndmask_b32_e32 v13, 0, v13, vcc
	v_mul_f32_e32 v15, 0x3f317217, v11
	v_fma_f32 v15, v11, s7, -v15
	v_fmac_f32_e32 v15, 0x3377d1cf, v11
	v_fmac_f32_e32 v15, 0x3f317217, v11
	v_cmp_lt_f32_e64 vcc, |v11|, s9
	s_nop 1
	v_cndmask_b32_e32 v11, v11, v15, vcc
	v_sub_f32_e32 v11, v11, v13
	v_cmp_gt_f16_sdwa vcc, v6, s6 src0_sel:WORD_1 src1_sel:DWORD
	s_nop 1
	v_cndmask_b32_e32 v6, v11, v14, vcc
	v_mul_f32_e32 v11, 0x4f800000, v6
	v_cmp_gt_f32_e64 s[4:5], s10, v6
	s_and_b64 vcc, exec, s[2:3]
	s_nop 0
	v_cndmask_b32_e64 v6, v6, v11, s[4:5]
	v_sqrt_f32_e32 v11, v6
	s_nop 0
	v_add_u32_e32 v13, -1, v11
	v_add_u32_e32 v14, 1, v11
	v_fma_f32 v15, -v13, v11, v6
	v_fma_f32 v16, -v14, v11, v6
	v_cmp_ge_f32_e64 s[6:7], 0, v15
	s_nop 1
	v_cndmask_b32_e64 v11, v11, v13, s[6:7]
	v_cmp_lt_f32_e64 s[6:7], 0, v16
	s_nop 1
	v_cndmask_b32_e64 v11, v11, v14, s[6:7]
	v_mul_f32_e32 v13, 0x37800000, v11
	v_cndmask_b32_e64 v11, v11, v13, s[4:5]
	v_cmp_class_f32_e64 s[4:5], v6, v5
	s_nop 1
	v_cndmask_b32_e64 v5, v11, v6, s[4:5]
	s_cbranch_vccnz .LBB325_16
; %bb.15:
	global_load_dword v6, v10, s[22:23] offset:20
	s_waitcnt vmcnt(0)
	v_add_f32_e32 v5, v5, v6
.LBB325_16:
	v_cvt_f32_f16_e32 v6, v7
	v_mov_b32_e32 v13, 0x4f800000
	s_mov_b32 s7, 0x3f317217
	s_movk_i32 s6, 0x4d00
	v_mul_f32_e32 v11, 0x3fb8aa3b, v6
	v_exp_f32_e32 v11, v11
	s_nop 0
	v_add_f32_e32 v11, 1.0, v11
	v_cmp_gt_f32_e32 vcc, s8, v11
	s_nop 1
	v_cndmask_b32_e32 v14, 1.0, v13, vcc
	v_mul_f32_e32 v11, v11, v14
	v_log_f32_e32 v11, v11
	v_mov_b32_e32 v14, 0x41b17218
	v_cndmask_b32_e32 v15, 0, v14, vcc
	v_mul_f32_e32 v16, 0x3f317217, v11
	v_fma_f32 v16, v11, s7, -v16
	v_fmac_f32_e32 v16, 0x3377d1cf, v11
	v_fmac_f32_e32 v16, 0x3f317217, v11
	v_cmp_lt_f32_e64 vcc, |v11|, s9
	s_nop 1
	v_cndmask_b32_e32 v11, v11, v16, vcc
	v_sub_f32_e32 v11, v11, v15
	v_cmp_lt_f16_e32 vcc, s6, v7
	s_nop 1
	v_cndmask_b32_e32 v6, v11, v6, vcc
	v_mul_f32_e32 v11, 0x4f800000, v6
	v_cmp_gt_f32_e32 vcc, s10, v6
	s_nop 1
	v_cndmask_b32_e32 v6, v6, v11, vcc
	v_sqrt_f32_e32 v11, v6
	s_nop 0
	v_add_u32_e32 v15, -1, v11
	v_fma_f32 v16, -v15, v11, v6
	v_cmp_ge_f32_e64 s[4:5], 0, v16
	v_add_u32_e32 v16, 1, v11
	s_nop 0
	v_cndmask_b32_e64 v15, v11, v15, s[4:5]
	v_fma_f32 v11, -v16, v11, v6
	v_cmp_lt_f32_e64 s[4:5], 0, v11
	s_nop 1
	v_cndmask_b32_e64 v11, v15, v16, s[4:5]
	v_mul_f32_e32 v15, 0x37800000, v11
	v_cndmask_b32_e32 v15, v11, v15, vcc
	v_mov_b32_e32 v11, 0x260
	v_cmp_class_f32_e64 s[4:5], v6, v11
	s_and_b64 vcc, exec, s[2:3]
	s_nop 0
	v_cndmask_b32_e64 v6, v15, v6, s[4:5]
	s_cbranch_vccnz .LBB325_18
; %bb.17:
	global_load_dword v15, v10, s[22:23] offset:24
	s_waitcnt vmcnt(0)
	v_add_f32_e32 v6, v6, v15
.LBB325_18:
	v_cvt_f32_f16_sdwa v15, v7 dst_sel:DWORD dst_unused:UNUSED_PAD src0_sel:WORD_1
	v_mul_f32_e32 v16, 0x3fb8aa3b, v15
	v_exp_f32_e32 v16, v16
	s_nop 0
	v_add_f32_e32 v16, 1.0, v16
	v_cmp_gt_f32_e32 vcc, s8, v16
	s_nop 1
	v_cndmask_b32_e32 v13, 1.0, v13, vcc
	v_mul_f32_e32 v13, v16, v13
	v_log_f32_e32 v13, v13
	v_cndmask_b32_e32 v14, 0, v14, vcc
	v_mul_f32_e32 v16, 0x3f317217, v13
	v_fma_f32 v16, v13, s7, -v16
	v_fmac_f32_e32 v16, 0x3377d1cf, v13
	v_fmac_f32_e32 v16, 0x3f317217, v13
	v_cmp_lt_f32_e64 vcc, |v13|, s9
	s_nop 1
	v_cndmask_b32_e32 v13, v13, v16, vcc
	v_sub_f32_e32 v13, v13, v14
	v_cmp_gt_f16_sdwa vcc, v7, s6 src0_sel:WORD_1 src1_sel:DWORD
	s_nop 1
	v_cndmask_b32_e32 v7, v13, v15, vcc
	v_mul_f32_e32 v13, 0x4f800000, v7
	v_cmp_gt_f32_e64 s[4:5], s10, v7
	s_and_b64 vcc, exec, s[2:3]
	s_nop 0
	v_cndmask_b32_e64 v7, v7, v13, s[4:5]
	v_sqrt_f32_e32 v13, v7
	s_nop 0
	v_add_u32_e32 v14, -1, v13
	v_add_u32_e32 v15, 1, v13
	v_fma_f32 v16, -v14, v13, v7
	v_fma_f32 v17, -v15, v13, v7
	v_cmp_ge_f32_e64 s[6:7], 0, v16
	s_nop 1
	v_cndmask_b32_e64 v13, v13, v14, s[6:7]
	v_cmp_lt_f32_e64 s[6:7], 0, v17
	s_nop 1
	v_cndmask_b32_e64 v13, v13, v15, s[6:7]
	v_mul_f32_e32 v14, 0x37800000, v13
	v_cndmask_b32_e64 v13, v13, v14, s[4:5]
	v_cmp_class_f32_e64 s[4:5], v7, v11
	s_nop 1
	v_cndmask_b32_e64 v7, v13, v7, s[4:5]
	s_cbranch_vccnz .LBB325_20
; %bb.19:
	global_load_dword v10, v10, s[22:23] offset:28
	s_waitcnt vmcnt(0)
	v_add_f32_e32 v7, v7, v10
.LBB325_20:
	s_load_dwordx4 s[24:27], s[0:1], 0x30
	s_mov_b32 s42, 0
	v_cmp_eq_u32_e64 s[6:7], 0, v9
	s_waitcnt lgkmcnt(0)
	s_bitcmp1_b32 s27, 0
	s_cselect_b64 s[4:5], -1, 0
	s_cmp_gt_i32 s24, 0
	s_cselect_b64 s[38:39], -1, 0
	s_and_b64 vcc, exec, s[38:39]
	s_cbranch_vccz .LBB325_43
; %bb.21:
	v_mbcnt_lo_u32_b32 v10, -1, 0
	v_mbcnt_hi_u32_b32 v10, -1, v10
	v_and_b32_e32 v11, 0x78, v10
	v_add_u32_e32 v11, 8, v11
	v_xor_b32_e32 v13, 4, v10
	v_cmp_lt_i32_e32 vcc, v13, v11
	s_load_dwordx4 s[28:31], s[0:1], 0x20
	v_mul_lo_u32 v14, v8, s24
	v_cndmask_b32_e32 v13, v10, v13, vcc
	v_lshlrev_b32_e32 v15, 2, v13
	v_xor_b32_e32 v13, 2, v10
	v_cmp_lt_i32_e32 vcc, v13, v11
	v_mov_b32_e32 v18, 0xc61c4000
	v_mov_b32_e32 v19, v8
	v_cndmask_b32_e32 v13, v10, v13, vcc
	v_lshlrev_b32_e32 v16, 2, v13
	v_xor_b32_e32 v13, 1, v10
	v_cmp_lt_i32_e32 vcc, v13, v11
	s_nop 1
	v_cndmask_b32_e32 v10, v10, v13, vcc
	v_lshlrev_b32_e32 v17, 2, v10
	v_mov_b32_e32 v13, 0
	s_branch .LBB325_24
.LBB325_22:                             ;   in Loop: Header=BB325_24 Depth=1
	s_or_b64 exec, exec, s[40:41]
.LBB325_23:                             ;   in Loop: Header=BB325_24 Depth=1
	s_cmp_eq_u32 s24, s42
	v_add_u32_e32 v19, s33, v19
	s_cbranch_scc1 .LBB325_44
.LBB325_24:                             ; =>This Inner Loop Header: Depth=1
	v_cmp_gt_f32_e32 vcc, v1, v0
	s_nop 1
	v_cndmask_b32_e32 v11, v0, v1, vcc
	v_cndmask_b32_e64 v10, 0, 1, vcc
	v_cmp_gt_f32_e32 vcc, v2, v11
	s_nop 1
	v_cndmask_b32_e32 v11, v11, v2, vcc
	v_cndmask_b32_e64 v10, v10, 2, vcc
	;; [unrolled: 4-line block ×6, first 2 shown]
	v_cmp_gt_f32_e32 vcc, v7, v11
	s_nop 1
	v_cndmask_b32_e64 v10, v10, 7, vcc
	v_cndmask_b32_e32 v20, v11, v7, vcc
	ds_bpermute_b32 v11, v15, v20
	v_or_b32_e32 v10, v12, v10
	s_waitcnt lgkmcnt(0)
	ds_bpermute_b32 v21, v15, v10
	s_waitcnt lgkmcnt(0)
	v_cmp_lt_f32_e64 s[8:9], v20, v11
	v_cmp_nlt_f32_e32 vcc, v20, v11
	s_and_saveexec_b64 s[10:11], vcc
; %bb.25:                               ;   in Loop: Header=BB325_24 Depth=1
	v_cmp_eq_f32_e32 vcc, v20, v11
	v_cmp_lt_i32_e64 s[0:1], v21, v10
	s_and_b64 s[0:1], vcc, s[0:1]
	s_andn2_b64 s[8:9], s[8:9], exec
	s_and_b64 s[0:1], s[0:1], exec
	s_or_b64 s[8:9], s[8:9], s[0:1]
; %bb.26:                               ;   in Loop: Header=BB325_24 Depth=1
	s_or_b64 exec, exec, s[10:11]
	s_and_saveexec_b64 s[0:1], s[8:9]
; %bb.27:                               ;   in Loop: Header=BB325_24 Depth=1
	v_mov_b32_e32 v20, v11
	v_mov_b32_e32 v10, v21
; %bb.28:                               ;   in Loop: Header=BB325_24 Depth=1
	s_or_b64 exec, exec, s[0:1]
	ds_bpermute_b32 v11, v16, v20
	ds_bpermute_b32 v21, v16, v10
	s_waitcnt lgkmcnt(1)
	v_cmp_lt_f32_e64 s[8:9], v20, v11
	v_cmp_nlt_f32_e32 vcc, v20, v11
	s_and_saveexec_b64 s[10:11], vcc
	s_cbranch_execz .LBB325_30
; %bb.29:                               ;   in Loop: Header=BB325_24 Depth=1
	v_cmp_eq_f32_e32 vcc, v20, v11
	s_waitcnt lgkmcnt(0)
	v_cmp_lt_i32_e64 s[0:1], v21, v10
	s_and_b64 s[0:1], vcc, s[0:1]
	s_andn2_b64 s[8:9], s[8:9], exec
	s_and_b64 s[0:1], s[0:1], exec
	s_or_b64 s[8:9], s[8:9], s[0:1]
.LBB325_30:                             ;   in Loop: Header=BB325_24 Depth=1
	s_or_b64 exec, exec, s[10:11]
	s_and_saveexec_b64 s[0:1], s[8:9]
	s_cbranch_execz .LBB325_32
; %bb.31:                               ;   in Loop: Header=BB325_24 Depth=1
	v_mov_b32_e32 v20, v11
	s_waitcnt lgkmcnt(0)
	v_mov_b32_e32 v10, v21
.LBB325_32:                             ;   in Loop: Header=BB325_24 Depth=1
	s_or_b64 exec, exec, s[0:1]
	ds_bpermute_b32 v11, v17, v20
	s_waitcnt lgkmcnt(1)
	ds_bpermute_b32 v21, v17, v10
	s_waitcnt lgkmcnt(1)
	v_cmp_lt_f32_e64 s[8:9], v20, v11
	v_cmp_nlt_f32_e32 vcc, v20, v11
	s_and_saveexec_b64 s[10:11], vcc
	s_cbranch_execnz .LBB325_36
; %bb.33:                               ;   in Loop: Header=BB325_24 Depth=1
	s_or_b64 exec, exec, s[10:11]
	s_and_saveexec_b64 s[0:1], s[8:9]
	s_cbranch_execnz .LBB325_37
.LBB325_34:                             ;   in Loop: Header=BB325_24 Depth=1
	s_or_b64 exec, exec, s[0:1]
	s_and_saveexec_b64 s[8:9], s[6:7]
	s_cbranch_execnz .LBB325_38
.LBB325_35:                             ;   in Loop: Header=BB325_24 Depth=1
	s_or_b64 exec, exec, s[8:9]
	s_add_i32 s42, s42, 1
	s_cmp_ge_i32 s42, s24
	s_cbranch_scc1 .LBB325_23
	s_branch .LBB325_41
.LBB325_36:                             ;   in Loop: Header=BB325_24 Depth=1
	v_cmp_eq_f32_e32 vcc, v20, v11
	s_waitcnt lgkmcnt(0)
	v_cmp_lt_i32_e64 s[0:1], v21, v10
	s_and_b64 s[0:1], vcc, s[0:1]
	s_andn2_b64 s[8:9], s[8:9], exec
	s_and_b64 s[0:1], s[0:1], exec
	s_or_b64 s[8:9], s[8:9], s[0:1]
	s_or_b64 exec, exec, s[10:11]
	s_and_saveexec_b64 s[0:1], s[8:9]
	s_cbranch_execz .LBB325_34
.LBB325_37:                             ;   in Loop: Header=BB325_24 Depth=1
	s_waitcnt lgkmcnt(0)
	v_mov_b32_e32 v10, v21
	v_mov_b32_e32 v20, v11
	s_or_b64 exec, exec, s[0:1]
	s_and_saveexec_b64 s[8:9], s[6:7]
	s_cbranch_execz .LBB325_35
.LBB325_38:                             ;   in Loop: Header=BB325_24 Depth=1
	s_and_b64 vcc, exec, s[2:3]
	s_cbranch_vccnz .LBB325_40
; %bb.39:                               ;   in Loop: Header=BB325_24 Depth=1
	v_ashrrev_i32_e32 v11, 31, v10
	v_lshl_add_u64 v[22:23], v[10:11], 2, s[22:23]
	global_load_dword v11, v[22:23], off
	s_waitcnt vmcnt(0)
	v_sub_f32_e32 v20, v20, v11
.LBB325_40:                             ;   in Loop: Header=BB325_24 Depth=1
	v_add_u32_e32 v22, s42, v14
	v_cmp_le_i32_e32 vcc, s25, v10
	v_cmp_gt_i32_e64 s[0:1], s26, v10
	v_ashrrev_i32_e32 v23, 31, v22
	s_and_b64 s[0:1], vcc, s[0:1]
	v_lshlrev_b64 v[24:25], 2, v[22:23]
	v_subrev_u32_e32 v11, s25, v10
	v_lshl_add_u64 v[26:27], s[34:35], 0, v[24:25]
	s_waitcnt lgkmcnt(0)
	v_ashrrev_i32_e32 v21, 31, v11
	s_and_b64 vcc, s[36:37], s[0:1]
	global_store_dword v[26:27], v20, off
	v_cndmask_b32_e32 v27, 0, v21, vcc
	v_cndmask_b32_e32 v26, 64, v11, vcc
	v_lshl_add_u64 v[22:23], v[22:23], 3, s[28:29]
	v_add_f32_e32 v11, v13, v20
	global_store_dwordx2 v[22:23], v[26:27], off
	v_lshl_add_u64 v[22:23], s[30:31], 0, v[24:25]
	v_cndmask_b32_e64 v13, v13, v11, s[4:5]
	global_store_dword v[22:23], v19, off
	s_or_b64 exec, exec, s[8:9]
	s_add_i32 s42, s42, 1
	s_cmp_ge_i32 s42, s24
	s_cbranch_scc1 .LBB325_23
.LBB325_41:                             ;   in Loop: Header=BB325_24 Depth=1
	v_ashrrev_i32_e32 v20, 31, v10
	v_lshrrev_b32_e32 v11, 29, v20
	v_add_u32_e32 v11, v10, v11
	v_ashrrev_i32_e32 v11, 3, v11
	s_waitcnt lgkmcnt(0)
	v_lshrrev_b32_e32 v21, 29, v11
	v_add_u32_e32 v21, v11, v21
	v_and_b32_e32 v21, -8, v21
	v_sub_u32_e32 v21, v11, v21
	v_cmp_eq_u32_e32 vcc, v9, v21
	s_and_saveexec_b64 s[40:41], vcc
	s_cbranch_execz .LBB325_22
; %bb.42:                               ;   in Loop: Header=BB325_24 Depth=1
	v_lshrrev_b32_e32 v20, 26, v20
	v_add_u32_e32 v20, v10, v20
	v_lshlrev_b32_e32 v11, 3, v11
	v_sub_u32_e32 v10, v10, v11
	v_ashrrev_i32_e32 v11, 6, v20
	v_lshl_add_u32 v10, v11, 3, v10
	v_cmp_ne_u32_e32 vcc, 6, v10
	v_cmp_ne_u32_e64 s[0:1], 5, v10
	v_cmp_ne_u32_e64 s[8:9], 4, v10
	;; [unrolled: 1-line block ×7, first 2 shown]
	v_cndmask_b32_e32 v6, v18, v6, vcc
	v_cndmask_b32_e64 v5, v18, v5, s[0:1]
	v_cndmask_b32_e64 v7, v18, v7, s[18:19]
	;; [unrolled: 1-line block ×7, first 2 shown]
	s_branch .LBB325_22
.LBB325_43:
	v_mov_b32_e32 v13, 0
.LBB325_44:
	v_cmp_eq_u32_e32 vcc, 0, v9
	s_and_b64 exec, exec, vcc
	s_cbranch_execz .LBB325_57
; %bb.45:
	s_andn2_b64 vcc, exec, s[4:5]
	v_cvt_f32_f64_e32 v0, s[20:21]
	s_cbranch_vccnz .LBB325_47
; %bb.46:
	v_cmp_lt_f32_e32 vcc, 0, v13
	s_nop 1
	v_cndmask_b32_e32 v1, 1.0, v13, vcc
	v_div_scale_f32 v2, s[0:1], v1, v1, v0
	v_rcp_f32_e32 v3, v2
	s_nop 0
	v_fma_f32 v4, -v2, v3, 1.0
	v_fmac_f32_e32 v3, v4, v3
	v_div_scale_f32 v4, vcc, v0, v1, v0
	v_mul_f32_e32 v5, v4, v3
	v_fma_f32 v6, -v2, v5, v4
	v_fmac_f32_e32 v5, v6, v3
	v_fma_f32 v2, -v2, v5, v4
	v_div_fmas_f32 v2, v2, v3, v5
	v_div_fixup_f32 v0, v2, v1, v0
.LBB325_47:
	s_andn2_b64 vcc, exec, s[38:39]
	s_cbranch_vccnz .LBB325_57
; %bb.48:
	v_mul_lo_u32 v2, v8, s24
	s_cmp_gt_u32 s24, 3
	v_ashrrev_i32_e32 v3, 31, v2
	s_cbranch_scc0 .LBB325_52
; %bb.49:
	s_and_b32 s0, s24, 0x7ffffffc
	v_lshl_add_u64 v[4:5], v[2:3], 2, s[34:35]
	v_mov_b32_e32 v1, v0
	v_lshl_add_u64 v[4:5], v[4:5], 0, 8
	s_mov_b32 s1, s0
.LBB325_50:                             ; =>This Inner Loop Header: Depth=1
	global_load_dwordx4 v[6:9], v[4:5], off offset:-8
	s_add_i32 s1, s1, -4
	s_cmp_lg_u32 s1, 0
	s_waitcnt vmcnt(0)
	v_pk_mul_f32 v[6:7], v[0:1], v[6:7]
	v_pk_mul_f32 v[8:9], v[0:1], v[8:9]
	global_store_dwordx4 v[4:5], v[6:9], off offset:-8
	v_lshl_add_u64 v[4:5], v[4:5], 0, 16
	s_cbranch_scc1 .LBB325_50
; %bb.51:
	s_cmp_lg_u32 s0, s24
	s_cselect_b64 s[2:3], -1, 0
	s_branch .LBB325_54
.LBB325_52:
	s_mov_b64 s[2:3], 0
                                        ; implicit-def: $sgpr0
	s_cbranch_execz .LBB325_54
; %bb.53:
	s_mov_b64 s[2:3], -1
	s_mov_b32 s0, 0
.LBB325_54:
	s_andn2_b64 vcc, exec, s[2:3]
	s_cbranch_vccnz .LBB325_57
; %bb.55:
	s_mov_b32 s1, 0
	v_lshl_add_u64 v[2:3], v[2:3], 0, s[0:1]
	s_sub_i32 s2, s24, s0
	v_lshl_add_u64 v[2:3], v[2:3], 2, s[34:35]
.LBB325_56:                             ; =>This Inner Loop Header: Depth=1
	global_load_dword v1, v[2:3], off
	s_add_i32 s2, s2, -1
	s_cmp_lg_u32 s2, 0
	s_waitcnt vmcnt(0)
	v_mul_f32_e32 v1, v0, v1
	global_store_dword v[2:3], v1, off
	v_lshl_add_u64 v[2:3], v[2:3], 0, 4
	s_cbranch_scc1 .LBB325_56
.LBB325_57:
	s_endpgm
	.section	.rodata,"a",@progbits
	.p2align	6, 0x0
	.amdhsa_kernel _ZN4vllm3moe22topkGatingSoftplusSqrtILi8ELi64ELi4ELi16ELi64ELb0El6__halfEEvPKT6_PKbPfiPT5_PiiiibdPKfPKS9_SF_
		.amdhsa_group_segment_fixed_size 0
		.amdhsa_private_segment_fixed_size 0
		.amdhsa_kernarg_size 96
		.amdhsa_user_sgpr_count 2
		.amdhsa_user_sgpr_dispatch_ptr 0
		.amdhsa_user_sgpr_queue_ptr 0
		.amdhsa_user_sgpr_kernarg_segment_ptr 1
		.amdhsa_user_sgpr_dispatch_id 0
		.amdhsa_user_sgpr_kernarg_preload_length 0
		.amdhsa_user_sgpr_kernarg_preload_offset 0
		.amdhsa_user_sgpr_private_segment_size 0
		.amdhsa_uses_dynamic_stack 0
		.amdhsa_enable_private_segment 0
		.amdhsa_system_sgpr_workgroup_id_x 1
		.amdhsa_system_sgpr_workgroup_id_y 0
		.amdhsa_system_sgpr_workgroup_id_z 0
		.amdhsa_system_sgpr_workgroup_info 0
		.amdhsa_system_vgpr_workitem_id 1
		.amdhsa_next_free_vgpr 28
		.amdhsa_next_free_sgpr 43
		.amdhsa_accum_offset 28
		.amdhsa_reserve_vcc 1
		.amdhsa_float_round_mode_32 0
		.amdhsa_float_round_mode_16_64 0
		.amdhsa_float_denorm_mode_32 3
		.amdhsa_float_denorm_mode_16_64 3
		.amdhsa_dx10_clamp 1
		.amdhsa_ieee_mode 1
		.amdhsa_fp16_overflow 0
		.amdhsa_tg_split 0
		.amdhsa_exception_fp_ieee_invalid_op 0
		.amdhsa_exception_fp_denorm_src 0
		.amdhsa_exception_fp_ieee_div_zero 0
		.amdhsa_exception_fp_ieee_overflow 0
		.amdhsa_exception_fp_ieee_underflow 0
		.amdhsa_exception_fp_ieee_inexact 0
		.amdhsa_exception_int_div_zero 0
	.end_amdhsa_kernel
	.section	.text._ZN4vllm3moe22topkGatingSoftplusSqrtILi8ELi64ELi4ELi16ELi64ELb0El6__halfEEvPKT6_PKbPfiPT5_PiiiibdPKfPKS9_SF_,"axG",@progbits,_ZN4vllm3moe22topkGatingSoftplusSqrtILi8ELi64ELi4ELi16ELi64ELb0El6__halfEEvPKT6_PKbPfiPT5_PiiiibdPKfPKS9_SF_,comdat
.Lfunc_end325:
	.size	_ZN4vllm3moe22topkGatingSoftplusSqrtILi8ELi64ELi4ELi16ELi64ELb0El6__halfEEvPKT6_PKbPfiPT5_PiiiibdPKfPKS9_SF_, .Lfunc_end325-_ZN4vllm3moe22topkGatingSoftplusSqrtILi8ELi64ELi4ELi16ELi64ELb0El6__halfEEvPKT6_PKbPfiPT5_PiiiibdPKfPKS9_SF_
                                        ; -- End function
	.section	.AMDGPU.csdata,"",@progbits
; Kernel info:
; codeLenInByte = 3948
; NumSgprs: 49
; NumVgprs: 28
; NumAgprs: 0
; TotalNumVgprs: 28
; ScratchSize: 0
; MemoryBound: 0
; FloatMode: 240
; IeeeMode: 1
; LDSByteSize: 0 bytes/workgroup (compile time only)
; SGPRBlocks: 6
; VGPRBlocks: 3
; NumSGPRsForWavesPerEU: 49
; NumVGPRsForWavesPerEU: 28
; AccumOffset: 28
; Occupancy: 8
; WaveLimiterHint : 0
; COMPUTE_PGM_RSRC2:SCRATCH_EN: 0
; COMPUTE_PGM_RSRC2:USER_SGPR: 2
; COMPUTE_PGM_RSRC2:TRAP_HANDLER: 0
; COMPUTE_PGM_RSRC2:TGID_X_EN: 1
; COMPUTE_PGM_RSRC2:TGID_Y_EN: 0
; COMPUTE_PGM_RSRC2:TGID_Z_EN: 0
; COMPUTE_PGM_RSRC2:TIDIG_COMP_CNT: 1
; COMPUTE_PGM_RSRC3_GFX90A:ACCUM_OFFSET: 6
; COMPUTE_PGM_RSRC3_GFX90A:TG_SPLIT: 0
	.section	.text._ZN4vllm3moe22topkGatingSoftplusSqrtILi8ELi64ELi4ELi16ELi32ELb1El6__halfEEvPKT6_PKbPfiPT5_PiiiibdPKfPKS9_SF_,"axG",@progbits,_ZN4vllm3moe22topkGatingSoftplusSqrtILi8ELi64ELi4ELi16ELi32ELb1El6__halfEEvPKT6_PKbPfiPT5_PiiiibdPKfPKS9_SF_,comdat
	.protected	_ZN4vllm3moe22topkGatingSoftplusSqrtILi8ELi64ELi4ELi16ELi32ELb1El6__halfEEvPKT6_PKbPfiPT5_PiiiibdPKfPKS9_SF_ ; -- Begin function _ZN4vllm3moe22topkGatingSoftplusSqrtILi8ELi64ELi4ELi16ELi32ELb1El6__halfEEvPKT6_PKbPfiPT5_PiiiibdPKfPKS9_SF_
	.globl	_ZN4vllm3moe22topkGatingSoftplusSqrtILi8ELi64ELi4ELi16ELi32ELb1El6__halfEEvPKT6_PKbPfiPT5_PiiiibdPKfPKS9_SF_
	.p2align	8
	.type	_ZN4vllm3moe22topkGatingSoftplusSqrtILi8ELi64ELi4ELi16ELi32ELb1El6__halfEEvPKT6_PKbPfiPT5_PiiiibdPKfPKS9_SF_,@function
_ZN4vllm3moe22topkGatingSoftplusSqrtILi8ELi64ELi4ELi16ELi32ELb1El6__halfEEvPKT6_PKbPfiPT5_PiiiibdPKfPKS9_SF_: ; @_ZN4vllm3moe22topkGatingSoftplusSqrtILi8ELi64ELi4ELi16ELi32ELb1El6__halfEEvPKT6_PKbPfiPT5_PiiiibdPKfPKS9_SF_
; %bb.0:
	s_load_dword s3, s[0:1], 0x18
	v_bfe_u32 v1, v0, 10, 10
	v_and_b32_e32 v10, 0x3ff, v0
	s_lshl_b32 s2, s2, 4
	v_lshlrev_b32_e32 v1, 2, v1
	v_lshrrev_b32_e32 v0, 3, v10
	v_add3_u32 v6, s2, v1, v0
	s_waitcnt lgkmcnt(0)
	v_cmp_gt_i32_e32 vcc, s3, v6
	s_and_saveexec_b64 s[2:3], vcc
	s_cbranch_execz .LBB326_31
; %bb.1:
	s_load_dwordx4 s[8:11], s[0:1], 0x50
	s_load_dwordx2 s[2:3], s[0:1], 0x0
	s_load_dword s12, s[0:1], 0x30
	v_lshlrev_b32_e32 v0, 6, v6
	v_lshlrev_b32_e32 v4, 3, v10
	v_ashrrev_i32_e32 v1, 31, v0
	v_and_b32_e32 v12, 56, v4
	s_waitcnt lgkmcnt(0)
	v_mov_b32_e32 v2, s8
	v_mov_b32_e32 v3, s9
	v_lshl_add_u64 v[0:1], v[0:1], 1, s[2:3]
	v_lshlrev_b32_e32 v4, 1, v12
	v_mov_b32_e32 v5, 0
	v_ashrrev_i32_e32 v7, 31, v6
	v_lshl_add_u64 v[2:3], v[6:7], 3, v[2:3]
	v_lshl_add_u64 v[0:1], v[0:1], 0, v[4:5]
	global_load_dwordx2 v[8:9], v[2:3], off
	s_mov_b32 s21, 0x800000
	global_load_dwordx4 v[0:3], v[0:1], off
	s_ashr_i32 s13, s12, 31
	v_mov_b32_e32 v4, 0x4f800000
	s_mov_b32 s19, 0x3f317217
	s_mov_b32 s20, 0x7f800000
	v_mov_b32_e32 v7, 0x41b17218
	s_movk_i32 s15, 0x4d00
	s_mov_b32 s18, 0xf800000
	v_mov_b32_e32 v11, 0x260
	v_cmp_lt_i64_e64 s[16:17], s[12:13], 1
	s_mov_b32 s14, 0
	v_cmp_gt_i64_e64 s[8:9], s[12:13], 0
	s_waitcnt vmcnt(1)
	v_mul_lo_u32 v13, v9, s12
	v_mul_lo_u32 v18, v8, s13
	s_waitcnt vmcnt(0)
	v_cvt_f32_f16_e32 v19, v0
	v_cvt_f32_f16_sdwa v20, v0 dst_sel:DWORD dst_unused:UNUSED_PAD src0_sel:WORD_1
	v_cvt_f32_f16_e32 v21, v1
	v_cvt_f32_f16_sdwa v22, v1 dst_sel:DWORD dst_unused:UNUSED_PAD src0_sel:WORD_1
	v_mul_f32_e32 v9, 0x3fb8aa3b, v19
	v_mul_f32_e32 v15, 0x3fb8aa3b, v20
	v_exp_f32_e32 v14, v9
	v_exp_f32_e32 v15, v15
	v_mul_f32_e32 v16, 0x3fb8aa3b, v21
	v_mul_f32_e32 v17, 0x3fb8aa3b, v22
	v_exp_f32_e32 v16, v16
	v_pk_add_f32 v[14:15], v[14:15], 1.0 op_sel_hi:[1,0]
	v_exp_f32_e32 v17, v17
	v_mad_u64_u32 v[8:9], s[2:3], v8, s12, 0
	v_cmp_gt_f32_e32 vcc, s21, v15
	v_add3_u32 v9, v9, v18, v13
	v_cmp_gt_f32_e64 s[2:3], s21, v14
	v_cndmask_b32_e32 v13, 1.0, v4, vcc
	v_mul_f32_e32 v13, v15, v13
	v_cndmask_b32_e64 v18, 1.0, v4, s[2:3]
	v_mul_f32_e32 v14, v14, v18
	v_log_f32_e32 v13, v13
	v_pk_add_f32 v[16:17], v[16:17], 1.0 op_sel_hi:[1,0]
	v_log_f32_e32 v14, v14
	v_cmp_gt_f32_e64 s[6:7], s21, v16
	v_cndmask_b32_e32 v15, 0, v7, vcc
	v_cmp_lt_f32_e64 vcc, |v13|, s20
	v_cndmask_b32_e64 v24, 1.0, v4, s[6:7]
	v_mul_f32_e32 v16, v16, v24
	v_mul_f32_e32 v24, 0x3f317217, v13
	;; [unrolled: 1-line block ×3, first 2 shown]
	v_fma_f32 v24, v13, s19, -v24
	v_fma_f32 v25, v14, s19, -v25
	v_fmac_f32_e32 v24, 0x3377d1cf, v13
	v_fmac_f32_e32 v25, 0x3377d1cf, v14
	;; [unrolled: 1-line block ×4, first 2 shown]
	v_cndmask_b32_e32 v13, v13, v24, vcc
	v_cmp_lt_f32_e64 vcc, |v14|, s20
	v_cndmask_b32_e64 v18, 0, v7, s[2:3]
	v_cmp_gt_f32_e64 s[4:5], s21, v17
	v_cndmask_b32_e32 v14, v14, v25, vcc
	v_sub_f32_e32 v14, v14, v18
	v_cmp_lt_f16_e32 vcc, s15, v0
	v_cndmask_b32_e64 v23, 1.0, v4, s[4:5]
	v_sub_f32_e32 v13, v13, v15
	v_cndmask_b32_e32 v14, v14, v19, vcc
	v_cmp_gt_f16_sdwa vcc, v0, s15 src0_sel:WORD_1 src1_sel:DWORD
	v_mul_f32_e32 v17, v17, v23
	v_log_f32_e32 v17, v17
	v_cndmask_b32_e32 v0, v13, v20, vcc
	v_mul_f32_e32 v13, 0x4f800000, v0
	v_cmp_gt_f32_e32 vcc, s18, v0
	v_mul_f32_e32 v15, 0x4f800000, v14
	v_cmp_gt_f32_e64 s[2:3], s18, v14
	v_cndmask_b32_e32 v0, v0, v13, vcc
	v_mul_f32_e32 v26, 0x3f317217, v17
	v_cndmask_b32_e64 v13, v14, v15, s[2:3]
	v_sqrt_f32_e32 v14, v0
	v_sqrt_f32_e32 v15, v13
	v_fma_f32 v26, v17, s19, -v26
	v_fmac_f32_e32 v26, 0x3377d1cf, v17
	v_add_u32_e32 v18, -1, v14
	v_cndmask_b32_e64 v23, 0, v7, s[4:5]
	v_fmac_f32_e32 v26, 0x3f317217, v17
	v_cmp_lt_f32_e64 s[4:5], |v17|, s20
	v_add_u32_e32 v20, -1, v15
	v_fma_f32 v25, -v18, v14, v0
	v_cndmask_b32_e64 v17, v17, v26, s[4:5]
	v_add_u32_e32 v19, 1, v14
	v_fma_f32 v27, -v20, v15, v13
	v_cmp_ge_f32_e64 s[4:5], 0, v25
	v_add_u32_e32 v24, 1, v15
	v_fma_f32 v26, -v19, v14, v0
	v_cndmask_b32_e64 v14, v14, v18, s[4:5]
	v_cmp_ge_f32_e64 s[4:5], 0, v27
	v_fma_f32 v28, -v24, v15, v13
	v_log_f32_e32 v16, v16
	v_cndmask_b32_e64 v15, v15, v20, s[4:5]
	v_cmp_lt_f32_e64 s[4:5], 0, v26
	v_cvt_f32_f16_sdwa v20, v2 dst_sel:DWORD dst_unused:UNUSED_PAD src0_sel:WORD_1
	s_nop 0
	v_cndmask_b32_e64 v14, v14, v19, s[4:5]
	v_cmp_lt_f32_e64 s[4:5], 0, v28
	v_mul_f32_e32 v18, 0x37800000, v14
	v_cndmask_b32_e32 v14, v14, v18, vcc
	v_cndmask_b32_e64 v15, v15, v24, s[4:5]
	v_mul_f32_e32 v19, 0x37800000, v15
	v_cmp_class_f32_e32 vcc, v0, v11
	v_cndmask_b32_e64 v18, v15, v19, s[2:3]
	v_cmp_lt_f16_e64 s[2:3], s15, v1
	v_cndmask_b32_e32 v15, v14, v0, vcc
	v_cmp_class_f32_e32 vcc, v13, v11
	v_sub_f32_e32 v0, v17, v23
	v_cvt_f32_f16_e32 v19, v2
	v_cndmask_b32_e32 v14, v18, v13, vcc
	v_mul_f32_e32 v13, 0x3f317217, v16
	v_fma_f32 v13, v16, s19, -v13
	v_fmac_f32_e32 v13, 0x3377d1cf, v16
	v_fmac_f32_e32 v13, 0x3f317217, v16
	v_cmp_lt_f32_e64 vcc, |v16|, s20
	s_nop 1
	v_cndmask_b32_e32 v13, v16, v13, vcc
	v_cmp_gt_f16_sdwa vcc, v1, s15 src0_sel:WORD_1 src1_sel:DWORD
	v_cndmask_b32_e64 v16, 0, v7, s[6:7]
	v_sub_f32_e32 v13, v13, v16
	v_cndmask_b32_e32 v0, v0, v22, vcc
	v_mul_f32_e32 v17, 0x4f800000, v0
	v_cmp_gt_f32_e32 vcc, s18, v0
	v_cndmask_b32_e64 v1, v13, v21, s[2:3]
	s_nop 0
	v_cndmask_b32_e32 v0, v0, v17, vcc
	v_sqrt_f32_e32 v17, v0
	s_nop 0
	v_add_u32_e32 v13, -1, v17
	v_fma_f32 v16, -v13, v17, v0
	v_cmp_ge_f32_e64 s[2:3], 0, v16
	v_add_u32_e32 v16, 1, v17
	s_nop 0
	v_cndmask_b32_e64 v13, v17, v13, s[2:3]
	v_fma_f32 v17, -v16, v17, v0
	v_cmp_lt_f32_e64 s[2:3], 0, v17
	v_mul_f32_e32 v17, 0x4f800000, v1
	s_nop 0
	v_cndmask_b32_e64 v13, v13, v16, s[2:3]
	v_cmp_gt_f32_e64 s[2:3], s18, v1
	v_mul_f32_e32 v16, 0x37800000, v13
	v_cndmask_b32_e32 v13, v13, v16, vcc
	v_cndmask_b32_e64 v18, v1, v17, s[2:3]
	v_sqrt_f32_e32 v1, v18
	v_cmp_class_f32_e32 vcc, v0, v11
	v_add_u32_e32 v16, 1, v1
	s_nop 0
	v_cndmask_b32_e32 v17, v13, v0, vcc
	v_add_u32_e32 v0, -1, v1
	v_fma_f32 v13, -v0, v1, v18
	v_cmp_ge_f32_e32 vcc, 0, v13
	v_fma_f32 v21, -v16, v1, v18
	s_nop 0
	v_cndmask_b32_e32 v13, v1, v0, vcc
	v_mul_f32_e32 v0, 0x3fb8aa3b, v19
	v_mul_f32_e32 v1, 0x3fb8aa3b, v20
	v_exp_f32_e32 v0, v0
	v_exp_f32_e32 v1, v1
	v_cmp_lt_f32_e32 vcc, 0, v21
	v_pk_add_f32 v[0:1], v[0:1], 1.0 op_sel_hi:[1,0]
	s_nop 0
	v_cndmask_b32_e32 v13, v13, v16, vcc
	v_mul_f32_e32 v16, 0x37800000, v13
	v_cmp_gt_f32_e32 vcc, s21, v1
	v_cndmask_b32_e64 v13, v13, v16, s[2:3]
	v_cmp_class_f32_e64 s[2:3], v18, v11
	v_cndmask_b32_e32 v16, 1.0, v4, vcc
	v_mul_f32_e32 v1, v1, v16
	v_log_f32_e32 v1, v1
	v_cndmask_b32_e64 v16, v13, v18, s[2:3]
	v_cmp_gt_f32_e64 s[2:3], s21, v0
	scratch_store_dwordx4 off, v[14:17], off
	v_mul_f32_e32 v13, 0x3f317217, v1
	v_fma_f32 v13, v1, s19, -v13
	v_cndmask_b32_e64 v14, 1.0, v4, s[2:3]
	v_mul_f32_e32 v0, v0, v14
	v_log_f32_e32 v0, v0
	v_fmac_f32_e32 v13, 0x3377d1cf, v1
	v_fmac_f32_e32 v13, 0x3f317217, v1
	v_cmp_lt_f32_e64 s[4:5], |v1|, s20
	v_cvt_f32_f16_sdwa v17, v3 dst_sel:DWORD dst_unused:UNUSED_PAD src0_sel:WORD_1
	v_mul_f32_e32 v15, 0x3fb8aa3b, v17
	v_cndmask_b32_e64 v1, v1, v13, s[4:5]
	v_cndmask_b32_e32 v13, 0, v7, vcc
	v_sub_f32_e32 v1, v1, v13
	v_mul_f32_e32 v13, 0x3f317217, v0
	v_fma_f32 v13, v0, s19, -v13
	v_fmac_f32_e32 v13, 0x3377d1cf, v0
	v_fmac_f32_e32 v13, 0x3f317217, v0
	v_cmp_lt_f32_e64 vcc, |v0|, s20
	v_exp_f32_e32 v15, v15
	s_nop 0
	v_cndmask_b32_e32 v0, v0, v13, vcc
	v_cmp_gt_f16_sdwa vcc, v2, s15 src0_sel:WORD_1 src1_sel:DWORD
	v_cndmask_b32_e64 v13, 0, v7, s[2:3]
	v_cmp_lt_f16_e64 s[2:3], s15, v2
	v_cndmask_b32_e32 v1, v1, v20, vcc
	v_mul_f32_e32 v14, 0x4f800000, v1
	v_cmp_gt_f32_e32 vcc, s18, v1
	v_sub_f32_e32 v0, v0, v13
	v_cndmask_b32_e64 v0, v0, v19, s[2:3]
	v_cndmask_b32_e32 v1, v1, v14, vcc
	v_sqrt_f32_e32 v14, v1
	s_nop 0
	v_add_u32_e32 v2, -1, v14
	v_fma_f32 v13, -v2, v14, v1
	v_cmp_ge_f32_e64 s[2:3], 0, v13
	v_add_u32_e32 v13, 1, v14
	s_nop 0
	v_cndmask_b32_e64 v2, v14, v2, s[2:3]
	v_fma_f32 v14, -v13, v14, v1
	v_cmp_lt_f32_e64 s[2:3], 0, v14
	v_mul_f32_e32 v14, 0x4f800000, v0
	s_nop 0
	v_cndmask_b32_e64 v2, v2, v13, s[2:3]
	v_cmp_gt_f32_e64 s[2:3], s18, v0
	v_mul_f32_e32 v13, 0x37800000, v2
	v_cndmask_b32_e32 v2, v2, v13, vcc
	v_cndmask_b32_e64 v0, v0, v14, s[2:3]
	v_sqrt_f32_e32 v14, v0
	v_cmp_class_f32_e32 vcc, v1, v11
	v_add_u32_e32 v16, 1, v14
	s_nop 0
	v_cndmask_b32_e32 v1, v2, v1, vcc
	v_add_u32_e32 v2, -1, v14
	v_fma_f32 v13, -v2, v14, v0
	v_cmp_ge_f32_e32 vcc, 0, v13
	v_cvt_f32_f16_e32 v13, v3
	v_fma_f32 v18, -v16, v14, v0
	v_cndmask_b32_e32 v2, v14, v2, vcc
	v_cmp_lt_f32_e32 vcc, 0, v18
	v_mul_f32_e32 v14, 0x3fb8aa3b, v13
	v_exp_f32_e32 v14, v14
	v_cndmask_b32_e32 v2, v2, v16, vcc
	v_mul_f32_e32 v16, 0x37800000, v2
	v_cndmask_b32_e64 v2, v2, v16, s[2:3]
	v_pk_add_f32 v[14:15], v[14:15], 1.0 op_sel_hi:[1,0]
	v_cmp_class_f32_e64 s[2:3], v0, v11
	v_cmp_gt_f32_e32 vcc, s21, v15
	s_nop 0
	v_cndmask_b32_e64 v0, v2, v0, s[2:3]
	v_cndmask_b32_e32 v18, 1.0, v4, vcc
	v_mul_f32_e32 v15, v15, v18
	v_log_f32_e32 v15, v15
	v_cmp_gt_f32_e64 s[2:3], s21, v14
	v_mul_f32_e32 v2, 0x3f317217, v15
	s_nop 0
	v_cndmask_b32_e64 v4, 1.0, v4, s[2:3]
	v_mul_f32_e32 v4, v14, v4
	v_fma_f32 v2, v15, s19, -v2
	v_log_f32_e32 v4, v4
	v_fmac_f32_e32 v2, 0x3377d1cf, v15
	v_fmac_f32_e32 v2, 0x3f317217, v15
	v_cmp_lt_f32_e64 s[4:5], |v15|, s20
	v_cndmask_b32_e32 v14, 0, v7, vcc
	v_cmp_lt_f32_e64 vcc, |v4|, s20
	v_cndmask_b32_e64 v2, v15, v2, s[4:5]
	v_sub_f32_e32 v2, v2, v14
	v_mul_f32_e32 v14, 0x3f317217, v4
	v_fma_f32 v14, v4, s19, -v14
	v_fmac_f32_e32 v14, 0x3377d1cf, v4
	v_fmac_f32_e32 v14, 0x3f317217, v4
	v_cndmask_b32_e32 v4, v4, v14, vcc
	v_cmp_gt_f16_sdwa vcc, v3, s15 src0_sel:WORD_1 src1_sel:DWORD
	v_cndmask_b32_e64 v7, 0, v7, s[2:3]
	v_sub_f32_e32 v4, v4, v7
	v_cndmask_b32_e32 v2, v2, v17, vcc
	v_mul_f32_e32 v14, 0x4f800000, v2
	v_cmp_gt_f32_e32 vcc, s18, v2
	v_cmp_lt_f16_e64 s[2:3], s15, v3
	s_nop 0
	v_cndmask_b32_e32 v2, v2, v14, vcc
	v_sqrt_f32_e32 v14, v2
	v_cndmask_b32_e64 v3, v4, v13, s[2:3]
	v_add_u32_e32 v4, -1, v14
	v_fma_f32 v7, -v4, v14, v2
	v_cmp_ge_f32_e64 s[2:3], 0, v7
	v_add_u32_e32 v7, 1, v14
	v_fma_f32 v13, -v7, v14, v2
	v_cndmask_b32_e64 v4, v14, v4, s[2:3]
	v_cmp_lt_f32_e64 s[2:3], 0, v13
	v_mul_f32_e32 v13, 0x4f800000, v3
	s_nop 0
	v_cndmask_b32_e64 v4, v4, v7, s[2:3]
	v_cmp_gt_f32_e64 s[2:3], s18, v3
	v_mul_f32_e32 v7, 0x37800000, v4
	s_nop 0
	v_cndmask_b32_e64 v13, v3, v13, s[2:3]
	v_sqrt_f32_e32 v14, v13
	v_cndmask_b32_e32 v3, v4, v7, vcc
	v_cmp_class_f32_e32 vcc, v2, v11
	s_nop 1
	v_cndmask_b32_e32 v3, v3, v2, vcc
	v_add_u32_e32 v2, -1, v14
	v_fma_f32 v4, -v2, v14, v13
	v_cmp_ge_f32_e32 vcc, 0, v4
	v_add_u32_e32 v4, 1, v14
	v_fma_f32 v7, -v4, v14, v13
	v_cndmask_b32_e32 v2, v14, v2, vcc
	v_cmp_lt_f32_e32 vcc, 0, v7
	s_nop 1
	v_cndmask_b32_e32 v2, v2, v4, vcc
	v_mul_f32_e32 v4, 0x37800000, v2
	v_cndmask_b32_e64 v2, v2, v4, s[2:3]
	v_cmp_class_f32_e32 vcc, v13, v11
	s_nop 1
	v_cndmask_b32_e32 v2, v2, v13, vcc
	scratch_store_dwordx4 off, v[0:3], off offset:16
	s_and_b64 vcc, exec, s[16:17]
	s_nop 0
	v_lshl_add_u64 v[2:3], v[8:9], 3, s[10:11]
	v_mul_lo_u32 v0, v6, s12
	s_cbranch_vccnz .LBB326_28
; %bb.2:
	s_load_dwordx2 s[4:5], s[0:1], 0x20
	s_cmp_lt_u32 s12, 4
	v_and_b32_e32 v4, 7, v10
	s_cbranch_scc1 .LBB326_21
; %bb.3:
	v_lshlrev_b32_e32 v5, 3, v4
	s_mov_b32 s7, 0
	s_and_b32 s14, s12, 0x7ffffffc
	v_ashrrev_i32_e32 v1, 31, v0
	v_sub_u32_e32 v13, 0, v5
	v_mov_b32_e32 v5, 0
	s_mov_b32 s6, s7
	s_branch .LBB326_5
.LBB326_4:                              ;   in Loop: Header=BB326_5 Depth=1
	s_or_b64 exec, exec, s[10:11]
	s_add_i32 s6, s6, 4
	s_cmp_eq_u32 s6, s14
	s_cbranch_scc1 .LBB326_21
.LBB326_5:                              ; =>This Loop Header: Depth=1
                                        ;     Child Loop BB326_7 Depth 2
                                        ;     Child Loop BB326_11 Depth 2
	;; [unrolled: 1-line block ×4, first 2 shown]
	v_lshl_add_u64 v[6:7], s[6:7], 3, v[2:3]
	global_load_dwordx2 v[8:9], v[6:7], off
	v_add_u32_e32 v10, s6, v0
	v_ashrrev_i32_e32 v11, 31, v10
	v_mov_b32_e32 v14, 0
	s_mov_b64 s[10:11], 0
	s_waitcnt lgkmcnt(0)
	v_lshl_add_u64 v[10:11], v[10:11], 3, s[4:5]
	s_mov_b32 s13, 0
	s_waitcnt vmcnt(0)
	v_ashrrev_i32_e32 v9, 31, v8
	v_add_u32_e32 v15, v13, v8
	s_branch .LBB326_7
.LBB326_6:                              ;   in Loop: Header=BB326_7 Depth=2
	s_or_b64 exec, exec, s[16:17]
	s_add_i32 s15, s13, 1
	s_cmp_gt_u32 s13, 6
	s_cselect_b64 s[2:3], -1, 0
	s_xor_b64 s[16:17], vcc, -1
	s_or_b64 s[2:3], s[16:17], s[2:3]
	s_and_b64 s[2:3], exec, s[2:3]
	v_add_u32_e32 v14, 4, v14
	s_or_b64 s[10:11], s[2:3], s[10:11]
	s_mov_b32 s13, s15
	s_andn2_b64 exec, exec, s[10:11]
	s_cbranch_execz .LBB326_9
.LBB326_7:                              ;   Parent Loop BB326_5 Depth=1
                                        ; =>  This Inner Loop Header: Depth=2
	v_cmp_ne_u32_e32 vcc, s13, v15
	v_cmp_eq_u32_e64 s[2:3], s13, v15
	s_and_saveexec_b64 s[16:17], s[2:3]
	s_cbranch_execz .LBB326_6
; %bb.8:                                ;   in Loop: Header=BB326_7 Depth=2
	scratch_load_dword v16, v14, off
	s_waitcnt vmcnt(0)
	v_add_f32_e32 v5, v5, v16
	global_store_dwordx2 v[10:11], v[8:9], off
	s_branch .LBB326_6
.LBB326_9:                              ;   in Loop: Header=BB326_5 Depth=1
	s_or_b64 exec, exec, s[10:11]
	global_load_dwordx2 v[10:11], v[6:7], off offset:8
	s_ashr_i32 s3, s6, 31
	s_mov_b32 s2, s6
	v_lshl_add_u64 v[8:9], s[2:3], 0, v[0:1]
	v_mov_b32_e32 v14, 0
	s_mov_b32 s13, 0
	v_lshl_add_u64 v[8:9], v[8:9], 3, s[4:5]
	s_mov_b64 s[10:11], 0
	s_waitcnt vmcnt(0)
	v_ashrrev_i32_e32 v11, 31, v10
	v_add_u32_e32 v15, v13, v10
	s_branch .LBB326_11
.LBB326_10:                             ;   in Loop: Header=BB326_11 Depth=2
	s_or_b64 exec, exec, s[16:17]
	s_add_i32 s15, s13, 1
	s_cmp_gt_u32 s13, 6
	s_cselect_b64 s[2:3], -1, 0
	s_xor_b64 s[16:17], vcc, -1
	s_or_b64 s[2:3], s[16:17], s[2:3]
	s_and_b64 s[2:3], exec, s[2:3]
	v_add_u32_e32 v14, 4, v14
	s_or_b64 s[10:11], s[2:3], s[10:11]
	s_mov_b32 s13, s15
	s_andn2_b64 exec, exec, s[10:11]
	s_cbranch_execz .LBB326_13
.LBB326_11:                             ;   Parent Loop BB326_5 Depth=1
                                        ; =>  This Inner Loop Header: Depth=2
	v_cmp_ne_u32_e32 vcc, s13, v15
	v_cmp_eq_u32_e64 s[2:3], s13, v15
	s_and_saveexec_b64 s[16:17], s[2:3]
	s_cbranch_execz .LBB326_10
; %bb.12:                               ;   in Loop: Header=BB326_11 Depth=2
	scratch_load_dword v16, v14, off
	s_waitcnt vmcnt(0)
	v_add_f32_e32 v5, v5, v16
	global_store_dwordx2 v[8:9], v[10:11], off offset:8
	s_branch .LBB326_10
.LBB326_13:                             ;   in Loop: Header=BB326_5 Depth=1
	s_or_b64 exec, exec, s[10:11]
	global_load_dwordx2 v[10:11], v[6:7], off offset:16
	v_mov_b32_e32 v14, 0
	s_mov_b32 s13, 0
	s_mov_b64 s[10:11], 0
	s_waitcnt vmcnt(0)
	v_ashrrev_i32_e32 v11, 31, v10
	v_add_u32_e32 v15, v13, v10
	s_branch .LBB326_15
.LBB326_14:                             ;   in Loop: Header=BB326_15 Depth=2
	s_or_b64 exec, exec, s[16:17]
	s_add_i32 s15, s13, 1
	s_cmp_gt_u32 s13, 6
	s_cselect_b64 s[2:3], -1, 0
	s_xor_b64 s[16:17], vcc, -1
	s_or_b64 s[2:3], s[16:17], s[2:3]
	s_and_b64 s[2:3], exec, s[2:3]
	v_add_u32_e32 v14, 4, v14
	s_or_b64 s[10:11], s[2:3], s[10:11]
	s_mov_b32 s13, s15
	s_andn2_b64 exec, exec, s[10:11]
	s_cbranch_execz .LBB326_17
.LBB326_15:                             ;   Parent Loop BB326_5 Depth=1
                                        ; =>  This Inner Loop Header: Depth=2
	v_cmp_ne_u32_e32 vcc, s13, v15
	v_cmp_eq_u32_e64 s[2:3], s13, v15
	s_and_saveexec_b64 s[16:17], s[2:3]
	s_cbranch_execz .LBB326_14
; %bb.16:                               ;   in Loop: Header=BB326_15 Depth=2
	scratch_load_dword v16, v14, off
	s_waitcnt vmcnt(0)
	v_add_f32_e32 v5, v5, v16
	global_store_dwordx2 v[8:9], v[10:11], off offset:16
	s_branch .LBB326_14
.LBB326_17:                             ;   in Loop: Header=BB326_5 Depth=1
	s_or_b64 exec, exec, s[10:11]
	global_load_dwordx2 v[6:7], v[6:7], off offset:24
	v_mov_b32_e32 v10, 0
	s_mov_b32 s13, 0
	s_mov_b64 s[10:11], 0
	s_waitcnt vmcnt(0)
	v_ashrrev_i32_e32 v7, 31, v6
	v_add_u32_e32 v11, v13, v6
	s_branch .LBB326_19
.LBB326_18:                             ;   in Loop: Header=BB326_19 Depth=2
	s_or_b64 exec, exec, s[16:17]
	s_add_i32 s15, s13, 1
	s_cmp_gt_u32 s13, 6
	s_cselect_b64 s[2:3], -1, 0
	s_xor_b64 s[16:17], vcc, -1
	s_or_b64 s[2:3], s[16:17], s[2:3]
	s_and_b64 s[2:3], exec, s[2:3]
	v_add_u32_e32 v10, 4, v10
	s_or_b64 s[10:11], s[2:3], s[10:11]
	s_mov_b32 s13, s15
	s_andn2_b64 exec, exec, s[10:11]
	s_cbranch_execz .LBB326_4
.LBB326_19:                             ;   Parent Loop BB326_5 Depth=1
                                        ; =>  This Inner Loop Header: Depth=2
	v_cmp_ne_u32_e32 vcc, s13, v11
	v_cmp_eq_u32_e64 s[2:3], s13, v11
	s_and_saveexec_b64 s[16:17], s[2:3]
	s_cbranch_execz .LBB326_18
; %bb.20:                               ;   in Loop: Header=BB326_19 Depth=2
	scratch_load_dword v14, v10, off
	s_waitcnt vmcnt(0)
	v_add_f32_e32 v5, v5, v14
	global_store_dwordx2 v[8:9], v[6:7], off offset:24
	s_branch .LBB326_18
.LBB326_21:
	s_and_b32 s13, s12, 3
	s_cmp_eq_u32 s13, 0
	s_mov_b32 s15, 0
	s_cbranch_scc1 .LBB326_28
; %bb.22:
	v_lshlrev_b32_e32 v1, 3, v4
	v_sub_u32_e32 v1, 0, v1
	s_mov_b32 s16, s15
	s_branch .LBB326_24
.LBB326_23:                             ;   in Loop: Header=BB326_24 Depth=1
	s_or_b64 exec, exec, s[6:7]
	s_add_i32 s14, s14, 1
	s_add_i32 s16, s16, 1
	s_cmp_lg_u32 s16, s13
	s_cbranch_scc0 .LBB326_28
.LBB326_24:                             ; =>This Loop Header: Depth=1
                                        ;     Child Loop BB326_26 Depth 2
	v_lshl_add_u64 v[6:7], s[14:15], 3, v[2:3]
	global_load_dwordx2 v[6:7], v[6:7], off
	v_add_u32_e32 v8, s14, v0
	v_ashrrev_i32_e32 v9, 31, v8
	v_mov_b32_e32 v4, 0
	s_mov_b32 s17, 0
	s_waitcnt lgkmcnt(0)
	v_lshl_add_u64 v[8:9], v[8:9], 3, s[4:5]
	s_mov_b64 s[6:7], 0
	s_waitcnt vmcnt(0)
	v_ashrrev_i32_e32 v7, 31, v6
	v_add_u32_e32 v10, v1, v6
	s_branch .LBB326_26
.LBB326_25:                             ;   in Loop: Header=BB326_26 Depth=2
	s_or_b64 exec, exec, s[10:11]
	s_add_i32 s18, s17, 1
	s_cmp_gt_u32 s17, 6
	s_cselect_b64 s[2:3], -1, 0
	s_xor_b64 s[10:11], vcc, -1
	s_or_b64 s[2:3], s[10:11], s[2:3]
	s_and_b64 s[2:3], exec, s[2:3]
	v_add_u32_e32 v4, 4, v4
	s_or_b64 s[6:7], s[2:3], s[6:7]
	s_mov_b32 s17, s18
	s_andn2_b64 exec, exec, s[6:7]
	s_cbranch_execz .LBB326_23
.LBB326_26:                             ;   Parent Loop BB326_24 Depth=1
                                        ; =>  This Inner Loop Header: Depth=2
	v_cmp_ne_u32_e32 vcc, s17, v10
	v_cmp_eq_u32_e64 s[2:3], s17, v10
	s_and_saveexec_b64 s[10:11], s[2:3]
	s_cbranch_execz .LBB326_25
; %bb.27:                               ;   in Loop: Header=BB326_26 Depth=2
	scratch_load_dword v11, v4, off
	s_waitcnt vmcnt(0)
	v_add_f32_e32 v5, v5, v11
	global_store_dwordx2 v[8:9], v[6:7], off
	s_branch .LBB326_25
.LBB326_28:
	s_waitcnt lgkmcnt(0)
	s_load_dword s4, s[0:1], 0x3c
	s_waitcnt lgkmcnt(0)
	s_bitcmp1_b32 s4, 0
	s_cselect_b64 s[2:3], -1, 0
	s_bitcmp0_b32 s4, 0
	s_cbranch_scc0 .LBB326_32
; %bb.29:
	s_load_dwordx2 s[4:5], s[0:1], 0x40
	s_andn2_b64 vcc, exec, s[2:3]
	s_waitcnt lgkmcnt(0)
	v_cvt_f32_f64_e32 v8, s[4:5]
	s_cbranch_vccz .LBB326_33
.LBB326_30:
	s_andn2_b64 vcc, exec, s[8:9]
	s_cbranch_vccz .LBB326_34
.LBB326_31:
	s_endpgm
.LBB326_32:
	v_mbcnt_lo_u32_b32 v1, -1, 0
	v_mbcnt_hi_u32_b32 v1, -1, v1
	v_and_b32_e32 v4, 0x78, v1
	v_add_u32_e32 v4, 8, v4
	v_xor_b32_e32 v6, 4, v1
	v_cmp_lt_i32_e32 vcc, v6, v4
	v_xor_b32_e32 v7, 2, v1
	s_nop 0
	v_cndmask_b32_e32 v6, v1, v6, vcc
	v_lshlrev_b32_e32 v6, 2, v6
	ds_bpermute_b32 v6, v6, v5
	v_cmp_lt_i32_e32 vcc, v7, v4
	s_waitcnt lgkmcnt(0)
	v_add_f32_e32 v5, v5, v6
	v_cndmask_b32_e32 v6, v1, v7, vcc
	v_lshlrev_b32_e32 v6, 2, v6
	ds_bpermute_b32 v6, v6, v5
	v_xor_b32_e32 v7, 1, v1
	v_cmp_lt_i32_e32 vcc, v7, v4
	s_waitcnt lgkmcnt(0)
	v_add_f32_e32 v5, v5, v6
	v_cndmask_b32_e32 v1, v1, v7, vcc
	v_lshlrev_b32_e32 v1, 2, v1
	ds_bpermute_b32 v1, v1, v5
	s_waitcnt lgkmcnt(0)
	v_add_f32_e32 v5, v5, v1
	s_load_dwordx2 s[4:5], s[0:1], 0x40
	s_andn2_b64 vcc, exec, s[2:3]
	s_waitcnt lgkmcnt(0)
	v_cvt_f32_f64_e32 v8, s[4:5]
	s_cbranch_vccnz .LBB326_30
.LBB326_33:
	v_cmp_lt_f32_e32 vcc, 0, v5
	s_nop 1
	v_cndmask_b32_e32 v1, 1.0, v5, vcc
	v_div_scale_f32 v4, s[2:3], v1, v1, v8
	v_rcp_f32_e32 v5, v4
	s_nop 0
	v_fma_f32 v6, -v4, v5, 1.0
	v_fmac_f32_e32 v5, v6, v5
	v_div_scale_f32 v6, vcc, v8, v1, v8
	v_mul_f32_e32 v7, v6, v5
	v_fma_f32 v9, -v4, v7, v6
	v_fmac_f32_e32 v7, v9, v5
	v_fma_f32 v4, -v4, v7, v6
	v_div_fmas_f32 v4, v4, v5, v7
	v_div_fixup_f32 v8, v4, v1, v8
	s_andn2_b64 vcc, exec, s[8:9]
	s_cbranch_vccnz .LBB326_31
.LBB326_34:
	s_load_dwordx2 s[14:15], s[0:1], 0x10
	v_mov_b32_e32 v1, 0
	v_or_b32_e32 v20, 4, v1
	v_or_b32_e32 v18, 8, v1
	v_or_b32_e32 v16, 12, v1
	v_add_u32_e32 v14, 16, v1
	v_add_u32_e32 v11, 20, v1
	;; [unrolled: 1-line block ×4, first 2 shown]
	v_or_b32_e32 v23, 1, v12
	v_or_b32_e32 v22, 2, v12
	;; [unrolled: 1-line block ×7, first 2 shown]
	s_cmp_eq_u32 s12, 1
	s_mov_b32 s16, 0
	s_cbranch_scc1 .LBB326_69
; %bb.35:
	v_ashrrev_i32_e32 v1, 31, v0
	s_waitcnt lgkmcnt(0)
	v_lshl_add_u64 v[4:5], v[0:1], 2, s[14:15]
	s_and_b32 s16, s12, 0x7ffffffe
	v_lshl_add_u64 v[4:5], v[4:5], 0, 4
	v_lshl_add_u64 v[6:7], v[2:3], 0, 8
	s_mov_b32 s13, 0
	s_branch .LBB326_37
.LBB326_36:                             ;   in Loop: Header=BB326_37 Depth=1
	s_or_b64 exec, exec, s[0:1]
	s_add_i32 s13, s13, 2
	v_lshl_add_u64 v[4:5], v[4:5], 0, 8
	s_cmp_eq_u32 s16, s13
	v_lshl_add_u64 v[6:7], v[6:7], 0, 16
	s_cbranch_scc1 .LBB326_69
.LBB326_37:                             ; =>This Inner Loop Header: Depth=1
	global_load_dword v24, v[6:7], off offset:-8
	v_mov_b32_e32 v1, 0
	s_waitcnt vmcnt(0)
	v_cmp_eq_u32_e32 vcc, v12, v24
	v_cmp_ne_u32_e64 s[0:1], v12, v24
	s_and_saveexec_b64 s[18:19], s[0:1]
	s_cbranch_execz .LBB326_51
; %bb.38:                               ;   in Loop: Header=BB326_37 Depth=1
	v_cmp_eq_u32_e64 s[0:1], v23, v24
	v_cmp_ne_u32_e64 s[2:3], v23, v24
	v_mov_b32_e32 v1, v20
	s_and_saveexec_b64 s[20:21], s[2:3]
	s_cbranch_execz .LBB326_50
; %bb.39:                               ;   in Loop: Header=BB326_37 Depth=1
	v_cmp_eq_u32_e64 s[2:3], v22, v24
	v_cmp_ne_u32_e64 s[4:5], v22, v24
	v_mov_b32_e32 v1, v18
	;; [unrolled: 6-line block ×6, first 2 shown]
	s_and_saveexec_b64 s[34:35], s[10:11]
	s_xor_b64 s[34:35], exec, s[34:35]
; %bb.44:                               ;   in Loop: Header=BB326_37 Depth=1
	v_cmp_eq_u32_e64 s[10:11], v13, v24
	s_andn2_b64 s[30:31], s[30:31], exec
	s_and_b64 s[10:11], s[10:11], exec
	s_or_b64 s[30:31], s[30:31], s[10:11]
	v_mov_b32_e32 v1, v10
; %bb.45:                               ;   in Loop: Header=BB326_37 Depth=1
	s_or_b64 exec, exec, s[34:35]
	s_andn2_b64 s[8:9], s[8:9], exec
	s_and_b64 s[10:11], s[30:31], exec
	s_or_b64 s[8:9], s[8:9], s[10:11]
.LBB326_46:                             ;   in Loop: Header=BB326_37 Depth=1
	s_or_b64 exec, exec, s[28:29]
	s_andn2_b64 s[6:7], s[6:7], exec
	s_and_b64 s[8:9], s[8:9], exec
	s_or_b64 s[6:7], s[6:7], s[8:9]
.LBB326_47:                             ;   in Loop: Header=BB326_37 Depth=1
	s_or_b64 exec, exec, s[26:27]
	s_andn2_b64 s[4:5], s[4:5], exec
	s_and_b64 s[6:7], s[6:7], exec
	s_or_b64 s[4:5], s[4:5], s[6:7]
.LBB326_48:                             ;   in Loop: Header=BB326_37 Depth=1
	s_or_b64 exec, exec, s[24:25]
	s_andn2_b64 s[2:3], s[2:3], exec
	s_and_b64 s[4:5], s[4:5], exec
	s_or_b64 s[2:3], s[2:3], s[4:5]
.LBB326_49:                             ;   in Loop: Header=BB326_37 Depth=1
	s_or_b64 exec, exec, s[22:23]
	s_andn2_b64 s[0:1], s[0:1], exec
	s_and_b64 s[2:3], s[2:3], exec
	s_or_b64 s[0:1], s[0:1], s[2:3]
.LBB326_50:                             ;   in Loop: Header=BB326_37 Depth=1
	s_or_b64 exec, exec, s[20:21]
	s_andn2_b64 s[2:3], vcc, exec
	s_and_b64 s[0:1], s[0:1], exec
	s_or_b64 vcc, s[2:3], s[0:1]
.LBB326_51:                             ;   in Loop: Header=BB326_37 Depth=1
	s_or_b64 exec, exec, s[18:19]
	s_and_saveexec_b64 s[0:1], vcc
	s_cbranch_execz .LBB326_53
; %bb.52:                               ;   in Loop: Header=BB326_37 Depth=1
	scratch_load_dword v1, v1, off
	v_add_u32_e32 v24, s13, v0
	v_ashrrev_i32_e32 v25, 31, v24
	v_lshl_add_u64 v[24:25], v[24:25], 2, s[14:15]
	s_waitcnt vmcnt(0)
	v_mul_f32_e32 v1, v8, v1
	global_store_dword v[24:25], v1, off
.LBB326_53:                             ;   in Loop: Header=BB326_37 Depth=1
	s_or_b64 exec, exec, s[0:1]
	global_load_dword v24, v[6:7], off
	v_mov_b32_e32 v1, 0
	s_waitcnt vmcnt(0)
	v_cmp_eq_u32_e64 s[8:9], v12, v24
	v_cmp_ne_u32_e32 vcc, v12, v24
	s_and_saveexec_b64 s[10:11], vcc
	s_cbranch_execz .LBB326_67
; %bb.54:                               ;   in Loop: Header=BB326_37 Depth=1
	v_cmp_eq_u32_e32 vcc, v23, v24
	v_cmp_ne_u32_e64 s[0:1], v23, v24
	v_mov_b32_e32 v1, v20
	s_and_saveexec_b64 s[18:19], s[0:1]
	s_cbranch_execz .LBB326_66
; %bb.55:                               ;   in Loop: Header=BB326_37 Depth=1
	v_cmp_eq_u32_e64 s[0:1], v22, v24
	v_cmp_ne_u32_e64 s[2:3], v22, v24
	v_mov_b32_e32 v1, v18
	s_and_saveexec_b64 s[20:21], s[2:3]
	s_cbranch_execz .LBB326_65
; %bb.56:                               ;   in Loop: Header=BB326_37 Depth=1
	v_cmp_eq_u32_e64 s[2:3], v21, v24
	;; [unrolled: 6-line block ×5, first 2 shown]
	v_cmp_ne_u32_e64 s[6:7], v15, v24
	v_mov_b32_e32 v1, v9
	s_and_saveexec_b64 s[34:35], s[6:7]
; %bb.60:                               ;   in Loop: Header=BB326_37 Depth=1
	v_cmp_eq_u32_e64 s[6:7], v13, v24
	s_andn2_b64 s[30:31], s[30:31], exec
	s_and_b64 s[6:7], s[6:7], exec
	s_or_b64 s[30:31], s[30:31], s[6:7]
	v_mov_b32_e32 v1, v10
; %bb.61:                               ;   in Loop: Header=BB326_37 Depth=1
	s_or_b64 exec, exec, s[34:35]
	s_andn2_b64 s[6:7], s[26:27], exec
	s_and_b64 s[26:27], s[30:31], exec
	s_or_b64 s[26:27], s[6:7], s[26:27]
.LBB326_62:                             ;   in Loop: Header=BB326_37 Depth=1
	s_or_b64 exec, exec, s[28:29]
	s_andn2_b64 s[4:5], s[4:5], exec
	s_and_b64 s[6:7], s[26:27], exec
	s_or_b64 s[4:5], s[4:5], s[6:7]
.LBB326_63:                             ;   in Loop: Header=BB326_37 Depth=1
	s_or_b64 exec, exec, s[24:25]
	s_andn2_b64 s[2:3], s[2:3], exec
	s_and_b64 s[4:5], s[4:5], exec
	s_or_b64 s[2:3], s[2:3], s[4:5]
.LBB326_64:                             ;   in Loop: Header=BB326_37 Depth=1
	s_or_b64 exec, exec, s[22:23]
	s_andn2_b64 s[0:1], s[0:1], exec
	s_and_b64 s[2:3], s[2:3], exec
	s_or_b64 s[0:1], s[0:1], s[2:3]
.LBB326_65:                             ;   in Loop: Header=BB326_37 Depth=1
	s_or_b64 exec, exec, s[20:21]
	s_andn2_b64 s[2:3], vcc, exec
	s_and_b64 s[0:1], s[0:1], exec
	s_or_b64 vcc, s[2:3], s[0:1]
.LBB326_66:                             ;   in Loop: Header=BB326_37 Depth=1
	s_or_b64 exec, exec, s[18:19]
	s_andn2_b64 s[0:1], s[8:9], exec
	s_and_b64 s[2:3], vcc, exec
	s_or_b64 s[8:9], s[0:1], s[2:3]
.LBB326_67:                             ;   in Loop: Header=BB326_37 Depth=1
	s_or_b64 exec, exec, s[10:11]
	s_and_saveexec_b64 s[0:1], s[8:9]
	s_cbranch_execz .LBB326_36
; %bb.68:                               ;   in Loop: Header=BB326_37 Depth=1
	scratch_load_dword v1, v1, off
	s_waitcnt vmcnt(0)
	v_mul_f32_e32 v1, v8, v1
	global_store_dword v[4:5], v1, off
	s_branch .LBB326_36
.LBB326_69:
	s_bitcmp0_b32 s12, 0
	s_mov_b32 s17, 0
	s_cbranch_scc1 .LBB326_31
; %bb.70:
	v_lshl_add_u64 v[2:3], s[16:17], 3, v[2:3]
	global_load_dword v1, v[2:3], off
	v_mov_b32_e32 v2, 0
	s_waitcnt vmcnt(0)
	v_cmp_eq_u32_e64 s[8:9], v12, v1
	v_cmp_ne_u32_e32 vcc, v12, v1
	s_and_saveexec_b64 s[10:11], vcc
	s_cbranch_execz .LBB326_84
; %bb.71:
	v_cmp_eq_u32_e32 vcc, v23, v1
	v_cmp_ne_u32_e64 s[0:1], v23, v1
	s_and_saveexec_b64 s[12:13], s[0:1]
	s_cbranch_execz .LBB326_83
; %bb.72:
	v_cmp_eq_u32_e64 s[0:1], v22, v1
	v_cmp_ne_u32_e64 s[2:3], v22, v1
	s_and_saveexec_b64 s[18:19], s[2:3]
	s_cbranch_execz .LBB326_82
; %bb.73:
	v_cmp_eq_u32_e64 s[2:3], v21, v1
	;; [unrolled: 5-line block ×5, first 2 shown]
	v_cmp_ne_u32_e64 s[6:7], v15, v1
	s_and_saveexec_b64 s[30:31], s[6:7]
; %bb.77:
	v_cmp_eq_u32_e64 s[6:7], v13, v1
	s_andn2_b64 s[28:29], s[28:29], exec
	s_and_b64 s[6:7], s[6:7], exec
	s_or_b64 s[28:29], s[28:29], s[6:7]
	v_mov_b32_e32 v9, v10
; %bb.78:
	s_or_b64 exec, exec, s[30:31]
	s_andn2_b64 s[6:7], s[24:25], exec
	s_and_b64 s[24:25], s[28:29], exec
	s_or_b64 s[24:25], s[6:7], s[24:25]
	v_mov_b32_e32 v11, v9
.LBB326_79:
	s_or_b64 exec, exec, s[26:27]
	s_andn2_b64 s[4:5], s[4:5], exec
	s_and_b64 s[6:7], s[24:25], exec
	s_or_b64 s[4:5], s[4:5], s[6:7]
	v_mov_b32_e32 v14, v11
.LBB326_80:
	s_or_b64 exec, exec, s[22:23]
	s_andn2_b64 s[2:3], s[2:3], exec
	s_and_b64 s[4:5], s[4:5], exec
	s_or_b64 s[2:3], s[2:3], s[4:5]
	v_mov_b32_e32 v16, v14
.LBB326_81:
	s_or_b64 exec, exec, s[20:21]
	s_andn2_b64 s[0:1], s[0:1], exec
	s_and_b64 s[2:3], s[2:3], exec
	s_or_b64 s[0:1], s[0:1], s[2:3]
	v_mov_b32_e32 v18, v16
.LBB326_82:
	s_or_b64 exec, exec, s[18:19]
	s_andn2_b64 s[2:3], vcc, exec
	s_and_b64 s[0:1], s[0:1], exec
	s_or_b64 vcc, s[2:3], s[0:1]
	v_mov_b32_e32 v20, v18
.LBB326_83:
	s_or_b64 exec, exec, s[12:13]
	s_andn2_b64 s[0:1], s[8:9], exec
	s_and_b64 s[2:3], vcc, exec
	s_or_b64 s[8:9], s[0:1], s[2:3]
	v_mov_b32_e32 v2, v20
.LBB326_84:
	s_or_b64 exec, exec, s[10:11]
	s_and_b64 exec, exec, s[8:9]
	s_cbranch_execz .LBB326_31
; %bb.85:
	scratch_load_dword v2, v2, off
	v_add_u32_e32 v0, s16, v0
	v_ashrrev_i32_e32 v1, 31, v0
	s_waitcnt lgkmcnt(0)
	v_lshl_add_u64 v[0:1], v[0:1], 2, s[14:15]
	s_waitcnt vmcnt(0)
	v_mul_f32_e32 v2, v8, v2
	global_store_dword v[0:1], v2, off
	s_endpgm
	.section	.rodata,"a",@progbits
	.p2align	6, 0x0
	.amdhsa_kernel _ZN4vllm3moe22topkGatingSoftplusSqrtILi8ELi64ELi4ELi16ELi32ELb1El6__halfEEvPKT6_PKbPfiPT5_PiiiibdPKfPKS9_SF_
		.amdhsa_group_segment_fixed_size 0
		.amdhsa_private_segment_fixed_size 48
		.amdhsa_kernarg_size 96
		.amdhsa_user_sgpr_count 2
		.amdhsa_user_sgpr_dispatch_ptr 0
		.amdhsa_user_sgpr_queue_ptr 0
		.amdhsa_user_sgpr_kernarg_segment_ptr 1
		.amdhsa_user_sgpr_dispatch_id 0
		.amdhsa_user_sgpr_kernarg_preload_length 0
		.amdhsa_user_sgpr_kernarg_preload_offset 0
		.amdhsa_user_sgpr_private_segment_size 0
		.amdhsa_uses_dynamic_stack 0
		.amdhsa_enable_private_segment 1
		.amdhsa_system_sgpr_workgroup_id_x 1
		.amdhsa_system_sgpr_workgroup_id_y 0
		.amdhsa_system_sgpr_workgroup_id_z 0
		.amdhsa_system_sgpr_workgroup_info 0
		.amdhsa_system_vgpr_workitem_id 1
		.amdhsa_next_free_vgpr 29
		.amdhsa_next_free_sgpr 36
		.amdhsa_accum_offset 32
		.amdhsa_reserve_vcc 1
		.amdhsa_float_round_mode_32 0
		.amdhsa_float_round_mode_16_64 0
		.amdhsa_float_denorm_mode_32 3
		.amdhsa_float_denorm_mode_16_64 3
		.amdhsa_dx10_clamp 1
		.amdhsa_ieee_mode 1
		.amdhsa_fp16_overflow 0
		.amdhsa_tg_split 0
		.amdhsa_exception_fp_ieee_invalid_op 0
		.amdhsa_exception_fp_denorm_src 0
		.amdhsa_exception_fp_ieee_div_zero 0
		.amdhsa_exception_fp_ieee_overflow 0
		.amdhsa_exception_fp_ieee_underflow 0
		.amdhsa_exception_fp_ieee_inexact 0
		.amdhsa_exception_int_div_zero 0
	.end_amdhsa_kernel
	.section	.text._ZN4vllm3moe22topkGatingSoftplusSqrtILi8ELi64ELi4ELi16ELi32ELb1El6__halfEEvPKT6_PKbPfiPT5_PiiiibdPKfPKS9_SF_,"axG",@progbits,_ZN4vllm3moe22topkGatingSoftplusSqrtILi8ELi64ELi4ELi16ELi32ELb1El6__halfEEvPKT6_PKbPfiPT5_PiiiibdPKfPKS9_SF_,comdat
.Lfunc_end326:
	.size	_ZN4vllm3moe22topkGatingSoftplusSqrtILi8ELi64ELi4ELi16ELi32ELb1El6__halfEEvPKT6_PKbPfiPT5_PiiiibdPKfPKS9_SF_, .Lfunc_end326-_ZN4vllm3moe22topkGatingSoftplusSqrtILi8ELi64ELi4ELi16ELi32ELb1El6__halfEEvPKT6_PKbPfiPT5_PiiiibdPKfPKS9_SF_
                                        ; -- End function
	.section	.AMDGPU.csdata,"",@progbits
; Kernel info:
; codeLenInByte = 4584
; NumSgprs: 42
; NumVgprs: 29
; NumAgprs: 0
; TotalNumVgprs: 29
; ScratchSize: 48
; MemoryBound: 0
; FloatMode: 240
; IeeeMode: 1
; LDSByteSize: 0 bytes/workgroup (compile time only)
; SGPRBlocks: 5
; VGPRBlocks: 3
; NumSGPRsForWavesPerEU: 42
; NumVGPRsForWavesPerEU: 29
; AccumOffset: 32
; Occupancy: 8
; WaveLimiterHint : 1
; COMPUTE_PGM_RSRC2:SCRATCH_EN: 1
; COMPUTE_PGM_RSRC2:USER_SGPR: 2
; COMPUTE_PGM_RSRC2:TRAP_HANDLER: 0
; COMPUTE_PGM_RSRC2:TGID_X_EN: 1
; COMPUTE_PGM_RSRC2:TGID_Y_EN: 0
; COMPUTE_PGM_RSRC2:TGID_Z_EN: 0
; COMPUTE_PGM_RSRC2:TIDIG_COMP_CNT: 1
; COMPUTE_PGM_RSRC3_GFX90A:ACCUM_OFFSET: 7
; COMPUTE_PGM_RSRC3_GFX90A:TG_SPLIT: 0
	.section	.text._ZN4vllm3moe22topkGatingSoftplusSqrtILi8ELi64ELi4ELi16ELi32ELb0El6__halfEEvPKT6_PKbPfiPT5_PiiiibdPKfPKS9_SF_,"axG",@progbits,_ZN4vllm3moe22topkGatingSoftplusSqrtILi8ELi64ELi4ELi16ELi32ELb0El6__halfEEvPKT6_PKbPfiPT5_PiiiibdPKfPKS9_SF_,comdat
	.protected	_ZN4vllm3moe22topkGatingSoftplusSqrtILi8ELi64ELi4ELi16ELi32ELb0El6__halfEEvPKT6_PKbPfiPT5_PiiiibdPKfPKS9_SF_ ; -- Begin function _ZN4vllm3moe22topkGatingSoftplusSqrtILi8ELi64ELi4ELi16ELi32ELb0El6__halfEEvPKT6_PKbPfiPT5_PiiiibdPKfPKS9_SF_
	.globl	_ZN4vllm3moe22topkGatingSoftplusSqrtILi8ELi64ELi4ELi16ELi32ELb0El6__halfEEvPKT6_PKbPfiPT5_PiiiibdPKfPKS9_SF_
	.p2align	8
	.type	_ZN4vllm3moe22topkGatingSoftplusSqrtILi8ELi64ELi4ELi16ELi32ELb0El6__halfEEvPKT6_PKbPfiPT5_PiiiibdPKfPKS9_SF_,@function
_ZN4vllm3moe22topkGatingSoftplusSqrtILi8ELi64ELi4ELi16ELi32ELb0El6__halfEEvPKT6_PKbPfiPT5_PiiiibdPKfPKS9_SF_: ; @_ZN4vllm3moe22topkGatingSoftplusSqrtILi8ELi64ELi4ELi16ELi32ELb0El6__halfEEvPKT6_PKbPfiPT5_PiiiibdPKfPKS9_SF_
; %bb.0:
	s_load_dword s33, s[0:1], 0x18
	v_bfe_u32 v1, v0, 10, 10
	v_and_b32_e32 v0, 0x3ff, v0
	s_lshl_b32 s2, s2, 4
	v_lshlrev_b32_e32 v1, 2, v1
	v_lshrrev_b32_e32 v2, 3, v0
	v_add3_u32 v8, s2, v1, v2
	s_waitcnt lgkmcnt(0)
	v_cmp_gt_i32_e32 vcc, s33, v8
	s_and_saveexec_b64 s[2:3], vcc
	s_cbranch_execz .LBB327_57
; %bb.1:
	s_load_dwordx4 s[4:7], s[0:1], 0x0
	s_load_dwordx2 s[34:35], s[0:1], 0x10
	s_waitcnt lgkmcnt(0)
	s_cmp_eq_u64 s[6:7], 0
	s_cbranch_scc1 .LBB327_3
; %bb.2:
	v_ashrrev_i32_e32 v9, 31, v8
	v_lshl_add_u64 v[2:3], s[6:7], 0, v[8:9]
	global_load_ubyte v1, v[2:3], off
	s_waitcnt vmcnt(0)
	v_and_b32_e32 v1, 1, v1
	v_cmp_eq_u32_e32 vcc, 1, v1
	s_xor_b64 s[2:3], vcc, -1
	s_orn2_b64 s[36:37], s[2:3], exec
	s_branch .LBB327_4
.LBB327_3:
	s_mov_b64 s[36:37], -1
.LBB327_4:
	v_lshlrev_b32_e32 v4, 6, v8
	v_mov_b32_e32 v2, s4
	v_mov_b32_e32 v3, s5
	v_ashrrev_i32_e32 v5, 31, v4
	v_and_b32_e32 v9, 7, v0
	v_lshl_add_u64 v[2:3], v[4:5], 1, v[2:3]
	v_mov_b32_e32 v1, 0
	v_lshlrev_b32_e32 v0, 4, v9
	v_lshl_add_u64 v[0:1], v[2:3], 0, v[0:1]
	global_load_dwordx4 v[4:7], v[0:1], off
	s_mov_b32 s12, 0x800000
	v_mov_b32_e32 v2, 0x4f800000
	s_mov_b32 s9, 0x3f317217
	s_mov_b32 s10, 0x7f800000
	v_mov_b32_e32 v3, 0x41b17218
	s_movk_i32 s8, 0x4d00
	s_mov_b32 s11, 0xf800000
	s_load_dwordx4 s[20:23], s[0:1], 0x40
	v_lshlrev_b32_e32 v12, 3, v9
	s_waitcnt lgkmcnt(0)
	s_cmp_lg_u64 s[22:23], 0
	s_cselect_b64 s[6:7], -1, 0
	s_and_b64 s[2:3], exec, s[6:7]
	s_waitcnt vmcnt(0)
	v_cvt_f32_f16_e32 v0, v4
	v_mul_f32_e32 v1, 0x3fb8aa3b, v0
	v_exp_f32_e32 v10, v1
	v_mov_b32_e32 v1, 0x260
	v_add_f32_e32 v10, 1.0, v10
	v_cmp_gt_f32_e32 vcc, s12, v10
	s_nop 1
	v_cndmask_b32_e32 v11, 1.0, v2, vcc
	v_mul_f32_e32 v10, v10, v11
	v_log_f32_e32 v11, v10
	v_cndmask_b32_e32 v13, 0, v3, vcc
	v_lshlrev_b32_e32 v10, 2, v12
	v_mul_f32_e32 v14, 0x3f317217, v11
	v_fma_f32 v14, v11, s9, -v14
	v_fmac_f32_e32 v14, 0x3377d1cf, v11
	v_fmac_f32_e32 v14, 0x3f317217, v11
	v_cmp_lt_f32_e64 vcc, |v11|, s10
	s_nop 1
	v_cndmask_b32_e32 v11, v11, v14, vcc
	v_sub_f32_e32 v11, v11, v13
	v_cmp_lt_f16_e32 vcc, s8, v4
	s_nop 1
	v_cndmask_b32_e32 v0, v11, v0, vcc
	v_mul_f32_e32 v11, 0x4f800000, v0
	v_cmp_gt_f32_e32 vcc, s11, v0
	s_nop 1
	v_cndmask_b32_e32 v0, v0, v11, vcc
	v_sqrt_f32_e32 v11, v0
	s_nop 0
	v_add_u32_e32 v13, -1, v11
	v_add_u32_e32 v14, 1, v11
	v_fma_f32 v15, -v13, v11, v0
	v_fma_f32 v16, -v14, v11, v0
	v_cmp_ge_f32_e64 s[4:5], 0, v15
	s_nop 1
	v_cndmask_b32_e64 v11, v11, v13, s[4:5]
	v_cmp_lt_f32_e64 s[4:5], 0, v16
	s_nop 1
	v_cndmask_b32_e64 v11, v11, v14, s[4:5]
	v_mul_f32_e32 v13, 0x37800000, v11
	v_cndmask_b32_e32 v11, v11, v13, vcc
	v_cmp_class_f32_e32 vcc, v0, v1
	s_nop 1
	v_cndmask_b32_e32 v0, v11, v0, vcc
	s_mov_b64 vcc, s[2:3]
	s_cbranch_vccz .LBB327_6
; %bb.5:
	global_load_dword v11, v10, s[22:23]
	s_waitcnt vmcnt(0)
	v_add_f32_e32 v0, v0, v11
.LBB327_6:
	v_cvt_f32_f16_sdwa v11, v4 dst_sel:DWORD dst_unused:UNUSED_PAD src0_sel:WORD_1
	v_mul_f32_e32 v13, 0x3fb8aa3b, v11
	v_exp_f32_e32 v13, v13
	s_nop 0
	v_add_f32_e32 v13, 1.0, v13
	v_cmp_gt_f32_e32 vcc, s12, v13
	s_nop 1
	v_cndmask_b32_e32 v2, 1.0, v2, vcc
	v_mul_f32_e32 v2, v13, v2
	v_log_f32_e32 v2, v2
	v_cndmask_b32_e32 v3, 0, v3, vcc
	v_mul_f32_e32 v13, 0x3f317217, v2
	v_fma_f32 v13, v2, s9, -v13
	v_fmac_f32_e32 v13, 0x3377d1cf, v2
	v_fmac_f32_e32 v13, 0x3f317217, v2
	v_cmp_lt_f32_e64 vcc, |v2|, s10
	s_nop 1
	v_cndmask_b32_e32 v2, v2, v13, vcc
	v_sub_f32_e32 v2, v2, v3
	v_cmp_gt_f16_sdwa vcc, v4, s8 src0_sel:WORD_1 src1_sel:DWORD
	v_cndmask_b32_e64 v4, 0, 1, s[6:7]
	v_cmp_ne_u32_e64 s[2:3], 1, v4
	v_cndmask_b32_e32 v2, v2, v11, vcc
	v_mul_f32_e32 v3, 0x4f800000, v2
	v_cmp_gt_f32_e64 s[4:5], s11, v2
	s_andn2_b64 vcc, exec, s[6:7]
	s_nop 0
	v_cndmask_b32_e64 v2, v2, v3, s[4:5]
	v_sqrt_f32_e32 v3, v2
	s_nop 0
	v_add_u32_e32 v4, -1, v3
	v_add_u32_e32 v11, 1, v3
	v_fma_f32 v13, -v4, v3, v2
	v_fma_f32 v14, -v11, v3, v2
	v_cmp_ge_f32_e64 s[6:7], 0, v13
	s_nop 1
	v_cndmask_b32_e64 v3, v3, v4, s[6:7]
	v_cmp_lt_f32_e64 s[6:7], 0, v14
	s_nop 1
	v_cndmask_b32_e64 v3, v3, v11, s[6:7]
	v_mul_f32_e32 v4, 0x37800000, v3
	v_cndmask_b32_e64 v3, v3, v4, s[4:5]
	v_cmp_class_f32_e64 s[4:5], v2, v1
	s_nop 1
	v_cndmask_b32_e64 v1, v3, v2, s[4:5]
	s_cbranch_vccnz .LBB327_8
; %bb.7:
	global_load_dword v2, v10, s[22:23] offset:4
	s_waitcnt vmcnt(0)
	v_add_f32_e32 v1, v1, v2
.LBB327_8:
	v_cvt_f32_f16_e32 v2, v5
	s_mov_b32 s8, 0x800000
	v_mov_b32_e32 v4, 0x4f800000
	s_mov_b32 s7, 0x3f317217
	v_mul_f32_e32 v3, 0x3fb8aa3b, v2
	v_exp_f32_e32 v3, v3
	s_mov_b32 s9, 0x7f800000
	s_movk_i32 s6, 0x4d00
	s_mov_b32 s10, 0xf800000
	v_add_f32_e32 v3, 1.0, v3
	v_cmp_gt_f32_e32 vcc, s8, v3
	s_nop 1
	v_cndmask_b32_e32 v11, 1.0, v4, vcc
	v_mul_f32_e32 v3, v3, v11
	v_log_f32_e32 v3, v3
	v_mov_b32_e32 v11, 0x41b17218
	v_cndmask_b32_e32 v13, 0, v11, vcc
	v_mul_f32_e32 v14, 0x3f317217, v3
	v_fma_f32 v14, v3, s7, -v14
	v_fmac_f32_e32 v14, 0x3377d1cf, v3
	v_fmac_f32_e32 v14, 0x3f317217, v3
	v_cmp_lt_f32_e64 vcc, |v3|, s9
	s_nop 1
	v_cndmask_b32_e32 v3, v3, v14, vcc
	v_sub_f32_e32 v3, v3, v13
	v_cmp_lt_f16_e32 vcc, s6, v5
	s_nop 1
	v_cndmask_b32_e32 v2, v3, v2, vcc
	v_mul_f32_e32 v3, 0x4f800000, v2
	v_cmp_gt_f32_e32 vcc, s10, v2
	s_nop 1
	v_cndmask_b32_e32 v2, v2, v3, vcc
	v_sqrt_f32_e32 v3, v2
	s_nop 0
	v_add_u32_e32 v13, -1, v3
	v_fma_f32 v14, -v13, v3, v2
	v_cmp_ge_f32_e64 s[4:5], 0, v14
	v_add_u32_e32 v14, 1, v3
	s_nop 0
	v_cndmask_b32_e64 v13, v3, v13, s[4:5]
	v_fma_f32 v3, -v14, v3, v2
	v_cmp_lt_f32_e64 s[4:5], 0, v3
	s_nop 1
	v_cndmask_b32_e64 v3, v13, v14, s[4:5]
	v_mul_f32_e32 v13, 0x37800000, v3
	v_cndmask_b32_e32 v13, v3, v13, vcc
	v_mov_b32_e32 v3, 0x260
	v_cmp_class_f32_e64 s[4:5], v2, v3
	s_and_b64 vcc, exec, s[2:3]
	s_nop 0
	v_cndmask_b32_e64 v2, v13, v2, s[4:5]
	s_cbranch_vccnz .LBB327_10
; %bb.9:
	global_load_dword v13, v10, s[22:23] offset:8
	s_waitcnt vmcnt(0)
	v_add_f32_e32 v2, v2, v13
.LBB327_10:
	v_cvt_f32_f16_sdwa v13, v5 dst_sel:DWORD dst_unused:UNUSED_PAD src0_sel:WORD_1
	v_mul_f32_e32 v14, 0x3fb8aa3b, v13
	v_exp_f32_e32 v14, v14
	s_nop 0
	v_add_f32_e32 v14, 1.0, v14
	v_cmp_gt_f32_e32 vcc, s8, v14
	s_nop 1
	v_cndmask_b32_e32 v4, 1.0, v4, vcc
	v_mul_f32_e32 v4, v14, v4
	v_log_f32_e32 v4, v4
	v_cndmask_b32_e32 v11, 0, v11, vcc
	v_mul_f32_e32 v14, 0x3f317217, v4
	v_fma_f32 v14, v4, s7, -v14
	v_fmac_f32_e32 v14, 0x3377d1cf, v4
	v_fmac_f32_e32 v14, 0x3f317217, v4
	v_cmp_lt_f32_e64 vcc, |v4|, s9
	s_nop 1
	v_cndmask_b32_e32 v4, v4, v14, vcc
	v_sub_f32_e32 v4, v4, v11
	v_cmp_gt_f16_sdwa vcc, v5, s6 src0_sel:WORD_1 src1_sel:DWORD
	s_nop 1
	v_cndmask_b32_e32 v4, v4, v13, vcc
	v_mul_f32_e32 v5, 0x4f800000, v4
	v_cmp_gt_f32_e64 s[4:5], s10, v4
	s_and_b64 vcc, exec, s[2:3]
	s_nop 0
	v_cndmask_b32_e64 v4, v4, v5, s[4:5]
	v_sqrt_f32_e32 v5, v4
	s_nop 0
	v_add_u32_e32 v11, -1, v5
	v_add_u32_e32 v13, 1, v5
	v_fma_f32 v14, -v11, v5, v4
	v_fma_f32 v15, -v13, v5, v4
	v_cmp_ge_f32_e64 s[6:7], 0, v14
	s_nop 1
	v_cndmask_b32_e64 v5, v5, v11, s[6:7]
	v_cmp_lt_f32_e64 s[6:7], 0, v15
	s_nop 1
	v_cndmask_b32_e64 v5, v5, v13, s[6:7]
	v_mul_f32_e32 v11, 0x37800000, v5
	v_cndmask_b32_e64 v5, v5, v11, s[4:5]
	v_cmp_class_f32_e64 s[4:5], v4, v3
	s_nop 1
	v_cndmask_b32_e64 v3, v5, v4, s[4:5]
	s_cbranch_vccnz .LBB327_12
; %bb.11:
	global_load_dword v4, v10, s[22:23] offset:12
	s_waitcnt vmcnt(0)
	v_add_f32_e32 v3, v3, v4
.LBB327_12:
	v_cvt_f32_f16_e32 v4, v6
	v_mov_b32_e32 v11, 0x4f800000
	s_mov_b32 s7, 0x3f317217
	s_movk_i32 s6, 0x4d00
	v_mul_f32_e32 v5, 0x3fb8aa3b, v4
	v_exp_f32_e32 v5, v5
	s_nop 0
	v_add_f32_e32 v5, 1.0, v5
	v_cmp_gt_f32_e32 vcc, s8, v5
	s_nop 1
	v_cndmask_b32_e32 v13, 1.0, v11, vcc
	v_mul_f32_e32 v5, v5, v13
	v_log_f32_e32 v5, v5
	v_mov_b32_e32 v13, 0x41b17218
	v_cndmask_b32_e32 v14, 0, v13, vcc
	v_mul_f32_e32 v15, 0x3f317217, v5
	v_fma_f32 v15, v5, s7, -v15
	v_fmac_f32_e32 v15, 0x3377d1cf, v5
	v_fmac_f32_e32 v15, 0x3f317217, v5
	v_cmp_lt_f32_e64 vcc, |v5|, s9
	s_nop 1
	v_cndmask_b32_e32 v5, v5, v15, vcc
	v_sub_f32_e32 v5, v5, v14
	v_cmp_lt_f16_e32 vcc, s6, v6
	s_nop 1
	v_cndmask_b32_e32 v4, v5, v4, vcc
	v_mul_f32_e32 v5, 0x4f800000, v4
	v_cmp_gt_f32_e32 vcc, s10, v4
	s_nop 1
	v_cndmask_b32_e32 v4, v4, v5, vcc
	v_sqrt_f32_e32 v5, v4
	s_nop 0
	v_add_u32_e32 v14, -1, v5
	v_fma_f32 v15, -v14, v5, v4
	v_cmp_ge_f32_e64 s[4:5], 0, v15
	v_add_u32_e32 v15, 1, v5
	s_nop 0
	v_cndmask_b32_e64 v14, v5, v14, s[4:5]
	v_fma_f32 v5, -v15, v5, v4
	v_cmp_lt_f32_e64 s[4:5], 0, v5
	s_nop 1
	v_cndmask_b32_e64 v5, v14, v15, s[4:5]
	v_mul_f32_e32 v14, 0x37800000, v5
	v_cndmask_b32_e32 v14, v5, v14, vcc
	v_mov_b32_e32 v5, 0x260
	v_cmp_class_f32_e64 s[4:5], v4, v5
	s_and_b64 vcc, exec, s[2:3]
	s_nop 0
	v_cndmask_b32_e64 v4, v14, v4, s[4:5]
	s_cbranch_vccnz .LBB327_14
; %bb.13:
	global_load_dword v14, v10, s[22:23] offset:16
	s_waitcnt vmcnt(0)
	v_add_f32_e32 v4, v4, v14
.LBB327_14:
	v_cvt_f32_f16_sdwa v14, v6 dst_sel:DWORD dst_unused:UNUSED_PAD src0_sel:WORD_1
	v_mul_f32_e32 v15, 0x3fb8aa3b, v14
	v_exp_f32_e32 v15, v15
	s_nop 0
	v_add_f32_e32 v15, 1.0, v15
	v_cmp_gt_f32_e32 vcc, s8, v15
	s_nop 1
	v_cndmask_b32_e32 v11, 1.0, v11, vcc
	v_mul_f32_e32 v11, v15, v11
	v_log_f32_e32 v11, v11
	v_cndmask_b32_e32 v13, 0, v13, vcc
	v_mul_f32_e32 v15, 0x3f317217, v11
	v_fma_f32 v15, v11, s7, -v15
	v_fmac_f32_e32 v15, 0x3377d1cf, v11
	v_fmac_f32_e32 v15, 0x3f317217, v11
	v_cmp_lt_f32_e64 vcc, |v11|, s9
	s_nop 1
	v_cndmask_b32_e32 v11, v11, v15, vcc
	v_sub_f32_e32 v11, v11, v13
	v_cmp_gt_f16_sdwa vcc, v6, s6 src0_sel:WORD_1 src1_sel:DWORD
	s_nop 1
	v_cndmask_b32_e32 v6, v11, v14, vcc
	v_mul_f32_e32 v11, 0x4f800000, v6
	v_cmp_gt_f32_e64 s[4:5], s10, v6
	s_and_b64 vcc, exec, s[2:3]
	s_nop 0
	v_cndmask_b32_e64 v6, v6, v11, s[4:5]
	v_sqrt_f32_e32 v11, v6
	s_nop 0
	v_add_u32_e32 v13, -1, v11
	v_add_u32_e32 v14, 1, v11
	v_fma_f32 v15, -v13, v11, v6
	v_fma_f32 v16, -v14, v11, v6
	v_cmp_ge_f32_e64 s[6:7], 0, v15
	s_nop 1
	v_cndmask_b32_e64 v11, v11, v13, s[6:7]
	v_cmp_lt_f32_e64 s[6:7], 0, v16
	s_nop 1
	v_cndmask_b32_e64 v11, v11, v14, s[6:7]
	v_mul_f32_e32 v13, 0x37800000, v11
	v_cndmask_b32_e64 v11, v11, v13, s[4:5]
	v_cmp_class_f32_e64 s[4:5], v6, v5
	s_nop 1
	v_cndmask_b32_e64 v5, v11, v6, s[4:5]
	s_cbranch_vccnz .LBB327_16
; %bb.15:
	global_load_dword v6, v10, s[22:23] offset:20
	s_waitcnt vmcnt(0)
	v_add_f32_e32 v5, v5, v6
.LBB327_16:
	v_cvt_f32_f16_e32 v6, v7
	v_mov_b32_e32 v13, 0x4f800000
	s_mov_b32 s7, 0x3f317217
	s_movk_i32 s6, 0x4d00
	v_mul_f32_e32 v11, 0x3fb8aa3b, v6
	v_exp_f32_e32 v11, v11
	s_nop 0
	v_add_f32_e32 v11, 1.0, v11
	v_cmp_gt_f32_e32 vcc, s8, v11
	s_nop 1
	v_cndmask_b32_e32 v14, 1.0, v13, vcc
	v_mul_f32_e32 v11, v11, v14
	v_log_f32_e32 v11, v11
	v_mov_b32_e32 v14, 0x41b17218
	v_cndmask_b32_e32 v15, 0, v14, vcc
	v_mul_f32_e32 v16, 0x3f317217, v11
	v_fma_f32 v16, v11, s7, -v16
	v_fmac_f32_e32 v16, 0x3377d1cf, v11
	v_fmac_f32_e32 v16, 0x3f317217, v11
	v_cmp_lt_f32_e64 vcc, |v11|, s9
	s_nop 1
	v_cndmask_b32_e32 v11, v11, v16, vcc
	v_sub_f32_e32 v11, v11, v15
	v_cmp_lt_f16_e32 vcc, s6, v7
	s_nop 1
	v_cndmask_b32_e32 v6, v11, v6, vcc
	v_mul_f32_e32 v11, 0x4f800000, v6
	v_cmp_gt_f32_e32 vcc, s10, v6
	s_nop 1
	v_cndmask_b32_e32 v6, v6, v11, vcc
	v_sqrt_f32_e32 v11, v6
	s_nop 0
	v_add_u32_e32 v15, -1, v11
	v_fma_f32 v16, -v15, v11, v6
	v_cmp_ge_f32_e64 s[4:5], 0, v16
	v_add_u32_e32 v16, 1, v11
	s_nop 0
	v_cndmask_b32_e64 v15, v11, v15, s[4:5]
	v_fma_f32 v11, -v16, v11, v6
	v_cmp_lt_f32_e64 s[4:5], 0, v11
	s_nop 1
	v_cndmask_b32_e64 v11, v15, v16, s[4:5]
	v_mul_f32_e32 v15, 0x37800000, v11
	v_cndmask_b32_e32 v15, v11, v15, vcc
	v_mov_b32_e32 v11, 0x260
	v_cmp_class_f32_e64 s[4:5], v6, v11
	s_and_b64 vcc, exec, s[2:3]
	s_nop 0
	v_cndmask_b32_e64 v6, v15, v6, s[4:5]
	s_cbranch_vccnz .LBB327_18
; %bb.17:
	global_load_dword v15, v10, s[22:23] offset:24
	s_waitcnt vmcnt(0)
	v_add_f32_e32 v6, v6, v15
.LBB327_18:
	v_cvt_f32_f16_sdwa v15, v7 dst_sel:DWORD dst_unused:UNUSED_PAD src0_sel:WORD_1
	v_mul_f32_e32 v16, 0x3fb8aa3b, v15
	v_exp_f32_e32 v16, v16
	s_nop 0
	v_add_f32_e32 v16, 1.0, v16
	v_cmp_gt_f32_e32 vcc, s8, v16
	s_nop 1
	v_cndmask_b32_e32 v13, 1.0, v13, vcc
	v_mul_f32_e32 v13, v16, v13
	v_log_f32_e32 v13, v13
	v_cndmask_b32_e32 v14, 0, v14, vcc
	v_mul_f32_e32 v16, 0x3f317217, v13
	v_fma_f32 v16, v13, s7, -v16
	v_fmac_f32_e32 v16, 0x3377d1cf, v13
	v_fmac_f32_e32 v16, 0x3f317217, v13
	v_cmp_lt_f32_e64 vcc, |v13|, s9
	s_nop 1
	v_cndmask_b32_e32 v13, v13, v16, vcc
	v_sub_f32_e32 v13, v13, v14
	v_cmp_gt_f16_sdwa vcc, v7, s6 src0_sel:WORD_1 src1_sel:DWORD
	s_nop 1
	v_cndmask_b32_e32 v7, v13, v15, vcc
	v_mul_f32_e32 v13, 0x4f800000, v7
	v_cmp_gt_f32_e64 s[4:5], s10, v7
	s_and_b64 vcc, exec, s[2:3]
	s_nop 0
	v_cndmask_b32_e64 v7, v7, v13, s[4:5]
	v_sqrt_f32_e32 v13, v7
	s_nop 0
	v_add_u32_e32 v14, -1, v13
	v_add_u32_e32 v15, 1, v13
	v_fma_f32 v16, -v14, v13, v7
	v_fma_f32 v17, -v15, v13, v7
	v_cmp_ge_f32_e64 s[6:7], 0, v16
	s_nop 1
	v_cndmask_b32_e64 v13, v13, v14, s[6:7]
	v_cmp_lt_f32_e64 s[6:7], 0, v17
	s_nop 1
	v_cndmask_b32_e64 v13, v13, v15, s[6:7]
	v_mul_f32_e32 v14, 0x37800000, v13
	v_cndmask_b32_e64 v13, v13, v14, s[4:5]
	v_cmp_class_f32_e64 s[4:5], v7, v11
	s_nop 1
	v_cndmask_b32_e64 v7, v13, v7, s[4:5]
	s_cbranch_vccnz .LBB327_20
; %bb.19:
	global_load_dword v10, v10, s[22:23] offset:28
	s_waitcnt vmcnt(0)
	v_add_f32_e32 v7, v7, v10
.LBB327_20:
	s_load_dwordx4 s[24:27], s[0:1], 0x30
	s_mov_b32 s42, 0
	v_cmp_eq_u32_e64 s[6:7], 0, v9
	s_waitcnt lgkmcnt(0)
	s_bitcmp1_b32 s27, 0
	s_cselect_b64 s[4:5], -1, 0
	s_cmp_gt_i32 s24, 0
	s_cselect_b64 s[38:39], -1, 0
	s_and_b64 vcc, exec, s[38:39]
	s_cbranch_vccz .LBB327_43
; %bb.21:
	v_mbcnt_lo_u32_b32 v10, -1, 0
	v_mbcnt_hi_u32_b32 v10, -1, v10
	v_and_b32_e32 v11, 0x78, v10
	v_add_u32_e32 v11, 8, v11
	v_xor_b32_e32 v13, 4, v10
	v_cmp_lt_i32_e32 vcc, v13, v11
	s_load_dwordx4 s[28:31], s[0:1], 0x20
	v_mul_lo_u32 v14, v8, s24
	v_cndmask_b32_e32 v13, v10, v13, vcc
	v_lshlrev_b32_e32 v15, 2, v13
	v_xor_b32_e32 v13, 2, v10
	v_cmp_lt_i32_e32 vcc, v13, v11
	v_mov_b32_e32 v18, 0xc61c4000
	v_mov_b32_e32 v19, v8
	v_cndmask_b32_e32 v13, v10, v13, vcc
	v_lshlrev_b32_e32 v16, 2, v13
	v_xor_b32_e32 v13, 1, v10
	v_cmp_lt_i32_e32 vcc, v13, v11
	s_nop 1
	v_cndmask_b32_e32 v10, v10, v13, vcc
	v_lshlrev_b32_e32 v17, 2, v10
	v_mov_b32_e32 v13, 0
	s_branch .LBB327_24
.LBB327_22:                             ;   in Loop: Header=BB327_24 Depth=1
	s_or_b64 exec, exec, s[40:41]
.LBB327_23:                             ;   in Loop: Header=BB327_24 Depth=1
	s_cmp_eq_u32 s24, s42
	v_add_u32_e32 v19, s33, v19
	s_cbranch_scc1 .LBB327_44
.LBB327_24:                             ; =>This Inner Loop Header: Depth=1
	v_cmp_gt_f32_e32 vcc, v1, v0
	s_nop 1
	v_cndmask_b32_e32 v11, v0, v1, vcc
	v_cndmask_b32_e64 v10, 0, 1, vcc
	v_cmp_gt_f32_e32 vcc, v2, v11
	s_nop 1
	v_cndmask_b32_e32 v11, v11, v2, vcc
	v_cndmask_b32_e64 v10, v10, 2, vcc
	;; [unrolled: 4-line block ×6, first 2 shown]
	v_cmp_gt_f32_e32 vcc, v7, v11
	s_nop 1
	v_cndmask_b32_e64 v10, v10, 7, vcc
	v_cndmask_b32_e32 v20, v11, v7, vcc
	ds_bpermute_b32 v11, v15, v20
	v_or_b32_e32 v10, v12, v10
	s_waitcnt lgkmcnt(0)
	ds_bpermute_b32 v21, v15, v10
	s_waitcnt lgkmcnt(0)
	v_cmp_lt_f32_e64 s[8:9], v20, v11
	v_cmp_nlt_f32_e32 vcc, v20, v11
	s_and_saveexec_b64 s[10:11], vcc
; %bb.25:                               ;   in Loop: Header=BB327_24 Depth=1
	v_cmp_eq_f32_e32 vcc, v20, v11
	v_cmp_lt_i32_e64 s[0:1], v21, v10
	s_and_b64 s[0:1], vcc, s[0:1]
	s_andn2_b64 s[8:9], s[8:9], exec
	s_and_b64 s[0:1], s[0:1], exec
	s_or_b64 s[8:9], s[8:9], s[0:1]
; %bb.26:                               ;   in Loop: Header=BB327_24 Depth=1
	s_or_b64 exec, exec, s[10:11]
	s_and_saveexec_b64 s[0:1], s[8:9]
; %bb.27:                               ;   in Loop: Header=BB327_24 Depth=1
	v_mov_b32_e32 v20, v11
	v_mov_b32_e32 v10, v21
; %bb.28:                               ;   in Loop: Header=BB327_24 Depth=1
	s_or_b64 exec, exec, s[0:1]
	ds_bpermute_b32 v11, v16, v20
	ds_bpermute_b32 v21, v16, v10
	s_waitcnt lgkmcnt(1)
	v_cmp_lt_f32_e64 s[8:9], v20, v11
	v_cmp_nlt_f32_e32 vcc, v20, v11
	s_and_saveexec_b64 s[10:11], vcc
	s_cbranch_execz .LBB327_30
; %bb.29:                               ;   in Loop: Header=BB327_24 Depth=1
	v_cmp_eq_f32_e32 vcc, v20, v11
	s_waitcnt lgkmcnt(0)
	v_cmp_lt_i32_e64 s[0:1], v21, v10
	s_and_b64 s[0:1], vcc, s[0:1]
	s_andn2_b64 s[8:9], s[8:9], exec
	s_and_b64 s[0:1], s[0:1], exec
	s_or_b64 s[8:9], s[8:9], s[0:1]
.LBB327_30:                             ;   in Loop: Header=BB327_24 Depth=1
	s_or_b64 exec, exec, s[10:11]
	s_and_saveexec_b64 s[0:1], s[8:9]
	s_cbranch_execz .LBB327_32
; %bb.31:                               ;   in Loop: Header=BB327_24 Depth=1
	v_mov_b32_e32 v20, v11
	s_waitcnt lgkmcnt(0)
	v_mov_b32_e32 v10, v21
.LBB327_32:                             ;   in Loop: Header=BB327_24 Depth=1
	s_or_b64 exec, exec, s[0:1]
	ds_bpermute_b32 v11, v17, v20
	s_waitcnt lgkmcnt(1)
	ds_bpermute_b32 v21, v17, v10
	s_waitcnt lgkmcnt(1)
	v_cmp_lt_f32_e64 s[8:9], v20, v11
	v_cmp_nlt_f32_e32 vcc, v20, v11
	s_and_saveexec_b64 s[10:11], vcc
	s_cbranch_execnz .LBB327_36
; %bb.33:                               ;   in Loop: Header=BB327_24 Depth=1
	s_or_b64 exec, exec, s[10:11]
	s_and_saveexec_b64 s[0:1], s[8:9]
	s_cbranch_execnz .LBB327_37
.LBB327_34:                             ;   in Loop: Header=BB327_24 Depth=1
	s_or_b64 exec, exec, s[0:1]
	s_and_saveexec_b64 s[8:9], s[6:7]
	s_cbranch_execnz .LBB327_38
.LBB327_35:                             ;   in Loop: Header=BB327_24 Depth=1
	s_or_b64 exec, exec, s[8:9]
	s_add_i32 s42, s42, 1
	s_cmp_ge_i32 s42, s24
	s_cbranch_scc1 .LBB327_23
	s_branch .LBB327_41
.LBB327_36:                             ;   in Loop: Header=BB327_24 Depth=1
	v_cmp_eq_f32_e32 vcc, v20, v11
	s_waitcnt lgkmcnt(0)
	v_cmp_lt_i32_e64 s[0:1], v21, v10
	s_and_b64 s[0:1], vcc, s[0:1]
	s_andn2_b64 s[8:9], s[8:9], exec
	s_and_b64 s[0:1], s[0:1], exec
	s_or_b64 s[8:9], s[8:9], s[0:1]
	s_or_b64 exec, exec, s[10:11]
	s_and_saveexec_b64 s[0:1], s[8:9]
	s_cbranch_execz .LBB327_34
.LBB327_37:                             ;   in Loop: Header=BB327_24 Depth=1
	s_waitcnt lgkmcnt(0)
	v_mov_b32_e32 v10, v21
	v_mov_b32_e32 v20, v11
	s_or_b64 exec, exec, s[0:1]
	s_and_saveexec_b64 s[8:9], s[6:7]
	s_cbranch_execz .LBB327_35
.LBB327_38:                             ;   in Loop: Header=BB327_24 Depth=1
	s_and_b64 vcc, exec, s[2:3]
	s_cbranch_vccnz .LBB327_40
; %bb.39:                               ;   in Loop: Header=BB327_24 Depth=1
	v_ashrrev_i32_e32 v11, 31, v10
	v_lshl_add_u64 v[22:23], v[10:11], 2, s[22:23]
	global_load_dword v11, v[22:23], off
	s_waitcnt vmcnt(0)
	v_sub_f32_e32 v20, v20, v11
.LBB327_40:                             ;   in Loop: Header=BB327_24 Depth=1
	v_add_u32_e32 v22, s42, v14
	v_cmp_le_i32_e32 vcc, s25, v10
	v_cmp_gt_i32_e64 s[0:1], s26, v10
	v_ashrrev_i32_e32 v23, 31, v22
	s_and_b64 s[0:1], vcc, s[0:1]
	v_lshlrev_b64 v[24:25], 2, v[22:23]
	v_subrev_u32_e32 v11, s25, v10
	v_lshl_add_u64 v[26:27], s[34:35], 0, v[24:25]
	s_waitcnt lgkmcnt(0)
	v_ashrrev_i32_e32 v21, 31, v11
	s_and_b64 vcc, s[36:37], s[0:1]
	global_store_dword v[26:27], v20, off
	v_cndmask_b32_e32 v27, 0, v21, vcc
	v_cndmask_b32_e32 v26, 64, v11, vcc
	v_lshl_add_u64 v[22:23], v[22:23], 3, s[28:29]
	v_add_f32_e32 v11, v13, v20
	global_store_dwordx2 v[22:23], v[26:27], off
	v_lshl_add_u64 v[22:23], s[30:31], 0, v[24:25]
	v_cndmask_b32_e64 v13, v13, v11, s[4:5]
	global_store_dword v[22:23], v19, off
	s_or_b64 exec, exec, s[8:9]
	s_add_i32 s42, s42, 1
	s_cmp_ge_i32 s42, s24
	s_cbranch_scc1 .LBB327_23
.LBB327_41:                             ;   in Loop: Header=BB327_24 Depth=1
	v_ashrrev_i32_e32 v20, 31, v10
	v_lshrrev_b32_e32 v11, 29, v20
	v_add_u32_e32 v11, v10, v11
	v_ashrrev_i32_e32 v11, 3, v11
	s_waitcnt lgkmcnt(0)
	v_lshrrev_b32_e32 v21, 29, v11
	v_add_u32_e32 v21, v11, v21
	v_and_b32_e32 v21, -8, v21
	v_sub_u32_e32 v21, v11, v21
	v_cmp_eq_u32_e32 vcc, v9, v21
	s_and_saveexec_b64 s[40:41], vcc
	s_cbranch_execz .LBB327_22
; %bb.42:                               ;   in Loop: Header=BB327_24 Depth=1
	v_lshrrev_b32_e32 v20, 26, v20
	v_add_u32_e32 v20, v10, v20
	v_lshlrev_b32_e32 v11, 3, v11
	v_sub_u32_e32 v10, v10, v11
	v_ashrrev_i32_e32 v11, 6, v20
	v_lshl_add_u32 v10, v11, 3, v10
	v_cmp_ne_u32_e32 vcc, 6, v10
	v_cmp_ne_u32_e64 s[0:1], 5, v10
	v_cmp_ne_u32_e64 s[8:9], 4, v10
	;; [unrolled: 1-line block ×7, first 2 shown]
	v_cndmask_b32_e32 v6, v18, v6, vcc
	v_cndmask_b32_e64 v5, v18, v5, s[0:1]
	v_cndmask_b32_e64 v7, v18, v7, s[18:19]
	;; [unrolled: 1-line block ×7, first 2 shown]
	s_branch .LBB327_22
.LBB327_43:
	v_mov_b32_e32 v13, 0
.LBB327_44:
	v_cmp_eq_u32_e32 vcc, 0, v9
	s_and_b64 exec, exec, vcc
	s_cbranch_execz .LBB327_57
; %bb.45:
	s_andn2_b64 vcc, exec, s[4:5]
	v_cvt_f32_f64_e32 v0, s[20:21]
	s_cbranch_vccnz .LBB327_47
; %bb.46:
	v_cmp_lt_f32_e32 vcc, 0, v13
	s_nop 1
	v_cndmask_b32_e32 v1, 1.0, v13, vcc
	v_div_scale_f32 v2, s[0:1], v1, v1, v0
	v_rcp_f32_e32 v3, v2
	s_nop 0
	v_fma_f32 v4, -v2, v3, 1.0
	v_fmac_f32_e32 v3, v4, v3
	v_div_scale_f32 v4, vcc, v0, v1, v0
	v_mul_f32_e32 v5, v4, v3
	v_fma_f32 v6, -v2, v5, v4
	v_fmac_f32_e32 v5, v6, v3
	v_fma_f32 v2, -v2, v5, v4
	v_div_fmas_f32 v2, v2, v3, v5
	v_div_fixup_f32 v0, v2, v1, v0
.LBB327_47:
	s_andn2_b64 vcc, exec, s[38:39]
	s_cbranch_vccnz .LBB327_57
; %bb.48:
	v_mul_lo_u32 v2, v8, s24
	s_cmp_gt_u32 s24, 3
	v_ashrrev_i32_e32 v3, 31, v2
	s_cbranch_scc0 .LBB327_52
; %bb.49:
	s_and_b32 s0, s24, 0x7ffffffc
	v_lshl_add_u64 v[4:5], v[2:3], 2, s[34:35]
	v_mov_b32_e32 v1, v0
	v_lshl_add_u64 v[4:5], v[4:5], 0, 8
	s_mov_b32 s1, s0
.LBB327_50:                             ; =>This Inner Loop Header: Depth=1
	global_load_dwordx4 v[6:9], v[4:5], off offset:-8
	s_add_i32 s1, s1, -4
	s_cmp_lg_u32 s1, 0
	s_waitcnt vmcnt(0)
	v_pk_mul_f32 v[6:7], v[0:1], v[6:7]
	v_pk_mul_f32 v[8:9], v[0:1], v[8:9]
	global_store_dwordx4 v[4:5], v[6:9], off offset:-8
	v_lshl_add_u64 v[4:5], v[4:5], 0, 16
	s_cbranch_scc1 .LBB327_50
; %bb.51:
	s_cmp_lg_u32 s0, s24
	s_cselect_b64 s[2:3], -1, 0
	s_branch .LBB327_54
.LBB327_52:
	s_mov_b64 s[2:3], 0
                                        ; implicit-def: $sgpr0
	s_cbranch_execz .LBB327_54
; %bb.53:
	s_mov_b64 s[2:3], -1
	s_mov_b32 s0, 0
.LBB327_54:
	s_andn2_b64 vcc, exec, s[2:3]
	s_cbranch_vccnz .LBB327_57
; %bb.55:
	s_mov_b32 s1, 0
	v_lshl_add_u64 v[2:3], v[2:3], 0, s[0:1]
	s_sub_i32 s2, s24, s0
	v_lshl_add_u64 v[2:3], v[2:3], 2, s[34:35]
.LBB327_56:                             ; =>This Inner Loop Header: Depth=1
	global_load_dword v1, v[2:3], off
	s_add_i32 s2, s2, -1
	s_cmp_lg_u32 s2, 0
	s_waitcnt vmcnt(0)
	v_mul_f32_e32 v1, v0, v1
	global_store_dword v[2:3], v1, off
	v_lshl_add_u64 v[2:3], v[2:3], 0, 4
	s_cbranch_scc1 .LBB327_56
.LBB327_57:
	s_endpgm
	.section	.rodata,"a",@progbits
	.p2align	6, 0x0
	.amdhsa_kernel _ZN4vllm3moe22topkGatingSoftplusSqrtILi8ELi64ELi4ELi16ELi32ELb0El6__halfEEvPKT6_PKbPfiPT5_PiiiibdPKfPKS9_SF_
		.amdhsa_group_segment_fixed_size 0
		.amdhsa_private_segment_fixed_size 0
		.amdhsa_kernarg_size 96
		.amdhsa_user_sgpr_count 2
		.amdhsa_user_sgpr_dispatch_ptr 0
		.amdhsa_user_sgpr_queue_ptr 0
		.amdhsa_user_sgpr_kernarg_segment_ptr 1
		.amdhsa_user_sgpr_dispatch_id 0
		.amdhsa_user_sgpr_kernarg_preload_length 0
		.amdhsa_user_sgpr_kernarg_preload_offset 0
		.amdhsa_user_sgpr_private_segment_size 0
		.amdhsa_uses_dynamic_stack 0
		.amdhsa_enable_private_segment 0
		.amdhsa_system_sgpr_workgroup_id_x 1
		.amdhsa_system_sgpr_workgroup_id_y 0
		.amdhsa_system_sgpr_workgroup_id_z 0
		.amdhsa_system_sgpr_workgroup_info 0
		.amdhsa_system_vgpr_workitem_id 1
		.amdhsa_next_free_vgpr 28
		.amdhsa_next_free_sgpr 43
		.amdhsa_accum_offset 28
		.amdhsa_reserve_vcc 1
		.amdhsa_float_round_mode_32 0
		.amdhsa_float_round_mode_16_64 0
		.amdhsa_float_denorm_mode_32 3
		.amdhsa_float_denorm_mode_16_64 3
		.amdhsa_dx10_clamp 1
		.amdhsa_ieee_mode 1
		.amdhsa_fp16_overflow 0
		.amdhsa_tg_split 0
		.amdhsa_exception_fp_ieee_invalid_op 0
		.amdhsa_exception_fp_denorm_src 0
		.amdhsa_exception_fp_ieee_div_zero 0
		.amdhsa_exception_fp_ieee_overflow 0
		.amdhsa_exception_fp_ieee_underflow 0
		.amdhsa_exception_fp_ieee_inexact 0
		.amdhsa_exception_int_div_zero 0
	.end_amdhsa_kernel
	.section	.text._ZN4vllm3moe22topkGatingSoftplusSqrtILi8ELi64ELi4ELi16ELi32ELb0El6__halfEEvPKT6_PKbPfiPT5_PiiiibdPKfPKS9_SF_,"axG",@progbits,_ZN4vllm3moe22topkGatingSoftplusSqrtILi8ELi64ELi4ELi16ELi32ELb0El6__halfEEvPKT6_PKbPfiPT5_PiiiibdPKfPKS9_SF_,comdat
.Lfunc_end327:
	.size	_ZN4vllm3moe22topkGatingSoftplusSqrtILi8ELi64ELi4ELi16ELi32ELb0El6__halfEEvPKT6_PKbPfiPT5_PiiiibdPKfPKS9_SF_, .Lfunc_end327-_ZN4vllm3moe22topkGatingSoftplusSqrtILi8ELi64ELi4ELi16ELi32ELb0El6__halfEEvPKT6_PKbPfiPT5_PiiiibdPKfPKS9_SF_
                                        ; -- End function
	.section	.AMDGPU.csdata,"",@progbits
; Kernel info:
; codeLenInByte = 3948
; NumSgprs: 49
; NumVgprs: 28
; NumAgprs: 0
; TotalNumVgprs: 28
; ScratchSize: 0
; MemoryBound: 0
; FloatMode: 240
; IeeeMode: 1
; LDSByteSize: 0 bytes/workgroup (compile time only)
; SGPRBlocks: 6
; VGPRBlocks: 3
; NumSGPRsForWavesPerEU: 49
; NumVGPRsForWavesPerEU: 28
; AccumOffset: 28
; Occupancy: 8
; WaveLimiterHint : 0
; COMPUTE_PGM_RSRC2:SCRATCH_EN: 0
; COMPUTE_PGM_RSRC2:USER_SGPR: 2
; COMPUTE_PGM_RSRC2:TRAP_HANDLER: 0
; COMPUTE_PGM_RSRC2:TGID_X_EN: 1
; COMPUTE_PGM_RSRC2:TGID_Y_EN: 0
; COMPUTE_PGM_RSRC2:TGID_Z_EN: 0
; COMPUTE_PGM_RSRC2:TIDIG_COMP_CNT: 1
; COMPUTE_PGM_RSRC3_GFX90A:ACCUM_OFFSET: 6
; COMPUTE_PGM_RSRC3_GFX90A:TG_SPLIT: 0
	.section	.text._ZN4vllm3moe22topkGatingSoftplusSqrtILi8ELi128ELi4ELi16ELi64ELb1El6__halfEEvPKT6_PKbPfiPT5_PiiiibdPKfPKS9_SF_,"axG",@progbits,_ZN4vllm3moe22topkGatingSoftplusSqrtILi8ELi128ELi4ELi16ELi64ELb1El6__halfEEvPKT6_PKbPfiPT5_PiiiibdPKfPKS9_SF_,comdat
	.protected	_ZN4vllm3moe22topkGatingSoftplusSqrtILi8ELi128ELi4ELi16ELi64ELb1El6__halfEEvPKT6_PKbPfiPT5_PiiiibdPKfPKS9_SF_ ; -- Begin function _ZN4vllm3moe22topkGatingSoftplusSqrtILi8ELi128ELi4ELi16ELi64ELb1El6__halfEEvPKT6_PKbPfiPT5_PiiiibdPKfPKS9_SF_
	.globl	_ZN4vllm3moe22topkGatingSoftplusSqrtILi8ELi128ELi4ELi16ELi64ELb1El6__halfEEvPKT6_PKbPfiPT5_PiiiibdPKfPKS9_SF_
	.p2align	8
	.type	_ZN4vllm3moe22topkGatingSoftplusSqrtILi8ELi128ELi4ELi16ELi64ELb1El6__halfEEvPKT6_PKbPfiPT5_PiiiibdPKfPKS9_SF_,@function
_ZN4vllm3moe22topkGatingSoftplusSqrtILi8ELi128ELi4ELi16ELi64ELb1El6__halfEEvPKT6_PKbPfiPT5_PiiiibdPKfPKS9_SF_: ; @_ZN4vllm3moe22topkGatingSoftplusSqrtILi8ELi128ELi4ELi16ELi64ELb1El6__halfEEvPKT6_PKbPfiPT5_PiiiibdPKfPKS9_SF_
; %bb.0:
	s_load_dword s3, s[0:1], 0x18
	v_bfe_u32 v1, v0, 10, 10
	v_and_b32_e32 v10, 0x3ff, v0
	s_lshl_b32 s2, s2, 4
	v_lshlrev_b32_e32 v1, 2, v1
	v_lshrrev_b32_e32 v0, 4, v10
	v_add3_u32 v6, s2, v1, v0
	s_waitcnt lgkmcnt(0)
	v_cmp_gt_i32_e32 vcc, s3, v6
	s_and_saveexec_b64 s[2:3], vcc
	s_cbranch_execz .LBB328_31
; %bb.1:
	s_load_dwordx4 s[8:11], s[0:1], 0x50
	s_load_dwordx2 s[2:3], s[0:1], 0x0
	s_load_dword s12, s[0:1], 0x30
	v_lshlrev_b32_e32 v0, 7, v6
	v_lshlrev_b32_e32 v4, 3, v10
	v_ashrrev_i32_e32 v1, 31, v0
	v_and_b32_e32 v12, 0x78, v4
	s_waitcnt lgkmcnt(0)
	v_mov_b32_e32 v2, s8
	v_mov_b32_e32 v3, s9
	v_lshl_add_u64 v[0:1], v[0:1], 1, s[2:3]
	v_lshlrev_b32_e32 v4, 1, v12
	v_mov_b32_e32 v5, 0
	v_ashrrev_i32_e32 v7, 31, v6
	v_lshl_add_u64 v[2:3], v[6:7], 3, v[2:3]
	v_lshl_add_u64 v[0:1], v[0:1], 0, v[4:5]
	global_load_dwordx2 v[8:9], v[2:3], off
	s_mov_b32 s21, 0x800000
	global_load_dwordx4 v[0:3], v[0:1], off
	s_ashr_i32 s13, s12, 31
	v_mov_b32_e32 v4, 0x4f800000
	s_mov_b32 s19, 0x3f317217
	s_mov_b32 s20, 0x7f800000
	v_mov_b32_e32 v7, 0x41b17218
	s_movk_i32 s15, 0x4d00
	s_mov_b32 s18, 0xf800000
	v_mov_b32_e32 v11, 0x260
	v_cmp_lt_i64_e64 s[16:17], s[12:13], 1
	s_mov_b32 s14, 0
	v_cmp_gt_i64_e64 s[8:9], s[12:13], 0
	s_waitcnt vmcnt(1)
	v_mul_lo_u32 v13, v9, s12
	v_mul_lo_u32 v18, v8, s13
	s_waitcnt vmcnt(0)
	v_cvt_f32_f16_e32 v19, v0
	v_cvt_f32_f16_sdwa v20, v0 dst_sel:DWORD dst_unused:UNUSED_PAD src0_sel:WORD_1
	v_cvt_f32_f16_e32 v21, v1
	v_cvt_f32_f16_sdwa v22, v1 dst_sel:DWORD dst_unused:UNUSED_PAD src0_sel:WORD_1
	v_mul_f32_e32 v9, 0x3fb8aa3b, v19
	v_mul_f32_e32 v15, 0x3fb8aa3b, v20
	v_exp_f32_e32 v14, v9
	v_exp_f32_e32 v15, v15
	v_mul_f32_e32 v16, 0x3fb8aa3b, v21
	v_mul_f32_e32 v17, 0x3fb8aa3b, v22
	v_exp_f32_e32 v16, v16
	v_pk_add_f32 v[14:15], v[14:15], 1.0 op_sel_hi:[1,0]
	v_exp_f32_e32 v17, v17
	v_mad_u64_u32 v[8:9], s[2:3], v8, s12, 0
	v_cmp_gt_f32_e32 vcc, s21, v15
	v_add3_u32 v9, v9, v18, v13
	v_cmp_gt_f32_e64 s[2:3], s21, v14
	v_cndmask_b32_e32 v13, 1.0, v4, vcc
	v_mul_f32_e32 v13, v15, v13
	v_cndmask_b32_e64 v18, 1.0, v4, s[2:3]
	v_mul_f32_e32 v14, v14, v18
	v_log_f32_e32 v13, v13
	v_pk_add_f32 v[16:17], v[16:17], 1.0 op_sel_hi:[1,0]
	v_log_f32_e32 v14, v14
	v_cmp_gt_f32_e64 s[6:7], s21, v16
	v_cndmask_b32_e32 v15, 0, v7, vcc
	v_cmp_lt_f32_e64 vcc, |v13|, s20
	v_cndmask_b32_e64 v24, 1.0, v4, s[6:7]
	v_mul_f32_e32 v16, v16, v24
	v_mul_f32_e32 v24, 0x3f317217, v13
	;; [unrolled: 1-line block ×3, first 2 shown]
	v_fma_f32 v24, v13, s19, -v24
	v_fma_f32 v25, v14, s19, -v25
	v_fmac_f32_e32 v24, 0x3377d1cf, v13
	v_fmac_f32_e32 v25, 0x3377d1cf, v14
	;; [unrolled: 1-line block ×4, first 2 shown]
	v_cndmask_b32_e32 v13, v13, v24, vcc
	v_cmp_lt_f32_e64 vcc, |v14|, s20
	v_cndmask_b32_e64 v18, 0, v7, s[2:3]
	v_cmp_gt_f32_e64 s[4:5], s21, v17
	v_cndmask_b32_e32 v14, v14, v25, vcc
	v_sub_f32_e32 v14, v14, v18
	v_cmp_lt_f16_e32 vcc, s15, v0
	v_cndmask_b32_e64 v23, 1.0, v4, s[4:5]
	v_sub_f32_e32 v13, v13, v15
	v_cndmask_b32_e32 v14, v14, v19, vcc
	v_cmp_gt_f16_sdwa vcc, v0, s15 src0_sel:WORD_1 src1_sel:DWORD
	v_mul_f32_e32 v17, v17, v23
	v_log_f32_e32 v17, v17
	v_cndmask_b32_e32 v0, v13, v20, vcc
	v_mul_f32_e32 v13, 0x4f800000, v0
	v_cmp_gt_f32_e32 vcc, s18, v0
	v_mul_f32_e32 v15, 0x4f800000, v14
	v_cmp_gt_f32_e64 s[2:3], s18, v14
	v_cndmask_b32_e32 v0, v0, v13, vcc
	v_mul_f32_e32 v26, 0x3f317217, v17
	v_cndmask_b32_e64 v13, v14, v15, s[2:3]
	v_sqrt_f32_e32 v14, v0
	v_sqrt_f32_e32 v15, v13
	v_fma_f32 v26, v17, s19, -v26
	v_fmac_f32_e32 v26, 0x3377d1cf, v17
	v_add_u32_e32 v18, -1, v14
	v_cndmask_b32_e64 v23, 0, v7, s[4:5]
	v_fmac_f32_e32 v26, 0x3f317217, v17
	v_cmp_lt_f32_e64 s[4:5], |v17|, s20
	v_add_u32_e32 v20, -1, v15
	v_fma_f32 v25, -v18, v14, v0
	v_cndmask_b32_e64 v17, v17, v26, s[4:5]
	v_add_u32_e32 v19, 1, v14
	v_fma_f32 v27, -v20, v15, v13
	v_cmp_ge_f32_e64 s[4:5], 0, v25
	v_add_u32_e32 v24, 1, v15
	v_fma_f32 v26, -v19, v14, v0
	v_cndmask_b32_e64 v14, v14, v18, s[4:5]
	v_cmp_ge_f32_e64 s[4:5], 0, v27
	v_fma_f32 v28, -v24, v15, v13
	v_log_f32_e32 v16, v16
	v_cndmask_b32_e64 v15, v15, v20, s[4:5]
	v_cmp_lt_f32_e64 s[4:5], 0, v26
	v_cvt_f32_f16_sdwa v20, v2 dst_sel:DWORD dst_unused:UNUSED_PAD src0_sel:WORD_1
	s_nop 0
	v_cndmask_b32_e64 v14, v14, v19, s[4:5]
	v_cmp_lt_f32_e64 s[4:5], 0, v28
	v_mul_f32_e32 v18, 0x37800000, v14
	v_cndmask_b32_e32 v14, v14, v18, vcc
	v_cndmask_b32_e64 v15, v15, v24, s[4:5]
	v_mul_f32_e32 v19, 0x37800000, v15
	v_cmp_class_f32_e32 vcc, v0, v11
	v_cndmask_b32_e64 v18, v15, v19, s[2:3]
	v_cmp_lt_f16_e64 s[2:3], s15, v1
	v_cndmask_b32_e32 v15, v14, v0, vcc
	v_cmp_class_f32_e32 vcc, v13, v11
	v_sub_f32_e32 v0, v17, v23
	v_cvt_f32_f16_e32 v19, v2
	v_cndmask_b32_e32 v14, v18, v13, vcc
	v_mul_f32_e32 v13, 0x3f317217, v16
	v_fma_f32 v13, v16, s19, -v13
	v_fmac_f32_e32 v13, 0x3377d1cf, v16
	v_fmac_f32_e32 v13, 0x3f317217, v16
	v_cmp_lt_f32_e64 vcc, |v16|, s20
	s_nop 1
	v_cndmask_b32_e32 v13, v16, v13, vcc
	v_cmp_gt_f16_sdwa vcc, v1, s15 src0_sel:WORD_1 src1_sel:DWORD
	v_cndmask_b32_e64 v16, 0, v7, s[6:7]
	v_sub_f32_e32 v13, v13, v16
	v_cndmask_b32_e32 v0, v0, v22, vcc
	v_mul_f32_e32 v17, 0x4f800000, v0
	v_cmp_gt_f32_e32 vcc, s18, v0
	v_cndmask_b32_e64 v1, v13, v21, s[2:3]
	s_nop 0
	v_cndmask_b32_e32 v0, v0, v17, vcc
	v_sqrt_f32_e32 v17, v0
	s_nop 0
	v_add_u32_e32 v13, -1, v17
	v_fma_f32 v16, -v13, v17, v0
	v_cmp_ge_f32_e64 s[2:3], 0, v16
	v_add_u32_e32 v16, 1, v17
	s_nop 0
	v_cndmask_b32_e64 v13, v17, v13, s[2:3]
	v_fma_f32 v17, -v16, v17, v0
	v_cmp_lt_f32_e64 s[2:3], 0, v17
	v_mul_f32_e32 v17, 0x4f800000, v1
	s_nop 0
	v_cndmask_b32_e64 v13, v13, v16, s[2:3]
	v_cmp_gt_f32_e64 s[2:3], s18, v1
	v_mul_f32_e32 v16, 0x37800000, v13
	v_cndmask_b32_e32 v13, v13, v16, vcc
	v_cndmask_b32_e64 v18, v1, v17, s[2:3]
	v_sqrt_f32_e32 v1, v18
	v_cmp_class_f32_e32 vcc, v0, v11
	v_add_u32_e32 v16, 1, v1
	s_nop 0
	v_cndmask_b32_e32 v17, v13, v0, vcc
	v_add_u32_e32 v0, -1, v1
	v_fma_f32 v13, -v0, v1, v18
	v_cmp_ge_f32_e32 vcc, 0, v13
	v_fma_f32 v21, -v16, v1, v18
	s_nop 0
	v_cndmask_b32_e32 v13, v1, v0, vcc
	v_mul_f32_e32 v0, 0x3fb8aa3b, v19
	v_mul_f32_e32 v1, 0x3fb8aa3b, v20
	v_exp_f32_e32 v0, v0
	v_exp_f32_e32 v1, v1
	v_cmp_lt_f32_e32 vcc, 0, v21
	v_pk_add_f32 v[0:1], v[0:1], 1.0 op_sel_hi:[1,0]
	s_nop 0
	v_cndmask_b32_e32 v13, v13, v16, vcc
	v_mul_f32_e32 v16, 0x37800000, v13
	v_cmp_gt_f32_e32 vcc, s21, v1
	v_cndmask_b32_e64 v13, v13, v16, s[2:3]
	v_cmp_class_f32_e64 s[2:3], v18, v11
	v_cndmask_b32_e32 v16, 1.0, v4, vcc
	v_mul_f32_e32 v1, v1, v16
	v_log_f32_e32 v1, v1
	v_cndmask_b32_e64 v16, v13, v18, s[2:3]
	v_cmp_gt_f32_e64 s[2:3], s21, v0
	scratch_store_dwordx4 off, v[14:17], off
	v_mul_f32_e32 v13, 0x3f317217, v1
	v_fma_f32 v13, v1, s19, -v13
	v_cndmask_b32_e64 v14, 1.0, v4, s[2:3]
	v_mul_f32_e32 v0, v0, v14
	v_log_f32_e32 v0, v0
	v_fmac_f32_e32 v13, 0x3377d1cf, v1
	v_fmac_f32_e32 v13, 0x3f317217, v1
	v_cmp_lt_f32_e64 s[4:5], |v1|, s20
	v_cvt_f32_f16_sdwa v17, v3 dst_sel:DWORD dst_unused:UNUSED_PAD src0_sel:WORD_1
	v_mul_f32_e32 v15, 0x3fb8aa3b, v17
	v_cndmask_b32_e64 v1, v1, v13, s[4:5]
	v_cndmask_b32_e32 v13, 0, v7, vcc
	v_sub_f32_e32 v1, v1, v13
	v_mul_f32_e32 v13, 0x3f317217, v0
	v_fma_f32 v13, v0, s19, -v13
	v_fmac_f32_e32 v13, 0x3377d1cf, v0
	v_fmac_f32_e32 v13, 0x3f317217, v0
	v_cmp_lt_f32_e64 vcc, |v0|, s20
	v_exp_f32_e32 v15, v15
	s_nop 0
	v_cndmask_b32_e32 v0, v0, v13, vcc
	v_cmp_gt_f16_sdwa vcc, v2, s15 src0_sel:WORD_1 src1_sel:DWORD
	v_cndmask_b32_e64 v13, 0, v7, s[2:3]
	v_cmp_lt_f16_e64 s[2:3], s15, v2
	v_cndmask_b32_e32 v1, v1, v20, vcc
	v_mul_f32_e32 v14, 0x4f800000, v1
	v_cmp_gt_f32_e32 vcc, s18, v1
	v_sub_f32_e32 v0, v0, v13
	v_cndmask_b32_e64 v0, v0, v19, s[2:3]
	v_cndmask_b32_e32 v1, v1, v14, vcc
	v_sqrt_f32_e32 v14, v1
	s_nop 0
	v_add_u32_e32 v2, -1, v14
	v_fma_f32 v13, -v2, v14, v1
	v_cmp_ge_f32_e64 s[2:3], 0, v13
	v_add_u32_e32 v13, 1, v14
	s_nop 0
	v_cndmask_b32_e64 v2, v14, v2, s[2:3]
	v_fma_f32 v14, -v13, v14, v1
	v_cmp_lt_f32_e64 s[2:3], 0, v14
	v_mul_f32_e32 v14, 0x4f800000, v0
	s_nop 0
	v_cndmask_b32_e64 v2, v2, v13, s[2:3]
	v_cmp_gt_f32_e64 s[2:3], s18, v0
	v_mul_f32_e32 v13, 0x37800000, v2
	v_cndmask_b32_e32 v2, v2, v13, vcc
	v_cndmask_b32_e64 v0, v0, v14, s[2:3]
	v_sqrt_f32_e32 v14, v0
	v_cmp_class_f32_e32 vcc, v1, v11
	v_add_u32_e32 v16, 1, v14
	s_nop 0
	v_cndmask_b32_e32 v1, v2, v1, vcc
	v_add_u32_e32 v2, -1, v14
	v_fma_f32 v13, -v2, v14, v0
	v_cmp_ge_f32_e32 vcc, 0, v13
	v_cvt_f32_f16_e32 v13, v3
	v_fma_f32 v18, -v16, v14, v0
	v_cndmask_b32_e32 v2, v14, v2, vcc
	v_cmp_lt_f32_e32 vcc, 0, v18
	v_mul_f32_e32 v14, 0x3fb8aa3b, v13
	v_exp_f32_e32 v14, v14
	v_cndmask_b32_e32 v2, v2, v16, vcc
	v_mul_f32_e32 v16, 0x37800000, v2
	v_cndmask_b32_e64 v2, v2, v16, s[2:3]
	v_pk_add_f32 v[14:15], v[14:15], 1.0 op_sel_hi:[1,0]
	v_cmp_class_f32_e64 s[2:3], v0, v11
	v_cmp_gt_f32_e32 vcc, s21, v15
	s_nop 0
	v_cndmask_b32_e64 v0, v2, v0, s[2:3]
	v_cndmask_b32_e32 v18, 1.0, v4, vcc
	v_mul_f32_e32 v15, v15, v18
	v_log_f32_e32 v15, v15
	v_cmp_gt_f32_e64 s[2:3], s21, v14
	v_mul_f32_e32 v2, 0x3f317217, v15
	s_nop 0
	v_cndmask_b32_e64 v4, 1.0, v4, s[2:3]
	v_mul_f32_e32 v4, v14, v4
	v_fma_f32 v2, v15, s19, -v2
	v_log_f32_e32 v4, v4
	v_fmac_f32_e32 v2, 0x3377d1cf, v15
	v_fmac_f32_e32 v2, 0x3f317217, v15
	v_cmp_lt_f32_e64 s[4:5], |v15|, s20
	v_cndmask_b32_e32 v14, 0, v7, vcc
	v_cmp_lt_f32_e64 vcc, |v4|, s20
	v_cndmask_b32_e64 v2, v15, v2, s[4:5]
	v_sub_f32_e32 v2, v2, v14
	v_mul_f32_e32 v14, 0x3f317217, v4
	v_fma_f32 v14, v4, s19, -v14
	v_fmac_f32_e32 v14, 0x3377d1cf, v4
	v_fmac_f32_e32 v14, 0x3f317217, v4
	v_cndmask_b32_e32 v4, v4, v14, vcc
	v_cmp_gt_f16_sdwa vcc, v3, s15 src0_sel:WORD_1 src1_sel:DWORD
	v_cndmask_b32_e64 v7, 0, v7, s[2:3]
	v_sub_f32_e32 v4, v4, v7
	v_cndmask_b32_e32 v2, v2, v17, vcc
	v_mul_f32_e32 v14, 0x4f800000, v2
	v_cmp_gt_f32_e32 vcc, s18, v2
	v_cmp_lt_f16_e64 s[2:3], s15, v3
	s_nop 0
	v_cndmask_b32_e32 v2, v2, v14, vcc
	v_sqrt_f32_e32 v14, v2
	v_cndmask_b32_e64 v3, v4, v13, s[2:3]
	v_add_u32_e32 v4, -1, v14
	v_fma_f32 v7, -v4, v14, v2
	v_cmp_ge_f32_e64 s[2:3], 0, v7
	v_add_u32_e32 v7, 1, v14
	v_fma_f32 v13, -v7, v14, v2
	v_cndmask_b32_e64 v4, v14, v4, s[2:3]
	v_cmp_lt_f32_e64 s[2:3], 0, v13
	v_mul_f32_e32 v13, 0x4f800000, v3
	s_nop 0
	v_cndmask_b32_e64 v4, v4, v7, s[2:3]
	v_cmp_gt_f32_e64 s[2:3], s18, v3
	v_mul_f32_e32 v7, 0x37800000, v4
	s_nop 0
	v_cndmask_b32_e64 v13, v3, v13, s[2:3]
	v_sqrt_f32_e32 v14, v13
	v_cndmask_b32_e32 v3, v4, v7, vcc
	v_cmp_class_f32_e32 vcc, v2, v11
	s_nop 1
	v_cndmask_b32_e32 v3, v3, v2, vcc
	v_add_u32_e32 v2, -1, v14
	v_fma_f32 v4, -v2, v14, v13
	v_cmp_ge_f32_e32 vcc, 0, v4
	v_add_u32_e32 v4, 1, v14
	v_fma_f32 v7, -v4, v14, v13
	v_cndmask_b32_e32 v2, v14, v2, vcc
	v_cmp_lt_f32_e32 vcc, 0, v7
	s_nop 1
	v_cndmask_b32_e32 v2, v2, v4, vcc
	v_mul_f32_e32 v4, 0x37800000, v2
	v_cndmask_b32_e64 v2, v2, v4, s[2:3]
	v_cmp_class_f32_e32 vcc, v13, v11
	s_nop 1
	v_cndmask_b32_e32 v2, v2, v13, vcc
	scratch_store_dwordx4 off, v[0:3], off offset:16
	s_and_b64 vcc, exec, s[16:17]
	s_nop 0
	v_lshl_add_u64 v[2:3], v[8:9], 3, s[10:11]
	v_mul_lo_u32 v0, v6, s12
	s_cbranch_vccnz .LBB328_28
; %bb.2:
	s_load_dwordx2 s[4:5], s[0:1], 0x20
	s_cmp_lt_u32 s12, 4
	v_and_b32_e32 v4, 15, v10
	s_cbranch_scc1 .LBB328_21
; %bb.3:
	v_lshlrev_b32_e32 v5, 3, v4
	s_mov_b32 s7, 0
	s_and_b32 s14, s12, 0x7ffffffc
	v_ashrrev_i32_e32 v1, 31, v0
	v_sub_u32_e32 v13, 0, v5
	v_mov_b32_e32 v5, 0
	s_mov_b32 s6, s7
	s_branch .LBB328_5
.LBB328_4:                              ;   in Loop: Header=BB328_5 Depth=1
	s_or_b64 exec, exec, s[10:11]
	s_add_i32 s6, s6, 4
	s_cmp_eq_u32 s6, s14
	s_cbranch_scc1 .LBB328_21
.LBB328_5:                              ; =>This Loop Header: Depth=1
                                        ;     Child Loop BB328_7 Depth 2
                                        ;     Child Loop BB328_11 Depth 2
	;; [unrolled: 1-line block ×4, first 2 shown]
	v_lshl_add_u64 v[6:7], s[6:7], 3, v[2:3]
	global_load_dwordx2 v[8:9], v[6:7], off
	v_add_u32_e32 v10, s6, v0
	v_ashrrev_i32_e32 v11, 31, v10
	v_mov_b32_e32 v14, 0
	s_mov_b64 s[10:11], 0
	s_waitcnt lgkmcnt(0)
	v_lshl_add_u64 v[10:11], v[10:11], 3, s[4:5]
	s_mov_b32 s13, 0
	s_waitcnt vmcnt(0)
	v_ashrrev_i32_e32 v9, 31, v8
	v_add_u32_e32 v15, v13, v8
	s_branch .LBB328_7
.LBB328_6:                              ;   in Loop: Header=BB328_7 Depth=2
	s_or_b64 exec, exec, s[16:17]
	s_add_i32 s15, s13, 1
	s_cmp_gt_u32 s13, 6
	s_cselect_b64 s[2:3], -1, 0
	s_xor_b64 s[16:17], vcc, -1
	s_or_b64 s[2:3], s[16:17], s[2:3]
	s_and_b64 s[2:3], exec, s[2:3]
	v_add_u32_e32 v14, 4, v14
	s_or_b64 s[10:11], s[2:3], s[10:11]
	s_mov_b32 s13, s15
	s_andn2_b64 exec, exec, s[10:11]
	s_cbranch_execz .LBB328_9
.LBB328_7:                              ;   Parent Loop BB328_5 Depth=1
                                        ; =>  This Inner Loop Header: Depth=2
	v_cmp_ne_u32_e32 vcc, s13, v15
	v_cmp_eq_u32_e64 s[2:3], s13, v15
	s_and_saveexec_b64 s[16:17], s[2:3]
	s_cbranch_execz .LBB328_6
; %bb.8:                                ;   in Loop: Header=BB328_7 Depth=2
	scratch_load_dword v16, v14, off
	s_waitcnt vmcnt(0)
	v_add_f32_e32 v5, v5, v16
	global_store_dwordx2 v[10:11], v[8:9], off
	s_branch .LBB328_6
.LBB328_9:                              ;   in Loop: Header=BB328_5 Depth=1
	s_or_b64 exec, exec, s[10:11]
	global_load_dwordx2 v[10:11], v[6:7], off offset:8
	s_ashr_i32 s3, s6, 31
	s_mov_b32 s2, s6
	v_lshl_add_u64 v[8:9], s[2:3], 0, v[0:1]
	v_mov_b32_e32 v14, 0
	s_mov_b32 s13, 0
	v_lshl_add_u64 v[8:9], v[8:9], 3, s[4:5]
	s_mov_b64 s[10:11], 0
	s_waitcnt vmcnt(0)
	v_ashrrev_i32_e32 v11, 31, v10
	v_add_u32_e32 v15, v13, v10
	s_branch .LBB328_11
.LBB328_10:                             ;   in Loop: Header=BB328_11 Depth=2
	s_or_b64 exec, exec, s[16:17]
	s_add_i32 s15, s13, 1
	s_cmp_gt_u32 s13, 6
	s_cselect_b64 s[2:3], -1, 0
	s_xor_b64 s[16:17], vcc, -1
	s_or_b64 s[2:3], s[16:17], s[2:3]
	s_and_b64 s[2:3], exec, s[2:3]
	v_add_u32_e32 v14, 4, v14
	s_or_b64 s[10:11], s[2:3], s[10:11]
	s_mov_b32 s13, s15
	s_andn2_b64 exec, exec, s[10:11]
	s_cbranch_execz .LBB328_13
.LBB328_11:                             ;   Parent Loop BB328_5 Depth=1
                                        ; =>  This Inner Loop Header: Depth=2
	v_cmp_ne_u32_e32 vcc, s13, v15
	v_cmp_eq_u32_e64 s[2:3], s13, v15
	s_and_saveexec_b64 s[16:17], s[2:3]
	s_cbranch_execz .LBB328_10
; %bb.12:                               ;   in Loop: Header=BB328_11 Depth=2
	scratch_load_dword v16, v14, off
	s_waitcnt vmcnt(0)
	v_add_f32_e32 v5, v5, v16
	global_store_dwordx2 v[8:9], v[10:11], off offset:8
	s_branch .LBB328_10
.LBB328_13:                             ;   in Loop: Header=BB328_5 Depth=1
	s_or_b64 exec, exec, s[10:11]
	global_load_dwordx2 v[10:11], v[6:7], off offset:16
	v_mov_b32_e32 v14, 0
	s_mov_b32 s13, 0
	s_mov_b64 s[10:11], 0
	s_waitcnt vmcnt(0)
	v_ashrrev_i32_e32 v11, 31, v10
	v_add_u32_e32 v15, v13, v10
	s_branch .LBB328_15
.LBB328_14:                             ;   in Loop: Header=BB328_15 Depth=2
	s_or_b64 exec, exec, s[16:17]
	s_add_i32 s15, s13, 1
	s_cmp_gt_u32 s13, 6
	s_cselect_b64 s[2:3], -1, 0
	s_xor_b64 s[16:17], vcc, -1
	s_or_b64 s[2:3], s[16:17], s[2:3]
	s_and_b64 s[2:3], exec, s[2:3]
	v_add_u32_e32 v14, 4, v14
	s_or_b64 s[10:11], s[2:3], s[10:11]
	s_mov_b32 s13, s15
	s_andn2_b64 exec, exec, s[10:11]
	s_cbranch_execz .LBB328_17
.LBB328_15:                             ;   Parent Loop BB328_5 Depth=1
                                        ; =>  This Inner Loop Header: Depth=2
	v_cmp_ne_u32_e32 vcc, s13, v15
	v_cmp_eq_u32_e64 s[2:3], s13, v15
	s_and_saveexec_b64 s[16:17], s[2:3]
	s_cbranch_execz .LBB328_14
; %bb.16:                               ;   in Loop: Header=BB328_15 Depth=2
	scratch_load_dword v16, v14, off
	s_waitcnt vmcnt(0)
	v_add_f32_e32 v5, v5, v16
	global_store_dwordx2 v[8:9], v[10:11], off offset:16
	s_branch .LBB328_14
.LBB328_17:                             ;   in Loop: Header=BB328_5 Depth=1
	s_or_b64 exec, exec, s[10:11]
	global_load_dwordx2 v[6:7], v[6:7], off offset:24
	v_mov_b32_e32 v10, 0
	s_mov_b32 s13, 0
	s_mov_b64 s[10:11], 0
	s_waitcnt vmcnt(0)
	v_ashrrev_i32_e32 v7, 31, v6
	v_add_u32_e32 v11, v13, v6
	s_branch .LBB328_19
.LBB328_18:                             ;   in Loop: Header=BB328_19 Depth=2
	s_or_b64 exec, exec, s[16:17]
	s_add_i32 s15, s13, 1
	s_cmp_gt_u32 s13, 6
	s_cselect_b64 s[2:3], -1, 0
	s_xor_b64 s[16:17], vcc, -1
	s_or_b64 s[2:3], s[16:17], s[2:3]
	s_and_b64 s[2:3], exec, s[2:3]
	v_add_u32_e32 v10, 4, v10
	s_or_b64 s[10:11], s[2:3], s[10:11]
	s_mov_b32 s13, s15
	s_andn2_b64 exec, exec, s[10:11]
	s_cbranch_execz .LBB328_4
.LBB328_19:                             ;   Parent Loop BB328_5 Depth=1
                                        ; =>  This Inner Loop Header: Depth=2
	v_cmp_ne_u32_e32 vcc, s13, v11
	v_cmp_eq_u32_e64 s[2:3], s13, v11
	s_and_saveexec_b64 s[16:17], s[2:3]
	s_cbranch_execz .LBB328_18
; %bb.20:                               ;   in Loop: Header=BB328_19 Depth=2
	scratch_load_dword v14, v10, off
	s_waitcnt vmcnt(0)
	v_add_f32_e32 v5, v5, v14
	global_store_dwordx2 v[8:9], v[6:7], off offset:24
	s_branch .LBB328_18
.LBB328_21:
	s_and_b32 s13, s12, 3
	s_cmp_eq_u32 s13, 0
	s_mov_b32 s15, 0
	s_cbranch_scc1 .LBB328_28
; %bb.22:
	v_lshlrev_b32_e32 v1, 3, v4
	v_sub_u32_e32 v1, 0, v1
	s_mov_b32 s16, s15
	s_branch .LBB328_24
.LBB328_23:                             ;   in Loop: Header=BB328_24 Depth=1
	s_or_b64 exec, exec, s[6:7]
	s_add_i32 s14, s14, 1
	s_add_i32 s16, s16, 1
	s_cmp_lg_u32 s16, s13
	s_cbranch_scc0 .LBB328_28
.LBB328_24:                             ; =>This Loop Header: Depth=1
                                        ;     Child Loop BB328_26 Depth 2
	v_lshl_add_u64 v[6:7], s[14:15], 3, v[2:3]
	global_load_dwordx2 v[6:7], v[6:7], off
	v_add_u32_e32 v8, s14, v0
	v_ashrrev_i32_e32 v9, 31, v8
	v_mov_b32_e32 v4, 0
	s_mov_b32 s17, 0
	s_waitcnt lgkmcnt(0)
	v_lshl_add_u64 v[8:9], v[8:9], 3, s[4:5]
	s_mov_b64 s[6:7], 0
	s_waitcnt vmcnt(0)
	v_ashrrev_i32_e32 v7, 31, v6
	v_add_u32_e32 v10, v1, v6
	s_branch .LBB328_26
.LBB328_25:                             ;   in Loop: Header=BB328_26 Depth=2
	s_or_b64 exec, exec, s[10:11]
	s_add_i32 s18, s17, 1
	s_cmp_gt_u32 s17, 6
	s_cselect_b64 s[2:3], -1, 0
	s_xor_b64 s[10:11], vcc, -1
	s_or_b64 s[2:3], s[10:11], s[2:3]
	s_and_b64 s[2:3], exec, s[2:3]
	v_add_u32_e32 v4, 4, v4
	s_or_b64 s[6:7], s[2:3], s[6:7]
	s_mov_b32 s17, s18
	s_andn2_b64 exec, exec, s[6:7]
	s_cbranch_execz .LBB328_23
.LBB328_26:                             ;   Parent Loop BB328_24 Depth=1
                                        ; =>  This Inner Loop Header: Depth=2
	v_cmp_ne_u32_e32 vcc, s17, v10
	v_cmp_eq_u32_e64 s[2:3], s17, v10
	s_and_saveexec_b64 s[10:11], s[2:3]
	s_cbranch_execz .LBB328_25
; %bb.27:                               ;   in Loop: Header=BB328_26 Depth=2
	scratch_load_dword v11, v4, off
	s_waitcnt vmcnt(0)
	v_add_f32_e32 v5, v5, v11
	global_store_dwordx2 v[8:9], v[6:7], off
	s_branch .LBB328_25
.LBB328_28:
	s_waitcnt lgkmcnt(0)
	s_load_dword s4, s[0:1], 0x3c
	s_waitcnt lgkmcnt(0)
	s_bitcmp1_b32 s4, 0
	s_cselect_b64 s[2:3], -1, 0
	s_bitcmp0_b32 s4, 0
	s_cbranch_scc0 .LBB328_32
; %bb.29:
	s_load_dwordx2 s[4:5], s[0:1], 0x40
	s_andn2_b64 vcc, exec, s[2:3]
	s_waitcnt lgkmcnt(0)
	v_cvt_f32_f64_e32 v8, s[4:5]
	s_cbranch_vccz .LBB328_33
.LBB328_30:
	s_andn2_b64 vcc, exec, s[8:9]
	s_cbranch_vccz .LBB328_34
.LBB328_31:
	s_endpgm
.LBB328_32:
	v_mbcnt_lo_u32_b32 v1, -1, 0
	v_mbcnt_hi_u32_b32 v1, -1, v1
	v_and_b32_e32 v4, 0x70, v1
	v_add_u32_e32 v4, 16, v4
	v_xor_b32_e32 v6, 8, v1
	v_cmp_lt_i32_e32 vcc, v6, v4
	v_xor_b32_e32 v7, 4, v1
	s_nop 0
	v_cndmask_b32_e32 v6, v1, v6, vcc
	v_lshlrev_b32_e32 v6, 2, v6
	ds_bpermute_b32 v6, v6, v5
	v_cmp_lt_i32_e32 vcc, v7, v4
	s_waitcnt lgkmcnt(0)
	v_add_f32_e32 v5, v5, v6
	v_cndmask_b32_e32 v6, v1, v7, vcc
	v_lshlrev_b32_e32 v6, 2, v6
	ds_bpermute_b32 v6, v6, v5
	v_xor_b32_e32 v7, 2, v1
	v_cmp_lt_i32_e32 vcc, v7, v4
	s_waitcnt lgkmcnt(0)
	v_add_f32_e32 v5, v5, v6
	v_cndmask_b32_e32 v6, v1, v7, vcc
	v_lshlrev_b32_e32 v6, 2, v6
	ds_bpermute_b32 v6, v6, v5
	v_xor_b32_e32 v7, 1, v1
	v_cmp_lt_i32_e32 vcc, v7, v4
	s_waitcnt lgkmcnt(0)
	v_add_f32_e32 v5, v5, v6
	v_cndmask_b32_e32 v1, v1, v7, vcc
	v_lshlrev_b32_e32 v1, 2, v1
	ds_bpermute_b32 v1, v1, v5
	s_waitcnt lgkmcnt(0)
	v_add_f32_e32 v5, v5, v1
	s_load_dwordx2 s[4:5], s[0:1], 0x40
	s_andn2_b64 vcc, exec, s[2:3]
	s_waitcnt lgkmcnt(0)
	v_cvt_f32_f64_e32 v8, s[4:5]
	s_cbranch_vccnz .LBB328_30
.LBB328_33:
	v_cmp_lt_f32_e32 vcc, 0, v5
	s_nop 1
	v_cndmask_b32_e32 v1, 1.0, v5, vcc
	v_div_scale_f32 v4, s[2:3], v1, v1, v8
	v_rcp_f32_e32 v5, v4
	s_nop 0
	v_fma_f32 v6, -v4, v5, 1.0
	v_fmac_f32_e32 v5, v6, v5
	v_div_scale_f32 v6, vcc, v8, v1, v8
	v_mul_f32_e32 v7, v6, v5
	v_fma_f32 v9, -v4, v7, v6
	v_fmac_f32_e32 v7, v9, v5
	v_fma_f32 v4, -v4, v7, v6
	v_div_fmas_f32 v4, v4, v5, v7
	v_div_fixup_f32 v8, v4, v1, v8
	s_andn2_b64 vcc, exec, s[8:9]
	s_cbranch_vccnz .LBB328_31
.LBB328_34:
	s_load_dwordx2 s[14:15], s[0:1], 0x10
	v_mov_b32_e32 v1, 0
	v_or_b32_e32 v20, 4, v1
	v_or_b32_e32 v18, 8, v1
	;; [unrolled: 1-line block ×3, first 2 shown]
	v_add_u32_e32 v14, 16, v1
	v_add_u32_e32 v11, 20, v1
	;; [unrolled: 1-line block ×4, first 2 shown]
	v_or_b32_e32 v23, 1, v12
	v_or_b32_e32 v22, 2, v12
	;; [unrolled: 1-line block ×7, first 2 shown]
	s_cmp_eq_u32 s12, 1
	s_mov_b32 s16, 0
	s_cbranch_scc1 .LBB328_69
; %bb.35:
	v_ashrrev_i32_e32 v1, 31, v0
	s_waitcnt lgkmcnt(0)
	v_lshl_add_u64 v[4:5], v[0:1], 2, s[14:15]
	s_and_b32 s16, s12, 0x7ffffffe
	v_lshl_add_u64 v[4:5], v[4:5], 0, 4
	v_lshl_add_u64 v[6:7], v[2:3], 0, 8
	s_mov_b32 s13, 0
	s_branch .LBB328_37
.LBB328_36:                             ;   in Loop: Header=BB328_37 Depth=1
	s_or_b64 exec, exec, s[0:1]
	s_add_i32 s13, s13, 2
	v_lshl_add_u64 v[4:5], v[4:5], 0, 8
	s_cmp_eq_u32 s16, s13
	v_lshl_add_u64 v[6:7], v[6:7], 0, 16
	s_cbranch_scc1 .LBB328_69
.LBB328_37:                             ; =>This Inner Loop Header: Depth=1
	global_load_dword v24, v[6:7], off offset:-8
	v_mov_b32_e32 v1, 0
	s_waitcnt vmcnt(0)
	v_cmp_eq_u32_e32 vcc, v12, v24
	v_cmp_ne_u32_e64 s[0:1], v12, v24
	s_and_saveexec_b64 s[18:19], s[0:1]
	s_cbranch_execz .LBB328_51
; %bb.38:                               ;   in Loop: Header=BB328_37 Depth=1
	v_cmp_eq_u32_e64 s[0:1], v23, v24
	v_cmp_ne_u32_e64 s[2:3], v23, v24
	v_mov_b32_e32 v1, v20
	s_and_saveexec_b64 s[20:21], s[2:3]
	s_cbranch_execz .LBB328_50
; %bb.39:                               ;   in Loop: Header=BB328_37 Depth=1
	v_cmp_eq_u32_e64 s[2:3], v22, v24
	v_cmp_ne_u32_e64 s[4:5], v22, v24
	v_mov_b32_e32 v1, v18
	;; [unrolled: 6-line block ×6, first 2 shown]
	s_and_saveexec_b64 s[34:35], s[10:11]
	s_xor_b64 s[34:35], exec, s[34:35]
; %bb.44:                               ;   in Loop: Header=BB328_37 Depth=1
	v_cmp_eq_u32_e64 s[10:11], v13, v24
	s_andn2_b64 s[30:31], s[30:31], exec
	s_and_b64 s[10:11], s[10:11], exec
	s_or_b64 s[30:31], s[30:31], s[10:11]
	v_mov_b32_e32 v1, v10
; %bb.45:                               ;   in Loop: Header=BB328_37 Depth=1
	s_or_b64 exec, exec, s[34:35]
	s_andn2_b64 s[8:9], s[8:9], exec
	s_and_b64 s[10:11], s[30:31], exec
	s_or_b64 s[8:9], s[8:9], s[10:11]
.LBB328_46:                             ;   in Loop: Header=BB328_37 Depth=1
	s_or_b64 exec, exec, s[28:29]
	s_andn2_b64 s[6:7], s[6:7], exec
	s_and_b64 s[8:9], s[8:9], exec
	s_or_b64 s[6:7], s[6:7], s[8:9]
.LBB328_47:                             ;   in Loop: Header=BB328_37 Depth=1
	s_or_b64 exec, exec, s[26:27]
	s_andn2_b64 s[4:5], s[4:5], exec
	s_and_b64 s[6:7], s[6:7], exec
	s_or_b64 s[4:5], s[4:5], s[6:7]
.LBB328_48:                             ;   in Loop: Header=BB328_37 Depth=1
	s_or_b64 exec, exec, s[24:25]
	s_andn2_b64 s[2:3], s[2:3], exec
	s_and_b64 s[4:5], s[4:5], exec
	s_or_b64 s[2:3], s[2:3], s[4:5]
.LBB328_49:                             ;   in Loop: Header=BB328_37 Depth=1
	s_or_b64 exec, exec, s[22:23]
	s_andn2_b64 s[0:1], s[0:1], exec
	s_and_b64 s[2:3], s[2:3], exec
	s_or_b64 s[0:1], s[0:1], s[2:3]
.LBB328_50:                             ;   in Loop: Header=BB328_37 Depth=1
	s_or_b64 exec, exec, s[20:21]
	s_andn2_b64 s[2:3], vcc, exec
	s_and_b64 s[0:1], s[0:1], exec
	s_or_b64 vcc, s[2:3], s[0:1]
.LBB328_51:                             ;   in Loop: Header=BB328_37 Depth=1
	s_or_b64 exec, exec, s[18:19]
	s_and_saveexec_b64 s[0:1], vcc
	s_cbranch_execz .LBB328_53
; %bb.52:                               ;   in Loop: Header=BB328_37 Depth=1
	scratch_load_dword v1, v1, off
	v_add_u32_e32 v24, s13, v0
	v_ashrrev_i32_e32 v25, 31, v24
	v_lshl_add_u64 v[24:25], v[24:25], 2, s[14:15]
	s_waitcnt vmcnt(0)
	v_mul_f32_e32 v1, v8, v1
	global_store_dword v[24:25], v1, off
.LBB328_53:                             ;   in Loop: Header=BB328_37 Depth=1
	s_or_b64 exec, exec, s[0:1]
	global_load_dword v24, v[6:7], off
	v_mov_b32_e32 v1, 0
	s_waitcnt vmcnt(0)
	v_cmp_eq_u32_e64 s[8:9], v12, v24
	v_cmp_ne_u32_e32 vcc, v12, v24
	s_and_saveexec_b64 s[10:11], vcc
	s_cbranch_execz .LBB328_67
; %bb.54:                               ;   in Loop: Header=BB328_37 Depth=1
	v_cmp_eq_u32_e32 vcc, v23, v24
	v_cmp_ne_u32_e64 s[0:1], v23, v24
	v_mov_b32_e32 v1, v20
	s_and_saveexec_b64 s[18:19], s[0:1]
	s_cbranch_execz .LBB328_66
; %bb.55:                               ;   in Loop: Header=BB328_37 Depth=1
	v_cmp_eq_u32_e64 s[0:1], v22, v24
	v_cmp_ne_u32_e64 s[2:3], v22, v24
	v_mov_b32_e32 v1, v18
	s_and_saveexec_b64 s[20:21], s[2:3]
	s_cbranch_execz .LBB328_65
; %bb.56:                               ;   in Loop: Header=BB328_37 Depth=1
	v_cmp_eq_u32_e64 s[2:3], v21, v24
	;; [unrolled: 6-line block ×5, first 2 shown]
	v_cmp_ne_u32_e64 s[6:7], v15, v24
	v_mov_b32_e32 v1, v9
	s_and_saveexec_b64 s[34:35], s[6:7]
; %bb.60:                               ;   in Loop: Header=BB328_37 Depth=1
	v_cmp_eq_u32_e64 s[6:7], v13, v24
	s_andn2_b64 s[30:31], s[30:31], exec
	s_and_b64 s[6:7], s[6:7], exec
	s_or_b64 s[30:31], s[30:31], s[6:7]
	v_mov_b32_e32 v1, v10
; %bb.61:                               ;   in Loop: Header=BB328_37 Depth=1
	s_or_b64 exec, exec, s[34:35]
	s_andn2_b64 s[6:7], s[26:27], exec
	s_and_b64 s[26:27], s[30:31], exec
	s_or_b64 s[26:27], s[6:7], s[26:27]
.LBB328_62:                             ;   in Loop: Header=BB328_37 Depth=1
	s_or_b64 exec, exec, s[28:29]
	s_andn2_b64 s[4:5], s[4:5], exec
	s_and_b64 s[6:7], s[26:27], exec
	s_or_b64 s[4:5], s[4:5], s[6:7]
.LBB328_63:                             ;   in Loop: Header=BB328_37 Depth=1
	s_or_b64 exec, exec, s[24:25]
	s_andn2_b64 s[2:3], s[2:3], exec
	s_and_b64 s[4:5], s[4:5], exec
	s_or_b64 s[2:3], s[2:3], s[4:5]
.LBB328_64:                             ;   in Loop: Header=BB328_37 Depth=1
	s_or_b64 exec, exec, s[22:23]
	s_andn2_b64 s[0:1], s[0:1], exec
	s_and_b64 s[2:3], s[2:3], exec
	s_or_b64 s[0:1], s[0:1], s[2:3]
.LBB328_65:                             ;   in Loop: Header=BB328_37 Depth=1
	s_or_b64 exec, exec, s[20:21]
	s_andn2_b64 s[2:3], vcc, exec
	s_and_b64 s[0:1], s[0:1], exec
	s_or_b64 vcc, s[2:3], s[0:1]
.LBB328_66:                             ;   in Loop: Header=BB328_37 Depth=1
	s_or_b64 exec, exec, s[18:19]
	s_andn2_b64 s[0:1], s[8:9], exec
	s_and_b64 s[2:3], vcc, exec
	s_or_b64 s[8:9], s[0:1], s[2:3]
.LBB328_67:                             ;   in Loop: Header=BB328_37 Depth=1
	s_or_b64 exec, exec, s[10:11]
	s_and_saveexec_b64 s[0:1], s[8:9]
	s_cbranch_execz .LBB328_36
; %bb.68:                               ;   in Loop: Header=BB328_37 Depth=1
	scratch_load_dword v1, v1, off
	s_waitcnt vmcnt(0)
	v_mul_f32_e32 v1, v8, v1
	global_store_dword v[4:5], v1, off
	s_branch .LBB328_36
.LBB328_69:
	s_bitcmp0_b32 s12, 0
	s_mov_b32 s17, 0
	s_cbranch_scc1 .LBB328_31
; %bb.70:
	v_lshl_add_u64 v[2:3], s[16:17], 3, v[2:3]
	global_load_dword v1, v[2:3], off
	v_mov_b32_e32 v2, 0
	s_waitcnt vmcnt(0)
	v_cmp_eq_u32_e64 s[8:9], v12, v1
	v_cmp_ne_u32_e32 vcc, v12, v1
	s_and_saveexec_b64 s[10:11], vcc
	s_cbranch_execz .LBB328_84
; %bb.71:
	v_cmp_eq_u32_e32 vcc, v23, v1
	v_cmp_ne_u32_e64 s[0:1], v23, v1
	s_and_saveexec_b64 s[12:13], s[0:1]
	s_cbranch_execz .LBB328_83
; %bb.72:
	v_cmp_eq_u32_e64 s[0:1], v22, v1
	v_cmp_ne_u32_e64 s[2:3], v22, v1
	s_and_saveexec_b64 s[18:19], s[2:3]
	s_cbranch_execz .LBB328_82
; %bb.73:
	v_cmp_eq_u32_e64 s[2:3], v21, v1
	;; [unrolled: 5-line block ×5, first 2 shown]
	v_cmp_ne_u32_e64 s[6:7], v15, v1
	s_and_saveexec_b64 s[30:31], s[6:7]
; %bb.77:
	v_cmp_eq_u32_e64 s[6:7], v13, v1
	s_andn2_b64 s[28:29], s[28:29], exec
	s_and_b64 s[6:7], s[6:7], exec
	s_or_b64 s[28:29], s[28:29], s[6:7]
	v_mov_b32_e32 v9, v10
; %bb.78:
	s_or_b64 exec, exec, s[30:31]
	s_andn2_b64 s[6:7], s[24:25], exec
	s_and_b64 s[24:25], s[28:29], exec
	s_or_b64 s[24:25], s[6:7], s[24:25]
	v_mov_b32_e32 v11, v9
.LBB328_79:
	s_or_b64 exec, exec, s[26:27]
	s_andn2_b64 s[4:5], s[4:5], exec
	s_and_b64 s[6:7], s[24:25], exec
	s_or_b64 s[4:5], s[4:5], s[6:7]
	v_mov_b32_e32 v14, v11
.LBB328_80:
	s_or_b64 exec, exec, s[22:23]
	s_andn2_b64 s[2:3], s[2:3], exec
	s_and_b64 s[4:5], s[4:5], exec
	s_or_b64 s[2:3], s[2:3], s[4:5]
	v_mov_b32_e32 v16, v14
.LBB328_81:
	s_or_b64 exec, exec, s[20:21]
	s_andn2_b64 s[0:1], s[0:1], exec
	s_and_b64 s[2:3], s[2:3], exec
	s_or_b64 s[0:1], s[0:1], s[2:3]
	v_mov_b32_e32 v18, v16
.LBB328_82:
	s_or_b64 exec, exec, s[18:19]
	s_andn2_b64 s[2:3], vcc, exec
	s_and_b64 s[0:1], s[0:1], exec
	s_or_b64 vcc, s[2:3], s[0:1]
	v_mov_b32_e32 v20, v18
.LBB328_83:
	s_or_b64 exec, exec, s[12:13]
	s_andn2_b64 s[0:1], s[8:9], exec
	s_and_b64 s[2:3], vcc, exec
	s_or_b64 s[8:9], s[0:1], s[2:3]
	v_mov_b32_e32 v2, v20
.LBB328_84:
	s_or_b64 exec, exec, s[10:11]
	s_and_b64 exec, exec, s[8:9]
	s_cbranch_execz .LBB328_31
; %bb.85:
	scratch_load_dword v2, v2, off
	v_add_u32_e32 v0, s16, v0
	v_ashrrev_i32_e32 v1, 31, v0
	s_waitcnt lgkmcnt(0)
	v_lshl_add_u64 v[0:1], v[0:1], 2, s[14:15]
	s_waitcnt vmcnt(0)
	v_mul_f32_e32 v2, v8, v2
	global_store_dword v[0:1], v2, off
	s_endpgm
	.section	.rodata,"a",@progbits
	.p2align	6, 0x0
	.amdhsa_kernel _ZN4vllm3moe22topkGatingSoftplusSqrtILi8ELi128ELi4ELi16ELi64ELb1El6__halfEEvPKT6_PKbPfiPT5_PiiiibdPKfPKS9_SF_
		.amdhsa_group_segment_fixed_size 0
		.amdhsa_private_segment_fixed_size 48
		.amdhsa_kernarg_size 96
		.amdhsa_user_sgpr_count 2
		.amdhsa_user_sgpr_dispatch_ptr 0
		.amdhsa_user_sgpr_queue_ptr 0
		.amdhsa_user_sgpr_kernarg_segment_ptr 1
		.amdhsa_user_sgpr_dispatch_id 0
		.amdhsa_user_sgpr_kernarg_preload_length 0
		.amdhsa_user_sgpr_kernarg_preload_offset 0
		.amdhsa_user_sgpr_private_segment_size 0
		.amdhsa_uses_dynamic_stack 0
		.amdhsa_enable_private_segment 1
		.amdhsa_system_sgpr_workgroup_id_x 1
		.amdhsa_system_sgpr_workgroup_id_y 0
		.amdhsa_system_sgpr_workgroup_id_z 0
		.amdhsa_system_sgpr_workgroup_info 0
		.amdhsa_system_vgpr_workitem_id 1
		.amdhsa_next_free_vgpr 29
		.amdhsa_next_free_sgpr 36
		.amdhsa_accum_offset 32
		.amdhsa_reserve_vcc 1
		.amdhsa_float_round_mode_32 0
		.amdhsa_float_round_mode_16_64 0
		.amdhsa_float_denorm_mode_32 3
		.amdhsa_float_denorm_mode_16_64 3
		.amdhsa_dx10_clamp 1
		.amdhsa_ieee_mode 1
		.amdhsa_fp16_overflow 0
		.amdhsa_tg_split 0
		.amdhsa_exception_fp_ieee_invalid_op 0
		.amdhsa_exception_fp_denorm_src 0
		.amdhsa_exception_fp_ieee_div_zero 0
		.amdhsa_exception_fp_ieee_overflow 0
		.amdhsa_exception_fp_ieee_underflow 0
		.amdhsa_exception_fp_ieee_inexact 0
		.amdhsa_exception_int_div_zero 0
	.end_amdhsa_kernel
	.section	.text._ZN4vllm3moe22topkGatingSoftplusSqrtILi8ELi128ELi4ELi16ELi64ELb1El6__halfEEvPKT6_PKbPfiPT5_PiiiibdPKfPKS9_SF_,"axG",@progbits,_ZN4vllm3moe22topkGatingSoftplusSqrtILi8ELi128ELi4ELi16ELi64ELb1El6__halfEEvPKT6_PKbPfiPT5_PiiiibdPKfPKS9_SF_,comdat
.Lfunc_end328:
	.size	_ZN4vllm3moe22topkGatingSoftplusSqrtILi8ELi128ELi4ELi16ELi64ELb1El6__halfEEvPKT6_PKbPfiPT5_PiiiibdPKfPKS9_SF_, .Lfunc_end328-_ZN4vllm3moe22topkGatingSoftplusSqrtILi8ELi128ELi4ELi16ELi64ELb1El6__halfEEvPKT6_PKbPfiPT5_PiiiibdPKfPKS9_SF_
                                        ; -- End function
	.section	.AMDGPU.csdata,"",@progbits
; Kernel info:
; codeLenInByte = 4620
; NumSgprs: 42
; NumVgprs: 29
; NumAgprs: 0
; TotalNumVgprs: 29
; ScratchSize: 48
; MemoryBound: 0
; FloatMode: 240
; IeeeMode: 1
; LDSByteSize: 0 bytes/workgroup (compile time only)
; SGPRBlocks: 5
; VGPRBlocks: 3
; NumSGPRsForWavesPerEU: 42
; NumVGPRsForWavesPerEU: 29
; AccumOffset: 32
; Occupancy: 8
; WaveLimiterHint : 1
; COMPUTE_PGM_RSRC2:SCRATCH_EN: 1
; COMPUTE_PGM_RSRC2:USER_SGPR: 2
; COMPUTE_PGM_RSRC2:TRAP_HANDLER: 0
; COMPUTE_PGM_RSRC2:TGID_X_EN: 1
; COMPUTE_PGM_RSRC2:TGID_Y_EN: 0
; COMPUTE_PGM_RSRC2:TGID_Z_EN: 0
; COMPUTE_PGM_RSRC2:TIDIG_COMP_CNT: 1
; COMPUTE_PGM_RSRC3_GFX90A:ACCUM_OFFSET: 7
; COMPUTE_PGM_RSRC3_GFX90A:TG_SPLIT: 0
	.section	.text._ZN4vllm3moe22topkGatingSoftplusSqrtILi8ELi128ELi4ELi16ELi64ELb0El6__halfEEvPKT6_PKbPfiPT5_PiiiibdPKfPKS9_SF_,"axG",@progbits,_ZN4vllm3moe22topkGatingSoftplusSqrtILi8ELi128ELi4ELi16ELi64ELb0El6__halfEEvPKT6_PKbPfiPT5_PiiiibdPKfPKS9_SF_,comdat
	.protected	_ZN4vllm3moe22topkGatingSoftplusSqrtILi8ELi128ELi4ELi16ELi64ELb0El6__halfEEvPKT6_PKbPfiPT5_PiiiibdPKfPKS9_SF_ ; -- Begin function _ZN4vllm3moe22topkGatingSoftplusSqrtILi8ELi128ELi4ELi16ELi64ELb0El6__halfEEvPKT6_PKbPfiPT5_PiiiibdPKfPKS9_SF_
	.globl	_ZN4vllm3moe22topkGatingSoftplusSqrtILi8ELi128ELi4ELi16ELi64ELb0El6__halfEEvPKT6_PKbPfiPT5_PiiiibdPKfPKS9_SF_
	.p2align	8
	.type	_ZN4vllm3moe22topkGatingSoftplusSqrtILi8ELi128ELi4ELi16ELi64ELb0El6__halfEEvPKT6_PKbPfiPT5_PiiiibdPKfPKS9_SF_,@function
_ZN4vllm3moe22topkGatingSoftplusSqrtILi8ELi128ELi4ELi16ELi64ELb0El6__halfEEvPKT6_PKbPfiPT5_PiiiibdPKfPKS9_SF_: ; @_ZN4vllm3moe22topkGatingSoftplusSqrtILi8ELi128ELi4ELi16ELi64ELb0El6__halfEEvPKT6_PKbPfiPT5_PiiiibdPKfPKS9_SF_
; %bb.0:
	s_load_dword s33, s[0:1], 0x18
	v_bfe_u32 v1, v0, 10, 10
	v_and_b32_e32 v0, 0x3ff, v0
	s_lshl_b32 s2, s2, 4
	v_lshlrev_b32_e32 v1, 2, v1
	v_lshrrev_b32_e32 v2, 4, v0
	v_add3_u32 v8, s2, v1, v2
	s_waitcnt lgkmcnt(0)
	v_cmp_gt_i32_e32 vcc, s33, v8
	s_and_saveexec_b64 s[2:3], vcc
	s_cbranch_execz .LBB329_61
; %bb.1:
	s_load_dwordx4 s[4:7], s[0:1], 0x0
	s_load_dwordx2 s[34:35], s[0:1], 0x10
	s_waitcnt lgkmcnt(0)
	s_cmp_eq_u64 s[6:7], 0
	s_cbranch_scc1 .LBB329_3
; %bb.2:
	v_ashrrev_i32_e32 v9, 31, v8
	v_lshl_add_u64 v[2:3], s[6:7], 0, v[8:9]
	global_load_ubyte v1, v[2:3], off
	s_waitcnt vmcnt(0)
	v_and_b32_e32 v1, 1, v1
	v_cmp_eq_u32_e32 vcc, 1, v1
	s_xor_b64 s[2:3], vcc, -1
	s_orn2_b64 s[36:37], s[2:3], exec
	s_branch .LBB329_4
.LBB329_3:
	s_mov_b64 s[36:37], -1
.LBB329_4:
	v_lshlrev_b32_e32 v4, 7, v8
	v_mov_b32_e32 v2, s4
	v_mov_b32_e32 v3, s5
	v_ashrrev_i32_e32 v5, 31, v4
	v_and_b32_e32 v9, 15, v0
	v_lshl_add_u64 v[2:3], v[4:5], 1, v[2:3]
	v_mov_b32_e32 v1, 0
	v_lshlrev_b32_e32 v0, 4, v9
	v_lshl_add_u64 v[0:1], v[2:3], 0, v[0:1]
	global_load_dwordx4 v[4:7], v[0:1], off
	s_mov_b32 s12, 0x800000
	v_mov_b32_e32 v2, 0x4f800000
	s_mov_b32 s9, 0x3f317217
	s_mov_b32 s10, 0x7f800000
	v_mov_b32_e32 v3, 0x41b17218
	s_movk_i32 s8, 0x4d00
	s_mov_b32 s11, 0xf800000
	s_load_dwordx4 s[20:23], s[0:1], 0x40
	v_lshlrev_b32_e32 v12, 3, v9
	s_waitcnt lgkmcnt(0)
	s_cmp_lg_u64 s[22:23], 0
	s_cselect_b64 s[6:7], -1, 0
	s_and_b64 s[2:3], exec, s[6:7]
	s_waitcnt vmcnt(0)
	v_cvt_f32_f16_e32 v0, v4
	v_mul_f32_e32 v1, 0x3fb8aa3b, v0
	v_exp_f32_e32 v10, v1
	v_mov_b32_e32 v1, 0x260
	v_add_f32_e32 v10, 1.0, v10
	v_cmp_gt_f32_e32 vcc, s12, v10
	s_nop 1
	v_cndmask_b32_e32 v11, 1.0, v2, vcc
	v_mul_f32_e32 v10, v10, v11
	v_log_f32_e32 v11, v10
	v_cndmask_b32_e32 v13, 0, v3, vcc
	v_lshlrev_b32_e32 v10, 2, v12
	v_mul_f32_e32 v14, 0x3f317217, v11
	v_fma_f32 v14, v11, s9, -v14
	v_fmac_f32_e32 v14, 0x3377d1cf, v11
	v_fmac_f32_e32 v14, 0x3f317217, v11
	v_cmp_lt_f32_e64 vcc, |v11|, s10
	s_nop 1
	v_cndmask_b32_e32 v11, v11, v14, vcc
	v_sub_f32_e32 v11, v11, v13
	v_cmp_lt_f16_e32 vcc, s8, v4
	s_nop 1
	v_cndmask_b32_e32 v0, v11, v0, vcc
	v_mul_f32_e32 v11, 0x4f800000, v0
	v_cmp_gt_f32_e32 vcc, s11, v0
	s_nop 1
	v_cndmask_b32_e32 v0, v0, v11, vcc
	v_sqrt_f32_e32 v11, v0
	s_nop 0
	v_add_u32_e32 v13, -1, v11
	v_add_u32_e32 v14, 1, v11
	v_fma_f32 v15, -v13, v11, v0
	v_fma_f32 v16, -v14, v11, v0
	v_cmp_ge_f32_e64 s[4:5], 0, v15
	s_nop 1
	v_cndmask_b32_e64 v11, v11, v13, s[4:5]
	v_cmp_lt_f32_e64 s[4:5], 0, v16
	s_nop 1
	v_cndmask_b32_e64 v11, v11, v14, s[4:5]
	v_mul_f32_e32 v13, 0x37800000, v11
	v_cndmask_b32_e32 v11, v11, v13, vcc
	v_cmp_class_f32_e32 vcc, v0, v1
	s_nop 1
	v_cndmask_b32_e32 v0, v11, v0, vcc
	s_mov_b64 vcc, s[2:3]
	s_cbranch_vccz .LBB329_6
; %bb.5:
	global_load_dword v11, v10, s[22:23]
	s_waitcnt vmcnt(0)
	v_add_f32_e32 v0, v0, v11
.LBB329_6:
	v_cvt_f32_f16_sdwa v11, v4 dst_sel:DWORD dst_unused:UNUSED_PAD src0_sel:WORD_1
	v_mul_f32_e32 v13, 0x3fb8aa3b, v11
	v_exp_f32_e32 v13, v13
	s_nop 0
	v_add_f32_e32 v13, 1.0, v13
	v_cmp_gt_f32_e32 vcc, s12, v13
	s_nop 1
	v_cndmask_b32_e32 v2, 1.0, v2, vcc
	v_mul_f32_e32 v2, v13, v2
	v_log_f32_e32 v2, v2
	v_cndmask_b32_e32 v3, 0, v3, vcc
	v_mul_f32_e32 v13, 0x3f317217, v2
	v_fma_f32 v13, v2, s9, -v13
	v_fmac_f32_e32 v13, 0x3377d1cf, v2
	v_fmac_f32_e32 v13, 0x3f317217, v2
	v_cmp_lt_f32_e64 vcc, |v2|, s10
	s_nop 1
	v_cndmask_b32_e32 v2, v2, v13, vcc
	v_sub_f32_e32 v2, v2, v3
	v_cmp_gt_f16_sdwa vcc, v4, s8 src0_sel:WORD_1 src1_sel:DWORD
	v_cndmask_b32_e64 v4, 0, 1, s[6:7]
	v_cmp_ne_u32_e64 s[2:3], 1, v4
	v_cndmask_b32_e32 v2, v2, v11, vcc
	v_mul_f32_e32 v3, 0x4f800000, v2
	v_cmp_gt_f32_e64 s[4:5], s11, v2
	s_andn2_b64 vcc, exec, s[6:7]
	s_nop 0
	v_cndmask_b32_e64 v2, v2, v3, s[4:5]
	v_sqrt_f32_e32 v3, v2
	s_nop 0
	v_add_u32_e32 v4, -1, v3
	v_add_u32_e32 v11, 1, v3
	v_fma_f32 v13, -v4, v3, v2
	v_fma_f32 v14, -v11, v3, v2
	v_cmp_ge_f32_e64 s[6:7], 0, v13
	s_nop 1
	v_cndmask_b32_e64 v3, v3, v4, s[6:7]
	v_cmp_lt_f32_e64 s[6:7], 0, v14
	s_nop 1
	v_cndmask_b32_e64 v3, v3, v11, s[6:7]
	v_mul_f32_e32 v4, 0x37800000, v3
	v_cndmask_b32_e64 v3, v3, v4, s[4:5]
	v_cmp_class_f32_e64 s[4:5], v2, v1
	s_nop 1
	v_cndmask_b32_e64 v1, v3, v2, s[4:5]
	s_cbranch_vccnz .LBB329_8
; %bb.7:
	global_load_dword v2, v10, s[22:23] offset:4
	s_waitcnt vmcnt(0)
	v_add_f32_e32 v1, v1, v2
.LBB329_8:
	v_cvt_f32_f16_e32 v2, v5
	s_mov_b32 s8, 0x800000
	v_mov_b32_e32 v4, 0x4f800000
	s_mov_b32 s7, 0x3f317217
	v_mul_f32_e32 v3, 0x3fb8aa3b, v2
	v_exp_f32_e32 v3, v3
	s_mov_b32 s9, 0x7f800000
	s_movk_i32 s6, 0x4d00
	s_mov_b32 s10, 0xf800000
	v_add_f32_e32 v3, 1.0, v3
	v_cmp_gt_f32_e32 vcc, s8, v3
	s_nop 1
	v_cndmask_b32_e32 v11, 1.0, v4, vcc
	v_mul_f32_e32 v3, v3, v11
	v_log_f32_e32 v3, v3
	v_mov_b32_e32 v11, 0x41b17218
	v_cndmask_b32_e32 v13, 0, v11, vcc
	v_mul_f32_e32 v14, 0x3f317217, v3
	v_fma_f32 v14, v3, s7, -v14
	v_fmac_f32_e32 v14, 0x3377d1cf, v3
	v_fmac_f32_e32 v14, 0x3f317217, v3
	v_cmp_lt_f32_e64 vcc, |v3|, s9
	s_nop 1
	v_cndmask_b32_e32 v3, v3, v14, vcc
	v_sub_f32_e32 v3, v3, v13
	v_cmp_lt_f16_e32 vcc, s6, v5
	s_nop 1
	v_cndmask_b32_e32 v2, v3, v2, vcc
	v_mul_f32_e32 v3, 0x4f800000, v2
	v_cmp_gt_f32_e32 vcc, s10, v2
	s_nop 1
	v_cndmask_b32_e32 v2, v2, v3, vcc
	v_sqrt_f32_e32 v3, v2
	s_nop 0
	v_add_u32_e32 v13, -1, v3
	v_fma_f32 v14, -v13, v3, v2
	v_cmp_ge_f32_e64 s[4:5], 0, v14
	v_add_u32_e32 v14, 1, v3
	s_nop 0
	v_cndmask_b32_e64 v13, v3, v13, s[4:5]
	v_fma_f32 v3, -v14, v3, v2
	v_cmp_lt_f32_e64 s[4:5], 0, v3
	s_nop 1
	v_cndmask_b32_e64 v3, v13, v14, s[4:5]
	v_mul_f32_e32 v13, 0x37800000, v3
	v_cndmask_b32_e32 v13, v3, v13, vcc
	v_mov_b32_e32 v3, 0x260
	v_cmp_class_f32_e64 s[4:5], v2, v3
	s_and_b64 vcc, exec, s[2:3]
	s_nop 0
	v_cndmask_b32_e64 v2, v13, v2, s[4:5]
	s_cbranch_vccnz .LBB329_10
; %bb.9:
	global_load_dword v13, v10, s[22:23] offset:8
	s_waitcnt vmcnt(0)
	v_add_f32_e32 v2, v2, v13
.LBB329_10:
	v_cvt_f32_f16_sdwa v13, v5 dst_sel:DWORD dst_unused:UNUSED_PAD src0_sel:WORD_1
	v_mul_f32_e32 v14, 0x3fb8aa3b, v13
	v_exp_f32_e32 v14, v14
	s_nop 0
	v_add_f32_e32 v14, 1.0, v14
	v_cmp_gt_f32_e32 vcc, s8, v14
	s_nop 1
	v_cndmask_b32_e32 v4, 1.0, v4, vcc
	v_mul_f32_e32 v4, v14, v4
	v_log_f32_e32 v4, v4
	v_cndmask_b32_e32 v11, 0, v11, vcc
	v_mul_f32_e32 v14, 0x3f317217, v4
	v_fma_f32 v14, v4, s7, -v14
	v_fmac_f32_e32 v14, 0x3377d1cf, v4
	v_fmac_f32_e32 v14, 0x3f317217, v4
	v_cmp_lt_f32_e64 vcc, |v4|, s9
	s_nop 1
	v_cndmask_b32_e32 v4, v4, v14, vcc
	v_sub_f32_e32 v4, v4, v11
	v_cmp_gt_f16_sdwa vcc, v5, s6 src0_sel:WORD_1 src1_sel:DWORD
	s_nop 1
	v_cndmask_b32_e32 v4, v4, v13, vcc
	v_mul_f32_e32 v5, 0x4f800000, v4
	v_cmp_gt_f32_e64 s[4:5], s10, v4
	s_and_b64 vcc, exec, s[2:3]
	s_nop 0
	v_cndmask_b32_e64 v4, v4, v5, s[4:5]
	v_sqrt_f32_e32 v5, v4
	s_nop 0
	v_add_u32_e32 v11, -1, v5
	v_add_u32_e32 v13, 1, v5
	v_fma_f32 v14, -v11, v5, v4
	v_fma_f32 v15, -v13, v5, v4
	v_cmp_ge_f32_e64 s[6:7], 0, v14
	s_nop 1
	v_cndmask_b32_e64 v5, v5, v11, s[6:7]
	v_cmp_lt_f32_e64 s[6:7], 0, v15
	s_nop 1
	v_cndmask_b32_e64 v5, v5, v13, s[6:7]
	v_mul_f32_e32 v11, 0x37800000, v5
	v_cndmask_b32_e64 v5, v5, v11, s[4:5]
	v_cmp_class_f32_e64 s[4:5], v4, v3
	s_nop 1
	v_cndmask_b32_e64 v3, v5, v4, s[4:5]
	s_cbranch_vccnz .LBB329_12
; %bb.11:
	global_load_dword v4, v10, s[22:23] offset:12
	s_waitcnt vmcnt(0)
	v_add_f32_e32 v3, v3, v4
.LBB329_12:
	v_cvt_f32_f16_e32 v4, v6
	v_mov_b32_e32 v11, 0x4f800000
	s_mov_b32 s7, 0x3f317217
	s_movk_i32 s6, 0x4d00
	v_mul_f32_e32 v5, 0x3fb8aa3b, v4
	v_exp_f32_e32 v5, v5
	s_nop 0
	v_add_f32_e32 v5, 1.0, v5
	v_cmp_gt_f32_e32 vcc, s8, v5
	s_nop 1
	v_cndmask_b32_e32 v13, 1.0, v11, vcc
	v_mul_f32_e32 v5, v5, v13
	v_log_f32_e32 v5, v5
	v_mov_b32_e32 v13, 0x41b17218
	v_cndmask_b32_e32 v14, 0, v13, vcc
	v_mul_f32_e32 v15, 0x3f317217, v5
	v_fma_f32 v15, v5, s7, -v15
	v_fmac_f32_e32 v15, 0x3377d1cf, v5
	v_fmac_f32_e32 v15, 0x3f317217, v5
	v_cmp_lt_f32_e64 vcc, |v5|, s9
	s_nop 1
	v_cndmask_b32_e32 v5, v5, v15, vcc
	v_sub_f32_e32 v5, v5, v14
	v_cmp_lt_f16_e32 vcc, s6, v6
	s_nop 1
	v_cndmask_b32_e32 v4, v5, v4, vcc
	v_mul_f32_e32 v5, 0x4f800000, v4
	v_cmp_gt_f32_e32 vcc, s10, v4
	s_nop 1
	v_cndmask_b32_e32 v4, v4, v5, vcc
	v_sqrt_f32_e32 v5, v4
	s_nop 0
	v_add_u32_e32 v14, -1, v5
	v_fma_f32 v15, -v14, v5, v4
	v_cmp_ge_f32_e64 s[4:5], 0, v15
	v_add_u32_e32 v15, 1, v5
	s_nop 0
	v_cndmask_b32_e64 v14, v5, v14, s[4:5]
	v_fma_f32 v5, -v15, v5, v4
	v_cmp_lt_f32_e64 s[4:5], 0, v5
	s_nop 1
	v_cndmask_b32_e64 v5, v14, v15, s[4:5]
	v_mul_f32_e32 v14, 0x37800000, v5
	v_cndmask_b32_e32 v14, v5, v14, vcc
	v_mov_b32_e32 v5, 0x260
	v_cmp_class_f32_e64 s[4:5], v4, v5
	s_and_b64 vcc, exec, s[2:3]
	s_nop 0
	v_cndmask_b32_e64 v4, v14, v4, s[4:5]
	s_cbranch_vccnz .LBB329_14
; %bb.13:
	global_load_dword v14, v10, s[22:23] offset:16
	s_waitcnt vmcnt(0)
	v_add_f32_e32 v4, v4, v14
.LBB329_14:
	v_cvt_f32_f16_sdwa v14, v6 dst_sel:DWORD dst_unused:UNUSED_PAD src0_sel:WORD_1
	v_mul_f32_e32 v15, 0x3fb8aa3b, v14
	v_exp_f32_e32 v15, v15
	s_nop 0
	v_add_f32_e32 v15, 1.0, v15
	v_cmp_gt_f32_e32 vcc, s8, v15
	s_nop 1
	v_cndmask_b32_e32 v11, 1.0, v11, vcc
	v_mul_f32_e32 v11, v15, v11
	v_log_f32_e32 v11, v11
	v_cndmask_b32_e32 v13, 0, v13, vcc
	v_mul_f32_e32 v15, 0x3f317217, v11
	v_fma_f32 v15, v11, s7, -v15
	v_fmac_f32_e32 v15, 0x3377d1cf, v11
	v_fmac_f32_e32 v15, 0x3f317217, v11
	v_cmp_lt_f32_e64 vcc, |v11|, s9
	s_nop 1
	v_cndmask_b32_e32 v11, v11, v15, vcc
	v_sub_f32_e32 v11, v11, v13
	v_cmp_gt_f16_sdwa vcc, v6, s6 src0_sel:WORD_1 src1_sel:DWORD
	s_nop 1
	v_cndmask_b32_e32 v6, v11, v14, vcc
	v_mul_f32_e32 v11, 0x4f800000, v6
	v_cmp_gt_f32_e64 s[4:5], s10, v6
	s_and_b64 vcc, exec, s[2:3]
	s_nop 0
	v_cndmask_b32_e64 v6, v6, v11, s[4:5]
	v_sqrt_f32_e32 v11, v6
	s_nop 0
	v_add_u32_e32 v13, -1, v11
	v_add_u32_e32 v14, 1, v11
	v_fma_f32 v15, -v13, v11, v6
	v_fma_f32 v16, -v14, v11, v6
	v_cmp_ge_f32_e64 s[6:7], 0, v15
	s_nop 1
	v_cndmask_b32_e64 v11, v11, v13, s[6:7]
	v_cmp_lt_f32_e64 s[6:7], 0, v16
	s_nop 1
	v_cndmask_b32_e64 v11, v11, v14, s[6:7]
	v_mul_f32_e32 v13, 0x37800000, v11
	v_cndmask_b32_e64 v11, v11, v13, s[4:5]
	v_cmp_class_f32_e64 s[4:5], v6, v5
	s_nop 1
	v_cndmask_b32_e64 v5, v11, v6, s[4:5]
	s_cbranch_vccnz .LBB329_16
; %bb.15:
	global_load_dword v6, v10, s[22:23] offset:20
	s_waitcnt vmcnt(0)
	v_add_f32_e32 v5, v5, v6
.LBB329_16:
	v_cvt_f32_f16_e32 v6, v7
	v_mov_b32_e32 v13, 0x4f800000
	s_mov_b32 s7, 0x3f317217
	s_movk_i32 s6, 0x4d00
	v_mul_f32_e32 v11, 0x3fb8aa3b, v6
	v_exp_f32_e32 v11, v11
	s_nop 0
	v_add_f32_e32 v11, 1.0, v11
	v_cmp_gt_f32_e32 vcc, s8, v11
	s_nop 1
	v_cndmask_b32_e32 v14, 1.0, v13, vcc
	v_mul_f32_e32 v11, v11, v14
	v_log_f32_e32 v11, v11
	v_mov_b32_e32 v14, 0x41b17218
	v_cndmask_b32_e32 v15, 0, v14, vcc
	v_mul_f32_e32 v16, 0x3f317217, v11
	v_fma_f32 v16, v11, s7, -v16
	v_fmac_f32_e32 v16, 0x3377d1cf, v11
	v_fmac_f32_e32 v16, 0x3f317217, v11
	v_cmp_lt_f32_e64 vcc, |v11|, s9
	s_nop 1
	v_cndmask_b32_e32 v11, v11, v16, vcc
	v_sub_f32_e32 v11, v11, v15
	v_cmp_lt_f16_e32 vcc, s6, v7
	s_nop 1
	v_cndmask_b32_e32 v6, v11, v6, vcc
	v_mul_f32_e32 v11, 0x4f800000, v6
	v_cmp_gt_f32_e32 vcc, s10, v6
	s_nop 1
	v_cndmask_b32_e32 v6, v6, v11, vcc
	v_sqrt_f32_e32 v11, v6
	s_nop 0
	v_add_u32_e32 v15, -1, v11
	v_fma_f32 v16, -v15, v11, v6
	v_cmp_ge_f32_e64 s[4:5], 0, v16
	v_add_u32_e32 v16, 1, v11
	s_nop 0
	v_cndmask_b32_e64 v15, v11, v15, s[4:5]
	v_fma_f32 v11, -v16, v11, v6
	v_cmp_lt_f32_e64 s[4:5], 0, v11
	s_nop 1
	v_cndmask_b32_e64 v11, v15, v16, s[4:5]
	v_mul_f32_e32 v15, 0x37800000, v11
	v_cndmask_b32_e32 v15, v11, v15, vcc
	v_mov_b32_e32 v11, 0x260
	v_cmp_class_f32_e64 s[4:5], v6, v11
	s_and_b64 vcc, exec, s[2:3]
	s_nop 0
	v_cndmask_b32_e64 v6, v15, v6, s[4:5]
	s_cbranch_vccnz .LBB329_18
; %bb.17:
	global_load_dword v15, v10, s[22:23] offset:24
	s_waitcnt vmcnt(0)
	v_add_f32_e32 v6, v6, v15
.LBB329_18:
	v_cvt_f32_f16_sdwa v15, v7 dst_sel:DWORD dst_unused:UNUSED_PAD src0_sel:WORD_1
	v_mul_f32_e32 v16, 0x3fb8aa3b, v15
	v_exp_f32_e32 v16, v16
	s_nop 0
	v_add_f32_e32 v16, 1.0, v16
	v_cmp_gt_f32_e32 vcc, s8, v16
	s_nop 1
	v_cndmask_b32_e32 v13, 1.0, v13, vcc
	v_mul_f32_e32 v13, v16, v13
	v_log_f32_e32 v13, v13
	v_cndmask_b32_e32 v14, 0, v14, vcc
	v_mul_f32_e32 v16, 0x3f317217, v13
	v_fma_f32 v16, v13, s7, -v16
	v_fmac_f32_e32 v16, 0x3377d1cf, v13
	v_fmac_f32_e32 v16, 0x3f317217, v13
	v_cmp_lt_f32_e64 vcc, |v13|, s9
	s_nop 1
	v_cndmask_b32_e32 v13, v13, v16, vcc
	v_sub_f32_e32 v13, v13, v14
	v_cmp_gt_f16_sdwa vcc, v7, s6 src0_sel:WORD_1 src1_sel:DWORD
	s_nop 1
	v_cndmask_b32_e32 v7, v13, v15, vcc
	v_mul_f32_e32 v13, 0x4f800000, v7
	v_cmp_gt_f32_e64 s[4:5], s10, v7
	s_and_b64 vcc, exec, s[2:3]
	s_nop 0
	v_cndmask_b32_e64 v7, v7, v13, s[4:5]
	v_sqrt_f32_e32 v13, v7
	s_nop 0
	v_add_u32_e32 v14, -1, v13
	v_add_u32_e32 v15, 1, v13
	v_fma_f32 v16, -v14, v13, v7
	v_fma_f32 v17, -v15, v13, v7
	v_cmp_ge_f32_e64 s[6:7], 0, v16
	s_nop 1
	v_cndmask_b32_e64 v13, v13, v14, s[6:7]
	v_cmp_lt_f32_e64 s[6:7], 0, v17
	s_nop 1
	v_cndmask_b32_e64 v13, v13, v15, s[6:7]
	v_mul_f32_e32 v14, 0x37800000, v13
	v_cndmask_b32_e64 v13, v13, v14, s[4:5]
	v_cmp_class_f32_e64 s[4:5], v7, v11
	s_nop 1
	v_cndmask_b32_e64 v7, v13, v7, s[4:5]
	s_cbranch_vccnz .LBB329_20
; %bb.19:
	global_load_dword v10, v10, s[22:23] offset:28
	s_waitcnt vmcnt(0)
	v_add_f32_e32 v7, v7, v10
.LBB329_20:
	s_load_dwordx4 s[24:27], s[0:1], 0x30
	s_mov_b32 s42, 0
	v_cmp_eq_u32_e64 s[6:7], 0, v9
	s_waitcnt lgkmcnt(0)
	s_bitcmp1_b32 s27, 0
	s_cselect_b64 s[4:5], -1, 0
	s_cmp_gt_i32 s24, 0
	s_cselect_b64 s[38:39], -1, 0
	s_and_b64 vcc, exec, s[38:39]
	s_cbranch_vccz .LBB329_47
; %bb.21:
	v_mbcnt_lo_u32_b32 v10, -1, 0
	v_mbcnt_hi_u32_b32 v10, -1, v10
	v_and_b32_e32 v11, 0x70, v10
	v_add_u32_e32 v11, 16, v11
	v_xor_b32_e32 v13, 8, v10
	v_cmp_lt_i32_e32 vcc, v13, v11
	s_load_dwordx4 s[28:31], s[0:1], 0x20
	v_mul_lo_u32 v14, v8, s24
	v_cndmask_b32_e32 v13, v10, v13, vcc
	v_lshlrev_b32_e32 v15, 2, v13
	v_xor_b32_e32 v13, 4, v10
	v_cmp_lt_i32_e32 vcc, v13, v11
	v_mov_b32_e32 v19, 0x80
	v_mov_b32_e32 v20, 0xc61c4000
	v_cndmask_b32_e32 v13, v10, v13, vcc
	v_lshlrev_b32_e32 v16, 2, v13
	v_xor_b32_e32 v13, 2, v10
	v_cmp_lt_i32_e32 vcc, v13, v11
	v_mov_b32_e32 v21, v8
	s_nop 0
	v_cndmask_b32_e32 v13, v10, v13, vcc
	v_lshlrev_b32_e32 v17, 2, v13
	v_xor_b32_e32 v13, 1, v10
	v_cmp_lt_i32_e32 vcc, v13, v11
	s_nop 1
	v_cndmask_b32_e32 v10, v10, v13, vcc
	v_lshlrev_b32_e32 v18, 2, v10
	v_mov_b32_e32 v13, 0
	s_branch .LBB329_24
.LBB329_22:                             ;   in Loop: Header=BB329_24 Depth=1
	s_or_b64 exec, exec, s[40:41]
.LBB329_23:                             ;   in Loop: Header=BB329_24 Depth=1
	s_cmp_eq_u32 s24, s42
	v_add_u32_e32 v21, s33, v21
	s_cbranch_scc1 .LBB329_48
.LBB329_24:                             ; =>This Inner Loop Header: Depth=1
	v_cmp_gt_f32_e32 vcc, v1, v0
	s_nop 1
	v_cndmask_b32_e32 v11, v0, v1, vcc
	v_cndmask_b32_e64 v10, 0, 1, vcc
	v_cmp_gt_f32_e32 vcc, v2, v11
	s_nop 1
	v_cndmask_b32_e32 v11, v11, v2, vcc
	v_cndmask_b32_e64 v10, v10, 2, vcc
	;; [unrolled: 4-line block ×6, first 2 shown]
	v_cmp_gt_f32_e32 vcc, v7, v11
	s_nop 1
	v_cndmask_b32_e64 v10, v10, 7, vcc
	v_cndmask_b32_e32 v22, v11, v7, vcc
	ds_bpermute_b32 v11, v15, v22
	v_or_b32_e32 v10, v12, v10
	s_waitcnt lgkmcnt(0)
	ds_bpermute_b32 v23, v15, v10
	s_waitcnt lgkmcnt(0)
	v_cmp_lt_f32_e64 s[8:9], v22, v11
	v_cmp_nlt_f32_e32 vcc, v22, v11
	s_and_saveexec_b64 s[10:11], vcc
; %bb.25:                               ;   in Loop: Header=BB329_24 Depth=1
	v_cmp_eq_f32_e32 vcc, v22, v11
	v_cmp_lt_i32_e64 s[0:1], v23, v10
	s_and_b64 s[0:1], vcc, s[0:1]
	s_andn2_b64 s[8:9], s[8:9], exec
	s_and_b64 s[0:1], s[0:1], exec
	s_or_b64 s[8:9], s[8:9], s[0:1]
; %bb.26:                               ;   in Loop: Header=BB329_24 Depth=1
	s_or_b64 exec, exec, s[10:11]
	s_and_saveexec_b64 s[0:1], s[8:9]
; %bb.27:                               ;   in Loop: Header=BB329_24 Depth=1
	v_mov_b32_e32 v22, v11
	v_mov_b32_e32 v10, v23
; %bb.28:                               ;   in Loop: Header=BB329_24 Depth=1
	s_or_b64 exec, exec, s[0:1]
	ds_bpermute_b32 v11, v16, v22
	ds_bpermute_b32 v23, v16, v10
	s_waitcnt lgkmcnt(1)
	v_cmp_lt_f32_e64 s[8:9], v22, v11
	v_cmp_nlt_f32_e32 vcc, v22, v11
	s_and_saveexec_b64 s[10:11], vcc
	s_cbranch_execz .LBB329_30
; %bb.29:                               ;   in Loop: Header=BB329_24 Depth=1
	v_cmp_eq_f32_e32 vcc, v22, v11
	s_waitcnt lgkmcnt(0)
	v_cmp_lt_i32_e64 s[0:1], v23, v10
	s_and_b64 s[0:1], vcc, s[0:1]
	s_andn2_b64 s[8:9], s[8:9], exec
	s_and_b64 s[0:1], s[0:1], exec
	s_or_b64 s[8:9], s[8:9], s[0:1]
.LBB329_30:                             ;   in Loop: Header=BB329_24 Depth=1
	s_or_b64 exec, exec, s[10:11]
	s_and_saveexec_b64 s[0:1], s[8:9]
	s_cbranch_execz .LBB329_32
; %bb.31:                               ;   in Loop: Header=BB329_24 Depth=1
	v_mov_b32_e32 v22, v11
	s_waitcnt lgkmcnt(0)
	v_mov_b32_e32 v10, v23
.LBB329_32:                             ;   in Loop: Header=BB329_24 Depth=1
	s_or_b64 exec, exec, s[0:1]
	ds_bpermute_b32 v11, v17, v22
	s_waitcnt lgkmcnt(1)
	ds_bpermute_b32 v23, v17, v10
	s_waitcnt lgkmcnt(1)
	v_cmp_lt_f32_e64 s[8:9], v22, v11
	v_cmp_nlt_f32_e32 vcc, v22, v11
	s_and_saveexec_b64 s[10:11], vcc
	s_cbranch_execz .LBB329_34
; %bb.33:                               ;   in Loop: Header=BB329_24 Depth=1
	v_cmp_eq_f32_e32 vcc, v22, v11
	s_waitcnt lgkmcnt(0)
	v_cmp_lt_i32_e64 s[0:1], v23, v10
	s_and_b64 s[0:1], vcc, s[0:1]
	s_andn2_b64 s[8:9], s[8:9], exec
	s_and_b64 s[0:1], s[0:1], exec
	s_or_b64 s[8:9], s[8:9], s[0:1]
.LBB329_34:                             ;   in Loop: Header=BB329_24 Depth=1
	s_or_b64 exec, exec, s[10:11]
	s_and_saveexec_b64 s[0:1], s[8:9]
	s_cbranch_execz .LBB329_36
; %bb.35:                               ;   in Loop: Header=BB329_24 Depth=1
	v_mov_b32_e32 v22, v11
	s_waitcnt lgkmcnt(0)
	v_mov_b32_e32 v10, v23
.LBB329_36:                             ;   in Loop: Header=BB329_24 Depth=1
	s_or_b64 exec, exec, s[0:1]
	ds_bpermute_b32 v11, v18, v22
	s_waitcnt lgkmcnt(1)
	ds_bpermute_b32 v23, v18, v10
	s_waitcnt lgkmcnt(1)
	v_cmp_lt_f32_e64 s[8:9], v22, v11
	v_cmp_nlt_f32_e32 vcc, v22, v11
	s_and_saveexec_b64 s[10:11], vcc
	s_cbranch_execnz .LBB329_40
; %bb.37:                               ;   in Loop: Header=BB329_24 Depth=1
	s_or_b64 exec, exec, s[10:11]
	s_and_saveexec_b64 s[0:1], s[8:9]
	s_cbranch_execnz .LBB329_41
.LBB329_38:                             ;   in Loop: Header=BB329_24 Depth=1
	s_or_b64 exec, exec, s[0:1]
	s_and_saveexec_b64 s[8:9], s[6:7]
	s_cbranch_execnz .LBB329_42
.LBB329_39:                             ;   in Loop: Header=BB329_24 Depth=1
	s_or_b64 exec, exec, s[8:9]
	s_add_i32 s42, s42, 1
	s_cmp_ge_i32 s42, s24
	s_cbranch_scc1 .LBB329_23
	s_branch .LBB329_45
.LBB329_40:                             ;   in Loop: Header=BB329_24 Depth=1
	v_cmp_eq_f32_e32 vcc, v22, v11
	s_waitcnt lgkmcnt(0)
	v_cmp_lt_i32_e64 s[0:1], v23, v10
	s_and_b64 s[0:1], vcc, s[0:1]
	s_andn2_b64 s[8:9], s[8:9], exec
	s_and_b64 s[0:1], s[0:1], exec
	s_or_b64 s[8:9], s[8:9], s[0:1]
	s_or_b64 exec, exec, s[10:11]
	s_and_saveexec_b64 s[0:1], s[8:9]
	s_cbranch_execz .LBB329_38
.LBB329_41:                             ;   in Loop: Header=BB329_24 Depth=1
	s_waitcnt lgkmcnt(0)
	v_mov_b32_e32 v10, v23
	v_mov_b32_e32 v22, v11
	s_or_b64 exec, exec, s[0:1]
	s_and_saveexec_b64 s[8:9], s[6:7]
	s_cbranch_execz .LBB329_39
.LBB329_42:                             ;   in Loop: Header=BB329_24 Depth=1
	s_and_b64 vcc, exec, s[2:3]
	s_cbranch_vccnz .LBB329_44
; %bb.43:                               ;   in Loop: Header=BB329_24 Depth=1
	v_ashrrev_i32_e32 v11, 31, v10
	v_lshl_add_u64 v[24:25], v[10:11], 2, s[22:23]
	global_load_dword v11, v[24:25], off
	s_waitcnt vmcnt(0)
	v_sub_f32_e32 v22, v22, v11
.LBB329_44:                             ;   in Loop: Header=BB329_24 Depth=1
	v_add_u32_e32 v24, s42, v14
	v_cmp_le_i32_e32 vcc, s25, v10
	v_cmp_gt_i32_e64 s[0:1], s26, v10
	v_ashrrev_i32_e32 v25, 31, v24
	s_and_b64 s[0:1], vcc, s[0:1]
	v_lshlrev_b64 v[26:27], 2, v[24:25]
	v_subrev_u32_e32 v11, s25, v10
	v_lshl_add_u64 v[28:29], s[34:35], 0, v[26:27]
	s_waitcnt lgkmcnt(0)
	v_ashrrev_i32_e32 v23, 31, v11
	s_and_b64 vcc, s[36:37], s[0:1]
	global_store_dword v[28:29], v22, off
	v_cndmask_b32_e32 v29, 0, v23, vcc
	v_cndmask_b32_e32 v28, v19, v11, vcc
	v_lshl_add_u64 v[24:25], v[24:25], 3, s[28:29]
	v_add_f32_e32 v11, v13, v22
	global_store_dwordx2 v[24:25], v[28:29], off
	v_lshl_add_u64 v[24:25], s[30:31], 0, v[26:27]
	v_cndmask_b32_e64 v13, v13, v11, s[4:5]
	global_store_dword v[24:25], v21, off
	s_or_b64 exec, exec, s[8:9]
	s_add_i32 s42, s42, 1
	s_cmp_ge_i32 s42, s24
	s_cbranch_scc1 .LBB329_23
.LBB329_45:                             ;   in Loop: Header=BB329_24 Depth=1
	v_ashrrev_i32_e32 v22, 31, v10
	v_lshrrev_b32_e32 v11, 29, v22
	v_add_u32_e32 v11, v10, v11
	v_ashrrev_i32_e32 v11, 3, v11
	s_waitcnt lgkmcnt(0)
	v_lshrrev_b32_e32 v23, 28, v11
	v_add_u32_e32 v23, v11, v23
	v_and_b32_e32 v23, -16, v23
	v_sub_u32_e32 v23, v11, v23
	v_cmp_eq_u32_e32 vcc, v9, v23
	s_and_saveexec_b64 s[40:41], vcc
	s_cbranch_execz .LBB329_22
; %bb.46:                               ;   in Loop: Header=BB329_24 Depth=1
	v_lshrrev_b32_e32 v22, 25, v22
	v_add_u32_e32 v22, v10, v22
	v_lshlrev_b32_e32 v11, 3, v11
	v_sub_u32_e32 v10, v10, v11
	v_ashrrev_i32_e32 v11, 7, v22
	v_lshl_add_u32 v10, v11, 3, v10
	v_cmp_ne_u32_e32 vcc, 6, v10
	v_cmp_ne_u32_e64 s[0:1], 5, v10
	v_cmp_ne_u32_e64 s[8:9], 4, v10
	;; [unrolled: 1-line block ×7, first 2 shown]
	v_cndmask_b32_e32 v6, v20, v6, vcc
	v_cndmask_b32_e64 v5, v20, v5, s[0:1]
	v_cndmask_b32_e64 v7, v20, v7, s[18:19]
	;; [unrolled: 1-line block ×7, first 2 shown]
	s_branch .LBB329_22
.LBB329_47:
	v_mov_b32_e32 v13, 0
.LBB329_48:
	v_cmp_eq_u32_e32 vcc, 0, v9
	s_and_b64 exec, exec, vcc
	s_cbranch_execz .LBB329_61
; %bb.49:
	s_andn2_b64 vcc, exec, s[4:5]
	v_cvt_f32_f64_e32 v0, s[20:21]
	s_cbranch_vccnz .LBB329_51
; %bb.50:
	v_cmp_lt_f32_e32 vcc, 0, v13
	s_nop 1
	v_cndmask_b32_e32 v1, 1.0, v13, vcc
	v_div_scale_f32 v2, s[0:1], v1, v1, v0
	v_rcp_f32_e32 v3, v2
	s_nop 0
	v_fma_f32 v4, -v2, v3, 1.0
	v_fmac_f32_e32 v3, v4, v3
	v_div_scale_f32 v4, vcc, v0, v1, v0
	v_mul_f32_e32 v5, v4, v3
	v_fma_f32 v6, -v2, v5, v4
	v_fmac_f32_e32 v5, v6, v3
	v_fma_f32 v2, -v2, v5, v4
	v_div_fmas_f32 v2, v2, v3, v5
	v_div_fixup_f32 v0, v2, v1, v0
.LBB329_51:
	s_andn2_b64 vcc, exec, s[38:39]
	s_cbranch_vccnz .LBB329_61
; %bb.52:
	v_mul_lo_u32 v2, v8, s24
	s_cmp_gt_u32 s24, 3
	v_ashrrev_i32_e32 v3, 31, v2
	s_cbranch_scc0 .LBB329_56
; %bb.53:
	s_and_b32 s0, s24, 0x7ffffffc
	v_lshl_add_u64 v[4:5], v[2:3], 2, s[34:35]
	v_mov_b32_e32 v1, v0
	v_lshl_add_u64 v[4:5], v[4:5], 0, 8
	s_mov_b32 s1, s0
.LBB329_54:                             ; =>This Inner Loop Header: Depth=1
	global_load_dwordx4 v[6:9], v[4:5], off offset:-8
	s_add_i32 s1, s1, -4
	s_cmp_lg_u32 s1, 0
	s_waitcnt vmcnt(0)
	v_pk_mul_f32 v[6:7], v[0:1], v[6:7]
	v_pk_mul_f32 v[8:9], v[0:1], v[8:9]
	global_store_dwordx4 v[4:5], v[6:9], off offset:-8
	v_lshl_add_u64 v[4:5], v[4:5], 0, 16
	s_cbranch_scc1 .LBB329_54
; %bb.55:
	s_cmp_lg_u32 s0, s24
	s_cselect_b64 s[2:3], -1, 0
	s_branch .LBB329_58
.LBB329_56:
	s_mov_b64 s[2:3], 0
                                        ; implicit-def: $sgpr0
	s_cbranch_execz .LBB329_58
; %bb.57:
	s_mov_b64 s[2:3], -1
	s_mov_b32 s0, 0
.LBB329_58:
	s_andn2_b64 vcc, exec, s[2:3]
	s_cbranch_vccnz .LBB329_61
; %bb.59:
	s_mov_b32 s1, 0
	v_lshl_add_u64 v[2:3], v[2:3], 0, s[0:1]
	s_sub_i32 s2, s24, s0
	v_lshl_add_u64 v[2:3], v[2:3], 2, s[34:35]
.LBB329_60:                             ; =>This Inner Loop Header: Depth=1
	global_load_dword v1, v[2:3], off
	s_add_i32 s2, s2, -1
	s_cmp_lg_u32 s2, 0
	s_waitcnt vmcnt(0)
	v_mul_f32_e32 v1, v0, v1
	global_store_dword v[2:3], v1, off
	v_lshl_add_u64 v[2:3], v[2:3], 0, 4
	s_cbranch_scc1 .LBB329_60
.LBB329_61:
	s_endpgm
	.section	.rodata,"a",@progbits
	.p2align	6, 0x0
	.amdhsa_kernel _ZN4vllm3moe22topkGatingSoftplusSqrtILi8ELi128ELi4ELi16ELi64ELb0El6__halfEEvPKT6_PKbPfiPT5_PiiiibdPKfPKS9_SF_
		.amdhsa_group_segment_fixed_size 0
		.amdhsa_private_segment_fixed_size 0
		.amdhsa_kernarg_size 96
		.amdhsa_user_sgpr_count 2
		.amdhsa_user_sgpr_dispatch_ptr 0
		.amdhsa_user_sgpr_queue_ptr 0
		.amdhsa_user_sgpr_kernarg_segment_ptr 1
		.amdhsa_user_sgpr_dispatch_id 0
		.amdhsa_user_sgpr_kernarg_preload_length 0
		.amdhsa_user_sgpr_kernarg_preload_offset 0
		.amdhsa_user_sgpr_private_segment_size 0
		.amdhsa_uses_dynamic_stack 0
		.amdhsa_enable_private_segment 0
		.amdhsa_system_sgpr_workgroup_id_x 1
		.amdhsa_system_sgpr_workgroup_id_y 0
		.amdhsa_system_sgpr_workgroup_id_z 0
		.amdhsa_system_sgpr_workgroup_info 0
		.amdhsa_system_vgpr_workitem_id 1
		.amdhsa_next_free_vgpr 30
		.amdhsa_next_free_sgpr 43
		.amdhsa_accum_offset 32
		.amdhsa_reserve_vcc 1
		.amdhsa_float_round_mode_32 0
		.amdhsa_float_round_mode_16_64 0
		.amdhsa_float_denorm_mode_32 3
		.amdhsa_float_denorm_mode_16_64 3
		.amdhsa_dx10_clamp 1
		.amdhsa_ieee_mode 1
		.amdhsa_fp16_overflow 0
		.amdhsa_tg_split 0
		.amdhsa_exception_fp_ieee_invalid_op 0
		.amdhsa_exception_fp_denorm_src 0
		.amdhsa_exception_fp_ieee_div_zero 0
		.amdhsa_exception_fp_ieee_overflow 0
		.amdhsa_exception_fp_ieee_underflow 0
		.amdhsa_exception_fp_ieee_inexact 0
		.amdhsa_exception_int_div_zero 0
	.end_amdhsa_kernel
	.section	.text._ZN4vllm3moe22topkGatingSoftplusSqrtILi8ELi128ELi4ELi16ELi64ELb0El6__halfEEvPKT6_PKbPfiPT5_PiiiibdPKfPKS9_SF_,"axG",@progbits,_ZN4vllm3moe22topkGatingSoftplusSqrtILi8ELi128ELi4ELi16ELi64ELb0El6__halfEEvPKT6_PKbPfiPT5_PiiiibdPKfPKS9_SF_,comdat
.Lfunc_end329:
	.size	_ZN4vllm3moe22topkGatingSoftplusSqrtILi8ELi128ELi4ELi16ELi64ELb0El6__halfEEvPKT6_PKbPfiPT5_PiiiibdPKfPKS9_SF_, .Lfunc_end329-_ZN4vllm3moe22topkGatingSoftplusSqrtILi8ELi128ELi4ELi16ELi64ELb0El6__halfEEvPKT6_PKbPfiPT5_PiiiibdPKfPKS9_SF_
                                        ; -- End function
	.section	.AMDGPU.csdata,"",@progbits
; Kernel info:
; codeLenInByte = 4080
; NumSgprs: 49
; NumVgprs: 30
; NumAgprs: 0
; TotalNumVgprs: 30
; ScratchSize: 0
; MemoryBound: 0
; FloatMode: 240
; IeeeMode: 1
; LDSByteSize: 0 bytes/workgroup (compile time only)
; SGPRBlocks: 6
; VGPRBlocks: 3
; NumSGPRsForWavesPerEU: 49
; NumVGPRsForWavesPerEU: 30
; AccumOffset: 32
; Occupancy: 8
; WaveLimiterHint : 0
; COMPUTE_PGM_RSRC2:SCRATCH_EN: 0
; COMPUTE_PGM_RSRC2:USER_SGPR: 2
; COMPUTE_PGM_RSRC2:TRAP_HANDLER: 0
; COMPUTE_PGM_RSRC2:TGID_X_EN: 1
; COMPUTE_PGM_RSRC2:TGID_Y_EN: 0
; COMPUTE_PGM_RSRC2:TGID_Z_EN: 0
; COMPUTE_PGM_RSRC2:TIDIG_COMP_CNT: 1
; COMPUTE_PGM_RSRC3_GFX90A:ACCUM_OFFSET: 7
; COMPUTE_PGM_RSRC3_GFX90A:TG_SPLIT: 0
	.section	.text._ZN4vllm3moe22topkGatingSoftplusSqrtILi8ELi128ELi4ELi16ELi32ELb1El6__halfEEvPKT6_PKbPfiPT5_PiiiibdPKfPKS9_SF_,"axG",@progbits,_ZN4vllm3moe22topkGatingSoftplusSqrtILi8ELi128ELi4ELi16ELi32ELb1El6__halfEEvPKT6_PKbPfiPT5_PiiiibdPKfPKS9_SF_,comdat
	.protected	_ZN4vllm3moe22topkGatingSoftplusSqrtILi8ELi128ELi4ELi16ELi32ELb1El6__halfEEvPKT6_PKbPfiPT5_PiiiibdPKfPKS9_SF_ ; -- Begin function _ZN4vllm3moe22topkGatingSoftplusSqrtILi8ELi128ELi4ELi16ELi32ELb1El6__halfEEvPKT6_PKbPfiPT5_PiiiibdPKfPKS9_SF_
	.globl	_ZN4vllm3moe22topkGatingSoftplusSqrtILi8ELi128ELi4ELi16ELi32ELb1El6__halfEEvPKT6_PKbPfiPT5_PiiiibdPKfPKS9_SF_
	.p2align	8
	.type	_ZN4vllm3moe22topkGatingSoftplusSqrtILi8ELi128ELi4ELi16ELi32ELb1El6__halfEEvPKT6_PKbPfiPT5_PiiiibdPKfPKS9_SF_,@function
_ZN4vllm3moe22topkGatingSoftplusSqrtILi8ELi128ELi4ELi16ELi32ELb1El6__halfEEvPKT6_PKbPfiPT5_PiiiibdPKfPKS9_SF_: ; @_ZN4vllm3moe22topkGatingSoftplusSqrtILi8ELi128ELi4ELi16ELi32ELb1El6__halfEEvPKT6_PKbPfiPT5_PiiiibdPKfPKS9_SF_
; %bb.0:
	s_load_dword s3, s[0:1], 0x18
	v_bfe_u32 v1, v0, 10, 10
	v_and_b32_e32 v10, 0x3ff, v0
	s_lshl_b32 s2, s2, 3
	v_lshlrev_b32_e32 v1, 1, v1
	v_lshrrev_b32_e32 v0, 4, v10
	v_add3_u32 v6, s2, v1, v0
	s_waitcnt lgkmcnt(0)
	v_cmp_gt_i32_e32 vcc, s3, v6
	s_and_saveexec_b64 s[2:3], vcc
	s_cbranch_execz .LBB330_31
; %bb.1:
	s_load_dwordx4 s[8:11], s[0:1], 0x50
	s_load_dwordx2 s[2:3], s[0:1], 0x0
	s_load_dword s12, s[0:1], 0x30
	v_lshlrev_b32_e32 v0, 7, v6
	v_lshlrev_b32_e32 v4, 3, v10
	v_ashrrev_i32_e32 v1, 31, v0
	v_and_b32_e32 v12, 0x78, v4
	s_waitcnt lgkmcnt(0)
	v_mov_b32_e32 v2, s8
	v_mov_b32_e32 v3, s9
	v_lshl_add_u64 v[0:1], v[0:1], 1, s[2:3]
	v_lshlrev_b32_e32 v4, 1, v12
	v_mov_b32_e32 v5, 0
	v_ashrrev_i32_e32 v7, 31, v6
	v_lshl_add_u64 v[2:3], v[6:7], 3, v[2:3]
	v_lshl_add_u64 v[0:1], v[0:1], 0, v[4:5]
	global_load_dwordx2 v[8:9], v[2:3], off
	s_mov_b32 s21, 0x800000
	global_load_dwordx4 v[0:3], v[0:1], off
	s_ashr_i32 s13, s12, 31
	v_mov_b32_e32 v4, 0x4f800000
	s_mov_b32 s19, 0x3f317217
	s_mov_b32 s20, 0x7f800000
	v_mov_b32_e32 v7, 0x41b17218
	s_movk_i32 s15, 0x4d00
	s_mov_b32 s18, 0xf800000
	v_mov_b32_e32 v11, 0x260
	v_cmp_lt_i64_e64 s[16:17], s[12:13], 1
	s_mov_b32 s14, 0
	v_cmp_gt_i64_e64 s[8:9], s[12:13], 0
	s_waitcnt vmcnt(1)
	v_mul_lo_u32 v13, v9, s12
	v_mul_lo_u32 v18, v8, s13
	s_waitcnt vmcnt(0)
	v_cvt_f32_f16_e32 v19, v0
	v_cvt_f32_f16_sdwa v20, v0 dst_sel:DWORD dst_unused:UNUSED_PAD src0_sel:WORD_1
	v_cvt_f32_f16_e32 v21, v1
	v_cvt_f32_f16_sdwa v22, v1 dst_sel:DWORD dst_unused:UNUSED_PAD src0_sel:WORD_1
	v_mul_f32_e32 v9, 0x3fb8aa3b, v19
	v_mul_f32_e32 v15, 0x3fb8aa3b, v20
	v_exp_f32_e32 v14, v9
	v_exp_f32_e32 v15, v15
	v_mul_f32_e32 v16, 0x3fb8aa3b, v21
	v_mul_f32_e32 v17, 0x3fb8aa3b, v22
	v_exp_f32_e32 v16, v16
	v_pk_add_f32 v[14:15], v[14:15], 1.0 op_sel_hi:[1,0]
	v_exp_f32_e32 v17, v17
	v_mad_u64_u32 v[8:9], s[2:3], v8, s12, 0
	v_cmp_gt_f32_e32 vcc, s21, v15
	v_add3_u32 v9, v9, v18, v13
	v_cmp_gt_f32_e64 s[2:3], s21, v14
	v_cndmask_b32_e32 v13, 1.0, v4, vcc
	v_mul_f32_e32 v13, v15, v13
	v_cndmask_b32_e64 v18, 1.0, v4, s[2:3]
	v_mul_f32_e32 v14, v14, v18
	v_log_f32_e32 v13, v13
	v_pk_add_f32 v[16:17], v[16:17], 1.0 op_sel_hi:[1,0]
	v_log_f32_e32 v14, v14
	v_cmp_gt_f32_e64 s[6:7], s21, v16
	v_cndmask_b32_e32 v15, 0, v7, vcc
	v_cmp_lt_f32_e64 vcc, |v13|, s20
	v_cndmask_b32_e64 v24, 1.0, v4, s[6:7]
	v_mul_f32_e32 v16, v16, v24
	v_mul_f32_e32 v24, 0x3f317217, v13
	;; [unrolled: 1-line block ×3, first 2 shown]
	v_fma_f32 v24, v13, s19, -v24
	v_fma_f32 v25, v14, s19, -v25
	v_fmac_f32_e32 v24, 0x3377d1cf, v13
	v_fmac_f32_e32 v25, 0x3377d1cf, v14
	;; [unrolled: 1-line block ×4, first 2 shown]
	v_cndmask_b32_e32 v13, v13, v24, vcc
	v_cmp_lt_f32_e64 vcc, |v14|, s20
	v_cndmask_b32_e64 v18, 0, v7, s[2:3]
	v_cmp_gt_f32_e64 s[4:5], s21, v17
	v_cndmask_b32_e32 v14, v14, v25, vcc
	v_sub_f32_e32 v14, v14, v18
	v_cmp_lt_f16_e32 vcc, s15, v0
	v_cndmask_b32_e64 v23, 1.0, v4, s[4:5]
	v_sub_f32_e32 v13, v13, v15
	v_cndmask_b32_e32 v14, v14, v19, vcc
	v_cmp_gt_f16_sdwa vcc, v0, s15 src0_sel:WORD_1 src1_sel:DWORD
	v_mul_f32_e32 v17, v17, v23
	v_log_f32_e32 v17, v17
	v_cndmask_b32_e32 v0, v13, v20, vcc
	v_mul_f32_e32 v13, 0x4f800000, v0
	v_cmp_gt_f32_e32 vcc, s18, v0
	v_mul_f32_e32 v15, 0x4f800000, v14
	v_cmp_gt_f32_e64 s[2:3], s18, v14
	v_cndmask_b32_e32 v0, v0, v13, vcc
	v_mul_f32_e32 v26, 0x3f317217, v17
	v_cndmask_b32_e64 v13, v14, v15, s[2:3]
	v_sqrt_f32_e32 v14, v0
	v_sqrt_f32_e32 v15, v13
	v_fma_f32 v26, v17, s19, -v26
	v_fmac_f32_e32 v26, 0x3377d1cf, v17
	v_add_u32_e32 v18, -1, v14
	v_cndmask_b32_e64 v23, 0, v7, s[4:5]
	v_fmac_f32_e32 v26, 0x3f317217, v17
	v_cmp_lt_f32_e64 s[4:5], |v17|, s20
	v_add_u32_e32 v20, -1, v15
	v_fma_f32 v25, -v18, v14, v0
	v_cndmask_b32_e64 v17, v17, v26, s[4:5]
	v_add_u32_e32 v19, 1, v14
	v_fma_f32 v27, -v20, v15, v13
	v_cmp_ge_f32_e64 s[4:5], 0, v25
	v_add_u32_e32 v24, 1, v15
	v_fma_f32 v26, -v19, v14, v0
	v_cndmask_b32_e64 v14, v14, v18, s[4:5]
	v_cmp_ge_f32_e64 s[4:5], 0, v27
	v_fma_f32 v28, -v24, v15, v13
	v_log_f32_e32 v16, v16
	v_cndmask_b32_e64 v15, v15, v20, s[4:5]
	v_cmp_lt_f32_e64 s[4:5], 0, v26
	v_cvt_f32_f16_sdwa v20, v2 dst_sel:DWORD dst_unused:UNUSED_PAD src0_sel:WORD_1
	s_nop 0
	v_cndmask_b32_e64 v14, v14, v19, s[4:5]
	v_cmp_lt_f32_e64 s[4:5], 0, v28
	v_mul_f32_e32 v18, 0x37800000, v14
	v_cndmask_b32_e32 v14, v14, v18, vcc
	v_cndmask_b32_e64 v15, v15, v24, s[4:5]
	v_mul_f32_e32 v19, 0x37800000, v15
	v_cmp_class_f32_e32 vcc, v0, v11
	v_cndmask_b32_e64 v18, v15, v19, s[2:3]
	v_cmp_lt_f16_e64 s[2:3], s15, v1
	v_cndmask_b32_e32 v15, v14, v0, vcc
	v_cmp_class_f32_e32 vcc, v13, v11
	v_sub_f32_e32 v0, v17, v23
	v_cvt_f32_f16_e32 v19, v2
	v_cndmask_b32_e32 v14, v18, v13, vcc
	v_mul_f32_e32 v13, 0x3f317217, v16
	v_fma_f32 v13, v16, s19, -v13
	v_fmac_f32_e32 v13, 0x3377d1cf, v16
	v_fmac_f32_e32 v13, 0x3f317217, v16
	v_cmp_lt_f32_e64 vcc, |v16|, s20
	s_nop 1
	v_cndmask_b32_e32 v13, v16, v13, vcc
	v_cmp_gt_f16_sdwa vcc, v1, s15 src0_sel:WORD_1 src1_sel:DWORD
	v_cndmask_b32_e64 v16, 0, v7, s[6:7]
	v_sub_f32_e32 v13, v13, v16
	v_cndmask_b32_e32 v0, v0, v22, vcc
	v_mul_f32_e32 v17, 0x4f800000, v0
	v_cmp_gt_f32_e32 vcc, s18, v0
	v_cndmask_b32_e64 v1, v13, v21, s[2:3]
	s_nop 0
	v_cndmask_b32_e32 v0, v0, v17, vcc
	v_sqrt_f32_e32 v17, v0
	s_nop 0
	v_add_u32_e32 v13, -1, v17
	v_fma_f32 v16, -v13, v17, v0
	v_cmp_ge_f32_e64 s[2:3], 0, v16
	v_add_u32_e32 v16, 1, v17
	s_nop 0
	v_cndmask_b32_e64 v13, v17, v13, s[2:3]
	v_fma_f32 v17, -v16, v17, v0
	v_cmp_lt_f32_e64 s[2:3], 0, v17
	v_mul_f32_e32 v17, 0x4f800000, v1
	s_nop 0
	v_cndmask_b32_e64 v13, v13, v16, s[2:3]
	v_cmp_gt_f32_e64 s[2:3], s18, v1
	v_mul_f32_e32 v16, 0x37800000, v13
	v_cndmask_b32_e32 v13, v13, v16, vcc
	v_cndmask_b32_e64 v18, v1, v17, s[2:3]
	v_sqrt_f32_e32 v1, v18
	v_cmp_class_f32_e32 vcc, v0, v11
	v_add_u32_e32 v16, 1, v1
	s_nop 0
	v_cndmask_b32_e32 v17, v13, v0, vcc
	v_add_u32_e32 v0, -1, v1
	v_fma_f32 v13, -v0, v1, v18
	v_cmp_ge_f32_e32 vcc, 0, v13
	v_fma_f32 v21, -v16, v1, v18
	s_nop 0
	v_cndmask_b32_e32 v13, v1, v0, vcc
	v_mul_f32_e32 v0, 0x3fb8aa3b, v19
	v_mul_f32_e32 v1, 0x3fb8aa3b, v20
	v_exp_f32_e32 v0, v0
	v_exp_f32_e32 v1, v1
	v_cmp_lt_f32_e32 vcc, 0, v21
	v_pk_add_f32 v[0:1], v[0:1], 1.0 op_sel_hi:[1,0]
	s_nop 0
	v_cndmask_b32_e32 v13, v13, v16, vcc
	v_mul_f32_e32 v16, 0x37800000, v13
	v_cmp_gt_f32_e32 vcc, s21, v1
	v_cndmask_b32_e64 v13, v13, v16, s[2:3]
	v_cmp_class_f32_e64 s[2:3], v18, v11
	v_cndmask_b32_e32 v16, 1.0, v4, vcc
	v_mul_f32_e32 v1, v1, v16
	v_log_f32_e32 v1, v1
	v_cndmask_b32_e64 v16, v13, v18, s[2:3]
	v_cmp_gt_f32_e64 s[2:3], s21, v0
	scratch_store_dwordx4 off, v[14:17], off
	v_mul_f32_e32 v13, 0x3f317217, v1
	v_fma_f32 v13, v1, s19, -v13
	v_cndmask_b32_e64 v14, 1.0, v4, s[2:3]
	v_mul_f32_e32 v0, v0, v14
	v_log_f32_e32 v0, v0
	v_fmac_f32_e32 v13, 0x3377d1cf, v1
	v_fmac_f32_e32 v13, 0x3f317217, v1
	v_cmp_lt_f32_e64 s[4:5], |v1|, s20
	v_cvt_f32_f16_sdwa v17, v3 dst_sel:DWORD dst_unused:UNUSED_PAD src0_sel:WORD_1
	v_mul_f32_e32 v15, 0x3fb8aa3b, v17
	v_cndmask_b32_e64 v1, v1, v13, s[4:5]
	v_cndmask_b32_e32 v13, 0, v7, vcc
	v_sub_f32_e32 v1, v1, v13
	v_mul_f32_e32 v13, 0x3f317217, v0
	v_fma_f32 v13, v0, s19, -v13
	v_fmac_f32_e32 v13, 0x3377d1cf, v0
	v_fmac_f32_e32 v13, 0x3f317217, v0
	v_cmp_lt_f32_e64 vcc, |v0|, s20
	v_exp_f32_e32 v15, v15
	s_nop 0
	v_cndmask_b32_e32 v0, v0, v13, vcc
	v_cmp_gt_f16_sdwa vcc, v2, s15 src0_sel:WORD_1 src1_sel:DWORD
	v_cndmask_b32_e64 v13, 0, v7, s[2:3]
	v_cmp_lt_f16_e64 s[2:3], s15, v2
	v_cndmask_b32_e32 v1, v1, v20, vcc
	v_mul_f32_e32 v14, 0x4f800000, v1
	v_cmp_gt_f32_e32 vcc, s18, v1
	v_sub_f32_e32 v0, v0, v13
	v_cndmask_b32_e64 v0, v0, v19, s[2:3]
	v_cndmask_b32_e32 v1, v1, v14, vcc
	v_sqrt_f32_e32 v14, v1
	s_nop 0
	v_add_u32_e32 v2, -1, v14
	v_fma_f32 v13, -v2, v14, v1
	v_cmp_ge_f32_e64 s[2:3], 0, v13
	v_add_u32_e32 v13, 1, v14
	s_nop 0
	v_cndmask_b32_e64 v2, v14, v2, s[2:3]
	v_fma_f32 v14, -v13, v14, v1
	v_cmp_lt_f32_e64 s[2:3], 0, v14
	v_mul_f32_e32 v14, 0x4f800000, v0
	s_nop 0
	v_cndmask_b32_e64 v2, v2, v13, s[2:3]
	v_cmp_gt_f32_e64 s[2:3], s18, v0
	v_mul_f32_e32 v13, 0x37800000, v2
	v_cndmask_b32_e32 v2, v2, v13, vcc
	v_cndmask_b32_e64 v0, v0, v14, s[2:3]
	v_sqrt_f32_e32 v14, v0
	v_cmp_class_f32_e32 vcc, v1, v11
	v_add_u32_e32 v16, 1, v14
	s_nop 0
	v_cndmask_b32_e32 v1, v2, v1, vcc
	v_add_u32_e32 v2, -1, v14
	v_fma_f32 v13, -v2, v14, v0
	v_cmp_ge_f32_e32 vcc, 0, v13
	v_cvt_f32_f16_e32 v13, v3
	v_fma_f32 v18, -v16, v14, v0
	v_cndmask_b32_e32 v2, v14, v2, vcc
	v_cmp_lt_f32_e32 vcc, 0, v18
	v_mul_f32_e32 v14, 0x3fb8aa3b, v13
	v_exp_f32_e32 v14, v14
	v_cndmask_b32_e32 v2, v2, v16, vcc
	v_mul_f32_e32 v16, 0x37800000, v2
	v_cndmask_b32_e64 v2, v2, v16, s[2:3]
	v_pk_add_f32 v[14:15], v[14:15], 1.0 op_sel_hi:[1,0]
	v_cmp_class_f32_e64 s[2:3], v0, v11
	v_cmp_gt_f32_e32 vcc, s21, v15
	s_nop 0
	v_cndmask_b32_e64 v0, v2, v0, s[2:3]
	v_cndmask_b32_e32 v18, 1.0, v4, vcc
	v_mul_f32_e32 v15, v15, v18
	v_log_f32_e32 v15, v15
	v_cmp_gt_f32_e64 s[2:3], s21, v14
	v_mul_f32_e32 v2, 0x3f317217, v15
	s_nop 0
	v_cndmask_b32_e64 v4, 1.0, v4, s[2:3]
	v_mul_f32_e32 v4, v14, v4
	v_fma_f32 v2, v15, s19, -v2
	v_log_f32_e32 v4, v4
	v_fmac_f32_e32 v2, 0x3377d1cf, v15
	v_fmac_f32_e32 v2, 0x3f317217, v15
	v_cmp_lt_f32_e64 s[4:5], |v15|, s20
	v_cndmask_b32_e32 v14, 0, v7, vcc
	v_cmp_lt_f32_e64 vcc, |v4|, s20
	v_cndmask_b32_e64 v2, v15, v2, s[4:5]
	v_sub_f32_e32 v2, v2, v14
	v_mul_f32_e32 v14, 0x3f317217, v4
	v_fma_f32 v14, v4, s19, -v14
	v_fmac_f32_e32 v14, 0x3377d1cf, v4
	v_fmac_f32_e32 v14, 0x3f317217, v4
	v_cndmask_b32_e32 v4, v4, v14, vcc
	v_cmp_gt_f16_sdwa vcc, v3, s15 src0_sel:WORD_1 src1_sel:DWORD
	v_cndmask_b32_e64 v7, 0, v7, s[2:3]
	v_sub_f32_e32 v4, v4, v7
	v_cndmask_b32_e32 v2, v2, v17, vcc
	v_mul_f32_e32 v14, 0x4f800000, v2
	v_cmp_gt_f32_e32 vcc, s18, v2
	v_cmp_lt_f16_e64 s[2:3], s15, v3
	s_nop 0
	v_cndmask_b32_e32 v2, v2, v14, vcc
	v_sqrt_f32_e32 v14, v2
	v_cndmask_b32_e64 v3, v4, v13, s[2:3]
	v_add_u32_e32 v4, -1, v14
	v_fma_f32 v7, -v4, v14, v2
	v_cmp_ge_f32_e64 s[2:3], 0, v7
	v_add_u32_e32 v7, 1, v14
	v_fma_f32 v13, -v7, v14, v2
	v_cndmask_b32_e64 v4, v14, v4, s[2:3]
	v_cmp_lt_f32_e64 s[2:3], 0, v13
	v_mul_f32_e32 v13, 0x4f800000, v3
	s_nop 0
	v_cndmask_b32_e64 v4, v4, v7, s[2:3]
	v_cmp_gt_f32_e64 s[2:3], s18, v3
	v_mul_f32_e32 v7, 0x37800000, v4
	s_nop 0
	v_cndmask_b32_e64 v13, v3, v13, s[2:3]
	v_sqrt_f32_e32 v14, v13
	v_cndmask_b32_e32 v3, v4, v7, vcc
	v_cmp_class_f32_e32 vcc, v2, v11
	s_nop 1
	v_cndmask_b32_e32 v3, v3, v2, vcc
	v_add_u32_e32 v2, -1, v14
	v_fma_f32 v4, -v2, v14, v13
	v_cmp_ge_f32_e32 vcc, 0, v4
	v_add_u32_e32 v4, 1, v14
	v_fma_f32 v7, -v4, v14, v13
	v_cndmask_b32_e32 v2, v14, v2, vcc
	v_cmp_lt_f32_e32 vcc, 0, v7
	s_nop 1
	v_cndmask_b32_e32 v2, v2, v4, vcc
	v_mul_f32_e32 v4, 0x37800000, v2
	v_cndmask_b32_e64 v2, v2, v4, s[2:3]
	v_cmp_class_f32_e32 vcc, v13, v11
	s_nop 1
	v_cndmask_b32_e32 v2, v2, v13, vcc
	scratch_store_dwordx4 off, v[0:3], off offset:16
	s_and_b64 vcc, exec, s[16:17]
	s_nop 0
	v_lshl_add_u64 v[2:3], v[8:9], 3, s[10:11]
	v_mul_lo_u32 v0, v6, s12
	s_cbranch_vccnz .LBB330_28
; %bb.2:
	s_load_dwordx2 s[4:5], s[0:1], 0x20
	s_cmp_lt_u32 s12, 4
	v_and_b32_e32 v4, 15, v10
	s_cbranch_scc1 .LBB330_21
; %bb.3:
	v_lshlrev_b32_e32 v5, 3, v4
	s_mov_b32 s7, 0
	s_and_b32 s14, s12, 0x7ffffffc
	v_ashrrev_i32_e32 v1, 31, v0
	v_sub_u32_e32 v13, 0, v5
	v_mov_b32_e32 v5, 0
	s_mov_b32 s6, s7
	s_branch .LBB330_5
.LBB330_4:                              ;   in Loop: Header=BB330_5 Depth=1
	s_or_b64 exec, exec, s[10:11]
	s_add_i32 s6, s6, 4
	s_cmp_eq_u32 s6, s14
	s_cbranch_scc1 .LBB330_21
.LBB330_5:                              ; =>This Loop Header: Depth=1
                                        ;     Child Loop BB330_7 Depth 2
                                        ;     Child Loop BB330_11 Depth 2
	;; [unrolled: 1-line block ×4, first 2 shown]
	v_lshl_add_u64 v[6:7], s[6:7], 3, v[2:3]
	global_load_dwordx2 v[8:9], v[6:7], off
	v_add_u32_e32 v10, s6, v0
	v_ashrrev_i32_e32 v11, 31, v10
	v_mov_b32_e32 v14, 0
	s_mov_b64 s[10:11], 0
	s_waitcnt lgkmcnt(0)
	v_lshl_add_u64 v[10:11], v[10:11], 3, s[4:5]
	s_mov_b32 s13, 0
	s_waitcnt vmcnt(0)
	v_ashrrev_i32_e32 v9, 31, v8
	v_add_u32_e32 v15, v13, v8
	s_branch .LBB330_7
.LBB330_6:                              ;   in Loop: Header=BB330_7 Depth=2
	s_or_b64 exec, exec, s[16:17]
	s_add_i32 s15, s13, 1
	s_cmp_gt_u32 s13, 6
	s_cselect_b64 s[2:3], -1, 0
	s_xor_b64 s[16:17], vcc, -1
	s_or_b64 s[2:3], s[16:17], s[2:3]
	s_and_b64 s[2:3], exec, s[2:3]
	v_add_u32_e32 v14, 4, v14
	s_or_b64 s[10:11], s[2:3], s[10:11]
	s_mov_b32 s13, s15
	s_andn2_b64 exec, exec, s[10:11]
	s_cbranch_execz .LBB330_9
.LBB330_7:                              ;   Parent Loop BB330_5 Depth=1
                                        ; =>  This Inner Loop Header: Depth=2
	v_cmp_ne_u32_e32 vcc, s13, v15
	v_cmp_eq_u32_e64 s[2:3], s13, v15
	s_and_saveexec_b64 s[16:17], s[2:3]
	s_cbranch_execz .LBB330_6
; %bb.8:                                ;   in Loop: Header=BB330_7 Depth=2
	scratch_load_dword v16, v14, off
	s_waitcnt vmcnt(0)
	v_add_f32_e32 v5, v5, v16
	global_store_dwordx2 v[10:11], v[8:9], off
	s_branch .LBB330_6
.LBB330_9:                              ;   in Loop: Header=BB330_5 Depth=1
	s_or_b64 exec, exec, s[10:11]
	global_load_dwordx2 v[10:11], v[6:7], off offset:8
	s_ashr_i32 s3, s6, 31
	s_mov_b32 s2, s6
	v_lshl_add_u64 v[8:9], s[2:3], 0, v[0:1]
	v_mov_b32_e32 v14, 0
	s_mov_b32 s13, 0
	v_lshl_add_u64 v[8:9], v[8:9], 3, s[4:5]
	s_mov_b64 s[10:11], 0
	s_waitcnt vmcnt(0)
	v_ashrrev_i32_e32 v11, 31, v10
	v_add_u32_e32 v15, v13, v10
	s_branch .LBB330_11
.LBB330_10:                             ;   in Loop: Header=BB330_11 Depth=2
	s_or_b64 exec, exec, s[16:17]
	s_add_i32 s15, s13, 1
	s_cmp_gt_u32 s13, 6
	s_cselect_b64 s[2:3], -1, 0
	s_xor_b64 s[16:17], vcc, -1
	s_or_b64 s[2:3], s[16:17], s[2:3]
	s_and_b64 s[2:3], exec, s[2:3]
	v_add_u32_e32 v14, 4, v14
	s_or_b64 s[10:11], s[2:3], s[10:11]
	s_mov_b32 s13, s15
	s_andn2_b64 exec, exec, s[10:11]
	s_cbranch_execz .LBB330_13
.LBB330_11:                             ;   Parent Loop BB330_5 Depth=1
                                        ; =>  This Inner Loop Header: Depth=2
	v_cmp_ne_u32_e32 vcc, s13, v15
	v_cmp_eq_u32_e64 s[2:3], s13, v15
	s_and_saveexec_b64 s[16:17], s[2:3]
	s_cbranch_execz .LBB330_10
; %bb.12:                               ;   in Loop: Header=BB330_11 Depth=2
	scratch_load_dword v16, v14, off
	s_waitcnt vmcnt(0)
	v_add_f32_e32 v5, v5, v16
	global_store_dwordx2 v[8:9], v[10:11], off offset:8
	s_branch .LBB330_10
.LBB330_13:                             ;   in Loop: Header=BB330_5 Depth=1
	s_or_b64 exec, exec, s[10:11]
	global_load_dwordx2 v[10:11], v[6:7], off offset:16
	v_mov_b32_e32 v14, 0
	s_mov_b32 s13, 0
	s_mov_b64 s[10:11], 0
	s_waitcnt vmcnt(0)
	v_ashrrev_i32_e32 v11, 31, v10
	v_add_u32_e32 v15, v13, v10
	s_branch .LBB330_15
.LBB330_14:                             ;   in Loop: Header=BB330_15 Depth=2
	s_or_b64 exec, exec, s[16:17]
	s_add_i32 s15, s13, 1
	s_cmp_gt_u32 s13, 6
	s_cselect_b64 s[2:3], -1, 0
	s_xor_b64 s[16:17], vcc, -1
	s_or_b64 s[2:3], s[16:17], s[2:3]
	s_and_b64 s[2:3], exec, s[2:3]
	v_add_u32_e32 v14, 4, v14
	s_or_b64 s[10:11], s[2:3], s[10:11]
	s_mov_b32 s13, s15
	s_andn2_b64 exec, exec, s[10:11]
	s_cbranch_execz .LBB330_17
.LBB330_15:                             ;   Parent Loop BB330_5 Depth=1
                                        ; =>  This Inner Loop Header: Depth=2
	v_cmp_ne_u32_e32 vcc, s13, v15
	v_cmp_eq_u32_e64 s[2:3], s13, v15
	s_and_saveexec_b64 s[16:17], s[2:3]
	s_cbranch_execz .LBB330_14
; %bb.16:                               ;   in Loop: Header=BB330_15 Depth=2
	scratch_load_dword v16, v14, off
	s_waitcnt vmcnt(0)
	v_add_f32_e32 v5, v5, v16
	global_store_dwordx2 v[8:9], v[10:11], off offset:16
	s_branch .LBB330_14
.LBB330_17:                             ;   in Loop: Header=BB330_5 Depth=1
	s_or_b64 exec, exec, s[10:11]
	global_load_dwordx2 v[6:7], v[6:7], off offset:24
	v_mov_b32_e32 v10, 0
	s_mov_b32 s13, 0
	s_mov_b64 s[10:11], 0
	s_waitcnt vmcnt(0)
	v_ashrrev_i32_e32 v7, 31, v6
	v_add_u32_e32 v11, v13, v6
	s_branch .LBB330_19
.LBB330_18:                             ;   in Loop: Header=BB330_19 Depth=2
	s_or_b64 exec, exec, s[16:17]
	s_add_i32 s15, s13, 1
	s_cmp_gt_u32 s13, 6
	s_cselect_b64 s[2:3], -1, 0
	s_xor_b64 s[16:17], vcc, -1
	s_or_b64 s[2:3], s[16:17], s[2:3]
	s_and_b64 s[2:3], exec, s[2:3]
	v_add_u32_e32 v10, 4, v10
	s_or_b64 s[10:11], s[2:3], s[10:11]
	s_mov_b32 s13, s15
	s_andn2_b64 exec, exec, s[10:11]
	s_cbranch_execz .LBB330_4
.LBB330_19:                             ;   Parent Loop BB330_5 Depth=1
                                        ; =>  This Inner Loop Header: Depth=2
	v_cmp_ne_u32_e32 vcc, s13, v11
	v_cmp_eq_u32_e64 s[2:3], s13, v11
	s_and_saveexec_b64 s[16:17], s[2:3]
	s_cbranch_execz .LBB330_18
; %bb.20:                               ;   in Loop: Header=BB330_19 Depth=2
	scratch_load_dword v14, v10, off
	s_waitcnt vmcnt(0)
	v_add_f32_e32 v5, v5, v14
	global_store_dwordx2 v[8:9], v[6:7], off offset:24
	s_branch .LBB330_18
.LBB330_21:
	s_and_b32 s13, s12, 3
	s_cmp_eq_u32 s13, 0
	s_mov_b32 s15, 0
	s_cbranch_scc1 .LBB330_28
; %bb.22:
	v_lshlrev_b32_e32 v1, 3, v4
	v_sub_u32_e32 v1, 0, v1
	s_mov_b32 s16, s15
	s_branch .LBB330_24
.LBB330_23:                             ;   in Loop: Header=BB330_24 Depth=1
	s_or_b64 exec, exec, s[6:7]
	s_add_i32 s14, s14, 1
	s_add_i32 s16, s16, 1
	s_cmp_lg_u32 s16, s13
	s_cbranch_scc0 .LBB330_28
.LBB330_24:                             ; =>This Loop Header: Depth=1
                                        ;     Child Loop BB330_26 Depth 2
	v_lshl_add_u64 v[6:7], s[14:15], 3, v[2:3]
	global_load_dwordx2 v[6:7], v[6:7], off
	v_add_u32_e32 v8, s14, v0
	v_ashrrev_i32_e32 v9, 31, v8
	v_mov_b32_e32 v4, 0
	s_mov_b32 s17, 0
	s_waitcnt lgkmcnt(0)
	v_lshl_add_u64 v[8:9], v[8:9], 3, s[4:5]
	s_mov_b64 s[6:7], 0
	s_waitcnt vmcnt(0)
	v_ashrrev_i32_e32 v7, 31, v6
	v_add_u32_e32 v10, v1, v6
	s_branch .LBB330_26
.LBB330_25:                             ;   in Loop: Header=BB330_26 Depth=2
	s_or_b64 exec, exec, s[10:11]
	s_add_i32 s18, s17, 1
	s_cmp_gt_u32 s17, 6
	s_cselect_b64 s[2:3], -1, 0
	s_xor_b64 s[10:11], vcc, -1
	s_or_b64 s[2:3], s[10:11], s[2:3]
	s_and_b64 s[2:3], exec, s[2:3]
	v_add_u32_e32 v4, 4, v4
	s_or_b64 s[6:7], s[2:3], s[6:7]
	s_mov_b32 s17, s18
	s_andn2_b64 exec, exec, s[6:7]
	s_cbranch_execz .LBB330_23
.LBB330_26:                             ;   Parent Loop BB330_24 Depth=1
                                        ; =>  This Inner Loop Header: Depth=2
	v_cmp_ne_u32_e32 vcc, s17, v10
	v_cmp_eq_u32_e64 s[2:3], s17, v10
	s_and_saveexec_b64 s[10:11], s[2:3]
	s_cbranch_execz .LBB330_25
; %bb.27:                               ;   in Loop: Header=BB330_26 Depth=2
	scratch_load_dword v11, v4, off
	s_waitcnt vmcnt(0)
	v_add_f32_e32 v5, v5, v11
	global_store_dwordx2 v[8:9], v[6:7], off
	s_branch .LBB330_25
.LBB330_28:
	s_waitcnt lgkmcnt(0)
	s_load_dword s4, s[0:1], 0x3c
	s_waitcnt lgkmcnt(0)
	s_bitcmp1_b32 s4, 0
	s_cselect_b64 s[2:3], -1, 0
	s_bitcmp0_b32 s4, 0
	s_cbranch_scc0 .LBB330_32
; %bb.29:
	s_load_dwordx2 s[4:5], s[0:1], 0x40
	s_andn2_b64 vcc, exec, s[2:3]
	s_waitcnt lgkmcnt(0)
	v_cvt_f32_f64_e32 v8, s[4:5]
	s_cbranch_vccz .LBB330_33
.LBB330_30:
	s_andn2_b64 vcc, exec, s[8:9]
	s_cbranch_vccz .LBB330_34
.LBB330_31:
	s_endpgm
.LBB330_32:
	v_mbcnt_lo_u32_b32 v1, -1, 0
	v_mbcnt_hi_u32_b32 v1, -1, v1
	v_and_b32_e32 v4, 0x70, v1
	v_add_u32_e32 v4, 16, v4
	v_xor_b32_e32 v6, 8, v1
	v_cmp_lt_i32_e32 vcc, v6, v4
	v_xor_b32_e32 v7, 4, v1
	s_nop 0
	v_cndmask_b32_e32 v6, v1, v6, vcc
	v_lshlrev_b32_e32 v6, 2, v6
	ds_bpermute_b32 v6, v6, v5
	v_cmp_lt_i32_e32 vcc, v7, v4
	s_waitcnt lgkmcnt(0)
	v_add_f32_e32 v5, v5, v6
	v_cndmask_b32_e32 v6, v1, v7, vcc
	v_lshlrev_b32_e32 v6, 2, v6
	ds_bpermute_b32 v6, v6, v5
	v_xor_b32_e32 v7, 2, v1
	v_cmp_lt_i32_e32 vcc, v7, v4
	s_waitcnt lgkmcnt(0)
	v_add_f32_e32 v5, v5, v6
	v_cndmask_b32_e32 v6, v1, v7, vcc
	v_lshlrev_b32_e32 v6, 2, v6
	ds_bpermute_b32 v6, v6, v5
	v_xor_b32_e32 v7, 1, v1
	v_cmp_lt_i32_e32 vcc, v7, v4
	s_waitcnt lgkmcnt(0)
	v_add_f32_e32 v5, v5, v6
	v_cndmask_b32_e32 v1, v1, v7, vcc
	v_lshlrev_b32_e32 v1, 2, v1
	ds_bpermute_b32 v1, v1, v5
	s_waitcnt lgkmcnt(0)
	v_add_f32_e32 v5, v5, v1
	s_load_dwordx2 s[4:5], s[0:1], 0x40
	s_andn2_b64 vcc, exec, s[2:3]
	s_waitcnt lgkmcnt(0)
	v_cvt_f32_f64_e32 v8, s[4:5]
	s_cbranch_vccnz .LBB330_30
.LBB330_33:
	v_cmp_lt_f32_e32 vcc, 0, v5
	s_nop 1
	v_cndmask_b32_e32 v1, 1.0, v5, vcc
	v_div_scale_f32 v4, s[2:3], v1, v1, v8
	v_rcp_f32_e32 v5, v4
	s_nop 0
	v_fma_f32 v6, -v4, v5, 1.0
	v_fmac_f32_e32 v5, v6, v5
	v_div_scale_f32 v6, vcc, v8, v1, v8
	v_mul_f32_e32 v7, v6, v5
	v_fma_f32 v9, -v4, v7, v6
	v_fmac_f32_e32 v7, v9, v5
	v_fma_f32 v4, -v4, v7, v6
	v_div_fmas_f32 v4, v4, v5, v7
	v_div_fixup_f32 v8, v4, v1, v8
	s_andn2_b64 vcc, exec, s[8:9]
	s_cbranch_vccnz .LBB330_31
.LBB330_34:
	s_load_dwordx2 s[14:15], s[0:1], 0x10
	v_mov_b32_e32 v1, 0
	v_or_b32_e32 v20, 4, v1
	v_or_b32_e32 v18, 8, v1
	;; [unrolled: 1-line block ×3, first 2 shown]
	v_add_u32_e32 v14, 16, v1
	v_add_u32_e32 v11, 20, v1
	;; [unrolled: 1-line block ×4, first 2 shown]
	v_or_b32_e32 v23, 1, v12
	v_or_b32_e32 v22, 2, v12
	v_or_b32_e32 v21, 3, v12
	v_or_b32_e32 v19, 4, v12
	v_or_b32_e32 v17, 5, v12
	v_or_b32_e32 v15, 6, v12
	v_or_b32_e32 v13, 7, v12
	s_cmp_eq_u32 s12, 1
	s_mov_b32 s16, 0
	s_cbranch_scc1 .LBB330_69
; %bb.35:
	v_ashrrev_i32_e32 v1, 31, v0
	s_waitcnt lgkmcnt(0)
	v_lshl_add_u64 v[4:5], v[0:1], 2, s[14:15]
	s_and_b32 s16, s12, 0x7ffffffe
	v_lshl_add_u64 v[4:5], v[4:5], 0, 4
	v_lshl_add_u64 v[6:7], v[2:3], 0, 8
	s_mov_b32 s13, 0
	s_branch .LBB330_37
.LBB330_36:                             ;   in Loop: Header=BB330_37 Depth=1
	s_or_b64 exec, exec, s[0:1]
	s_add_i32 s13, s13, 2
	v_lshl_add_u64 v[4:5], v[4:5], 0, 8
	s_cmp_eq_u32 s16, s13
	v_lshl_add_u64 v[6:7], v[6:7], 0, 16
	s_cbranch_scc1 .LBB330_69
.LBB330_37:                             ; =>This Inner Loop Header: Depth=1
	global_load_dword v24, v[6:7], off offset:-8
	v_mov_b32_e32 v1, 0
	s_waitcnt vmcnt(0)
	v_cmp_eq_u32_e32 vcc, v12, v24
	v_cmp_ne_u32_e64 s[0:1], v12, v24
	s_and_saveexec_b64 s[18:19], s[0:1]
	s_cbranch_execz .LBB330_51
; %bb.38:                               ;   in Loop: Header=BB330_37 Depth=1
	v_cmp_eq_u32_e64 s[0:1], v23, v24
	v_cmp_ne_u32_e64 s[2:3], v23, v24
	v_mov_b32_e32 v1, v20
	s_and_saveexec_b64 s[20:21], s[2:3]
	s_cbranch_execz .LBB330_50
; %bb.39:                               ;   in Loop: Header=BB330_37 Depth=1
	v_cmp_eq_u32_e64 s[2:3], v22, v24
	v_cmp_ne_u32_e64 s[4:5], v22, v24
	v_mov_b32_e32 v1, v18
	s_and_saveexec_b64 s[22:23], s[4:5]
	s_cbranch_execz .LBB330_49
; %bb.40:                               ;   in Loop: Header=BB330_37 Depth=1
	v_cmp_eq_u32_e64 s[4:5], v21, v24
	v_cmp_ne_u32_e64 s[6:7], v21, v24
	v_mov_b32_e32 v1, v16
	s_and_saveexec_b64 s[24:25], s[6:7]
	s_cbranch_execz .LBB330_48
; %bb.41:                               ;   in Loop: Header=BB330_37 Depth=1
	v_cmp_eq_u32_e64 s[6:7], v19, v24
	v_cmp_ne_u32_e64 s[8:9], v19, v24
	v_mov_b32_e32 v1, v14
	s_and_saveexec_b64 s[26:27], s[8:9]
	s_cbranch_execz .LBB330_47
; %bb.42:                               ;   in Loop: Header=BB330_37 Depth=1
	v_cmp_eq_u32_e64 s[8:9], v17, v24
	v_cmp_ne_u32_e64 s[10:11], v17, v24
	v_mov_b32_e32 v1, v11
	s_and_saveexec_b64 s[28:29], s[10:11]
	s_cbranch_execz .LBB330_46
; %bb.43:                               ;   in Loop: Header=BB330_37 Depth=1
	v_cmp_eq_u32_e64 s[30:31], v15, v24
	v_cmp_ne_u32_e64 s[10:11], v15, v24
	v_mov_b32_e32 v1, v9
	s_and_saveexec_b64 s[34:35], s[10:11]
	s_xor_b64 s[34:35], exec, s[34:35]
; %bb.44:                               ;   in Loop: Header=BB330_37 Depth=1
	v_cmp_eq_u32_e64 s[10:11], v13, v24
	s_andn2_b64 s[30:31], s[30:31], exec
	s_and_b64 s[10:11], s[10:11], exec
	s_or_b64 s[30:31], s[30:31], s[10:11]
	v_mov_b32_e32 v1, v10
; %bb.45:                               ;   in Loop: Header=BB330_37 Depth=1
	s_or_b64 exec, exec, s[34:35]
	s_andn2_b64 s[8:9], s[8:9], exec
	s_and_b64 s[10:11], s[30:31], exec
	s_or_b64 s[8:9], s[8:9], s[10:11]
.LBB330_46:                             ;   in Loop: Header=BB330_37 Depth=1
	s_or_b64 exec, exec, s[28:29]
	s_andn2_b64 s[6:7], s[6:7], exec
	s_and_b64 s[8:9], s[8:9], exec
	s_or_b64 s[6:7], s[6:7], s[8:9]
.LBB330_47:                             ;   in Loop: Header=BB330_37 Depth=1
	s_or_b64 exec, exec, s[26:27]
	s_andn2_b64 s[4:5], s[4:5], exec
	s_and_b64 s[6:7], s[6:7], exec
	s_or_b64 s[4:5], s[4:5], s[6:7]
.LBB330_48:                             ;   in Loop: Header=BB330_37 Depth=1
	s_or_b64 exec, exec, s[24:25]
	s_andn2_b64 s[2:3], s[2:3], exec
	s_and_b64 s[4:5], s[4:5], exec
	s_or_b64 s[2:3], s[2:3], s[4:5]
.LBB330_49:                             ;   in Loop: Header=BB330_37 Depth=1
	s_or_b64 exec, exec, s[22:23]
	s_andn2_b64 s[0:1], s[0:1], exec
	s_and_b64 s[2:3], s[2:3], exec
	s_or_b64 s[0:1], s[0:1], s[2:3]
.LBB330_50:                             ;   in Loop: Header=BB330_37 Depth=1
	s_or_b64 exec, exec, s[20:21]
	s_andn2_b64 s[2:3], vcc, exec
	s_and_b64 s[0:1], s[0:1], exec
	s_or_b64 vcc, s[2:3], s[0:1]
.LBB330_51:                             ;   in Loop: Header=BB330_37 Depth=1
	s_or_b64 exec, exec, s[18:19]
	s_and_saveexec_b64 s[0:1], vcc
	s_cbranch_execz .LBB330_53
; %bb.52:                               ;   in Loop: Header=BB330_37 Depth=1
	scratch_load_dword v1, v1, off
	v_add_u32_e32 v24, s13, v0
	v_ashrrev_i32_e32 v25, 31, v24
	v_lshl_add_u64 v[24:25], v[24:25], 2, s[14:15]
	s_waitcnt vmcnt(0)
	v_mul_f32_e32 v1, v8, v1
	global_store_dword v[24:25], v1, off
.LBB330_53:                             ;   in Loop: Header=BB330_37 Depth=1
	s_or_b64 exec, exec, s[0:1]
	global_load_dword v24, v[6:7], off
	v_mov_b32_e32 v1, 0
	s_waitcnt vmcnt(0)
	v_cmp_eq_u32_e64 s[8:9], v12, v24
	v_cmp_ne_u32_e32 vcc, v12, v24
	s_and_saveexec_b64 s[10:11], vcc
	s_cbranch_execz .LBB330_67
; %bb.54:                               ;   in Loop: Header=BB330_37 Depth=1
	v_cmp_eq_u32_e32 vcc, v23, v24
	v_cmp_ne_u32_e64 s[0:1], v23, v24
	v_mov_b32_e32 v1, v20
	s_and_saveexec_b64 s[18:19], s[0:1]
	s_cbranch_execz .LBB330_66
; %bb.55:                               ;   in Loop: Header=BB330_37 Depth=1
	v_cmp_eq_u32_e64 s[0:1], v22, v24
	v_cmp_ne_u32_e64 s[2:3], v22, v24
	v_mov_b32_e32 v1, v18
	s_and_saveexec_b64 s[20:21], s[2:3]
	s_cbranch_execz .LBB330_65
; %bb.56:                               ;   in Loop: Header=BB330_37 Depth=1
	v_cmp_eq_u32_e64 s[2:3], v21, v24
	v_cmp_ne_u32_e64 s[4:5], v21, v24
	v_mov_b32_e32 v1, v16
	s_and_saveexec_b64 s[22:23], s[4:5]
	s_cbranch_execz .LBB330_64
; %bb.57:                               ;   in Loop: Header=BB330_37 Depth=1
	v_cmp_eq_u32_e64 s[4:5], v19, v24
	v_cmp_ne_u32_e64 s[6:7], v19, v24
	v_mov_b32_e32 v1, v14
	s_and_saveexec_b64 s[24:25], s[6:7]
	s_cbranch_execz .LBB330_63
; %bb.58:                               ;   in Loop: Header=BB330_37 Depth=1
	v_cmp_eq_u32_e64 s[26:27], v17, v24
	v_cmp_ne_u32_e64 s[6:7], v17, v24
	v_mov_b32_e32 v1, v11
	s_and_saveexec_b64 s[28:29], s[6:7]
	s_cbranch_execz .LBB330_62
; %bb.59:                               ;   in Loop: Header=BB330_37 Depth=1
	v_cmp_eq_u32_e64 s[30:31], v15, v24
	v_cmp_ne_u32_e64 s[6:7], v15, v24
	v_mov_b32_e32 v1, v9
	s_and_saveexec_b64 s[34:35], s[6:7]
; %bb.60:                               ;   in Loop: Header=BB330_37 Depth=1
	v_cmp_eq_u32_e64 s[6:7], v13, v24
	s_andn2_b64 s[30:31], s[30:31], exec
	s_and_b64 s[6:7], s[6:7], exec
	s_or_b64 s[30:31], s[30:31], s[6:7]
	v_mov_b32_e32 v1, v10
; %bb.61:                               ;   in Loop: Header=BB330_37 Depth=1
	s_or_b64 exec, exec, s[34:35]
	s_andn2_b64 s[6:7], s[26:27], exec
	s_and_b64 s[26:27], s[30:31], exec
	s_or_b64 s[26:27], s[6:7], s[26:27]
.LBB330_62:                             ;   in Loop: Header=BB330_37 Depth=1
	s_or_b64 exec, exec, s[28:29]
	s_andn2_b64 s[4:5], s[4:5], exec
	s_and_b64 s[6:7], s[26:27], exec
	s_or_b64 s[4:5], s[4:5], s[6:7]
.LBB330_63:                             ;   in Loop: Header=BB330_37 Depth=1
	s_or_b64 exec, exec, s[24:25]
	s_andn2_b64 s[2:3], s[2:3], exec
	s_and_b64 s[4:5], s[4:5], exec
	s_or_b64 s[2:3], s[2:3], s[4:5]
.LBB330_64:                             ;   in Loop: Header=BB330_37 Depth=1
	s_or_b64 exec, exec, s[22:23]
	s_andn2_b64 s[0:1], s[0:1], exec
	s_and_b64 s[2:3], s[2:3], exec
	s_or_b64 s[0:1], s[0:1], s[2:3]
.LBB330_65:                             ;   in Loop: Header=BB330_37 Depth=1
	s_or_b64 exec, exec, s[20:21]
	s_andn2_b64 s[2:3], vcc, exec
	s_and_b64 s[0:1], s[0:1], exec
	s_or_b64 vcc, s[2:3], s[0:1]
.LBB330_66:                             ;   in Loop: Header=BB330_37 Depth=1
	s_or_b64 exec, exec, s[18:19]
	s_andn2_b64 s[0:1], s[8:9], exec
	s_and_b64 s[2:3], vcc, exec
	s_or_b64 s[8:9], s[0:1], s[2:3]
.LBB330_67:                             ;   in Loop: Header=BB330_37 Depth=1
	s_or_b64 exec, exec, s[10:11]
	s_and_saveexec_b64 s[0:1], s[8:9]
	s_cbranch_execz .LBB330_36
; %bb.68:                               ;   in Loop: Header=BB330_37 Depth=1
	scratch_load_dword v1, v1, off
	s_waitcnt vmcnt(0)
	v_mul_f32_e32 v1, v8, v1
	global_store_dword v[4:5], v1, off
	s_branch .LBB330_36
.LBB330_69:
	s_bitcmp0_b32 s12, 0
	s_mov_b32 s17, 0
	s_cbranch_scc1 .LBB330_31
; %bb.70:
	v_lshl_add_u64 v[2:3], s[16:17], 3, v[2:3]
	global_load_dword v1, v[2:3], off
	v_mov_b32_e32 v2, 0
	s_waitcnt vmcnt(0)
	v_cmp_eq_u32_e64 s[8:9], v12, v1
	v_cmp_ne_u32_e32 vcc, v12, v1
	s_and_saveexec_b64 s[10:11], vcc
	s_cbranch_execz .LBB330_84
; %bb.71:
	v_cmp_eq_u32_e32 vcc, v23, v1
	v_cmp_ne_u32_e64 s[0:1], v23, v1
	s_and_saveexec_b64 s[12:13], s[0:1]
	s_cbranch_execz .LBB330_83
; %bb.72:
	v_cmp_eq_u32_e64 s[0:1], v22, v1
	v_cmp_ne_u32_e64 s[2:3], v22, v1
	s_and_saveexec_b64 s[18:19], s[2:3]
	s_cbranch_execz .LBB330_82
; %bb.73:
	v_cmp_eq_u32_e64 s[2:3], v21, v1
	;; [unrolled: 5-line block ×5, first 2 shown]
	v_cmp_ne_u32_e64 s[6:7], v15, v1
	s_and_saveexec_b64 s[30:31], s[6:7]
; %bb.77:
	v_cmp_eq_u32_e64 s[6:7], v13, v1
	s_andn2_b64 s[28:29], s[28:29], exec
	s_and_b64 s[6:7], s[6:7], exec
	s_or_b64 s[28:29], s[28:29], s[6:7]
	v_mov_b32_e32 v9, v10
; %bb.78:
	s_or_b64 exec, exec, s[30:31]
	s_andn2_b64 s[6:7], s[24:25], exec
	s_and_b64 s[24:25], s[28:29], exec
	s_or_b64 s[24:25], s[6:7], s[24:25]
	v_mov_b32_e32 v11, v9
.LBB330_79:
	s_or_b64 exec, exec, s[26:27]
	s_andn2_b64 s[4:5], s[4:5], exec
	s_and_b64 s[6:7], s[24:25], exec
	s_or_b64 s[4:5], s[4:5], s[6:7]
	v_mov_b32_e32 v14, v11
.LBB330_80:
	s_or_b64 exec, exec, s[22:23]
	s_andn2_b64 s[2:3], s[2:3], exec
	s_and_b64 s[4:5], s[4:5], exec
	s_or_b64 s[2:3], s[2:3], s[4:5]
	v_mov_b32_e32 v16, v14
.LBB330_81:
	s_or_b64 exec, exec, s[20:21]
	s_andn2_b64 s[0:1], s[0:1], exec
	s_and_b64 s[2:3], s[2:3], exec
	s_or_b64 s[0:1], s[0:1], s[2:3]
	v_mov_b32_e32 v18, v16
.LBB330_82:
	s_or_b64 exec, exec, s[18:19]
	s_andn2_b64 s[2:3], vcc, exec
	s_and_b64 s[0:1], s[0:1], exec
	s_or_b64 vcc, s[2:3], s[0:1]
	v_mov_b32_e32 v20, v18
.LBB330_83:
	s_or_b64 exec, exec, s[12:13]
	s_andn2_b64 s[0:1], s[8:9], exec
	s_and_b64 s[2:3], vcc, exec
	s_or_b64 s[8:9], s[0:1], s[2:3]
	v_mov_b32_e32 v2, v20
.LBB330_84:
	s_or_b64 exec, exec, s[10:11]
	s_and_b64 exec, exec, s[8:9]
	s_cbranch_execz .LBB330_31
; %bb.85:
	scratch_load_dword v2, v2, off
	v_add_u32_e32 v0, s16, v0
	v_ashrrev_i32_e32 v1, 31, v0
	s_waitcnt lgkmcnt(0)
	v_lshl_add_u64 v[0:1], v[0:1], 2, s[14:15]
	s_waitcnt vmcnt(0)
	v_mul_f32_e32 v2, v8, v2
	global_store_dword v[0:1], v2, off
	s_endpgm
	.section	.rodata,"a",@progbits
	.p2align	6, 0x0
	.amdhsa_kernel _ZN4vllm3moe22topkGatingSoftplusSqrtILi8ELi128ELi4ELi16ELi32ELb1El6__halfEEvPKT6_PKbPfiPT5_PiiiibdPKfPKS9_SF_
		.amdhsa_group_segment_fixed_size 0
		.amdhsa_private_segment_fixed_size 48
		.amdhsa_kernarg_size 96
		.amdhsa_user_sgpr_count 2
		.amdhsa_user_sgpr_dispatch_ptr 0
		.amdhsa_user_sgpr_queue_ptr 0
		.amdhsa_user_sgpr_kernarg_segment_ptr 1
		.amdhsa_user_sgpr_dispatch_id 0
		.amdhsa_user_sgpr_kernarg_preload_length 0
		.amdhsa_user_sgpr_kernarg_preload_offset 0
		.amdhsa_user_sgpr_private_segment_size 0
		.amdhsa_uses_dynamic_stack 0
		.amdhsa_enable_private_segment 1
		.amdhsa_system_sgpr_workgroup_id_x 1
		.amdhsa_system_sgpr_workgroup_id_y 0
		.amdhsa_system_sgpr_workgroup_id_z 0
		.amdhsa_system_sgpr_workgroup_info 0
		.amdhsa_system_vgpr_workitem_id 1
		.amdhsa_next_free_vgpr 29
		.amdhsa_next_free_sgpr 36
		.amdhsa_accum_offset 32
		.amdhsa_reserve_vcc 1
		.amdhsa_float_round_mode_32 0
		.amdhsa_float_round_mode_16_64 0
		.amdhsa_float_denorm_mode_32 3
		.amdhsa_float_denorm_mode_16_64 3
		.amdhsa_dx10_clamp 1
		.amdhsa_ieee_mode 1
		.amdhsa_fp16_overflow 0
		.amdhsa_tg_split 0
		.amdhsa_exception_fp_ieee_invalid_op 0
		.amdhsa_exception_fp_denorm_src 0
		.amdhsa_exception_fp_ieee_div_zero 0
		.amdhsa_exception_fp_ieee_overflow 0
		.amdhsa_exception_fp_ieee_underflow 0
		.amdhsa_exception_fp_ieee_inexact 0
		.amdhsa_exception_int_div_zero 0
	.end_amdhsa_kernel
	.section	.text._ZN4vllm3moe22topkGatingSoftplusSqrtILi8ELi128ELi4ELi16ELi32ELb1El6__halfEEvPKT6_PKbPfiPT5_PiiiibdPKfPKS9_SF_,"axG",@progbits,_ZN4vllm3moe22topkGatingSoftplusSqrtILi8ELi128ELi4ELi16ELi32ELb1El6__halfEEvPKT6_PKbPfiPT5_PiiiibdPKfPKS9_SF_,comdat
.Lfunc_end330:
	.size	_ZN4vllm3moe22topkGatingSoftplusSqrtILi8ELi128ELi4ELi16ELi32ELb1El6__halfEEvPKT6_PKbPfiPT5_PiiiibdPKfPKS9_SF_, .Lfunc_end330-_ZN4vllm3moe22topkGatingSoftplusSqrtILi8ELi128ELi4ELi16ELi32ELb1El6__halfEEvPKT6_PKbPfiPT5_PiiiibdPKfPKS9_SF_
                                        ; -- End function
	.section	.AMDGPU.csdata,"",@progbits
; Kernel info:
; codeLenInByte = 4620
; NumSgprs: 42
; NumVgprs: 29
; NumAgprs: 0
; TotalNumVgprs: 29
; ScratchSize: 48
; MemoryBound: 0
; FloatMode: 240
; IeeeMode: 1
; LDSByteSize: 0 bytes/workgroup (compile time only)
; SGPRBlocks: 5
; VGPRBlocks: 3
; NumSGPRsForWavesPerEU: 42
; NumVGPRsForWavesPerEU: 29
; AccumOffset: 32
; Occupancy: 8
; WaveLimiterHint : 1
; COMPUTE_PGM_RSRC2:SCRATCH_EN: 1
; COMPUTE_PGM_RSRC2:USER_SGPR: 2
; COMPUTE_PGM_RSRC2:TRAP_HANDLER: 0
; COMPUTE_PGM_RSRC2:TGID_X_EN: 1
; COMPUTE_PGM_RSRC2:TGID_Y_EN: 0
; COMPUTE_PGM_RSRC2:TGID_Z_EN: 0
; COMPUTE_PGM_RSRC2:TIDIG_COMP_CNT: 1
; COMPUTE_PGM_RSRC3_GFX90A:ACCUM_OFFSET: 7
; COMPUTE_PGM_RSRC3_GFX90A:TG_SPLIT: 0
	.section	.text._ZN4vllm3moe22topkGatingSoftplusSqrtILi8ELi128ELi4ELi16ELi32ELb0El6__halfEEvPKT6_PKbPfiPT5_PiiiibdPKfPKS9_SF_,"axG",@progbits,_ZN4vllm3moe22topkGatingSoftplusSqrtILi8ELi128ELi4ELi16ELi32ELb0El6__halfEEvPKT6_PKbPfiPT5_PiiiibdPKfPKS9_SF_,comdat
	.protected	_ZN4vllm3moe22topkGatingSoftplusSqrtILi8ELi128ELi4ELi16ELi32ELb0El6__halfEEvPKT6_PKbPfiPT5_PiiiibdPKfPKS9_SF_ ; -- Begin function _ZN4vllm3moe22topkGatingSoftplusSqrtILi8ELi128ELi4ELi16ELi32ELb0El6__halfEEvPKT6_PKbPfiPT5_PiiiibdPKfPKS9_SF_
	.globl	_ZN4vllm3moe22topkGatingSoftplusSqrtILi8ELi128ELi4ELi16ELi32ELb0El6__halfEEvPKT6_PKbPfiPT5_PiiiibdPKfPKS9_SF_
	.p2align	8
	.type	_ZN4vllm3moe22topkGatingSoftplusSqrtILi8ELi128ELi4ELi16ELi32ELb0El6__halfEEvPKT6_PKbPfiPT5_PiiiibdPKfPKS9_SF_,@function
_ZN4vllm3moe22topkGatingSoftplusSqrtILi8ELi128ELi4ELi16ELi32ELb0El6__halfEEvPKT6_PKbPfiPT5_PiiiibdPKfPKS9_SF_: ; @_ZN4vllm3moe22topkGatingSoftplusSqrtILi8ELi128ELi4ELi16ELi32ELb0El6__halfEEvPKT6_PKbPfiPT5_PiiiibdPKfPKS9_SF_
; %bb.0:
	s_load_dword s33, s[0:1], 0x18
	v_bfe_u32 v1, v0, 10, 10
	v_and_b32_e32 v0, 0x3ff, v0
	s_lshl_b32 s2, s2, 3
	v_lshlrev_b32_e32 v1, 1, v1
	v_lshrrev_b32_e32 v2, 4, v0
	v_add3_u32 v8, s2, v1, v2
	s_waitcnt lgkmcnt(0)
	v_cmp_gt_i32_e32 vcc, s33, v8
	s_and_saveexec_b64 s[2:3], vcc
	s_cbranch_execz .LBB331_61
; %bb.1:
	s_load_dwordx4 s[4:7], s[0:1], 0x0
	s_load_dwordx2 s[34:35], s[0:1], 0x10
	s_waitcnt lgkmcnt(0)
	s_cmp_eq_u64 s[6:7], 0
	s_cbranch_scc1 .LBB331_3
; %bb.2:
	v_ashrrev_i32_e32 v9, 31, v8
	v_lshl_add_u64 v[2:3], s[6:7], 0, v[8:9]
	global_load_ubyte v1, v[2:3], off
	s_waitcnt vmcnt(0)
	v_and_b32_e32 v1, 1, v1
	v_cmp_eq_u32_e32 vcc, 1, v1
	s_xor_b64 s[2:3], vcc, -1
	s_orn2_b64 s[36:37], s[2:3], exec
	s_branch .LBB331_4
.LBB331_3:
	s_mov_b64 s[36:37], -1
.LBB331_4:
	v_lshlrev_b32_e32 v4, 7, v8
	v_mov_b32_e32 v2, s4
	v_mov_b32_e32 v3, s5
	v_ashrrev_i32_e32 v5, 31, v4
	v_and_b32_e32 v9, 15, v0
	v_lshl_add_u64 v[2:3], v[4:5], 1, v[2:3]
	v_mov_b32_e32 v1, 0
	v_lshlrev_b32_e32 v0, 4, v9
	v_lshl_add_u64 v[0:1], v[2:3], 0, v[0:1]
	global_load_dwordx4 v[4:7], v[0:1], off
	s_mov_b32 s12, 0x800000
	v_mov_b32_e32 v2, 0x4f800000
	s_mov_b32 s9, 0x3f317217
	s_mov_b32 s10, 0x7f800000
	v_mov_b32_e32 v3, 0x41b17218
	s_movk_i32 s8, 0x4d00
	s_mov_b32 s11, 0xf800000
	s_load_dwordx4 s[20:23], s[0:1], 0x40
	v_lshlrev_b32_e32 v12, 3, v9
	s_waitcnt lgkmcnt(0)
	s_cmp_lg_u64 s[22:23], 0
	s_cselect_b64 s[6:7], -1, 0
	s_and_b64 s[2:3], exec, s[6:7]
	s_waitcnt vmcnt(0)
	v_cvt_f32_f16_e32 v0, v4
	v_mul_f32_e32 v1, 0x3fb8aa3b, v0
	v_exp_f32_e32 v10, v1
	v_mov_b32_e32 v1, 0x260
	v_add_f32_e32 v10, 1.0, v10
	v_cmp_gt_f32_e32 vcc, s12, v10
	s_nop 1
	v_cndmask_b32_e32 v11, 1.0, v2, vcc
	v_mul_f32_e32 v10, v10, v11
	v_log_f32_e32 v11, v10
	v_cndmask_b32_e32 v13, 0, v3, vcc
	v_lshlrev_b32_e32 v10, 2, v12
	v_mul_f32_e32 v14, 0x3f317217, v11
	v_fma_f32 v14, v11, s9, -v14
	v_fmac_f32_e32 v14, 0x3377d1cf, v11
	v_fmac_f32_e32 v14, 0x3f317217, v11
	v_cmp_lt_f32_e64 vcc, |v11|, s10
	s_nop 1
	v_cndmask_b32_e32 v11, v11, v14, vcc
	v_sub_f32_e32 v11, v11, v13
	v_cmp_lt_f16_e32 vcc, s8, v4
	s_nop 1
	v_cndmask_b32_e32 v0, v11, v0, vcc
	v_mul_f32_e32 v11, 0x4f800000, v0
	v_cmp_gt_f32_e32 vcc, s11, v0
	s_nop 1
	v_cndmask_b32_e32 v0, v0, v11, vcc
	v_sqrt_f32_e32 v11, v0
	s_nop 0
	v_add_u32_e32 v13, -1, v11
	v_add_u32_e32 v14, 1, v11
	v_fma_f32 v15, -v13, v11, v0
	v_fma_f32 v16, -v14, v11, v0
	v_cmp_ge_f32_e64 s[4:5], 0, v15
	s_nop 1
	v_cndmask_b32_e64 v11, v11, v13, s[4:5]
	v_cmp_lt_f32_e64 s[4:5], 0, v16
	s_nop 1
	v_cndmask_b32_e64 v11, v11, v14, s[4:5]
	v_mul_f32_e32 v13, 0x37800000, v11
	v_cndmask_b32_e32 v11, v11, v13, vcc
	v_cmp_class_f32_e32 vcc, v0, v1
	s_nop 1
	v_cndmask_b32_e32 v0, v11, v0, vcc
	s_mov_b64 vcc, s[2:3]
	s_cbranch_vccz .LBB331_6
; %bb.5:
	global_load_dword v11, v10, s[22:23]
	s_waitcnt vmcnt(0)
	v_add_f32_e32 v0, v0, v11
.LBB331_6:
	v_cvt_f32_f16_sdwa v11, v4 dst_sel:DWORD dst_unused:UNUSED_PAD src0_sel:WORD_1
	v_mul_f32_e32 v13, 0x3fb8aa3b, v11
	v_exp_f32_e32 v13, v13
	s_nop 0
	v_add_f32_e32 v13, 1.0, v13
	v_cmp_gt_f32_e32 vcc, s12, v13
	s_nop 1
	v_cndmask_b32_e32 v2, 1.0, v2, vcc
	v_mul_f32_e32 v2, v13, v2
	v_log_f32_e32 v2, v2
	v_cndmask_b32_e32 v3, 0, v3, vcc
	v_mul_f32_e32 v13, 0x3f317217, v2
	v_fma_f32 v13, v2, s9, -v13
	v_fmac_f32_e32 v13, 0x3377d1cf, v2
	v_fmac_f32_e32 v13, 0x3f317217, v2
	v_cmp_lt_f32_e64 vcc, |v2|, s10
	s_nop 1
	v_cndmask_b32_e32 v2, v2, v13, vcc
	v_sub_f32_e32 v2, v2, v3
	v_cmp_gt_f16_sdwa vcc, v4, s8 src0_sel:WORD_1 src1_sel:DWORD
	v_cndmask_b32_e64 v4, 0, 1, s[6:7]
	v_cmp_ne_u32_e64 s[2:3], 1, v4
	v_cndmask_b32_e32 v2, v2, v11, vcc
	v_mul_f32_e32 v3, 0x4f800000, v2
	v_cmp_gt_f32_e64 s[4:5], s11, v2
	s_andn2_b64 vcc, exec, s[6:7]
	s_nop 0
	v_cndmask_b32_e64 v2, v2, v3, s[4:5]
	v_sqrt_f32_e32 v3, v2
	s_nop 0
	v_add_u32_e32 v4, -1, v3
	v_add_u32_e32 v11, 1, v3
	v_fma_f32 v13, -v4, v3, v2
	v_fma_f32 v14, -v11, v3, v2
	v_cmp_ge_f32_e64 s[6:7], 0, v13
	s_nop 1
	v_cndmask_b32_e64 v3, v3, v4, s[6:7]
	v_cmp_lt_f32_e64 s[6:7], 0, v14
	s_nop 1
	v_cndmask_b32_e64 v3, v3, v11, s[6:7]
	v_mul_f32_e32 v4, 0x37800000, v3
	v_cndmask_b32_e64 v3, v3, v4, s[4:5]
	v_cmp_class_f32_e64 s[4:5], v2, v1
	s_nop 1
	v_cndmask_b32_e64 v1, v3, v2, s[4:5]
	s_cbranch_vccnz .LBB331_8
; %bb.7:
	global_load_dword v2, v10, s[22:23] offset:4
	s_waitcnt vmcnt(0)
	v_add_f32_e32 v1, v1, v2
.LBB331_8:
	v_cvt_f32_f16_e32 v2, v5
	s_mov_b32 s8, 0x800000
	v_mov_b32_e32 v4, 0x4f800000
	s_mov_b32 s7, 0x3f317217
	v_mul_f32_e32 v3, 0x3fb8aa3b, v2
	v_exp_f32_e32 v3, v3
	s_mov_b32 s9, 0x7f800000
	s_movk_i32 s6, 0x4d00
	s_mov_b32 s10, 0xf800000
	v_add_f32_e32 v3, 1.0, v3
	v_cmp_gt_f32_e32 vcc, s8, v3
	s_nop 1
	v_cndmask_b32_e32 v11, 1.0, v4, vcc
	v_mul_f32_e32 v3, v3, v11
	v_log_f32_e32 v3, v3
	v_mov_b32_e32 v11, 0x41b17218
	v_cndmask_b32_e32 v13, 0, v11, vcc
	v_mul_f32_e32 v14, 0x3f317217, v3
	v_fma_f32 v14, v3, s7, -v14
	v_fmac_f32_e32 v14, 0x3377d1cf, v3
	v_fmac_f32_e32 v14, 0x3f317217, v3
	v_cmp_lt_f32_e64 vcc, |v3|, s9
	s_nop 1
	v_cndmask_b32_e32 v3, v3, v14, vcc
	v_sub_f32_e32 v3, v3, v13
	v_cmp_lt_f16_e32 vcc, s6, v5
	s_nop 1
	v_cndmask_b32_e32 v2, v3, v2, vcc
	v_mul_f32_e32 v3, 0x4f800000, v2
	v_cmp_gt_f32_e32 vcc, s10, v2
	s_nop 1
	v_cndmask_b32_e32 v2, v2, v3, vcc
	v_sqrt_f32_e32 v3, v2
	s_nop 0
	v_add_u32_e32 v13, -1, v3
	v_fma_f32 v14, -v13, v3, v2
	v_cmp_ge_f32_e64 s[4:5], 0, v14
	v_add_u32_e32 v14, 1, v3
	s_nop 0
	v_cndmask_b32_e64 v13, v3, v13, s[4:5]
	v_fma_f32 v3, -v14, v3, v2
	v_cmp_lt_f32_e64 s[4:5], 0, v3
	s_nop 1
	v_cndmask_b32_e64 v3, v13, v14, s[4:5]
	v_mul_f32_e32 v13, 0x37800000, v3
	v_cndmask_b32_e32 v13, v3, v13, vcc
	v_mov_b32_e32 v3, 0x260
	v_cmp_class_f32_e64 s[4:5], v2, v3
	s_and_b64 vcc, exec, s[2:3]
	s_nop 0
	v_cndmask_b32_e64 v2, v13, v2, s[4:5]
	s_cbranch_vccnz .LBB331_10
; %bb.9:
	global_load_dword v13, v10, s[22:23] offset:8
	s_waitcnt vmcnt(0)
	v_add_f32_e32 v2, v2, v13
.LBB331_10:
	v_cvt_f32_f16_sdwa v13, v5 dst_sel:DWORD dst_unused:UNUSED_PAD src0_sel:WORD_1
	v_mul_f32_e32 v14, 0x3fb8aa3b, v13
	v_exp_f32_e32 v14, v14
	s_nop 0
	v_add_f32_e32 v14, 1.0, v14
	v_cmp_gt_f32_e32 vcc, s8, v14
	s_nop 1
	v_cndmask_b32_e32 v4, 1.0, v4, vcc
	v_mul_f32_e32 v4, v14, v4
	v_log_f32_e32 v4, v4
	v_cndmask_b32_e32 v11, 0, v11, vcc
	v_mul_f32_e32 v14, 0x3f317217, v4
	v_fma_f32 v14, v4, s7, -v14
	v_fmac_f32_e32 v14, 0x3377d1cf, v4
	v_fmac_f32_e32 v14, 0x3f317217, v4
	v_cmp_lt_f32_e64 vcc, |v4|, s9
	s_nop 1
	v_cndmask_b32_e32 v4, v4, v14, vcc
	v_sub_f32_e32 v4, v4, v11
	v_cmp_gt_f16_sdwa vcc, v5, s6 src0_sel:WORD_1 src1_sel:DWORD
	s_nop 1
	v_cndmask_b32_e32 v4, v4, v13, vcc
	v_mul_f32_e32 v5, 0x4f800000, v4
	v_cmp_gt_f32_e64 s[4:5], s10, v4
	s_and_b64 vcc, exec, s[2:3]
	s_nop 0
	v_cndmask_b32_e64 v4, v4, v5, s[4:5]
	v_sqrt_f32_e32 v5, v4
	s_nop 0
	v_add_u32_e32 v11, -1, v5
	v_add_u32_e32 v13, 1, v5
	v_fma_f32 v14, -v11, v5, v4
	v_fma_f32 v15, -v13, v5, v4
	v_cmp_ge_f32_e64 s[6:7], 0, v14
	s_nop 1
	v_cndmask_b32_e64 v5, v5, v11, s[6:7]
	v_cmp_lt_f32_e64 s[6:7], 0, v15
	s_nop 1
	v_cndmask_b32_e64 v5, v5, v13, s[6:7]
	v_mul_f32_e32 v11, 0x37800000, v5
	v_cndmask_b32_e64 v5, v5, v11, s[4:5]
	v_cmp_class_f32_e64 s[4:5], v4, v3
	s_nop 1
	v_cndmask_b32_e64 v3, v5, v4, s[4:5]
	s_cbranch_vccnz .LBB331_12
; %bb.11:
	global_load_dword v4, v10, s[22:23] offset:12
	s_waitcnt vmcnt(0)
	v_add_f32_e32 v3, v3, v4
.LBB331_12:
	v_cvt_f32_f16_e32 v4, v6
	v_mov_b32_e32 v11, 0x4f800000
	s_mov_b32 s7, 0x3f317217
	s_movk_i32 s6, 0x4d00
	v_mul_f32_e32 v5, 0x3fb8aa3b, v4
	v_exp_f32_e32 v5, v5
	s_nop 0
	v_add_f32_e32 v5, 1.0, v5
	v_cmp_gt_f32_e32 vcc, s8, v5
	s_nop 1
	v_cndmask_b32_e32 v13, 1.0, v11, vcc
	v_mul_f32_e32 v5, v5, v13
	v_log_f32_e32 v5, v5
	v_mov_b32_e32 v13, 0x41b17218
	v_cndmask_b32_e32 v14, 0, v13, vcc
	v_mul_f32_e32 v15, 0x3f317217, v5
	v_fma_f32 v15, v5, s7, -v15
	v_fmac_f32_e32 v15, 0x3377d1cf, v5
	v_fmac_f32_e32 v15, 0x3f317217, v5
	v_cmp_lt_f32_e64 vcc, |v5|, s9
	s_nop 1
	v_cndmask_b32_e32 v5, v5, v15, vcc
	v_sub_f32_e32 v5, v5, v14
	v_cmp_lt_f16_e32 vcc, s6, v6
	s_nop 1
	v_cndmask_b32_e32 v4, v5, v4, vcc
	v_mul_f32_e32 v5, 0x4f800000, v4
	v_cmp_gt_f32_e32 vcc, s10, v4
	s_nop 1
	v_cndmask_b32_e32 v4, v4, v5, vcc
	v_sqrt_f32_e32 v5, v4
	s_nop 0
	v_add_u32_e32 v14, -1, v5
	v_fma_f32 v15, -v14, v5, v4
	v_cmp_ge_f32_e64 s[4:5], 0, v15
	v_add_u32_e32 v15, 1, v5
	s_nop 0
	v_cndmask_b32_e64 v14, v5, v14, s[4:5]
	v_fma_f32 v5, -v15, v5, v4
	v_cmp_lt_f32_e64 s[4:5], 0, v5
	s_nop 1
	v_cndmask_b32_e64 v5, v14, v15, s[4:5]
	v_mul_f32_e32 v14, 0x37800000, v5
	v_cndmask_b32_e32 v14, v5, v14, vcc
	v_mov_b32_e32 v5, 0x260
	v_cmp_class_f32_e64 s[4:5], v4, v5
	s_and_b64 vcc, exec, s[2:3]
	s_nop 0
	v_cndmask_b32_e64 v4, v14, v4, s[4:5]
	s_cbranch_vccnz .LBB331_14
; %bb.13:
	global_load_dword v14, v10, s[22:23] offset:16
	s_waitcnt vmcnt(0)
	v_add_f32_e32 v4, v4, v14
.LBB331_14:
	v_cvt_f32_f16_sdwa v14, v6 dst_sel:DWORD dst_unused:UNUSED_PAD src0_sel:WORD_1
	v_mul_f32_e32 v15, 0x3fb8aa3b, v14
	v_exp_f32_e32 v15, v15
	s_nop 0
	v_add_f32_e32 v15, 1.0, v15
	v_cmp_gt_f32_e32 vcc, s8, v15
	s_nop 1
	v_cndmask_b32_e32 v11, 1.0, v11, vcc
	v_mul_f32_e32 v11, v15, v11
	v_log_f32_e32 v11, v11
	v_cndmask_b32_e32 v13, 0, v13, vcc
	v_mul_f32_e32 v15, 0x3f317217, v11
	v_fma_f32 v15, v11, s7, -v15
	v_fmac_f32_e32 v15, 0x3377d1cf, v11
	v_fmac_f32_e32 v15, 0x3f317217, v11
	v_cmp_lt_f32_e64 vcc, |v11|, s9
	s_nop 1
	v_cndmask_b32_e32 v11, v11, v15, vcc
	v_sub_f32_e32 v11, v11, v13
	v_cmp_gt_f16_sdwa vcc, v6, s6 src0_sel:WORD_1 src1_sel:DWORD
	s_nop 1
	v_cndmask_b32_e32 v6, v11, v14, vcc
	v_mul_f32_e32 v11, 0x4f800000, v6
	v_cmp_gt_f32_e64 s[4:5], s10, v6
	s_and_b64 vcc, exec, s[2:3]
	s_nop 0
	v_cndmask_b32_e64 v6, v6, v11, s[4:5]
	v_sqrt_f32_e32 v11, v6
	s_nop 0
	v_add_u32_e32 v13, -1, v11
	v_add_u32_e32 v14, 1, v11
	v_fma_f32 v15, -v13, v11, v6
	v_fma_f32 v16, -v14, v11, v6
	v_cmp_ge_f32_e64 s[6:7], 0, v15
	s_nop 1
	v_cndmask_b32_e64 v11, v11, v13, s[6:7]
	v_cmp_lt_f32_e64 s[6:7], 0, v16
	s_nop 1
	v_cndmask_b32_e64 v11, v11, v14, s[6:7]
	v_mul_f32_e32 v13, 0x37800000, v11
	v_cndmask_b32_e64 v11, v11, v13, s[4:5]
	v_cmp_class_f32_e64 s[4:5], v6, v5
	s_nop 1
	v_cndmask_b32_e64 v5, v11, v6, s[4:5]
	s_cbranch_vccnz .LBB331_16
; %bb.15:
	global_load_dword v6, v10, s[22:23] offset:20
	s_waitcnt vmcnt(0)
	v_add_f32_e32 v5, v5, v6
.LBB331_16:
	v_cvt_f32_f16_e32 v6, v7
	v_mov_b32_e32 v13, 0x4f800000
	s_mov_b32 s7, 0x3f317217
	s_movk_i32 s6, 0x4d00
	v_mul_f32_e32 v11, 0x3fb8aa3b, v6
	v_exp_f32_e32 v11, v11
	s_nop 0
	v_add_f32_e32 v11, 1.0, v11
	v_cmp_gt_f32_e32 vcc, s8, v11
	s_nop 1
	v_cndmask_b32_e32 v14, 1.0, v13, vcc
	v_mul_f32_e32 v11, v11, v14
	v_log_f32_e32 v11, v11
	v_mov_b32_e32 v14, 0x41b17218
	v_cndmask_b32_e32 v15, 0, v14, vcc
	v_mul_f32_e32 v16, 0x3f317217, v11
	v_fma_f32 v16, v11, s7, -v16
	v_fmac_f32_e32 v16, 0x3377d1cf, v11
	v_fmac_f32_e32 v16, 0x3f317217, v11
	v_cmp_lt_f32_e64 vcc, |v11|, s9
	s_nop 1
	v_cndmask_b32_e32 v11, v11, v16, vcc
	v_sub_f32_e32 v11, v11, v15
	v_cmp_lt_f16_e32 vcc, s6, v7
	s_nop 1
	v_cndmask_b32_e32 v6, v11, v6, vcc
	v_mul_f32_e32 v11, 0x4f800000, v6
	v_cmp_gt_f32_e32 vcc, s10, v6
	s_nop 1
	v_cndmask_b32_e32 v6, v6, v11, vcc
	v_sqrt_f32_e32 v11, v6
	s_nop 0
	v_add_u32_e32 v15, -1, v11
	v_fma_f32 v16, -v15, v11, v6
	v_cmp_ge_f32_e64 s[4:5], 0, v16
	v_add_u32_e32 v16, 1, v11
	s_nop 0
	v_cndmask_b32_e64 v15, v11, v15, s[4:5]
	v_fma_f32 v11, -v16, v11, v6
	v_cmp_lt_f32_e64 s[4:5], 0, v11
	s_nop 1
	v_cndmask_b32_e64 v11, v15, v16, s[4:5]
	v_mul_f32_e32 v15, 0x37800000, v11
	v_cndmask_b32_e32 v15, v11, v15, vcc
	v_mov_b32_e32 v11, 0x260
	v_cmp_class_f32_e64 s[4:5], v6, v11
	s_and_b64 vcc, exec, s[2:3]
	s_nop 0
	v_cndmask_b32_e64 v6, v15, v6, s[4:5]
	s_cbranch_vccnz .LBB331_18
; %bb.17:
	global_load_dword v15, v10, s[22:23] offset:24
	s_waitcnt vmcnt(0)
	v_add_f32_e32 v6, v6, v15
.LBB331_18:
	v_cvt_f32_f16_sdwa v15, v7 dst_sel:DWORD dst_unused:UNUSED_PAD src0_sel:WORD_1
	v_mul_f32_e32 v16, 0x3fb8aa3b, v15
	v_exp_f32_e32 v16, v16
	s_nop 0
	v_add_f32_e32 v16, 1.0, v16
	v_cmp_gt_f32_e32 vcc, s8, v16
	s_nop 1
	v_cndmask_b32_e32 v13, 1.0, v13, vcc
	v_mul_f32_e32 v13, v16, v13
	v_log_f32_e32 v13, v13
	v_cndmask_b32_e32 v14, 0, v14, vcc
	v_mul_f32_e32 v16, 0x3f317217, v13
	v_fma_f32 v16, v13, s7, -v16
	v_fmac_f32_e32 v16, 0x3377d1cf, v13
	v_fmac_f32_e32 v16, 0x3f317217, v13
	v_cmp_lt_f32_e64 vcc, |v13|, s9
	s_nop 1
	v_cndmask_b32_e32 v13, v13, v16, vcc
	v_sub_f32_e32 v13, v13, v14
	v_cmp_gt_f16_sdwa vcc, v7, s6 src0_sel:WORD_1 src1_sel:DWORD
	s_nop 1
	v_cndmask_b32_e32 v7, v13, v15, vcc
	v_mul_f32_e32 v13, 0x4f800000, v7
	v_cmp_gt_f32_e64 s[4:5], s10, v7
	s_and_b64 vcc, exec, s[2:3]
	s_nop 0
	v_cndmask_b32_e64 v7, v7, v13, s[4:5]
	v_sqrt_f32_e32 v13, v7
	s_nop 0
	v_add_u32_e32 v14, -1, v13
	v_add_u32_e32 v15, 1, v13
	v_fma_f32 v16, -v14, v13, v7
	v_fma_f32 v17, -v15, v13, v7
	v_cmp_ge_f32_e64 s[6:7], 0, v16
	s_nop 1
	v_cndmask_b32_e64 v13, v13, v14, s[6:7]
	v_cmp_lt_f32_e64 s[6:7], 0, v17
	s_nop 1
	v_cndmask_b32_e64 v13, v13, v15, s[6:7]
	v_mul_f32_e32 v14, 0x37800000, v13
	v_cndmask_b32_e64 v13, v13, v14, s[4:5]
	v_cmp_class_f32_e64 s[4:5], v7, v11
	s_nop 1
	v_cndmask_b32_e64 v7, v13, v7, s[4:5]
	s_cbranch_vccnz .LBB331_20
; %bb.19:
	global_load_dword v10, v10, s[22:23] offset:28
	s_waitcnt vmcnt(0)
	v_add_f32_e32 v7, v7, v10
.LBB331_20:
	s_load_dwordx4 s[24:27], s[0:1], 0x30
	s_mov_b32 s42, 0
	v_cmp_eq_u32_e64 s[6:7], 0, v9
	s_waitcnt lgkmcnt(0)
	s_bitcmp1_b32 s27, 0
	s_cselect_b64 s[4:5], -1, 0
	s_cmp_gt_i32 s24, 0
	s_cselect_b64 s[38:39], -1, 0
	s_and_b64 vcc, exec, s[38:39]
	s_cbranch_vccz .LBB331_47
; %bb.21:
	v_mbcnt_lo_u32_b32 v10, -1, 0
	v_mbcnt_hi_u32_b32 v10, -1, v10
	v_and_b32_e32 v11, 0x70, v10
	v_add_u32_e32 v11, 16, v11
	v_xor_b32_e32 v13, 8, v10
	v_cmp_lt_i32_e32 vcc, v13, v11
	s_load_dwordx4 s[28:31], s[0:1], 0x20
	v_mul_lo_u32 v14, v8, s24
	v_cndmask_b32_e32 v13, v10, v13, vcc
	v_lshlrev_b32_e32 v15, 2, v13
	v_xor_b32_e32 v13, 4, v10
	v_cmp_lt_i32_e32 vcc, v13, v11
	v_mov_b32_e32 v19, 0x80
	v_mov_b32_e32 v20, 0xc61c4000
	v_cndmask_b32_e32 v13, v10, v13, vcc
	v_lshlrev_b32_e32 v16, 2, v13
	v_xor_b32_e32 v13, 2, v10
	v_cmp_lt_i32_e32 vcc, v13, v11
	v_mov_b32_e32 v21, v8
	s_nop 0
	v_cndmask_b32_e32 v13, v10, v13, vcc
	v_lshlrev_b32_e32 v17, 2, v13
	v_xor_b32_e32 v13, 1, v10
	v_cmp_lt_i32_e32 vcc, v13, v11
	s_nop 1
	v_cndmask_b32_e32 v10, v10, v13, vcc
	v_lshlrev_b32_e32 v18, 2, v10
	v_mov_b32_e32 v13, 0
	s_branch .LBB331_24
.LBB331_22:                             ;   in Loop: Header=BB331_24 Depth=1
	s_or_b64 exec, exec, s[40:41]
.LBB331_23:                             ;   in Loop: Header=BB331_24 Depth=1
	s_cmp_eq_u32 s24, s42
	v_add_u32_e32 v21, s33, v21
	s_cbranch_scc1 .LBB331_48
.LBB331_24:                             ; =>This Inner Loop Header: Depth=1
	v_cmp_gt_f32_e32 vcc, v1, v0
	s_nop 1
	v_cndmask_b32_e32 v11, v0, v1, vcc
	v_cndmask_b32_e64 v10, 0, 1, vcc
	v_cmp_gt_f32_e32 vcc, v2, v11
	s_nop 1
	v_cndmask_b32_e32 v11, v11, v2, vcc
	v_cndmask_b32_e64 v10, v10, 2, vcc
	;; [unrolled: 4-line block ×6, first 2 shown]
	v_cmp_gt_f32_e32 vcc, v7, v11
	s_nop 1
	v_cndmask_b32_e64 v10, v10, 7, vcc
	v_cndmask_b32_e32 v22, v11, v7, vcc
	ds_bpermute_b32 v11, v15, v22
	v_or_b32_e32 v10, v12, v10
	s_waitcnt lgkmcnt(0)
	ds_bpermute_b32 v23, v15, v10
	s_waitcnt lgkmcnt(0)
	v_cmp_lt_f32_e64 s[8:9], v22, v11
	v_cmp_nlt_f32_e32 vcc, v22, v11
	s_and_saveexec_b64 s[10:11], vcc
; %bb.25:                               ;   in Loop: Header=BB331_24 Depth=1
	v_cmp_eq_f32_e32 vcc, v22, v11
	v_cmp_lt_i32_e64 s[0:1], v23, v10
	s_and_b64 s[0:1], vcc, s[0:1]
	s_andn2_b64 s[8:9], s[8:9], exec
	s_and_b64 s[0:1], s[0:1], exec
	s_or_b64 s[8:9], s[8:9], s[0:1]
; %bb.26:                               ;   in Loop: Header=BB331_24 Depth=1
	s_or_b64 exec, exec, s[10:11]
	s_and_saveexec_b64 s[0:1], s[8:9]
; %bb.27:                               ;   in Loop: Header=BB331_24 Depth=1
	v_mov_b32_e32 v22, v11
	v_mov_b32_e32 v10, v23
; %bb.28:                               ;   in Loop: Header=BB331_24 Depth=1
	s_or_b64 exec, exec, s[0:1]
	ds_bpermute_b32 v11, v16, v22
	ds_bpermute_b32 v23, v16, v10
	s_waitcnt lgkmcnt(1)
	v_cmp_lt_f32_e64 s[8:9], v22, v11
	v_cmp_nlt_f32_e32 vcc, v22, v11
	s_and_saveexec_b64 s[10:11], vcc
	s_cbranch_execz .LBB331_30
; %bb.29:                               ;   in Loop: Header=BB331_24 Depth=1
	v_cmp_eq_f32_e32 vcc, v22, v11
	s_waitcnt lgkmcnt(0)
	v_cmp_lt_i32_e64 s[0:1], v23, v10
	s_and_b64 s[0:1], vcc, s[0:1]
	s_andn2_b64 s[8:9], s[8:9], exec
	s_and_b64 s[0:1], s[0:1], exec
	s_or_b64 s[8:9], s[8:9], s[0:1]
.LBB331_30:                             ;   in Loop: Header=BB331_24 Depth=1
	s_or_b64 exec, exec, s[10:11]
	s_and_saveexec_b64 s[0:1], s[8:9]
	s_cbranch_execz .LBB331_32
; %bb.31:                               ;   in Loop: Header=BB331_24 Depth=1
	v_mov_b32_e32 v22, v11
	s_waitcnt lgkmcnt(0)
	v_mov_b32_e32 v10, v23
.LBB331_32:                             ;   in Loop: Header=BB331_24 Depth=1
	s_or_b64 exec, exec, s[0:1]
	ds_bpermute_b32 v11, v17, v22
	s_waitcnt lgkmcnt(1)
	ds_bpermute_b32 v23, v17, v10
	s_waitcnt lgkmcnt(1)
	v_cmp_lt_f32_e64 s[8:9], v22, v11
	v_cmp_nlt_f32_e32 vcc, v22, v11
	s_and_saveexec_b64 s[10:11], vcc
	s_cbranch_execz .LBB331_34
; %bb.33:                               ;   in Loop: Header=BB331_24 Depth=1
	v_cmp_eq_f32_e32 vcc, v22, v11
	s_waitcnt lgkmcnt(0)
	v_cmp_lt_i32_e64 s[0:1], v23, v10
	s_and_b64 s[0:1], vcc, s[0:1]
	s_andn2_b64 s[8:9], s[8:9], exec
	s_and_b64 s[0:1], s[0:1], exec
	s_or_b64 s[8:9], s[8:9], s[0:1]
.LBB331_34:                             ;   in Loop: Header=BB331_24 Depth=1
	s_or_b64 exec, exec, s[10:11]
	s_and_saveexec_b64 s[0:1], s[8:9]
	s_cbranch_execz .LBB331_36
; %bb.35:                               ;   in Loop: Header=BB331_24 Depth=1
	v_mov_b32_e32 v22, v11
	s_waitcnt lgkmcnt(0)
	v_mov_b32_e32 v10, v23
.LBB331_36:                             ;   in Loop: Header=BB331_24 Depth=1
	s_or_b64 exec, exec, s[0:1]
	ds_bpermute_b32 v11, v18, v22
	s_waitcnt lgkmcnt(1)
	ds_bpermute_b32 v23, v18, v10
	s_waitcnt lgkmcnt(1)
	v_cmp_lt_f32_e64 s[8:9], v22, v11
	v_cmp_nlt_f32_e32 vcc, v22, v11
	s_and_saveexec_b64 s[10:11], vcc
	s_cbranch_execnz .LBB331_40
; %bb.37:                               ;   in Loop: Header=BB331_24 Depth=1
	s_or_b64 exec, exec, s[10:11]
	s_and_saveexec_b64 s[0:1], s[8:9]
	s_cbranch_execnz .LBB331_41
.LBB331_38:                             ;   in Loop: Header=BB331_24 Depth=1
	s_or_b64 exec, exec, s[0:1]
	s_and_saveexec_b64 s[8:9], s[6:7]
	s_cbranch_execnz .LBB331_42
.LBB331_39:                             ;   in Loop: Header=BB331_24 Depth=1
	s_or_b64 exec, exec, s[8:9]
	s_add_i32 s42, s42, 1
	s_cmp_ge_i32 s42, s24
	s_cbranch_scc1 .LBB331_23
	s_branch .LBB331_45
.LBB331_40:                             ;   in Loop: Header=BB331_24 Depth=1
	v_cmp_eq_f32_e32 vcc, v22, v11
	s_waitcnt lgkmcnt(0)
	v_cmp_lt_i32_e64 s[0:1], v23, v10
	s_and_b64 s[0:1], vcc, s[0:1]
	s_andn2_b64 s[8:9], s[8:9], exec
	s_and_b64 s[0:1], s[0:1], exec
	s_or_b64 s[8:9], s[8:9], s[0:1]
	s_or_b64 exec, exec, s[10:11]
	s_and_saveexec_b64 s[0:1], s[8:9]
	s_cbranch_execz .LBB331_38
.LBB331_41:                             ;   in Loop: Header=BB331_24 Depth=1
	s_waitcnt lgkmcnt(0)
	v_mov_b32_e32 v10, v23
	v_mov_b32_e32 v22, v11
	s_or_b64 exec, exec, s[0:1]
	s_and_saveexec_b64 s[8:9], s[6:7]
	s_cbranch_execz .LBB331_39
.LBB331_42:                             ;   in Loop: Header=BB331_24 Depth=1
	s_and_b64 vcc, exec, s[2:3]
	s_cbranch_vccnz .LBB331_44
; %bb.43:                               ;   in Loop: Header=BB331_24 Depth=1
	v_ashrrev_i32_e32 v11, 31, v10
	v_lshl_add_u64 v[24:25], v[10:11], 2, s[22:23]
	global_load_dword v11, v[24:25], off
	s_waitcnt vmcnt(0)
	v_sub_f32_e32 v22, v22, v11
.LBB331_44:                             ;   in Loop: Header=BB331_24 Depth=1
	v_add_u32_e32 v24, s42, v14
	v_cmp_le_i32_e32 vcc, s25, v10
	v_cmp_gt_i32_e64 s[0:1], s26, v10
	v_ashrrev_i32_e32 v25, 31, v24
	s_and_b64 s[0:1], vcc, s[0:1]
	v_lshlrev_b64 v[26:27], 2, v[24:25]
	v_subrev_u32_e32 v11, s25, v10
	v_lshl_add_u64 v[28:29], s[34:35], 0, v[26:27]
	s_waitcnt lgkmcnt(0)
	v_ashrrev_i32_e32 v23, 31, v11
	s_and_b64 vcc, s[36:37], s[0:1]
	global_store_dword v[28:29], v22, off
	v_cndmask_b32_e32 v29, 0, v23, vcc
	v_cndmask_b32_e32 v28, v19, v11, vcc
	v_lshl_add_u64 v[24:25], v[24:25], 3, s[28:29]
	v_add_f32_e32 v11, v13, v22
	global_store_dwordx2 v[24:25], v[28:29], off
	v_lshl_add_u64 v[24:25], s[30:31], 0, v[26:27]
	v_cndmask_b32_e64 v13, v13, v11, s[4:5]
	global_store_dword v[24:25], v21, off
	s_or_b64 exec, exec, s[8:9]
	s_add_i32 s42, s42, 1
	s_cmp_ge_i32 s42, s24
	s_cbranch_scc1 .LBB331_23
.LBB331_45:                             ;   in Loop: Header=BB331_24 Depth=1
	v_ashrrev_i32_e32 v22, 31, v10
	v_lshrrev_b32_e32 v11, 29, v22
	v_add_u32_e32 v11, v10, v11
	v_ashrrev_i32_e32 v11, 3, v11
	s_waitcnt lgkmcnt(0)
	v_lshrrev_b32_e32 v23, 28, v11
	v_add_u32_e32 v23, v11, v23
	v_and_b32_e32 v23, -16, v23
	v_sub_u32_e32 v23, v11, v23
	v_cmp_eq_u32_e32 vcc, v9, v23
	s_and_saveexec_b64 s[40:41], vcc
	s_cbranch_execz .LBB331_22
; %bb.46:                               ;   in Loop: Header=BB331_24 Depth=1
	v_lshrrev_b32_e32 v22, 25, v22
	v_add_u32_e32 v22, v10, v22
	v_lshlrev_b32_e32 v11, 3, v11
	v_sub_u32_e32 v10, v10, v11
	v_ashrrev_i32_e32 v11, 7, v22
	v_lshl_add_u32 v10, v11, 3, v10
	v_cmp_ne_u32_e32 vcc, 6, v10
	v_cmp_ne_u32_e64 s[0:1], 5, v10
	v_cmp_ne_u32_e64 s[8:9], 4, v10
	;; [unrolled: 1-line block ×7, first 2 shown]
	v_cndmask_b32_e32 v6, v20, v6, vcc
	v_cndmask_b32_e64 v5, v20, v5, s[0:1]
	v_cndmask_b32_e64 v7, v20, v7, s[18:19]
	;; [unrolled: 1-line block ×7, first 2 shown]
	s_branch .LBB331_22
.LBB331_47:
	v_mov_b32_e32 v13, 0
.LBB331_48:
	v_cmp_eq_u32_e32 vcc, 0, v9
	s_and_b64 exec, exec, vcc
	s_cbranch_execz .LBB331_61
; %bb.49:
	s_andn2_b64 vcc, exec, s[4:5]
	v_cvt_f32_f64_e32 v0, s[20:21]
	s_cbranch_vccnz .LBB331_51
; %bb.50:
	v_cmp_lt_f32_e32 vcc, 0, v13
	s_nop 1
	v_cndmask_b32_e32 v1, 1.0, v13, vcc
	v_div_scale_f32 v2, s[0:1], v1, v1, v0
	v_rcp_f32_e32 v3, v2
	s_nop 0
	v_fma_f32 v4, -v2, v3, 1.0
	v_fmac_f32_e32 v3, v4, v3
	v_div_scale_f32 v4, vcc, v0, v1, v0
	v_mul_f32_e32 v5, v4, v3
	v_fma_f32 v6, -v2, v5, v4
	v_fmac_f32_e32 v5, v6, v3
	v_fma_f32 v2, -v2, v5, v4
	v_div_fmas_f32 v2, v2, v3, v5
	v_div_fixup_f32 v0, v2, v1, v0
.LBB331_51:
	s_andn2_b64 vcc, exec, s[38:39]
	s_cbranch_vccnz .LBB331_61
; %bb.52:
	v_mul_lo_u32 v2, v8, s24
	s_cmp_gt_u32 s24, 3
	v_ashrrev_i32_e32 v3, 31, v2
	s_cbranch_scc0 .LBB331_56
; %bb.53:
	s_and_b32 s0, s24, 0x7ffffffc
	v_lshl_add_u64 v[4:5], v[2:3], 2, s[34:35]
	v_mov_b32_e32 v1, v0
	v_lshl_add_u64 v[4:5], v[4:5], 0, 8
	s_mov_b32 s1, s0
.LBB331_54:                             ; =>This Inner Loop Header: Depth=1
	global_load_dwordx4 v[6:9], v[4:5], off offset:-8
	s_add_i32 s1, s1, -4
	s_cmp_lg_u32 s1, 0
	s_waitcnt vmcnt(0)
	v_pk_mul_f32 v[6:7], v[0:1], v[6:7]
	v_pk_mul_f32 v[8:9], v[0:1], v[8:9]
	global_store_dwordx4 v[4:5], v[6:9], off offset:-8
	v_lshl_add_u64 v[4:5], v[4:5], 0, 16
	s_cbranch_scc1 .LBB331_54
; %bb.55:
	s_cmp_lg_u32 s0, s24
	s_cselect_b64 s[2:3], -1, 0
	s_branch .LBB331_58
.LBB331_56:
	s_mov_b64 s[2:3], 0
                                        ; implicit-def: $sgpr0
	s_cbranch_execz .LBB331_58
; %bb.57:
	s_mov_b64 s[2:3], -1
	s_mov_b32 s0, 0
.LBB331_58:
	s_andn2_b64 vcc, exec, s[2:3]
	s_cbranch_vccnz .LBB331_61
; %bb.59:
	s_mov_b32 s1, 0
	v_lshl_add_u64 v[2:3], v[2:3], 0, s[0:1]
	s_sub_i32 s2, s24, s0
	v_lshl_add_u64 v[2:3], v[2:3], 2, s[34:35]
.LBB331_60:                             ; =>This Inner Loop Header: Depth=1
	global_load_dword v1, v[2:3], off
	s_add_i32 s2, s2, -1
	s_cmp_lg_u32 s2, 0
	s_waitcnt vmcnt(0)
	v_mul_f32_e32 v1, v0, v1
	global_store_dword v[2:3], v1, off
	v_lshl_add_u64 v[2:3], v[2:3], 0, 4
	s_cbranch_scc1 .LBB331_60
.LBB331_61:
	s_endpgm
	.section	.rodata,"a",@progbits
	.p2align	6, 0x0
	.amdhsa_kernel _ZN4vllm3moe22topkGatingSoftplusSqrtILi8ELi128ELi4ELi16ELi32ELb0El6__halfEEvPKT6_PKbPfiPT5_PiiiibdPKfPKS9_SF_
		.amdhsa_group_segment_fixed_size 0
		.amdhsa_private_segment_fixed_size 0
		.amdhsa_kernarg_size 96
		.amdhsa_user_sgpr_count 2
		.amdhsa_user_sgpr_dispatch_ptr 0
		.amdhsa_user_sgpr_queue_ptr 0
		.amdhsa_user_sgpr_kernarg_segment_ptr 1
		.amdhsa_user_sgpr_dispatch_id 0
		.amdhsa_user_sgpr_kernarg_preload_length 0
		.amdhsa_user_sgpr_kernarg_preload_offset 0
		.amdhsa_user_sgpr_private_segment_size 0
		.amdhsa_uses_dynamic_stack 0
		.amdhsa_enable_private_segment 0
		.amdhsa_system_sgpr_workgroup_id_x 1
		.amdhsa_system_sgpr_workgroup_id_y 0
		.amdhsa_system_sgpr_workgroup_id_z 0
		.amdhsa_system_sgpr_workgroup_info 0
		.amdhsa_system_vgpr_workitem_id 1
		.amdhsa_next_free_vgpr 30
		.amdhsa_next_free_sgpr 43
		.amdhsa_accum_offset 32
		.amdhsa_reserve_vcc 1
		.amdhsa_float_round_mode_32 0
		.amdhsa_float_round_mode_16_64 0
		.amdhsa_float_denorm_mode_32 3
		.amdhsa_float_denorm_mode_16_64 3
		.amdhsa_dx10_clamp 1
		.amdhsa_ieee_mode 1
		.amdhsa_fp16_overflow 0
		.amdhsa_tg_split 0
		.amdhsa_exception_fp_ieee_invalid_op 0
		.amdhsa_exception_fp_denorm_src 0
		.amdhsa_exception_fp_ieee_div_zero 0
		.amdhsa_exception_fp_ieee_overflow 0
		.amdhsa_exception_fp_ieee_underflow 0
		.amdhsa_exception_fp_ieee_inexact 0
		.amdhsa_exception_int_div_zero 0
	.end_amdhsa_kernel
	.section	.text._ZN4vllm3moe22topkGatingSoftplusSqrtILi8ELi128ELi4ELi16ELi32ELb0El6__halfEEvPKT6_PKbPfiPT5_PiiiibdPKfPKS9_SF_,"axG",@progbits,_ZN4vllm3moe22topkGatingSoftplusSqrtILi8ELi128ELi4ELi16ELi32ELb0El6__halfEEvPKT6_PKbPfiPT5_PiiiibdPKfPKS9_SF_,comdat
.Lfunc_end331:
	.size	_ZN4vllm3moe22topkGatingSoftplusSqrtILi8ELi128ELi4ELi16ELi32ELb0El6__halfEEvPKT6_PKbPfiPT5_PiiiibdPKfPKS9_SF_, .Lfunc_end331-_ZN4vllm3moe22topkGatingSoftplusSqrtILi8ELi128ELi4ELi16ELi32ELb0El6__halfEEvPKT6_PKbPfiPT5_PiiiibdPKfPKS9_SF_
                                        ; -- End function
	.section	.AMDGPU.csdata,"",@progbits
; Kernel info:
; codeLenInByte = 4080
; NumSgprs: 49
; NumVgprs: 30
; NumAgprs: 0
; TotalNumVgprs: 30
; ScratchSize: 0
; MemoryBound: 0
; FloatMode: 240
; IeeeMode: 1
; LDSByteSize: 0 bytes/workgroup (compile time only)
; SGPRBlocks: 6
; VGPRBlocks: 3
; NumSGPRsForWavesPerEU: 49
; NumVGPRsForWavesPerEU: 30
; AccumOffset: 32
; Occupancy: 8
; WaveLimiterHint : 0
; COMPUTE_PGM_RSRC2:SCRATCH_EN: 0
; COMPUTE_PGM_RSRC2:USER_SGPR: 2
; COMPUTE_PGM_RSRC2:TRAP_HANDLER: 0
; COMPUTE_PGM_RSRC2:TGID_X_EN: 1
; COMPUTE_PGM_RSRC2:TGID_Y_EN: 0
; COMPUTE_PGM_RSRC2:TGID_Z_EN: 0
; COMPUTE_PGM_RSRC2:TIDIG_COMP_CNT: 1
; COMPUTE_PGM_RSRC3_GFX90A:ACCUM_OFFSET: 7
; COMPUTE_PGM_RSRC3_GFX90A:TG_SPLIT: 0
	.section	.text._ZN4vllm3moe22topkGatingSoftplusSqrtILi8ELi256ELi4ELi16ELi64ELb1El6__halfEEvPKT6_PKbPfiPT5_PiiiibdPKfPKS9_SF_,"axG",@progbits,_ZN4vllm3moe22topkGatingSoftplusSqrtILi8ELi256ELi4ELi16ELi64ELb1El6__halfEEvPKT6_PKbPfiPT5_PiiiibdPKfPKS9_SF_,comdat
	.protected	_ZN4vllm3moe22topkGatingSoftplusSqrtILi8ELi256ELi4ELi16ELi64ELb1El6__halfEEvPKT6_PKbPfiPT5_PiiiibdPKfPKS9_SF_ ; -- Begin function _ZN4vllm3moe22topkGatingSoftplusSqrtILi8ELi256ELi4ELi16ELi64ELb1El6__halfEEvPKT6_PKbPfiPT5_PiiiibdPKfPKS9_SF_
	.globl	_ZN4vllm3moe22topkGatingSoftplusSqrtILi8ELi256ELi4ELi16ELi64ELb1El6__halfEEvPKT6_PKbPfiPT5_PiiiibdPKfPKS9_SF_
	.p2align	8
	.type	_ZN4vllm3moe22topkGatingSoftplusSqrtILi8ELi256ELi4ELi16ELi64ELb1El6__halfEEvPKT6_PKbPfiPT5_PiiiibdPKfPKS9_SF_,@function
_ZN4vllm3moe22topkGatingSoftplusSqrtILi8ELi256ELi4ELi16ELi64ELb1El6__halfEEvPKT6_PKbPfiPT5_PiiiibdPKfPKS9_SF_: ; @_ZN4vllm3moe22topkGatingSoftplusSqrtILi8ELi256ELi4ELi16ELi64ELb1El6__halfEEvPKT6_PKbPfiPT5_PiiiibdPKfPKS9_SF_
; %bb.0:
	s_load_dword s3, s[0:1], 0x18
	v_bfe_u32 v1, v0, 10, 10
	v_and_b32_e32 v10, 0x3ff, v0
	s_lshl_b32 s2, s2, 3
	v_lshlrev_b32_e32 v1, 1, v1
	v_lshrrev_b32_e32 v0, 5, v10
	v_add3_u32 v6, s2, v1, v0
	s_waitcnt lgkmcnt(0)
	v_cmp_gt_i32_e32 vcc, s3, v6
	s_and_saveexec_b64 s[2:3], vcc
	s_cbranch_execz .LBB332_31
; %bb.1:
	s_load_dwordx4 s[8:11], s[0:1], 0x50
	s_load_dwordx2 s[2:3], s[0:1], 0x0
	s_load_dword s12, s[0:1], 0x30
	v_lshlrev_b32_e32 v0, 8, v6
	v_lshlrev_b32_e32 v4, 3, v10
	v_ashrrev_i32_e32 v1, 31, v0
	v_and_b32_e32 v12, 0xf8, v4
	s_waitcnt lgkmcnt(0)
	v_mov_b32_e32 v2, s8
	v_mov_b32_e32 v3, s9
	v_lshl_add_u64 v[0:1], v[0:1], 1, s[2:3]
	v_lshlrev_b32_e32 v4, 1, v12
	v_mov_b32_e32 v5, 0
	v_ashrrev_i32_e32 v7, 31, v6
	v_lshl_add_u64 v[2:3], v[6:7], 3, v[2:3]
	v_lshl_add_u64 v[0:1], v[0:1], 0, v[4:5]
	global_load_dwordx2 v[8:9], v[2:3], off
	s_mov_b32 s21, 0x800000
	global_load_dwordx4 v[0:3], v[0:1], off
	s_ashr_i32 s13, s12, 31
	v_mov_b32_e32 v4, 0x4f800000
	s_mov_b32 s19, 0x3f317217
	s_mov_b32 s20, 0x7f800000
	v_mov_b32_e32 v7, 0x41b17218
	s_movk_i32 s15, 0x4d00
	s_mov_b32 s18, 0xf800000
	v_mov_b32_e32 v11, 0x260
	v_cmp_lt_i64_e64 s[16:17], s[12:13], 1
	s_mov_b32 s14, 0
	v_cmp_gt_i64_e64 s[8:9], s[12:13], 0
	s_waitcnt vmcnt(1)
	v_mul_lo_u32 v13, v9, s12
	v_mul_lo_u32 v18, v8, s13
	s_waitcnt vmcnt(0)
	v_cvt_f32_f16_e32 v19, v0
	v_cvt_f32_f16_sdwa v20, v0 dst_sel:DWORD dst_unused:UNUSED_PAD src0_sel:WORD_1
	v_cvt_f32_f16_e32 v21, v1
	v_cvt_f32_f16_sdwa v22, v1 dst_sel:DWORD dst_unused:UNUSED_PAD src0_sel:WORD_1
	v_mul_f32_e32 v9, 0x3fb8aa3b, v19
	v_mul_f32_e32 v15, 0x3fb8aa3b, v20
	v_exp_f32_e32 v14, v9
	v_exp_f32_e32 v15, v15
	v_mul_f32_e32 v16, 0x3fb8aa3b, v21
	v_mul_f32_e32 v17, 0x3fb8aa3b, v22
	v_exp_f32_e32 v16, v16
	v_pk_add_f32 v[14:15], v[14:15], 1.0 op_sel_hi:[1,0]
	v_exp_f32_e32 v17, v17
	v_mad_u64_u32 v[8:9], s[2:3], v8, s12, 0
	v_cmp_gt_f32_e32 vcc, s21, v15
	v_add3_u32 v9, v9, v18, v13
	v_cmp_gt_f32_e64 s[2:3], s21, v14
	v_cndmask_b32_e32 v13, 1.0, v4, vcc
	v_mul_f32_e32 v13, v15, v13
	v_cndmask_b32_e64 v18, 1.0, v4, s[2:3]
	v_mul_f32_e32 v14, v14, v18
	v_log_f32_e32 v13, v13
	v_pk_add_f32 v[16:17], v[16:17], 1.0 op_sel_hi:[1,0]
	v_log_f32_e32 v14, v14
	v_cmp_gt_f32_e64 s[6:7], s21, v16
	v_cndmask_b32_e32 v15, 0, v7, vcc
	v_cmp_lt_f32_e64 vcc, |v13|, s20
	v_cndmask_b32_e64 v24, 1.0, v4, s[6:7]
	v_mul_f32_e32 v16, v16, v24
	v_mul_f32_e32 v24, 0x3f317217, v13
	;; [unrolled: 1-line block ×3, first 2 shown]
	v_fma_f32 v24, v13, s19, -v24
	v_fma_f32 v25, v14, s19, -v25
	v_fmac_f32_e32 v24, 0x3377d1cf, v13
	v_fmac_f32_e32 v25, 0x3377d1cf, v14
	;; [unrolled: 1-line block ×4, first 2 shown]
	v_cndmask_b32_e32 v13, v13, v24, vcc
	v_cmp_lt_f32_e64 vcc, |v14|, s20
	v_cndmask_b32_e64 v18, 0, v7, s[2:3]
	v_cmp_gt_f32_e64 s[4:5], s21, v17
	v_cndmask_b32_e32 v14, v14, v25, vcc
	v_sub_f32_e32 v14, v14, v18
	v_cmp_lt_f16_e32 vcc, s15, v0
	v_cndmask_b32_e64 v23, 1.0, v4, s[4:5]
	v_sub_f32_e32 v13, v13, v15
	v_cndmask_b32_e32 v14, v14, v19, vcc
	v_cmp_gt_f16_sdwa vcc, v0, s15 src0_sel:WORD_1 src1_sel:DWORD
	v_mul_f32_e32 v17, v17, v23
	v_log_f32_e32 v17, v17
	v_cndmask_b32_e32 v0, v13, v20, vcc
	v_mul_f32_e32 v13, 0x4f800000, v0
	v_cmp_gt_f32_e32 vcc, s18, v0
	v_mul_f32_e32 v15, 0x4f800000, v14
	v_cmp_gt_f32_e64 s[2:3], s18, v14
	v_cndmask_b32_e32 v0, v0, v13, vcc
	v_mul_f32_e32 v26, 0x3f317217, v17
	v_cndmask_b32_e64 v13, v14, v15, s[2:3]
	v_sqrt_f32_e32 v14, v0
	v_sqrt_f32_e32 v15, v13
	v_fma_f32 v26, v17, s19, -v26
	v_fmac_f32_e32 v26, 0x3377d1cf, v17
	v_add_u32_e32 v18, -1, v14
	v_cndmask_b32_e64 v23, 0, v7, s[4:5]
	v_fmac_f32_e32 v26, 0x3f317217, v17
	v_cmp_lt_f32_e64 s[4:5], |v17|, s20
	v_add_u32_e32 v20, -1, v15
	v_fma_f32 v25, -v18, v14, v0
	v_cndmask_b32_e64 v17, v17, v26, s[4:5]
	v_add_u32_e32 v19, 1, v14
	v_fma_f32 v27, -v20, v15, v13
	v_cmp_ge_f32_e64 s[4:5], 0, v25
	v_add_u32_e32 v24, 1, v15
	v_fma_f32 v26, -v19, v14, v0
	v_cndmask_b32_e64 v14, v14, v18, s[4:5]
	v_cmp_ge_f32_e64 s[4:5], 0, v27
	v_fma_f32 v28, -v24, v15, v13
	v_log_f32_e32 v16, v16
	v_cndmask_b32_e64 v15, v15, v20, s[4:5]
	v_cmp_lt_f32_e64 s[4:5], 0, v26
	v_cvt_f32_f16_sdwa v20, v2 dst_sel:DWORD dst_unused:UNUSED_PAD src0_sel:WORD_1
	s_nop 0
	v_cndmask_b32_e64 v14, v14, v19, s[4:5]
	v_cmp_lt_f32_e64 s[4:5], 0, v28
	v_mul_f32_e32 v18, 0x37800000, v14
	v_cndmask_b32_e32 v14, v14, v18, vcc
	v_cndmask_b32_e64 v15, v15, v24, s[4:5]
	v_mul_f32_e32 v19, 0x37800000, v15
	v_cmp_class_f32_e32 vcc, v0, v11
	v_cndmask_b32_e64 v18, v15, v19, s[2:3]
	v_cmp_lt_f16_e64 s[2:3], s15, v1
	v_cndmask_b32_e32 v15, v14, v0, vcc
	v_cmp_class_f32_e32 vcc, v13, v11
	v_sub_f32_e32 v0, v17, v23
	v_cvt_f32_f16_e32 v19, v2
	v_cndmask_b32_e32 v14, v18, v13, vcc
	v_mul_f32_e32 v13, 0x3f317217, v16
	v_fma_f32 v13, v16, s19, -v13
	v_fmac_f32_e32 v13, 0x3377d1cf, v16
	v_fmac_f32_e32 v13, 0x3f317217, v16
	v_cmp_lt_f32_e64 vcc, |v16|, s20
	s_nop 1
	v_cndmask_b32_e32 v13, v16, v13, vcc
	v_cmp_gt_f16_sdwa vcc, v1, s15 src0_sel:WORD_1 src1_sel:DWORD
	v_cndmask_b32_e64 v16, 0, v7, s[6:7]
	v_sub_f32_e32 v13, v13, v16
	v_cndmask_b32_e32 v0, v0, v22, vcc
	v_mul_f32_e32 v17, 0x4f800000, v0
	v_cmp_gt_f32_e32 vcc, s18, v0
	v_cndmask_b32_e64 v1, v13, v21, s[2:3]
	s_nop 0
	v_cndmask_b32_e32 v0, v0, v17, vcc
	v_sqrt_f32_e32 v17, v0
	s_nop 0
	v_add_u32_e32 v13, -1, v17
	v_fma_f32 v16, -v13, v17, v0
	v_cmp_ge_f32_e64 s[2:3], 0, v16
	v_add_u32_e32 v16, 1, v17
	s_nop 0
	v_cndmask_b32_e64 v13, v17, v13, s[2:3]
	v_fma_f32 v17, -v16, v17, v0
	v_cmp_lt_f32_e64 s[2:3], 0, v17
	v_mul_f32_e32 v17, 0x4f800000, v1
	s_nop 0
	v_cndmask_b32_e64 v13, v13, v16, s[2:3]
	v_cmp_gt_f32_e64 s[2:3], s18, v1
	v_mul_f32_e32 v16, 0x37800000, v13
	v_cndmask_b32_e32 v13, v13, v16, vcc
	v_cndmask_b32_e64 v18, v1, v17, s[2:3]
	v_sqrt_f32_e32 v1, v18
	v_cmp_class_f32_e32 vcc, v0, v11
	v_add_u32_e32 v16, 1, v1
	s_nop 0
	v_cndmask_b32_e32 v17, v13, v0, vcc
	v_add_u32_e32 v0, -1, v1
	v_fma_f32 v13, -v0, v1, v18
	v_cmp_ge_f32_e32 vcc, 0, v13
	v_fma_f32 v21, -v16, v1, v18
	s_nop 0
	v_cndmask_b32_e32 v13, v1, v0, vcc
	v_mul_f32_e32 v0, 0x3fb8aa3b, v19
	v_mul_f32_e32 v1, 0x3fb8aa3b, v20
	v_exp_f32_e32 v0, v0
	v_exp_f32_e32 v1, v1
	v_cmp_lt_f32_e32 vcc, 0, v21
	v_pk_add_f32 v[0:1], v[0:1], 1.0 op_sel_hi:[1,0]
	s_nop 0
	v_cndmask_b32_e32 v13, v13, v16, vcc
	v_mul_f32_e32 v16, 0x37800000, v13
	v_cmp_gt_f32_e32 vcc, s21, v1
	v_cndmask_b32_e64 v13, v13, v16, s[2:3]
	v_cmp_class_f32_e64 s[2:3], v18, v11
	v_cndmask_b32_e32 v16, 1.0, v4, vcc
	v_mul_f32_e32 v1, v1, v16
	v_log_f32_e32 v1, v1
	v_cndmask_b32_e64 v16, v13, v18, s[2:3]
	v_cmp_gt_f32_e64 s[2:3], s21, v0
	scratch_store_dwordx4 off, v[14:17], off
	v_mul_f32_e32 v13, 0x3f317217, v1
	v_fma_f32 v13, v1, s19, -v13
	v_cndmask_b32_e64 v14, 1.0, v4, s[2:3]
	v_mul_f32_e32 v0, v0, v14
	v_log_f32_e32 v0, v0
	v_fmac_f32_e32 v13, 0x3377d1cf, v1
	v_fmac_f32_e32 v13, 0x3f317217, v1
	v_cmp_lt_f32_e64 s[4:5], |v1|, s20
	v_cvt_f32_f16_sdwa v17, v3 dst_sel:DWORD dst_unused:UNUSED_PAD src0_sel:WORD_1
	v_mul_f32_e32 v15, 0x3fb8aa3b, v17
	v_cndmask_b32_e64 v1, v1, v13, s[4:5]
	v_cndmask_b32_e32 v13, 0, v7, vcc
	v_sub_f32_e32 v1, v1, v13
	v_mul_f32_e32 v13, 0x3f317217, v0
	v_fma_f32 v13, v0, s19, -v13
	v_fmac_f32_e32 v13, 0x3377d1cf, v0
	v_fmac_f32_e32 v13, 0x3f317217, v0
	v_cmp_lt_f32_e64 vcc, |v0|, s20
	v_exp_f32_e32 v15, v15
	s_nop 0
	v_cndmask_b32_e32 v0, v0, v13, vcc
	v_cmp_gt_f16_sdwa vcc, v2, s15 src0_sel:WORD_1 src1_sel:DWORD
	v_cndmask_b32_e64 v13, 0, v7, s[2:3]
	v_cmp_lt_f16_e64 s[2:3], s15, v2
	v_cndmask_b32_e32 v1, v1, v20, vcc
	v_mul_f32_e32 v14, 0x4f800000, v1
	v_cmp_gt_f32_e32 vcc, s18, v1
	v_sub_f32_e32 v0, v0, v13
	v_cndmask_b32_e64 v0, v0, v19, s[2:3]
	v_cndmask_b32_e32 v1, v1, v14, vcc
	v_sqrt_f32_e32 v14, v1
	s_nop 0
	v_add_u32_e32 v2, -1, v14
	v_fma_f32 v13, -v2, v14, v1
	v_cmp_ge_f32_e64 s[2:3], 0, v13
	v_add_u32_e32 v13, 1, v14
	s_nop 0
	v_cndmask_b32_e64 v2, v14, v2, s[2:3]
	v_fma_f32 v14, -v13, v14, v1
	v_cmp_lt_f32_e64 s[2:3], 0, v14
	v_mul_f32_e32 v14, 0x4f800000, v0
	s_nop 0
	v_cndmask_b32_e64 v2, v2, v13, s[2:3]
	v_cmp_gt_f32_e64 s[2:3], s18, v0
	v_mul_f32_e32 v13, 0x37800000, v2
	v_cndmask_b32_e32 v2, v2, v13, vcc
	v_cndmask_b32_e64 v0, v0, v14, s[2:3]
	v_sqrt_f32_e32 v14, v0
	v_cmp_class_f32_e32 vcc, v1, v11
	v_add_u32_e32 v16, 1, v14
	s_nop 0
	v_cndmask_b32_e32 v1, v2, v1, vcc
	v_add_u32_e32 v2, -1, v14
	v_fma_f32 v13, -v2, v14, v0
	v_cmp_ge_f32_e32 vcc, 0, v13
	v_cvt_f32_f16_e32 v13, v3
	v_fma_f32 v18, -v16, v14, v0
	v_cndmask_b32_e32 v2, v14, v2, vcc
	v_cmp_lt_f32_e32 vcc, 0, v18
	v_mul_f32_e32 v14, 0x3fb8aa3b, v13
	v_exp_f32_e32 v14, v14
	v_cndmask_b32_e32 v2, v2, v16, vcc
	v_mul_f32_e32 v16, 0x37800000, v2
	v_cndmask_b32_e64 v2, v2, v16, s[2:3]
	v_pk_add_f32 v[14:15], v[14:15], 1.0 op_sel_hi:[1,0]
	v_cmp_class_f32_e64 s[2:3], v0, v11
	v_cmp_gt_f32_e32 vcc, s21, v15
	s_nop 0
	v_cndmask_b32_e64 v0, v2, v0, s[2:3]
	v_cndmask_b32_e32 v18, 1.0, v4, vcc
	v_mul_f32_e32 v15, v15, v18
	v_log_f32_e32 v15, v15
	v_cmp_gt_f32_e64 s[2:3], s21, v14
	v_mul_f32_e32 v2, 0x3f317217, v15
	s_nop 0
	v_cndmask_b32_e64 v4, 1.0, v4, s[2:3]
	v_mul_f32_e32 v4, v14, v4
	v_fma_f32 v2, v15, s19, -v2
	v_log_f32_e32 v4, v4
	v_fmac_f32_e32 v2, 0x3377d1cf, v15
	v_fmac_f32_e32 v2, 0x3f317217, v15
	v_cmp_lt_f32_e64 s[4:5], |v15|, s20
	v_cndmask_b32_e32 v14, 0, v7, vcc
	v_cmp_lt_f32_e64 vcc, |v4|, s20
	v_cndmask_b32_e64 v2, v15, v2, s[4:5]
	v_sub_f32_e32 v2, v2, v14
	v_mul_f32_e32 v14, 0x3f317217, v4
	v_fma_f32 v14, v4, s19, -v14
	v_fmac_f32_e32 v14, 0x3377d1cf, v4
	v_fmac_f32_e32 v14, 0x3f317217, v4
	v_cndmask_b32_e32 v4, v4, v14, vcc
	v_cmp_gt_f16_sdwa vcc, v3, s15 src0_sel:WORD_1 src1_sel:DWORD
	v_cndmask_b32_e64 v7, 0, v7, s[2:3]
	v_sub_f32_e32 v4, v4, v7
	v_cndmask_b32_e32 v2, v2, v17, vcc
	v_mul_f32_e32 v14, 0x4f800000, v2
	v_cmp_gt_f32_e32 vcc, s18, v2
	v_cmp_lt_f16_e64 s[2:3], s15, v3
	s_nop 0
	v_cndmask_b32_e32 v2, v2, v14, vcc
	v_sqrt_f32_e32 v14, v2
	v_cndmask_b32_e64 v3, v4, v13, s[2:3]
	v_add_u32_e32 v4, -1, v14
	v_fma_f32 v7, -v4, v14, v2
	v_cmp_ge_f32_e64 s[2:3], 0, v7
	v_add_u32_e32 v7, 1, v14
	v_fma_f32 v13, -v7, v14, v2
	v_cndmask_b32_e64 v4, v14, v4, s[2:3]
	v_cmp_lt_f32_e64 s[2:3], 0, v13
	v_mul_f32_e32 v13, 0x4f800000, v3
	s_nop 0
	v_cndmask_b32_e64 v4, v4, v7, s[2:3]
	v_cmp_gt_f32_e64 s[2:3], s18, v3
	v_mul_f32_e32 v7, 0x37800000, v4
	s_nop 0
	v_cndmask_b32_e64 v13, v3, v13, s[2:3]
	v_sqrt_f32_e32 v14, v13
	v_cndmask_b32_e32 v3, v4, v7, vcc
	v_cmp_class_f32_e32 vcc, v2, v11
	s_nop 1
	v_cndmask_b32_e32 v3, v3, v2, vcc
	v_add_u32_e32 v2, -1, v14
	v_fma_f32 v4, -v2, v14, v13
	v_cmp_ge_f32_e32 vcc, 0, v4
	v_add_u32_e32 v4, 1, v14
	v_fma_f32 v7, -v4, v14, v13
	v_cndmask_b32_e32 v2, v14, v2, vcc
	v_cmp_lt_f32_e32 vcc, 0, v7
	s_nop 1
	v_cndmask_b32_e32 v2, v2, v4, vcc
	v_mul_f32_e32 v4, 0x37800000, v2
	v_cndmask_b32_e64 v2, v2, v4, s[2:3]
	v_cmp_class_f32_e32 vcc, v13, v11
	s_nop 1
	v_cndmask_b32_e32 v2, v2, v13, vcc
	scratch_store_dwordx4 off, v[0:3], off offset:16
	s_and_b64 vcc, exec, s[16:17]
	s_nop 0
	v_lshl_add_u64 v[2:3], v[8:9], 3, s[10:11]
	v_mul_lo_u32 v0, v6, s12
	s_cbranch_vccnz .LBB332_28
; %bb.2:
	s_load_dwordx2 s[4:5], s[0:1], 0x20
	s_cmp_lt_u32 s12, 4
	v_and_b32_e32 v4, 31, v10
	s_cbranch_scc1 .LBB332_21
; %bb.3:
	v_lshlrev_b32_e32 v5, 3, v4
	s_mov_b32 s7, 0
	s_and_b32 s14, s12, 0x7ffffffc
	v_ashrrev_i32_e32 v1, 31, v0
	v_sub_u32_e32 v13, 0, v5
	v_mov_b32_e32 v5, 0
	s_mov_b32 s6, s7
	s_branch .LBB332_5
.LBB332_4:                              ;   in Loop: Header=BB332_5 Depth=1
	s_or_b64 exec, exec, s[10:11]
	s_add_i32 s6, s6, 4
	s_cmp_eq_u32 s6, s14
	s_cbranch_scc1 .LBB332_21
.LBB332_5:                              ; =>This Loop Header: Depth=1
                                        ;     Child Loop BB332_7 Depth 2
                                        ;     Child Loop BB332_11 Depth 2
	;; [unrolled: 1-line block ×4, first 2 shown]
	v_lshl_add_u64 v[6:7], s[6:7], 3, v[2:3]
	global_load_dwordx2 v[8:9], v[6:7], off
	v_add_u32_e32 v10, s6, v0
	v_ashrrev_i32_e32 v11, 31, v10
	v_mov_b32_e32 v14, 0
	s_mov_b64 s[10:11], 0
	s_waitcnt lgkmcnt(0)
	v_lshl_add_u64 v[10:11], v[10:11], 3, s[4:5]
	s_mov_b32 s13, 0
	s_waitcnt vmcnt(0)
	v_ashrrev_i32_e32 v9, 31, v8
	v_add_u32_e32 v15, v13, v8
	s_branch .LBB332_7
.LBB332_6:                              ;   in Loop: Header=BB332_7 Depth=2
	s_or_b64 exec, exec, s[16:17]
	s_add_i32 s15, s13, 1
	s_cmp_gt_u32 s13, 6
	s_cselect_b64 s[2:3], -1, 0
	s_xor_b64 s[16:17], vcc, -1
	s_or_b64 s[2:3], s[16:17], s[2:3]
	s_and_b64 s[2:3], exec, s[2:3]
	v_add_u32_e32 v14, 4, v14
	s_or_b64 s[10:11], s[2:3], s[10:11]
	s_mov_b32 s13, s15
	s_andn2_b64 exec, exec, s[10:11]
	s_cbranch_execz .LBB332_9
.LBB332_7:                              ;   Parent Loop BB332_5 Depth=1
                                        ; =>  This Inner Loop Header: Depth=2
	v_cmp_ne_u32_e32 vcc, s13, v15
	v_cmp_eq_u32_e64 s[2:3], s13, v15
	s_and_saveexec_b64 s[16:17], s[2:3]
	s_cbranch_execz .LBB332_6
; %bb.8:                                ;   in Loop: Header=BB332_7 Depth=2
	scratch_load_dword v16, v14, off
	s_waitcnt vmcnt(0)
	v_add_f32_e32 v5, v5, v16
	global_store_dwordx2 v[10:11], v[8:9], off
	s_branch .LBB332_6
.LBB332_9:                              ;   in Loop: Header=BB332_5 Depth=1
	s_or_b64 exec, exec, s[10:11]
	global_load_dwordx2 v[10:11], v[6:7], off offset:8
	s_ashr_i32 s3, s6, 31
	s_mov_b32 s2, s6
	v_lshl_add_u64 v[8:9], s[2:3], 0, v[0:1]
	v_mov_b32_e32 v14, 0
	s_mov_b32 s13, 0
	v_lshl_add_u64 v[8:9], v[8:9], 3, s[4:5]
	s_mov_b64 s[10:11], 0
	s_waitcnt vmcnt(0)
	v_ashrrev_i32_e32 v11, 31, v10
	v_add_u32_e32 v15, v13, v10
	s_branch .LBB332_11
.LBB332_10:                             ;   in Loop: Header=BB332_11 Depth=2
	s_or_b64 exec, exec, s[16:17]
	s_add_i32 s15, s13, 1
	s_cmp_gt_u32 s13, 6
	s_cselect_b64 s[2:3], -1, 0
	s_xor_b64 s[16:17], vcc, -1
	s_or_b64 s[2:3], s[16:17], s[2:3]
	s_and_b64 s[2:3], exec, s[2:3]
	v_add_u32_e32 v14, 4, v14
	s_or_b64 s[10:11], s[2:3], s[10:11]
	s_mov_b32 s13, s15
	s_andn2_b64 exec, exec, s[10:11]
	s_cbranch_execz .LBB332_13
.LBB332_11:                             ;   Parent Loop BB332_5 Depth=1
                                        ; =>  This Inner Loop Header: Depth=2
	v_cmp_ne_u32_e32 vcc, s13, v15
	v_cmp_eq_u32_e64 s[2:3], s13, v15
	s_and_saveexec_b64 s[16:17], s[2:3]
	s_cbranch_execz .LBB332_10
; %bb.12:                               ;   in Loop: Header=BB332_11 Depth=2
	scratch_load_dword v16, v14, off
	s_waitcnt vmcnt(0)
	v_add_f32_e32 v5, v5, v16
	global_store_dwordx2 v[8:9], v[10:11], off offset:8
	s_branch .LBB332_10
.LBB332_13:                             ;   in Loop: Header=BB332_5 Depth=1
	s_or_b64 exec, exec, s[10:11]
	global_load_dwordx2 v[10:11], v[6:7], off offset:16
	v_mov_b32_e32 v14, 0
	s_mov_b32 s13, 0
	s_mov_b64 s[10:11], 0
	s_waitcnt vmcnt(0)
	v_ashrrev_i32_e32 v11, 31, v10
	v_add_u32_e32 v15, v13, v10
	s_branch .LBB332_15
.LBB332_14:                             ;   in Loop: Header=BB332_15 Depth=2
	s_or_b64 exec, exec, s[16:17]
	s_add_i32 s15, s13, 1
	s_cmp_gt_u32 s13, 6
	s_cselect_b64 s[2:3], -1, 0
	s_xor_b64 s[16:17], vcc, -1
	s_or_b64 s[2:3], s[16:17], s[2:3]
	s_and_b64 s[2:3], exec, s[2:3]
	v_add_u32_e32 v14, 4, v14
	s_or_b64 s[10:11], s[2:3], s[10:11]
	s_mov_b32 s13, s15
	s_andn2_b64 exec, exec, s[10:11]
	s_cbranch_execz .LBB332_17
.LBB332_15:                             ;   Parent Loop BB332_5 Depth=1
                                        ; =>  This Inner Loop Header: Depth=2
	v_cmp_ne_u32_e32 vcc, s13, v15
	v_cmp_eq_u32_e64 s[2:3], s13, v15
	s_and_saveexec_b64 s[16:17], s[2:3]
	s_cbranch_execz .LBB332_14
; %bb.16:                               ;   in Loop: Header=BB332_15 Depth=2
	scratch_load_dword v16, v14, off
	s_waitcnt vmcnt(0)
	v_add_f32_e32 v5, v5, v16
	global_store_dwordx2 v[8:9], v[10:11], off offset:16
	s_branch .LBB332_14
.LBB332_17:                             ;   in Loop: Header=BB332_5 Depth=1
	s_or_b64 exec, exec, s[10:11]
	global_load_dwordx2 v[6:7], v[6:7], off offset:24
	v_mov_b32_e32 v10, 0
	s_mov_b32 s13, 0
	s_mov_b64 s[10:11], 0
	s_waitcnt vmcnt(0)
	v_ashrrev_i32_e32 v7, 31, v6
	v_add_u32_e32 v11, v13, v6
	s_branch .LBB332_19
.LBB332_18:                             ;   in Loop: Header=BB332_19 Depth=2
	s_or_b64 exec, exec, s[16:17]
	s_add_i32 s15, s13, 1
	s_cmp_gt_u32 s13, 6
	s_cselect_b64 s[2:3], -1, 0
	s_xor_b64 s[16:17], vcc, -1
	s_or_b64 s[2:3], s[16:17], s[2:3]
	s_and_b64 s[2:3], exec, s[2:3]
	v_add_u32_e32 v10, 4, v10
	s_or_b64 s[10:11], s[2:3], s[10:11]
	s_mov_b32 s13, s15
	s_andn2_b64 exec, exec, s[10:11]
	s_cbranch_execz .LBB332_4
.LBB332_19:                             ;   Parent Loop BB332_5 Depth=1
                                        ; =>  This Inner Loop Header: Depth=2
	v_cmp_ne_u32_e32 vcc, s13, v11
	v_cmp_eq_u32_e64 s[2:3], s13, v11
	s_and_saveexec_b64 s[16:17], s[2:3]
	s_cbranch_execz .LBB332_18
; %bb.20:                               ;   in Loop: Header=BB332_19 Depth=2
	scratch_load_dword v14, v10, off
	s_waitcnt vmcnt(0)
	v_add_f32_e32 v5, v5, v14
	global_store_dwordx2 v[8:9], v[6:7], off offset:24
	s_branch .LBB332_18
.LBB332_21:
	s_and_b32 s13, s12, 3
	s_cmp_eq_u32 s13, 0
	s_mov_b32 s15, 0
	s_cbranch_scc1 .LBB332_28
; %bb.22:
	v_lshlrev_b32_e32 v1, 3, v4
	v_sub_u32_e32 v1, 0, v1
	s_mov_b32 s16, s15
	s_branch .LBB332_24
.LBB332_23:                             ;   in Loop: Header=BB332_24 Depth=1
	s_or_b64 exec, exec, s[6:7]
	s_add_i32 s14, s14, 1
	s_add_i32 s16, s16, 1
	s_cmp_lg_u32 s16, s13
	s_cbranch_scc0 .LBB332_28
.LBB332_24:                             ; =>This Loop Header: Depth=1
                                        ;     Child Loop BB332_26 Depth 2
	v_lshl_add_u64 v[6:7], s[14:15], 3, v[2:3]
	global_load_dwordx2 v[6:7], v[6:7], off
	v_add_u32_e32 v8, s14, v0
	v_ashrrev_i32_e32 v9, 31, v8
	v_mov_b32_e32 v4, 0
	s_mov_b32 s17, 0
	s_waitcnt lgkmcnt(0)
	v_lshl_add_u64 v[8:9], v[8:9], 3, s[4:5]
	s_mov_b64 s[6:7], 0
	s_waitcnt vmcnt(0)
	v_ashrrev_i32_e32 v7, 31, v6
	v_add_u32_e32 v10, v1, v6
	s_branch .LBB332_26
.LBB332_25:                             ;   in Loop: Header=BB332_26 Depth=2
	s_or_b64 exec, exec, s[10:11]
	s_add_i32 s18, s17, 1
	s_cmp_gt_u32 s17, 6
	s_cselect_b64 s[2:3], -1, 0
	s_xor_b64 s[10:11], vcc, -1
	s_or_b64 s[2:3], s[10:11], s[2:3]
	s_and_b64 s[2:3], exec, s[2:3]
	v_add_u32_e32 v4, 4, v4
	s_or_b64 s[6:7], s[2:3], s[6:7]
	s_mov_b32 s17, s18
	s_andn2_b64 exec, exec, s[6:7]
	s_cbranch_execz .LBB332_23
.LBB332_26:                             ;   Parent Loop BB332_24 Depth=1
                                        ; =>  This Inner Loop Header: Depth=2
	v_cmp_ne_u32_e32 vcc, s17, v10
	v_cmp_eq_u32_e64 s[2:3], s17, v10
	s_and_saveexec_b64 s[10:11], s[2:3]
	s_cbranch_execz .LBB332_25
; %bb.27:                               ;   in Loop: Header=BB332_26 Depth=2
	scratch_load_dword v11, v4, off
	s_waitcnt vmcnt(0)
	v_add_f32_e32 v5, v5, v11
	global_store_dwordx2 v[8:9], v[6:7], off
	s_branch .LBB332_25
.LBB332_28:
	s_waitcnt lgkmcnt(0)
	s_load_dword s4, s[0:1], 0x3c
	s_waitcnt lgkmcnt(0)
	s_bitcmp1_b32 s4, 0
	s_cselect_b64 s[2:3], -1, 0
	s_bitcmp0_b32 s4, 0
	s_cbranch_scc0 .LBB332_32
; %bb.29:
	s_load_dwordx2 s[4:5], s[0:1], 0x40
	s_andn2_b64 vcc, exec, s[2:3]
	s_waitcnt lgkmcnt(0)
	v_cvt_f32_f64_e32 v8, s[4:5]
	s_cbranch_vccz .LBB332_33
.LBB332_30:
	s_andn2_b64 vcc, exec, s[8:9]
	s_cbranch_vccz .LBB332_34
.LBB332_31:
	s_endpgm
.LBB332_32:
	v_mbcnt_lo_u32_b32 v1, -1, 0
	v_mbcnt_hi_u32_b32 v1, -1, v1
	v_and_b32_e32 v4, 0x60, v1
	v_add_u32_e32 v4, 32, v4
	v_xor_b32_e32 v6, 16, v1
	v_cmp_lt_i32_e32 vcc, v6, v4
	v_xor_b32_e32 v7, 8, v1
	s_nop 0
	v_cndmask_b32_e32 v6, v1, v6, vcc
	v_lshlrev_b32_e32 v6, 2, v6
	ds_bpermute_b32 v6, v6, v5
	v_cmp_lt_i32_e32 vcc, v7, v4
	s_waitcnt lgkmcnt(0)
	v_add_f32_e32 v5, v5, v6
	v_cndmask_b32_e32 v6, v1, v7, vcc
	v_lshlrev_b32_e32 v6, 2, v6
	ds_bpermute_b32 v6, v6, v5
	v_xor_b32_e32 v7, 4, v1
	v_cmp_lt_i32_e32 vcc, v7, v4
	s_waitcnt lgkmcnt(0)
	v_add_f32_e32 v5, v5, v6
	v_cndmask_b32_e32 v6, v1, v7, vcc
	v_lshlrev_b32_e32 v6, 2, v6
	ds_bpermute_b32 v6, v6, v5
	v_xor_b32_e32 v7, 2, v1
	;; [unrolled: 7-line block ×3, first 2 shown]
	v_cmp_lt_i32_e32 vcc, v7, v4
	s_waitcnt lgkmcnt(0)
	v_add_f32_e32 v5, v5, v6
	v_cndmask_b32_e32 v1, v1, v7, vcc
	v_lshlrev_b32_e32 v1, 2, v1
	ds_bpermute_b32 v1, v1, v5
	s_waitcnt lgkmcnt(0)
	v_add_f32_e32 v5, v5, v1
	s_load_dwordx2 s[4:5], s[0:1], 0x40
	s_andn2_b64 vcc, exec, s[2:3]
	s_waitcnt lgkmcnt(0)
	v_cvt_f32_f64_e32 v8, s[4:5]
	s_cbranch_vccnz .LBB332_30
.LBB332_33:
	v_cmp_lt_f32_e32 vcc, 0, v5
	s_nop 1
	v_cndmask_b32_e32 v1, 1.0, v5, vcc
	v_div_scale_f32 v4, s[2:3], v1, v1, v8
	v_rcp_f32_e32 v5, v4
	s_nop 0
	v_fma_f32 v6, -v4, v5, 1.0
	v_fmac_f32_e32 v5, v6, v5
	v_div_scale_f32 v6, vcc, v8, v1, v8
	v_mul_f32_e32 v7, v6, v5
	v_fma_f32 v9, -v4, v7, v6
	v_fmac_f32_e32 v7, v9, v5
	v_fma_f32 v4, -v4, v7, v6
	v_div_fmas_f32 v4, v4, v5, v7
	v_div_fixup_f32 v8, v4, v1, v8
	s_andn2_b64 vcc, exec, s[8:9]
	s_cbranch_vccnz .LBB332_31
.LBB332_34:
	s_load_dwordx2 s[14:15], s[0:1], 0x10
	v_mov_b32_e32 v1, 0
	v_or_b32_e32 v20, 4, v1
	v_or_b32_e32 v18, 8, v1
	;; [unrolled: 1-line block ×3, first 2 shown]
	v_add_u32_e32 v14, 16, v1
	v_add_u32_e32 v11, 20, v1
	;; [unrolled: 1-line block ×4, first 2 shown]
	v_or_b32_e32 v23, 1, v12
	v_or_b32_e32 v22, 2, v12
	;; [unrolled: 1-line block ×7, first 2 shown]
	s_cmp_eq_u32 s12, 1
	s_mov_b32 s16, 0
	s_cbranch_scc1 .LBB332_69
; %bb.35:
	v_ashrrev_i32_e32 v1, 31, v0
	s_waitcnt lgkmcnt(0)
	v_lshl_add_u64 v[4:5], v[0:1], 2, s[14:15]
	s_and_b32 s16, s12, 0x7ffffffe
	v_lshl_add_u64 v[4:5], v[4:5], 0, 4
	v_lshl_add_u64 v[6:7], v[2:3], 0, 8
	s_mov_b32 s13, 0
	s_branch .LBB332_37
.LBB332_36:                             ;   in Loop: Header=BB332_37 Depth=1
	s_or_b64 exec, exec, s[0:1]
	s_add_i32 s13, s13, 2
	v_lshl_add_u64 v[4:5], v[4:5], 0, 8
	s_cmp_eq_u32 s16, s13
	v_lshl_add_u64 v[6:7], v[6:7], 0, 16
	s_cbranch_scc1 .LBB332_69
.LBB332_37:                             ; =>This Inner Loop Header: Depth=1
	global_load_dword v24, v[6:7], off offset:-8
	v_mov_b32_e32 v1, 0
	s_waitcnt vmcnt(0)
	v_cmp_eq_u32_e32 vcc, v12, v24
	v_cmp_ne_u32_e64 s[0:1], v12, v24
	s_and_saveexec_b64 s[18:19], s[0:1]
	s_cbranch_execz .LBB332_51
; %bb.38:                               ;   in Loop: Header=BB332_37 Depth=1
	v_cmp_eq_u32_e64 s[0:1], v23, v24
	v_cmp_ne_u32_e64 s[2:3], v23, v24
	v_mov_b32_e32 v1, v20
	s_and_saveexec_b64 s[20:21], s[2:3]
	s_cbranch_execz .LBB332_50
; %bb.39:                               ;   in Loop: Header=BB332_37 Depth=1
	v_cmp_eq_u32_e64 s[2:3], v22, v24
	v_cmp_ne_u32_e64 s[4:5], v22, v24
	v_mov_b32_e32 v1, v18
	s_and_saveexec_b64 s[22:23], s[4:5]
	s_cbranch_execz .LBB332_49
; %bb.40:                               ;   in Loop: Header=BB332_37 Depth=1
	v_cmp_eq_u32_e64 s[4:5], v21, v24
	v_cmp_ne_u32_e64 s[6:7], v21, v24
	v_mov_b32_e32 v1, v16
	s_and_saveexec_b64 s[24:25], s[6:7]
	s_cbranch_execz .LBB332_48
; %bb.41:                               ;   in Loop: Header=BB332_37 Depth=1
	v_cmp_eq_u32_e64 s[6:7], v19, v24
	v_cmp_ne_u32_e64 s[8:9], v19, v24
	v_mov_b32_e32 v1, v14
	s_and_saveexec_b64 s[26:27], s[8:9]
	s_cbranch_execz .LBB332_47
; %bb.42:                               ;   in Loop: Header=BB332_37 Depth=1
	v_cmp_eq_u32_e64 s[8:9], v17, v24
	v_cmp_ne_u32_e64 s[10:11], v17, v24
	v_mov_b32_e32 v1, v11
	s_and_saveexec_b64 s[28:29], s[10:11]
	s_cbranch_execz .LBB332_46
; %bb.43:                               ;   in Loop: Header=BB332_37 Depth=1
	v_cmp_eq_u32_e64 s[30:31], v15, v24
	v_cmp_ne_u32_e64 s[10:11], v15, v24
	v_mov_b32_e32 v1, v9
	s_and_saveexec_b64 s[34:35], s[10:11]
	s_xor_b64 s[34:35], exec, s[34:35]
; %bb.44:                               ;   in Loop: Header=BB332_37 Depth=1
	v_cmp_eq_u32_e64 s[10:11], v13, v24
	s_andn2_b64 s[30:31], s[30:31], exec
	s_and_b64 s[10:11], s[10:11], exec
	s_or_b64 s[30:31], s[30:31], s[10:11]
	v_mov_b32_e32 v1, v10
; %bb.45:                               ;   in Loop: Header=BB332_37 Depth=1
	s_or_b64 exec, exec, s[34:35]
	s_andn2_b64 s[8:9], s[8:9], exec
	s_and_b64 s[10:11], s[30:31], exec
	s_or_b64 s[8:9], s[8:9], s[10:11]
.LBB332_46:                             ;   in Loop: Header=BB332_37 Depth=1
	s_or_b64 exec, exec, s[28:29]
	s_andn2_b64 s[6:7], s[6:7], exec
	s_and_b64 s[8:9], s[8:9], exec
	s_or_b64 s[6:7], s[6:7], s[8:9]
.LBB332_47:                             ;   in Loop: Header=BB332_37 Depth=1
	s_or_b64 exec, exec, s[26:27]
	s_andn2_b64 s[4:5], s[4:5], exec
	s_and_b64 s[6:7], s[6:7], exec
	s_or_b64 s[4:5], s[4:5], s[6:7]
.LBB332_48:                             ;   in Loop: Header=BB332_37 Depth=1
	s_or_b64 exec, exec, s[24:25]
	s_andn2_b64 s[2:3], s[2:3], exec
	s_and_b64 s[4:5], s[4:5], exec
	s_or_b64 s[2:3], s[2:3], s[4:5]
.LBB332_49:                             ;   in Loop: Header=BB332_37 Depth=1
	s_or_b64 exec, exec, s[22:23]
	s_andn2_b64 s[0:1], s[0:1], exec
	s_and_b64 s[2:3], s[2:3], exec
	s_or_b64 s[0:1], s[0:1], s[2:3]
.LBB332_50:                             ;   in Loop: Header=BB332_37 Depth=1
	s_or_b64 exec, exec, s[20:21]
	s_andn2_b64 s[2:3], vcc, exec
	s_and_b64 s[0:1], s[0:1], exec
	s_or_b64 vcc, s[2:3], s[0:1]
.LBB332_51:                             ;   in Loop: Header=BB332_37 Depth=1
	s_or_b64 exec, exec, s[18:19]
	s_and_saveexec_b64 s[0:1], vcc
	s_cbranch_execz .LBB332_53
; %bb.52:                               ;   in Loop: Header=BB332_37 Depth=1
	scratch_load_dword v1, v1, off
	v_add_u32_e32 v24, s13, v0
	v_ashrrev_i32_e32 v25, 31, v24
	v_lshl_add_u64 v[24:25], v[24:25], 2, s[14:15]
	s_waitcnt vmcnt(0)
	v_mul_f32_e32 v1, v8, v1
	global_store_dword v[24:25], v1, off
.LBB332_53:                             ;   in Loop: Header=BB332_37 Depth=1
	s_or_b64 exec, exec, s[0:1]
	global_load_dword v24, v[6:7], off
	v_mov_b32_e32 v1, 0
	s_waitcnt vmcnt(0)
	v_cmp_eq_u32_e64 s[8:9], v12, v24
	v_cmp_ne_u32_e32 vcc, v12, v24
	s_and_saveexec_b64 s[10:11], vcc
	s_cbranch_execz .LBB332_67
; %bb.54:                               ;   in Loop: Header=BB332_37 Depth=1
	v_cmp_eq_u32_e32 vcc, v23, v24
	v_cmp_ne_u32_e64 s[0:1], v23, v24
	v_mov_b32_e32 v1, v20
	s_and_saveexec_b64 s[18:19], s[0:1]
	s_cbranch_execz .LBB332_66
; %bb.55:                               ;   in Loop: Header=BB332_37 Depth=1
	v_cmp_eq_u32_e64 s[0:1], v22, v24
	v_cmp_ne_u32_e64 s[2:3], v22, v24
	v_mov_b32_e32 v1, v18
	s_and_saveexec_b64 s[20:21], s[2:3]
	s_cbranch_execz .LBB332_65
; %bb.56:                               ;   in Loop: Header=BB332_37 Depth=1
	v_cmp_eq_u32_e64 s[2:3], v21, v24
	;; [unrolled: 6-line block ×5, first 2 shown]
	v_cmp_ne_u32_e64 s[6:7], v15, v24
	v_mov_b32_e32 v1, v9
	s_and_saveexec_b64 s[34:35], s[6:7]
; %bb.60:                               ;   in Loop: Header=BB332_37 Depth=1
	v_cmp_eq_u32_e64 s[6:7], v13, v24
	s_andn2_b64 s[30:31], s[30:31], exec
	s_and_b64 s[6:7], s[6:7], exec
	s_or_b64 s[30:31], s[30:31], s[6:7]
	v_mov_b32_e32 v1, v10
; %bb.61:                               ;   in Loop: Header=BB332_37 Depth=1
	s_or_b64 exec, exec, s[34:35]
	s_andn2_b64 s[6:7], s[26:27], exec
	s_and_b64 s[26:27], s[30:31], exec
	s_or_b64 s[26:27], s[6:7], s[26:27]
.LBB332_62:                             ;   in Loop: Header=BB332_37 Depth=1
	s_or_b64 exec, exec, s[28:29]
	s_andn2_b64 s[4:5], s[4:5], exec
	s_and_b64 s[6:7], s[26:27], exec
	s_or_b64 s[4:5], s[4:5], s[6:7]
.LBB332_63:                             ;   in Loop: Header=BB332_37 Depth=1
	s_or_b64 exec, exec, s[24:25]
	s_andn2_b64 s[2:3], s[2:3], exec
	s_and_b64 s[4:5], s[4:5], exec
	s_or_b64 s[2:3], s[2:3], s[4:5]
.LBB332_64:                             ;   in Loop: Header=BB332_37 Depth=1
	s_or_b64 exec, exec, s[22:23]
	s_andn2_b64 s[0:1], s[0:1], exec
	s_and_b64 s[2:3], s[2:3], exec
	s_or_b64 s[0:1], s[0:1], s[2:3]
.LBB332_65:                             ;   in Loop: Header=BB332_37 Depth=1
	s_or_b64 exec, exec, s[20:21]
	s_andn2_b64 s[2:3], vcc, exec
	s_and_b64 s[0:1], s[0:1], exec
	s_or_b64 vcc, s[2:3], s[0:1]
.LBB332_66:                             ;   in Loop: Header=BB332_37 Depth=1
	s_or_b64 exec, exec, s[18:19]
	s_andn2_b64 s[0:1], s[8:9], exec
	s_and_b64 s[2:3], vcc, exec
	s_or_b64 s[8:9], s[0:1], s[2:3]
.LBB332_67:                             ;   in Loop: Header=BB332_37 Depth=1
	s_or_b64 exec, exec, s[10:11]
	s_and_saveexec_b64 s[0:1], s[8:9]
	s_cbranch_execz .LBB332_36
; %bb.68:                               ;   in Loop: Header=BB332_37 Depth=1
	scratch_load_dword v1, v1, off
	s_waitcnt vmcnt(0)
	v_mul_f32_e32 v1, v8, v1
	global_store_dword v[4:5], v1, off
	s_branch .LBB332_36
.LBB332_69:
	s_bitcmp0_b32 s12, 0
	s_mov_b32 s17, 0
	s_cbranch_scc1 .LBB332_31
; %bb.70:
	v_lshl_add_u64 v[2:3], s[16:17], 3, v[2:3]
	global_load_dword v1, v[2:3], off
	v_mov_b32_e32 v2, 0
	s_waitcnt vmcnt(0)
	v_cmp_eq_u32_e64 s[8:9], v12, v1
	v_cmp_ne_u32_e32 vcc, v12, v1
	s_and_saveexec_b64 s[10:11], vcc
	s_cbranch_execz .LBB332_84
; %bb.71:
	v_cmp_eq_u32_e32 vcc, v23, v1
	v_cmp_ne_u32_e64 s[0:1], v23, v1
	s_and_saveexec_b64 s[12:13], s[0:1]
	s_cbranch_execz .LBB332_83
; %bb.72:
	v_cmp_eq_u32_e64 s[0:1], v22, v1
	v_cmp_ne_u32_e64 s[2:3], v22, v1
	s_and_saveexec_b64 s[18:19], s[2:3]
	s_cbranch_execz .LBB332_82
; %bb.73:
	v_cmp_eq_u32_e64 s[2:3], v21, v1
	;; [unrolled: 5-line block ×5, first 2 shown]
	v_cmp_ne_u32_e64 s[6:7], v15, v1
	s_and_saveexec_b64 s[30:31], s[6:7]
; %bb.77:
	v_cmp_eq_u32_e64 s[6:7], v13, v1
	s_andn2_b64 s[28:29], s[28:29], exec
	s_and_b64 s[6:7], s[6:7], exec
	s_or_b64 s[28:29], s[28:29], s[6:7]
	v_mov_b32_e32 v9, v10
; %bb.78:
	s_or_b64 exec, exec, s[30:31]
	s_andn2_b64 s[6:7], s[24:25], exec
	s_and_b64 s[24:25], s[28:29], exec
	s_or_b64 s[24:25], s[6:7], s[24:25]
	v_mov_b32_e32 v11, v9
.LBB332_79:
	s_or_b64 exec, exec, s[26:27]
	s_andn2_b64 s[4:5], s[4:5], exec
	s_and_b64 s[6:7], s[24:25], exec
	s_or_b64 s[4:5], s[4:5], s[6:7]
	v_mov_b32_e32 v14, v11
.LBB332_80:
	s_or_b64 exec, exec, s[22:23]
	s_andn2_b64 s[2:3], s[2:3], exec
	s_and_b64 s[4:5], s[4:5], exec
	s_or_b64 s[2:3], s[2:3], s[4:5]
	v_mov_b32_e32 v16, v14
.LBB332_81:
	s_or_b64 exec, exec, s[20:21]
	s_andn2_b64 s[0:1], s[0:1], exec
	s_and_b64 s[2:3], s[2:3], exec
	s_or_b64 s[0:1], s[0:1], s[2:3]
	v_mov_b32_e32 v18, v16
.LBB332_82:
	s_or_b64 exec, exec, s[18:19]
	s_andn2_b64 s[2:3], vcc, exec
	s_and_b64 s[0:1], s[0:1], exec
	s_or_b64 vcc, s[2:3], s[0:1]
	v_mov_b32_e32 v20, v18
.LBB332_83:
	s_or_b64 exec, exec, s[12:13]
	s_andn2_b64 s[0:1], s[8:9], exec
	s_and_b64 s[2:3], vcc, exec
	s_or_b64 s[8:9], s[0:1], s[2:3]
	v_mov_b32_e32 v2, v20
.LBB332_84:
	s_or_b64 exec, exec, s[10:11]
	s_and_b64 exec, exec, s[8:9]
	s_cbranch_execz .LBB332_31
; %bb.85:
	scratch_load_dword v2, v2, off
	v_add_u32_e32 v0, s16, v0
	v_ashrrev_i32_e32 v1, 31, v0
	s_waitcnt lgkmcnt(0)
	v_lshl_add_u64 v[0:1], v[0:1], 2, s[14:15]
	s_waitcnt vmcnt(0)
	v_mul_f32_e32 v2, v8, v2
	global_store_dword v[0:1], v2, off
	s_endpgm
	.section	.rodata,"a",@progbits
	.p2align	6, 0x0
	.amdhsa_kernel _ZN4vllm3moe22topkGatingSoftplusSqrtILi8ELi256ELi4ELi16ELi64ELb1El6__halfEEvPKT6_PKbPfiPT5_PiiiibdPKfPKS9_SF_
		.amdhsa_group_segment_fixed_size 0
		.amdhsa_private_segment_fixed_size 48
		.amdhsa_kernarg_size 96
		.amdhsa_user_sgpr_count 2
		.amdhsa_user_sgpr_dispatch_ptr 0
		.amdhsa_user_sgpr_queue_ptr 0
		.amdhsa_user_sgpr_kernarg_segment_ptr 1
		.amdhsa_user_sgpr_dispatch_id 0
		.amdhsa_user_sgpr_kernarg_preload_length 0
		.amdhsa_user_sgpr_kernarg_preload_offset 0
		.amdhsa_user_sgpr_private_segment_size 0
		.amdhsa_uses_dynamic_stack 0
		.amdhsa_enable_private_segment 1
		.amdhsa_system_sgpr_workgroup_id_x 1
		.amdhsa_system_sgpr_workgroup_id_y 0
		.amdhsa_system_sgpr_workgroup_id_z 0
		.amdhsa_system_sgpr_workgroup_info 0
		.amdhsa_system_vgpr_workitem_id 1
		.amdhsa_next_free_vgpr 29
		.amdhsa_next_free_sgpr 36
		.amdhsa_accum_offset 32
		.amdhsa_reserve_vcc 1
		.amdhsa_float_round_mode_32 0
		.amdhsa_float_round_mode_16_64 0
		.amdhsa_float_denorm_mode_32 3
		.amdhsa_float_denorm_mode_16_64 3
		.amdhsa_dx10_clamp 1
		.amdhsa_ieee_mode 1
		.amdhsa_fp16_overflow 0
		.amdhsa_tg_split 0
		.amdhsa_exception_fp_ieee_invalid_op 0
		.amdhsa_exception_fp_denorm_src 0
		.amdhsa_exception_fp_ieee_div_zero 0
		.amdhsa_exception_fp_ieee_overflow 0
		.amdhsa_exception_fp_ieee_underflow 0
		.amdhsa_exception_fp_ieee_inexact 0
		.amdhsa_exception_int_div_zero 0
	.end_amdhsa_kernel
	.section	.text._ZN4vllm3moe22topkGatingSoftplusSqrtILi8ELi256ELi4ELi16ELi64ELb1El6__halfEEvPKT6_PKbPfiPT5_PiiiibdPKfPKS9_SF_,"axG",@progbits,_ZN4vllm3moe22topkGatingSoftplusSqrtILi8ELi256ELi4ELi16ELi64ELb1El6__halfEEvPKT6_PKbPfiPT5_PiiiibdPKfPKS9_SF_,comdat
.Lfunc_end332:
	.size	_ZN4vllm3moe22topkGatingSoftplusSqrtILi8ELi256ELi4ELi16ELi64ELb1El6__halfEEvPKT6_PKbPfiPT5_PiiiibdPKfPKS9_SF_, .Lfunc_end332-_ZN4vllm3moe22topkGatingSoftplusSqrtILi8ELi256ELi4ELi16ELi64ELb1El6__halfEEvPKT6_PKbPfiPT5_PiiiibdPKfPKS9_SF_
                                        ; -- End function
	.section	.AMDGPU.csdata,"",@progbits
; Kernel info:
; codeLenInByte = 4652
; NumSgprs: 42
; NumVgprs: 29
; NumAgprs: 0
; TotalNumVgprs: 29
; ScratchSize: 48
; MemoryBound: 0
; FloatMode: 240
; IeeeMode: 1
; LDSByteSize: 0 bytes/workgroup (compile time only)
; SGPRBlocks: 5
; VGPRBlocks: 3
; NumSGPRsForWavesPerEU: 42
; NumVGPRsForWavesPerEU: 29
; AccumOffset: 32
; Occupancy: 8
; WaveLimiterHint : 1
; COMPUTE_PGM_RSRC2:SCRATCH_EN: 1
; COMPUTE_PGM_RSRC2:USER_SGPR: 2
; COMPUTE_PGM_RSRC2:TRAP_HANDLER: 0
; COMPUTE_PGM_RSRC2:TGID_X_EN: 1
; COMPUTE_PGM_RSRC2:TGID_Y_EN: 0
; COMPUTE_PGM_RSRC2:TGID_Z_EN: 0
; COMPUTE_PGM_RSRC2:TIDIG_COMP_CNT: 1
; COMPUTE_PGM_RSRC3_GFX90A:ACCUM_OFFSET: 7
; COMPUTE_PGM_RSRC3_GFX90A:TG_SPLIT: 0
	.section	.text._ZN4vllm3moe22topkGatingSoftplusSqrtILi8ELi256ELi4ELi16ELi64ELb0El6__halfEEvPKT6_PKbPfiPT5_PiiiibdPKfPKS9_SF_,"axG",@progbits,_ZN4vllm3moe22topkGatingSoftplusSqrtILi8ELi256ELi4ELi16ELi64ELb0El6__halfEEvPKT6_PKbPfiPT5_PiiiibdPKfPKS9_SF_,comdat
	.protected	_ZN4vllm3moe22topkGatingSoftplusSqrtILi8ELi256ELi4ELi16ELi64ELb0El6__halfEEvPKT6_PKbPfiPT5_PiiiibdPKfPKS9_SF_ ; -- Begin function _ZN4vllm3moe22topkGatingSoftplusSqrtILi8ELi256ELi4ELi16ELi64ELb0El6__halfEEvPKT6_PKbPfiPT5_PiiiibdPKfPKS9_SF_
	.globl	_ZN4vllm3moe22topkGatingSoftplusSqrtILi8ELi256ELi4ELi16ELi64ELb0El6__halfEEvPKT6_PKbPfiPT5_PiiiibdPKfPKS9_SF_
	.p2align	8
	.type	_ZN4vllm3moe22topkGatingSoftplusSqrtILi8ELi256ELi4ELi16ELi64ELb0El6__halfEEvPKT6_PKbPfiPT5_PiiiibdPKfPKS9_SF_,@function
_ZN4vllm3moe22topkGatingSoftplusSqrtILi8ELi256ELi4ELi16ELi64ELb0El6__halfEEvPKT6_PKbPfiPT5_PiiiibdPKfPKS9_SF_: ; @_ZN4vllm3moe22topkGatingSoftplusSqrtILi8ELi256ELi4ELi16ELi64ELb0El6__halfEEvPKT6_PKbPfiPT5_PiiiibdPKfPKS9_SF_
; %bb.0:
	s_load_dword s33, s[0:1], 0x18
	v_bfe_u32 v1, v0, 10, 10
	v_and_b32_e32 v0, 0x3ff, v0
	s_lshl_b32 s2, s2, 3
	v_lshlrev_b32_e32 v1, 1, v1
	v_lshrrev_b32_e32 v2, 5, v0
	v_add3_u32 v8, s2, v1, v2
	s_waitcnt lgkmcnt(0)
	v_cmp_gt_i32_e32 vcc, s33, v8
	s_and_saveexec_b64 s[2:3], vcc
	s_cbranch_execz .LBB333_65
; %bb.1:
	s_load_dwordx4 s[4:7], s[0:1], 0x0
	s_load_dwordx2 s[34:35], s[0:1], 0x10
	s_waitcnt lgkmcnt(0)
	s_cmp_eq_u64 s[6:7], 0
	s_cbranch_scc1 .LBB333_3
; %bb.2:
	v_ashrrev_i32_e32 v9, 31, v8
	v_lshl_add_u64 v[2:3], s[6:7], 0, v[8:9]
	global_load_ubyte v1, v[2:3], off
	s_waitcnt vmcnt(0)
	v_and_b32_e32 v1, 1, v1
	v_cmp_eq_u32_e32 vcc, 1, v1
	s_xor_b64 s[2:3], vcc, -1
	s_orn2_b64 s[36:37], s[2:3], exec
	s_branch .LBB333_4
.LBB333_3:
	s_mov_b64 s[36:37], -1
.LBB333_4:
	v_lshlrev_b32_e32 v4, 8, v8
	v_mov_b32_e32 v2, s4
	v_mov_b32_e32 v3, s5
	v_ashrrev_i32_e32 v5, 31, v4
	v_and_b32_e32 v9, 31, v0
	v_lshl_add_u64 v[2:3], v[4:5], 1, v[2:3]
	v_mov_b32_e32 v1, 0
	v_lshlrev_b32_e32 v0, 4, v9
	v_lshl_add_u64 v[0:1], v[2:3], 0, v[0:1]
	global_load_dwordx4 v[4:7], v[0:1], off
	s_mov_b32 s12, 0x800000
	v_mov_b32_e32 v2, 0x4f800000
	s_mov_b32 s9, 0x3f317217
	s_mov_b32 s10, 0x7f800000
	v_mov_b32_e32 v3, 0x41b17218
	s_movk_i32 s8, 0x4d00
	s_mov_b32 s11, 0xf800000
	s_load_dwordx4 s[20:23], s[0:1], 0x40
	v_lshlrev_b32_e32 v12, 3, v9
	s_waitcnt lgkmcnt(0)
	s_cmp_lg_u64 s[22:23], 0
	s_cselect_b64 s[6:7], -1, 0
	s_and_b64 s[2:3], exec, s[6:7]
	s_waitcnt vmcnt(0)
	v_cvt_f32_f16_e32 v0, v4
	v_mul_f32_e32 v1, 0x3fb8aa3b, v0
	v_exp_f32_e32 v10, v1
	v_mov_b32_e32 v1, 0x260
	v_add_f32_e32 v10, 1.0, v10
	v_cmp_gt_f32_e32 vcc, s12, v10
	s_nop 1
	v_cndmask_b32_e32 v11, 1.0, v2, vcc
	v_mul_f32_e32 v10, v10, v11
	v_log_f32_e32 v11, v10
	v_cndmask_b32_e32 v13, 0, v3, vcc
	v_lshlrev_b32_e32 v10, 2, v12
	v_mul_f32_e32 v14, 0x3f317217, v11
	v_fma_f32 v14, v11, s9, -v14
	v_fmac_f32_e32 v14, 0x3377d1cf, v11
	v_fmac_f32_e32 v14, 0x3f317217, v11
	v_cmp_lt_f32_e64 vcc, |v11|, s10
	s_nop 1
	v_cndmask_b32_e32 v11, v11, v14, vcc
	v_sub_f32_e32 v11, v11, v13
	v_cmp_lt_f16_e32 vcc, s8, v4
	s_nop 1
	v_cndmask_b32_e32 v0, v11, v0, vcc
	v_mul_f32_e32 v11, 0x4f800000, v0
	v_cmp_gt_f32_e32 vcc, s11, v0
	s_nop 1
	v_cndmask_b32_e32 v0, v0, v11, vcc
	v_sqrt_f32_e32 v11, v0
	s_nop 0
	v_add_u32_e32 v13, -1, v11
	v_add_u32_e32 v14, 1, v11
	v_fma_f32 v15, -v13, v11, v0
	v_fma_f32 v16, -v14, v11, v0
	v_cmp_ge_f32_e64 s[4:5], 0, v15
	s_nop 1
	v_cndmask_b32_e64 v11, v11, v13, s[4:5]
	v_cmp_lt_f32_e64 s[4:5], 0, v16
	s_nop 1
	v_cndmask_b32_e64 v11, v11, v14, s[4:5]
	v_mul_f32_e32 v13, 0x37800000, v11
	v_cndmask_b32_e32 v11, v11, v13, vcc
	v_cmp_class_f32_e32 vcc, v0, v1
	s_nop 1
	v_cndmask_b32_e32 v0, v11, v0, vcc
	s_mov_b64 vcc, s[2:3]
	s_cbranch_vccz .LBB333_6
; %bb.5:
	global_load_dword v11, v10, s[22:23]
	s_waitcnt vmcnt(0)
	v_add_f32_e32 v0, v0, v11
.LBB333_6:
	v_cvt_f32_f16_sdwa v11, v4 dst_sel:DWORD dst_unused:UNUSED_PAD src0_sel:WORD_1
	v_mul_f32_e32 v13, 0x3fb8aa3b, v11
	v_exp_f32_e32 v13, v13
	s_nop 0
	v_add_f32_e32 v13, 1.0, v13
	v_cmp_gt_f32_e32 vcc, s12, v13
	s_nop 1
	v_cndmask_b32_e32 v2, 1.0, v2, vcc
	v_mul_f32_e32 v2, v13, v2
	v_log_f32_e32 v2, v2
	v_cndmask_b32_e32 v3, 0, v3, vcc
	v_mul_f32_e32 v13, 0x3f317217, v2
	v_fma_f32 v13, v2, s9, -v13
	v_fmac_f32_e32 v13, 0x3377d1cf, v2
	v_fmac_f32_e32 v13, 0x3f317217, v2
	v_cmp_lt_f32_e64 vcc, |v2|, s10
	s_nop 1
	v_cndmask_b32_e32 v2, v2, v13, vcc
	v_sub_f32_e32 v2, v2, v3
	v_cmp_gt_f16_sdwa vcc, v4, s8 src0_sel:WORD_1 src1_sel:DWORD
	v_cndmask_b32_e64 v4, 0, 1, s[6:7]
	v_cmp_ne_u32_e64 s[2:3], 1, v4
	v_cndmask_b32_e32 v2, v2, v11, vcc
	v_mul_f32_e32 v3, 0x4f800000, v2
	v_cmp_gt_f32_e64 s[4:5], s11, v2
	s_andn2_b64 vcc, exec, s[6:7]
	s_nop 0
	v_cndmask_b32_e64 v2, v2, v3, s[4:5]
	v_sqrt_f32_e32 v3, v2
	s_nop 0
	v_add_u32_e32 v4, -1, v3
	v_add_u32_e32 v11, 1, v3
	v_fma_f32 v13, -v4, v3, v2
	v_fma_f32 v14, -v11, v3, v2
	v_cmp_ge_f32_e64 s[6:7], 0, v13
	s_nop 1
	v_cndmask_b32_e64 v3, v3, v4, s[6:7]
	v_cmp_lt_f32_e64 s[6:7], 0, v14
	s_nop 1
	v_cndmask_b32_e64 v3, v3, v11, s[6:7]
	v_mul_f32_e32 v4, 0x37800000, v3
	v_cndmask_b32_e64 v3, v3, v4, s[4:5]
	v_cmp_class_f32_e64 s[4:5], v2, v1
	s_nop 1
	v_cndmask_b32_e64 v1, v3, v2, s[4:5]
	s_cbranch_vccnz .LBB333_8
; %bb.7:
	global_load_dword v2, v10, s[22:23] offset:4
	s_waitcnt vmcnt(0)
	v_add_f32_e32 v1, v1, v2
.LBB333_8:
	v_cvt_f32_f16_e32 v2, v5
	s_mov_b32 s8, 0x800000
	v_mov_b32_e32 v4, 0x4f800000
	s_mov_b32 s7, 0x3f317217
	v_mul_f32_e32 v3, 0x3fb8aa3b, v2
	v_exp_f32_e32 v3, v3
	s_mov_b32 s9, 0x7f800000
	s_movk_i32 s6, 0x4d00
	s_mov_b32 s10, 0xf800000
	v_add_f32_e32 v3, 1.0, v3
	v_cmp_gt_f32_e32 vcc, s8, v3
	s_nop 1
	v_cndmask_b32_e32 v11, 1.0, v4, vcc
	v_mul_f32_e32 v3, v3, v11
	v_log_f32_e32 v3, v3
	v_mov_b32_e32 v11, 0x41b17218
	v_cndmask_b32_e32 v13, 0, v11, vcc
	v_mul_f32_e32 v14, 0x3f317217, v3
	v_fma_f32 v14, v3, s7, -v14
	v_fmac_f32_e32 v14, 0x3377d1cf, v3
	v_fmac_f32_e32 v14, 0x3f317217, v3
	v_cmp_lt_f32_e64 vcc, |v3|, s9
	s_nop 1
	v_cndmask_b32_e32 v3, v3, v14, vcc
	v_sub_f32_e32 v3, v3, v13
	v_cmp_lt_f16_e32 vcc, s6, v5
	s_nop 1
	v_cndmask_b32_e32 v2, v3, v2, vcc
	v_mul_f32_e32 v3, 0x4f800000, v2
	v_cmp_gt_f32_e32 vcc, s10, v2
	s_nop 1
	v_cndmask_b32_e32 v2, v2, v3, vcc
	v_sqrt_f32_e32 v3, v2
	s_nop 0
	v_add_u32_e32 v13, -1, v3
	v_fma_f32 v14, -v13, v3, v2
	v_cmp_ge_f32_e64 s[4:5], 0, v14
	v_add_u32_e32 v14, 1, v3
	s_nop 0
	v_cndmask_b32_e64 v13, v3, v13, s[4:5]
	v_fma_f32 v3, -v14, v3, v2
	v_cmp_lt_f32_e64 s[4:5], 0, v3
	s_nop 1
	v_cndmask_b32_e64 v3, v13, v14, s[4:5]
	v_mul_f32_e32 v13, 0x37800000, v3
	v_cndmask_b32_e32 v13, v3, v13, vcc
	v_mov_b32_e32 v3, 0x260
	v_cmp_class_f32_e64 s[4:5], v2, v3
	s_and_b64 vcc, exec, s[2:3]
	s_nop 0
	v_cndmask_b32_e64 v2, v13, v2, s[4:5]
	s_cbranch_vccnz .LBB333_10
; %bb.9:
	global_load_dword v13, v10, s[22:23] offset:8
	s_waitcnt vmcnt(0)
	v_add_f32_e32 v2, v2, v13
.LBB333_10:
	v_cvt_f32_f16_sdwa v13, v5 dst_sel:DWORD dst_unused:UNUSED_PAD src0_sel:WORD_1
	v_mul_f32_e32 v14, 0x3fb8aa3b, v13
	v_exp_f32_e32 v14, v14
	s_nop 0
	v_add_f32_e32 v14, 1.0, v14
	v_cmp_gt_f32_e32 vcc, s8, v14
	s_nop 1
	v_cndmask_b32_e32 v4, 1.0, v4, vcc
	v_mul_f32_e32 v4, v14, v4
	v_log_f32_e32 v4, v4
	v_cndmask_b32_e32 v11, 0, v11, vcc
	v_mul_f32_e32 v14, 0x3f317217, v4
	v_fma_f32 v14, v4, s7, -v14
	v_fmac_f32_e32 v14, 0x3377d1cf, v4
	v_fmac_f32_e32 v14, 0x3f317217, v4
	v_cmp_lt_f32_e64 vcc, |v4|, s9
	s_nop 1
	v_cndmask_b32_e32 v4, v4, v14, vcc
	v_sub_f32_e32 v4, v4, v11
	v_cmp_gt_f16_sdwa vcc, v5, s6 src0_sel:WORD_1 src1_sel:DWORD
	s_nop 1
	v_cndmask_b32_e32 v4, v4, v13, vcc
	v_mul_f32_e32 v5, 0x4f800000, v4
	v_cmp_gt_f32_e64 s[4:5], s10, v4
	s_and_b64 vcc, exec, s[2:3]
	s_nop 0
	v_cndmask_b32_e64 v4, v4, v5, s[4:5]
	v_sqrt_f32_e32 v5, v4
	s_nop 0
	v_add_u32_e32 v11, -1, v5
	v_add_u32_e32 v13, 1, v5
	v_fma_f32 v14, -v11, v5, v4
	v_fma_f32 v15, -v13, v5, v4
	v_cmp_ge_f32_e64 s[6:7], 0, v14
	s_nop 1
	v_cndmask_b32_e64 v5, v5, v11, s[6:7]
	v_cmp_lt_f32_e64 s[6:7], 0, v15
	s_nop 1
	v_cndmask_b32_e64 v5, v5, v13, s[6:7]
	v_mul_f32_e32 v11, 0x37800000, v5
	v_cndmask_b32_e64 v5, v5, v11, s[4:5]
	v_cmp_class_f32_e64 s[4:5], v4, v3
	s_nop 1
	v_cndmask_b32_e64 v3, v5, v4, s[4:5]
	s_cbranch_vccnz .LBB333_12
; %bb.11:
	global_load_dword v4, v10, s[22:23] offset:12
	s_waitcnt vmcnt(0)
	v_add_f32_e32 v3, v3, v4
.LBB333_12:
	v_cvt_f32_f16_e32 v4, v6
	v_mov_b32_e32 v11, 0x4f800000
	s_mov_b32 s7, 0x3f317217
	s_movk_i32 s6, 0x4d00
	v_mul_f32_e32 v5, 0x3fb8aa3b, v4
	v_exp_f32_e32 v5, v5
	s_nop 0
	v_add_f32_e32 v5, 1.0, v5
	v_cmp_gt_f32_e32 vcc, s8, v5
	s_nop 1
	v_cndmask_b32_e32 v13, 1.0, v11, vcc
	v_mul_f32_e32 v5, v5, v13
	v_log_f32_e32 v5, v5
	v_mov_b32_e32 v13, 0x41b17218
	v_cndmask_b32_e32 v14, 0, v13, vcc
	v_mul_f32_e32 v15, 0x3f317217, v5
	v_fma_f32 v15, v5, s7, -v15
	v_fmac_f32_e32 v15, 0x3377d1cf, v5
	v_fmac_f32_e32 v15, 0x3f317217, v5
	v_cmp_lt_f32_e64 vcc, |v5|, s9
	s_nop 1
	v_cndmask_b32_e32 v5, v5, v15, vcc
	v_sub_f32_e32 v5, v5, v14
	v_cmp_lt_f16_e32 vcc, s6, v6
	s_nop 1
	v_cndmask_b32_e32 v4, v5, v4, vcc
	v_mul_f32_e32 v5, 0x4f800000, v4
	v_cmp_gt_f32_e32 vcc, s10, v4
	s_nop 1
	v_cndmask_b32_e32 v4, v4, v5, vcc
	v_sqrt_f32_e32 v5, v4
	s_nop 0
	v_add_u32_e32 v14, -1, v5
	v_fma_f32 v15, -v14, v5, v4
	v_cmp_ge_f32_e64 s[4:5], 0, v15
	v_add_u32_e32 v15, 1, v5
	s_nop 0
	v_cndmask_b32_e64 v14, v5, v14, s[4:5]
	v_fma_f32 v5, -v15, v5, v4
	v_cmp_lt_f32_e64 s[4:5], 0, v5
	s_nop 1
	v_cndmask_b32_e64 v5, v14, v15, s[4:5]
	v_mul_f32_e32 v14, 0x37800000, v5
	v_cndmask_b32_e32 v14, v5, v14, vcc
	v_mov_b32_e32 v5, 0x260
	v_cmp_class_f32_e64 s[4:5], v4, v5
	s_and_b64 vcc, exec, s[2:3]
	s_nop 0
	v_cndmask_b32_e64 v4, v14, v4, s[4:5]
	s_cbranch_vccnz .LBB333_14
; %bb.13:
	global_load_dword v14, v10, s[22:23] offset:16
	s_waitcnt vmcnt(0)
	v_add_f32_e32 v4, v4, v14
.LBB333_14:
	v_cvt_f32_f16_sdwa v14, v6 dst_sel:DWORD dst_unused:UNUSED_PAD src0_sel:WORD_1
	v_mul_f32_e32 v15, 0x3fb8aa3b, v14
	v_exp_f32_e32 v15, v15
	s_nop 0
	v_add_f32_e32 v15, 1.0, v15
	v_cmp_gt_f32_e32 vcc, s8, v15
	s_nop 1
	v_cndmask_b32_e32 v11, 1.0, v11, vcc
	v_mul_f32_e32 v11, v15, v11
	v_log_f32_e32 v11, v11
	v_cndmask_b32_e32 v13, 0, v13, vcc
	v_mul_f32_e32 v15, 0x3f317217, v11
	v_fma_f32 v15, v11, s7, -v15
	v_fmac_f32_e32 v15, 0x3377d1cf, v11
	v_fmac_f32_e32 v15, 0x3f317217, v11
	v_cmp_lt_f32_e64 vcc, |v11|, s9
	s_nop 1
	v_cndmask_b32_e32 v11, v11, v15, vcc
	v_sub_f32_e32 v11, v11, v13
	v_cmp_gt_f16_sdwa vcc, v6, s6 src0_sel:WORD_1 src1_sel:DWORD
	s_nop 1
	v_cndmask_b32_e32 v6, v11, v14, vcc
	v_mul_f32_e32 v11, 0x4f800000, v6
	v_cmp_gt_f32_e64 s[4:5], s10, v6
	s_and_b64 vcc, exec, s[2:3]
	s_nop 0
	v_cndmask_b32_e64 v6, v6, v11, s[4:5]
	v_sqrt_f32_e32 v11, v6
	s_nop 0
	v_add_u32_e32 v13, -1, v11
	v_add_u32_e32 v14, 1, v11
	v_fma_f32 v15, -v13, v11, v6
	v_fma_f32 v16, -v14, v11, v6
	v_cmp_ge_f32_e64 s[6:7], 0, v15
	s_nop 1
	v_cndmask_b32_e64 v11, v11, v13, s[6:7]
	v_cmp_lt_f32_e64 s[6:7], 0, v16
	s_nop 1
	v_cndmask_b32_e64 v11, v11, v14, s[6:7]
	v_mul_f32_e32 v13, 0x37800000, v11
	v_cndmask_b32_e64 v11, v11, v13, s[4:5]
	v_cmp_class_f32_e64 s[4:5], v6, v5
	s_nop 1
	v_cndmask_b32_e64 v5, v11, v6, s[4:5]
	s_cbranch_vccnz .LBB333_16
; %bb.15:
	global_load_dword v6, v10, s[22:23] offset:20
	s_waitcnt vmcnt(0)
	v_add_f32_e32 v5, v5, v6
.LBB333_16:
	v_cvt_f32_f16_e32 v6, v7
	v_mov_b32_e32 v13, 0x4f800000
	s_mov_b32 s7, 0x3f317217
	s_movk_i32 s6, 0x4d00
	v_mul_f32_e32 v11, 0x3fb8aa3b, v6
	v_exp_f32_e32 v11, v11
	s_nop 0
	v_add_f32_e32 v11, 1.0, v11
	v_cmp_gt_f32_e32 vcc, s8, v11
	s_nop 1
	v_cndmask_b32_e32 v14, 1.0, v13, vcc
	v_mul_f32_e32 v11, v11, v14
	v_log_f32_e32 v11, v11
	v_mov_b32_e32 v14, 0x41b17218
	v_cndmask_b32_e32 v15, 0, v14, vcc
	v_mul_f32_e32 v16, 0x3f317217, v11
	v_fma_f32 v16, v11, s7, -v16
	v_fmac_f32_e32 v16, 0x3377d1cf, v11
	v_fmac_f32_e32 v16, 0x3f317217, v11
	v_cmp_lt_f32_e64 vcc, |v11|, s9
	s_nop 1
	v_cndmask_b32_e32 v11, v11, v16, vcc
	v_sub_f32_e32 v11, v11, v15
	v_cmp_lt_f16_e32 vcc, s6, v7
	s_nop 1
	v_cndmask_b32_e32 v6, v11, v6, vcc
	v_mul_f32_e32 v11, 0x4f800000, v6
	v_cmp_gt_f32_e32 vcc, s10, v6
	s_nop 1
	v_cndmask_b32_e32 v6, v6, v11, vcc
	v_sqrt_f32_e32 v11, v6
	s_nop 0
	v_add_u32_e32 v15, -1, v11
	v_fma_f32 v16, -v15, v11, v6
	v_cmp_ge_f32_e64 s[4:5], 0, v16
	v_add_u32_e32 v16, 1, v11
	s_nop 0
	v_cndmask_b32_e64 v15, v11, v15, s[4:5]
	v_fma_f32 v11, -v16, v11, v6
	v_cmp_lt_f32_e64 s[4:5], 0, v11
	s_nop 1
	v_cndmask_b32_e64 v11, v15, v16, s[4:5]
	v_mul_f32_e32 v15, 0x37800000, v11
	v_cndmask_b32_e32 v15, v11, v15, vcc
	v_mov_b32_e32 v11, 0x260
	v_cmp_class_f32_e64 s[4:5], v6, v11
	s_and_b64 vcc, exec, s[2:3]
	s_nop 0
	v_cndmask_b32_e64 v6, v15, v6, s[4:5]
	s_cbranch_vccnz .LBB333_18
; %bb.17:
	global_load_dword v15, v10, s[22:23] offset:24
	s_waitcnt vmcnt(0)
	v_add_f32_e32 v6, v6, v15
.LBB333_18:
	v_cvt_f32_f16_sdwa v15, v7 dst_sel:DWORD dst_unused:UNUSED_PAD src0_sel:WORD_1
	v_mul_f32_e32 v16, 0x3fb8aa3b, v15
	v_exp_f32_e32 v16, v16
	s_nop 0
	v_add_f32_e32 v16, 1.0, v16
	v_cmp_gt_f32_e32 vcc, s8, v16
	s_nop 1
	v_cndmask_b32_e32 v13, 1.0, v13, vcc
	v_mul_f32_e32 v13, v16, v13
	v_log_f32_e32 v13, v13
	v_cndmask_b32_e32 v14, 0, v14, vcc
	v_mul_f32_e32 v16, 0x3f317217, v13
	v_fma_f32 v16, v13, s7, -v16
	v_fmac_f32_e32 v16, 0x3377d1cf, v13
	v_fmac_f32_e32 v16, 0x3f317217, v13
	v_cmp_lt_f32_e64 vcc, |v13|, s9
	s_nop 1
	v_cndmask_b32_e32 v13, v13, v16, vcc
	v_sub_f32_e32 v13, v13, v14
	v_cmp_gt_f16_sdwa vcc, v7, s6 src0_sel:WORD_1 src1_sel:DWORD
	s_nop 1
	v_cndmask_b32_e32 v7, v13, v15, vcc
	v_mul_f32_e32 v13, 0x4f800000, v7
	v_cmp_gt_f32_e64 s[4:5], s10, v7
	s_and_b64 vcc, exec, s[2:3]
	s_nop 0
	v_cndmask_b32_e64 v7, v7, v13, s[4:5]
	v_sqrt_f32_e32 v13, v7
	s_nop 0
	v_add_u32_e32 v14, -1, v13
	v_add_u32_e32 v15, 1, v13
	v_fma_f32 v16, -v14, v13, v7
	v_fma_f32 v17, -v15, v13, v7
	v_cmp_ge_f32_e64 s[6:7], 0, v16
	s_nop 1
	v_cndmask_b32_e64 v13, v13, v14, s[6:7]
	v_cmp_lt_f32_e64 s[6:7], 0, v17
	s_nop 1
	v_cndmask_b32_e64 v13, v13, v15, s[6:7]
	v_mul_f32_e32 v14, 0x37800000, v13
	v_cndmask_b32_e64 v13, v13, v14, s[4:5]
	v_cmp_class_f32_e64 s[4:5], v7, v11
	s_nop 1
	v_cndmask_b32_e64 v7, v13, v7, s[4:5]
	s_cbranch_vccnz .LBB333_20
; %bb.19:
	global_load_dword v10, v10, s[22:23] offset:28
	s_waitcnt vmcnt(0)
	v_add_f32_e32 v7, v7, v10
.LBB333_20:
	s_load_dwordx4 s[24:27], s[0:1], 0x30
	s_mov_b32 s42, 0
	v_cmp_eq_u32_e64 s[6:7], 0, v9
	s_waitcnt lgkmcnt(0)
	s_bitcmp1_b32 s27, 0
	s_cselect_b64 s[4:5], -1, 0
	s_cmp_gt_i32 s24, 0
	s_cselect_b64 s[38:39], -1, 0
	s_and_b64 vcc, exec, s[38:39]
	s_cbranch_vccz .LBB333_51
; %bb.21:
	v_mbcnt_lo_u32_b32 v10, -1, 0
	v_mbcnt_hi_u32_b32 v10, -1, v10
	v_and_b32_e32 v11, 0x60, v10
	v_add_u32_e32 v11, 32, v11
	v_xor_b32_e32 v13, 16, v10
	v_cmp_lt_i32_e32 vcc, v13, v11
	s_load_dwordx4 s[28:31], s[0:1], 0x20
	v_mul_lo_u32 v14, v8, s24
	v_cndmask_b32_e32 v13, v10, v13, vcc
	v_lshlrev_b32_e32 v15, 2, v13
	v_xor_b32_e32 v13, 8, v10
	v_cmp_lt_i32_e32 vcc, v13, v11
	v_mov_b32_e32 v20, 0x100
	v_mov_b32_e32 v21, 0xc61c4000
	v_cndmask_b32_e32 v13, v10, v13, vcc
	v_lshlrev_b32_e32 v16, 2, v13
	v_xor_b32_e32 v13, 4, v10
	v_cmp_lt_i32_e32 vcc, v13, v11
	v_mov_b32_e32 v22, v8
	s_nop 0
	v_cndmask_b32_e32 v13, v10, v13, vcc
	v_lshlrev_b32_e32 v17, 2, v13
	v_xor_b32_e32 v13, 2, v10
	v_cmp_lt_i32_e32 vcc, v13, v11
	s_nop 1
	v_cndmask_b32_e32 v13, v10, v13, vcc
	v_lshlrev_b32_e32 v18, 2, v13
	v_xor_b32_e32 v13, 1, v10
	v_cmp_lt_i32_e32 vcc, v13, v11
	s_nop 1
	v_cndmask_b32_e32 v10, v10, v13, vcc
	v_lshlrev_b32_e32 v19, 2, v10
	v_mov_b32_e32 v13, 0
	s_branch .LBB333_24
.LBB333_22:                             ;   in Loop: Header=BB333_24 Depth=1
	s_or_b64 exec, exec, s[40:41]
.LBB333_23:                             ;   in Loop: Header=BB333_24 Depth=1
	s_cmp_eq_u32 s24, s42
	v_add_u32_e32 v22, s33, v22
	s_cbranch_scc1 .LBB333_52
.LBB333_24:                             ; =>This Inner Loop Header: Depth=1
	v_cmp_gt_f32_e32 vcc, v1, v0
	s_nop 1
	v_cndmask_b32_e32 v11, v0, v1, vcc
	v_cndmask_b32_e64 v10, 0, 1, vcc
	v_cmp_gt_f32_e32 vcc, v2, v11
	s_nop 1
	v_cndmask_b32_e32 v11, v11, v2, vcc
	v_cndmask_b32_e64 v10, v10, 2, vcc
	;; [unrolled: 4-line block ×6, first 2 shown]
	v_cmp_gt_f32_e32 vcc, v7, v11
	s_nop 1
	v_cndmask_b32_e64 v10, v10, 7, vcc
	v_cndmask_b32_e32 v23, v11, v7, vcc
	ds_bpermute_b32 v11, v15, v23
	v_or_b32_e32 v10, v12, v10
	s_waitcnt lgkmcnt(0)
	ds_bpermute_b32 v24, v15, v10
	s_waitcnt lgkmcnt(0)
	v_cmp_lt_f32_e64 s[8:9], v23, v11
	v_cmp_nlt_f32_e32 vcc, v23, v11
	s_and_saveexec_b64 s[10:11], vcc
; %bb.25:                               ;   in Loop: Header=BB333_24 Depth=1
	v_cmp_eq_f32_e32 vcc, v23, v11
	v_cmp_lt_i32_e64 s[0:1], v24, v10
	s_and_b64 s[0:1], vcc, s[0:1]
	s_andn2_b64 s[8:9], s[8:9], exec
	s_and_b64 s[0:1], s[0:1], exec
	s_or_b64 s[8:9], s[8:9], s[0:1]
; %bb.26:                               ;   in Loop: Header=BB333_24 Depth=1
	s_or_b64 exec, exec, s[10:11]
	s_and_saveexec_b64 s[0:1], s[8:9]
; %bb.27:                               ;   in Loop: Header=BB333_24 Depth=1
	v_mov_b32_e32 v23, v11
	v_mov_b32_e32 v10, v24
; %bb.28:                               ;   in Loop: Header=BB333_24 Depth=1
	s_or_b64 exec, exec, s[0:1]
	ds_bpermute_b32 v11, v16, v23
	ds_bpermute_b32 v24, v16, v10
	s_waitcnt lgkmcnt(1)
	v_cmp_lt_f32_e64 s[8:9], v23, v11
	v_cmp_nlt_f32_e32 vcc, v23, v11
	s_and_saveexec_b64 s[10:11], vcc
	s_cbranch_execz .LBB333_30
; %bb.29:                               ;   in Loop: Header=BB333_24 Depth=1
	v_cmp_eq_f32_e32 vcc, v23, v11
	s_waitcnt lgkmcnt(0)
	v_cmp_lt_i32_e64 s[0:1], v24, v10
	s_and_b64 s[0:1], vcc, s[0:1]
	s_andn2_b64 s[8:9], s[8:9], exec
	s_and_b64 s[0:1], s[0:1], exec
	s_or_b64 s[8:9], s[8:9], s[0:1]
.LBB333_30:                             ;   in Loop: Header=BB333_24 Depth=1
	s_or_b64 exec, exec, s[10:11]
	s_and_saveexec_b64 s[0:1], s[8:9]
	s_cbranch_execz .LBB333_32
; %bb.31:                               ;   in Loop: Header=BB333_24 Depth=1
	v_mov_b32_e32 v23, v11
	s_waitcnt lgkmcnt(0)
	v_mov_b32_e32 v10, v24
.LBB333_32:                             ;   in Loop: Header=BB333_24 Depth=1
	s_or_b64 exec, exec, s[0:1]
	ds_bpermute_b32 v11, v17, v23
	s_waitcnt lgkmcnt(1)
	ds_bpermute_b32 v24, v17, v10
	s_waitcnt lgkmcnt(1)
	v_cmp_lt_f32_e64 s[8:9], v23, v11
	v_cmp_nlt_f32_e32 vcc, v23, v11
	s_and_saveexec_b64 s[10:11], vcc
	s_cbranch_execz .LBB333_34
; %bb.33:                               ;   in Loop: Header=BB333_24 Depth=1
	v_cmp_eq_f32_e32 vcc, v23, v11
	s_waitcnt lgkmcnt(0)
	v_cmp_lt_i32_e64 s[0:1], v24, v10
	s_and_b64 s[0:1], vcc, s[0:1]
	s_andn2_b64 s[8:9], s[8:9], exec
	s_and_b64 s[0:1], s[0:1], exec
	s_or_b64 s[8:9], s[8:9], s[0:1]
.LBB333_34:                             ;   in Loop: Header=BB333_24 Depth=1
	s_or_b64 exec, exec, s[10:11]
	s_and_saveexec_b64 s[0:1], s[8:9]
	s_cbranch_execz .LBB333_36
; %bb.35:                               ;   in Loop: Header=BB333_24 Depth=1
	v_mov_b32_e32 v23, v11
	s_waitcnt lgkmcnt(0)
	v_mov_b32_e32 v10, v24
.LBB333_36:                             ;   in Loop: Header=BB333_24 Depth=1
	s_or_b64 exec, exec, s[0:1]
	ds_bpermute_b32 v11, v18, v23
	s_waitcnt lgkmcnt(1)
	;; [unrolled: 26-line block ×3, first 2 shown]
	ds_bpermute_b32 v24, v19, v10
	s_waitcnt lgkmcnt(1)
	v_cmp_lt_f32_e64 s[8:9], v23, v11
	v_cmp_nlt_f32_e32 vcc, v23, v11
	s_and_saveexec_b64 s[10:11], vcc
	s_cbranch_execnz .LBB333_44
; %bb.41:                               ;   in Loop: Header=BB333_24 Depth=1
	s_or_b64 exec, exec, s[10:11]
	s_and_saveexec_b64 s[0:1], s[8:9]
	s_cbranch_execnz .LBB333_45
.LBB333_42:                             ;   in Loop: Header=BB333_24 Depth=1
	s_or_b64 exec, exec, s[0:1]
	s_and_saveexec_b64 s[8:9], s[6:7]
	s_cbranch_execnz .LBB333_46
.LBB333_43:                             ;   in Loop: Header=BB333_24 Depth=1
	s_or_b64 exec, exec, s[8:9]
	s_add_i32 s42, s42, 1
	s_cmp_ge_i32 s42, s24
	s_cbranch_scc1 .LBB333_23
	s_branch .LBB333_49
.LBB333_44:                             ;   in Loop: Header=BB333_24 Depth=1
	v_cmp_eq_f32_e32 vcc, v23, v11
	s_waitcnt lgkmcnt(0)
	v_cmp_lt_i32_e64 s[0:1], v24, v10
	s_and_b64 s[0:1], vcc, s[0:1]
	s_andn2_b64 s[8:9], s[8:9], exec
	s_and_b64 s[0:1], s[0:1], exec
	s_or_b64 s[8:9], s[8:9], s[0:1]
	s_or_b64 exec, exec, s[10:11]
	s_and_saveexec_b64 s[0:1], s[8:9]
	s_cbranch_execz .LBB333_42
.LBB333_45:                             ;   in Loop: Header=BB333_24 Depth=1
	s_waitcnt lgkmcnt(0)
	v_mov_b32_e32 v10, v24
	v_mov_b32_e32 v23, v11
	s_or_b64 exec, exec, s[0:1]
	s_and_saveexec_b64 s[8:9], s[6:7]
	s_cbranch_execz .LBB333_43
.LBB333_46:                             ;   in Loop: Header=BB333_24 Depth=1
	s_and_b64 vcc, exec, s[2:3]
	s_cbranch_vccnz .LBB333_48
; %bb.47:                               ;   in Loop: Header=BB333_24 Depth=1
	v_ashrrev_i32_e32 v11, 31, v10
	s_waitcnt lgkmcnt(0)
	v_lshl_add_u64 v[24:25], v[10:11], 2, s[22:23]
	global_load_dword v11, v[24:25], off
	s_waitcnt vmcnt(0)
	v_sub_f32_e32 v23, v23, v11
.LBB333_48:                             ;   in Loop: Header=BB333_24 Depth=1
	s_waitcnt lgkmcnt(0)
	v_add_u32_e32 v24, s42, v14
	v_ashrrev_i32_e32 v25, 31, v24
	v_cmp_le_i32_e32 vcc, s25, v10
	v_cmp_gt_i32_e64 s[0:1], s26, v10
	v_lshlrev_b64 v[26:27], 2, v[24:25]
	s_and_b64 s[0:1], vcc, s[0:1]
	v_lshl_add_u64 v[28:29], s[34:35], 0, v[26:27]
	v_subrev_u32_e32 v11, s25, v10
	global_store_dword v[28:29], v23, off
	v_ashrrev_i32_e32 v28, 31, v11
	s_and_b64 vcc, s[36:37], s[0:1]
	v_cndmask_b32_e32 v29, 0, v28, vcc
	v_cndmask_b32_e32 v28, v20, v11, vcc
	v_lshl_add_u64 v[24:25], v[24:25], 3, s[28:29]
	v_add_f32_e32 v11, v13, v23
	global_store_dwordx2 v[24:25], v[28:29], off
	v_lshl_add_u64 v[24:25], s[30:31], 0, v[26:27]
	v_cndmask_b32_e64 v13, v13, v11, s[4:5]
	global_store_dword v[24:25], v22, off
	s_or_b64 exec, exec, s[8:9]
	s_add_i32 s42, s42, 1
	s_cmp_ge_i32 s42, s24
	s_cbranch_scc1 .LBB333_23
.LBB333_49:                             ;   in Loop: Header=BB333_24 Depth=1
	v_ashrrev_i32_e32 v11, 31, v10
	v_lshrrev_b32_e32 v23, 29, v11
	s_waitcnt lgkmcnt(0)
	v_add_u32_e32 v24, v10, v23
	v_ashrrev_i32_e32 v23, 3, v24
	v_ashrrev_i32_e32 v24, 31, v24
	v_lshrrev_b32_e32 v24, 27, v24
	v_add_u32_e32 v24, v23, v24
	v_and_b32_e32 v24, 0xffffffe0, v24
	v_sub_u32_e32 v24, v23, v24
	v_cmp_eq_u32_e32 vcc, v9, v24
	s_and_saveexec_b64 s[40:41], vcc
	s_cbranch_execz .LBB333_22
; %bb.50:                               ;   in Loop: Header=BB333_24 Depth=1
	v_add_u32_sdwa v11, v10, v11 dst_sel:DWORD dst_unused:UNUSED_PAD src0_sel:DWORD src1_sel:BYTE_3
	v_lshlrev_b32_e32 v23, 3, v23
	v_sub_u32_e32 v10, v10, v23
	v_ashrrev_i32_e32 v11, 8, v11
	v_lshl_add_u32 v10, v11, 3, v10
	v_cmp_ne_u32_e32 vcc, 6, v10
	v_cmp_ne_u32_e64 s[0:1], 5, v10
	v_cmp_ne_u32_e64 s[8:9], 4, v10
	;; [unrolled: 1-line block ×7, first 2 shown]
	v_cndmask_b32_e32 v6, v21, v6, vcc
	v_cndmask_b32_e64 v5, v21, v5, s[0:1]
	v_cndmask_b32_e64 v7, v21, v7, s[18:19]
	;; [unrolled: 1-line block ×7, first 2 shown]
	s_branch .LBB333_22
.LBB333_51:
	v_mov_b32_e32 v13, 0
.LBB333_52:
	v_cmp_eq_u32_e32 vcc, 0, v9
	s_and_b64 exec, exec, vcc
	s_cbranch_execz .LBB333_65
; %bb.53:
	s_andn2_b64 vcc, exec, s[4:5]
	v_cvt_f32_f64_e32 v0, s[20:21]
	s_cbranch_vccnz .LBB333_55
; %bb.54:
	v_cmp_lt_f32_e32 vcc, 0, v13
	s_nop 1
	v_cndmask_b32_e32 v1, 1.0, v13, vcc
	v_div_scale_f32 v2, s[0:1], v1, v1, v0
	v_rcp_f32_e32 v3, v2
	s_nop 0
	v_fma_f32 v4, -v2, v3, 1.0
	v_fmac_f32_e32 v3, v4, v3
	v_div_scale_f32 v4, vcc, v0, v1, v0
	v_mul_f32_e32 v5, v4, v3
	v_fma_f32 v6, -v2, v5, v4
	v_fmac_f32_e32 v5, v6, v3
	v_fma_f32 v2, -v2, v5, v4
	v_div_fmas_f32 v2, v2, v3, v5
	v_div_fixup_f32 v0, v2, v1, v0
.LBB333_55:
	s_andn2_b64 vcc, exec, s[38:39]
	s_cbranch_vccnz .LBB333_65
; %bb.56:
	v_mul_lo_u32 v2, v8, s24
	s_cmp_gt_u32 s24, 3
	v_ashrrev_i32_e32 v3, 31, v2
	s_cbranch_scc0 .LBB333_60
; %bb.57:
	s_and_b32 s0, s24, 0x7ffffffc
	v_lshl_add_u64 v[4:5], v[2:3], 2, s[34:35]
	v_mov_b32_e32 v1, v0
	v_lshl_add_u64 v[4:5], v[4:5], 0, 8
	s_mov_b32 s1, s0
.LBB333_58:                             ; =>This Inner Loop Header: Depth=1
	global_load_dwordx4 v[6:9], v[4:5], off offset:-8
	s_add_i32 s1, s1, -4
	s_cmp_lg_u32 s1, 0
	s_waitcnt vmcnt(0)
	v_pk_mul_f32 v[6:7], v[0:1], v[6:7]
	v_pk_mul_f32 v[8:9], v[0:1], v[8:9]
	global_store_dwordx4 v[4:5], v[6:9], off offset:-8
	v_lshl_add_u64 v[4:5], v[4:5], 0, 16
	s_cbranch_scc1 .LBB333_58
; %bb.59:
	s_cmp_lg_u32 s0, s24
	s_cselect_b64 s[2:3], -1, 0
	s_branch .LBB333_62
.LBB333_60:
	s_mov_b64 s[2:3], 0
                                        ; implicit-def: $sgpr0
	s_cbranch_execz .LBB333_62
; %bb.61:
	s_mov_b64 s[2:3], -1
	s_mov_b32 s0, 0
.LBB333_62:
	s_andn2_b64 vcc, exec, s[2:3]
	s_cbranch_vccnz .LBB333_65
; %bb.63:
	s_mov_b32 s1, 0
	v_lshl_add_u64 v[2:3], v[2:3], 0, s[0:1]
	s_sub_i32 s2, s24, s0
	v_lshl_add_u64 v[2:3], v[2:3], 2, s[34:35]
.LBB333_64:                             ; =>This Inner Loop Header: Depth=1
	global_load_dword v1, v[2:3], off
	s_add_i32 s2, s2, -1
	s_cmp_lg_u32 s2, 0
	s_waitcnt vmcnt(0)
	v_mul_f32_e32 v1, v0, v1
	global_store_dword v[2:3], v1, off
	v_lshl_add_u64 v[2:3], v[2:3], 0, 4
	s_cbranch_scc1 .LBB333_64
.LBB333_65:
	s_endpgm
	.section	.rodata,"a",@progbits
	.p2align	6, 0x0
	.amdhsa_kernel _ZN4vllm3moe22topkGatingSoftplusSqrtILi8ELi256ELi4ELi16ELi64ELb0El6__halfEEvPKT6_PKbPfiPT5_PiiiibdPKfPKS9_SF_
		.amdhsa_group_segment_fixed_size 0
		.amdhsa_private_segment_fixed_size 0
		.amdhsa_kernarg_size 96
		.amdhsa_user_sgpr_count 2
		.amdhsa_user_sgpr_dispatch_ptr 0
		.amdhsa_user_sgpr_queue_ptr 0
		.amdhsa_user_sgpr_kernarg_segment_ptr 1
		.amdhsa_user_sgpr_dispatch_id 0
		.amdhsa_user_sgpr_kernarg_preload_length 0
		.amdhsa_user_sgpr_kernarg_preload_offset 0
		.amdhsa_user_sgpr_private_segment_size 0
		.amdhsa_uses_dynamic_stack 0
		.amdhsa_enable_private_segment 0
		.amdhsa_system_sgpr_workgroup_id_x 1
		.amdhsa_system_sgpr_workgroup_id_y 0
		.amdhsa_system_sgpr_workgroup_id_z 0
		.amdhsa_system_sgpr_workgroup_info 0
		.amdhsa_system_vgpr_workitem_id 1
		.amdhsa_next_free_vgpr 30
		.amdhsa_next_free_sgpr 43
		.amdhsa_accum_offset 32
		.amdhsa_reserve_vcc 1
		.amdhsa_float_round_mode_32 0
		.amdhsa_float_round_mode_16_64 0
		.amdhsa_float_denorm_mode_32 3
		.amdhsa_float_denorm_mode_16_64 3
		.amdhsa_dx10_clamp 1
		.amdhsa_ieee_mode 1
		.amdhsa_fp16_overflow 0
		.amdhsa_tg_split 0
		.amdhsa_exception_fp_ieee_invalid_op 0
		.amdhsa_exception_fp_denorm_src 0
		.amdhsa_exception_fp_ieee_div_zero 0
		.amdhsa_exception_fp_ieee_overflow 0
		.amdhsa_exception_fp_ieee_underflow 0
		.amdhsa_exception_fp_ieee_inexact 0
		.amdhsa_exception_int_div_zero 0
	.end_amdhsa_kernel
	.section	.text._ZN4vllm3moe22topkGatingSoftplusSqrtILi8ELi256ELi4ELi16ELi64ELb0El6__halfEEvPKT6_PKbPfiPT5_PiiiibdPKfPKS9_SF_,"axG",@progbits,_ZN4vllm3moe22topkGatingSoftplusSqrtILi8ELi256ELi4ELi16ELi64ELb0El6__halfEEvPKT6_PKbPfiPT5_PiiiibdPKfPKS9_SF_,comdat
.Lfunc_end333:
	.size	_ZN4vllm3moe22topkGatingSoftplusSqrtILi8ELi256ELi4ELi16ELi64ELb0El6__halfEEvPKT6_PKbPfiPT5_PiiiibdPKfPKS9_SF_, .Lfunc_end333-_ZN4vllm3moe22topkGatingSoftplusSqrtILi8ELi256ELi4ELi16ELi64ELb0El6__halfEEvPKT6_PKbPfiPT5_PiiiibdPKfPKS9_SF_
                                        ; -- End function
	.section	.AMDGPU.csdata,"",@progbits
; Kernel info:
; codeLenInByte = 4216
; NumSgprs: 49
; NumVgprs: 30
; NumAgprs: 0
; TotalNumVgprs: 30
; ScratchSize: 0
; MemoryBound: 0
; FloatMode: 240
; IeeeMode: 1
; LDSByteSize: 0 bytes/workgroup (compile time only)
; SGPRBlocks: 6
; VGPRBlocks: 3
; NumSGPRsForWavesPerEU: 49
; NumVGPRsForWavesPerEU: 30
; AccumOffset: 32
; Occupancy: 8
; WaveLimiterHint : 0
; COMPUTE_PGM_RSRC2:SCRATCH_EN: 0
; COMPUTE_PGM_RSRC2:USER_SGPR: 2
; COMPUTE_PGM_RSRC2:TRAP_HANDLER: 0
; COMPUTE_PGM_RSRC2:TGID_X_EN: 1
; COMPUTE_PGM_RSRC2:TGID_Y_EN: 0
; COMPUTE_PGM_RSRC2:TGID_Z_EN: 0
; COMPUTE_PGM_RSRC2:TIDIG_COMP_CNT: 1
; COMPUTE_PGM_RSRC3_GFX90A:ACCUM_OFFSET: 7
; COMPUTE_PGM_RSRC3_GFX90A:TG_SPLIT: 0
	.section	.text._ZN4vllm3moe22topkGatingSoftplusSqrtILi8ELi256ELi4ELi16ELi32ELb1El6__halfEEvPKT6_PKbPfiPT5_PiiiibdPKfPKS9_SF_,"axG",@progbits,_ZN4vllm3moe22topkGatingSoftplusSqrtILi8ELi256ELi4ELi16ELi32ELb1El6__halfEEvPKT6_PKbPfiPT5_PiiiibdPKfPKS9_SF_,comdat
	.protected	_ZN4vllm3moe22topkGatingSoftplusSqrtILi8ELi256ELi4ELi16ELi32ELb1El6__halfEEvPKT6_PKbPfiPT5_PiiiibdPKfPKS9_SF_ ; -- Begin function _ZN4vllm3moe22topkGatingSoftplusSqrtILi8ELi256ELi4ELi16ELi32ELb1El6__halfEEvPKT6_PKbPfiPT5_PiiiibdPKfPKS9_SF_
	.globl	_ZN4vllm3moe22topkGatingSoftplusSqrtILi8ELi256ELi4ELi16ELi32ELb1El6__halfEEvPKT6_PKbPfiPT5_PiiiibdPKfPKS9_SF_
	.p2align	8
	.type	_ZN4vllm3moe22topkGatingSoftplusSqrtILi8ELi256ELi4ELi16ELi32ELb1El6__halfEEvPKT6_PKbPfiPT5_PiiiibdPKfPKS9_SF_,@function
_ZN4vllm3moe22topkGatingSoftplusSqrtILi8ELi256ELi4ELi16ELi32ELb1El6__halfEEvPKT6_PKbPfiPT5_PiiiibdPKfPKS9_SF_: ; @_ZN4vllm3moe22topkGatingSoftplusSqrtILi8ELi256ELi4ELi16ELi32ELb1El6__halfEEvPKT6_PKbPfiPT5_PiiiibdPKfPKS9_SF_
; %bb.0:
	s_load_dword s3, s[0:1], 0x18
	v_and_b32_e32 v10, 0x3ff, v0
	s_lshl_b32 s2, s2, 2
	v_lshrrev_b32_e32 v1, 5, v10
	v_bfe_u32 v0, v0, 10, 10
	v_add3_u32 v6, s2, v0, v1
	s_waitcnt lgkmcnt(0)
	v_cmp_gt_i32_e32 vcc, s3, v6
	s_and_saveexec_b64 s[2:3], vcc
	s_cbranch_execz .LBB334_31
; %bb.1:
	s_load_dwordx4 s[8:11], s[0:1], 0x50
	s_load_dwordx2 s[2:3], s[0:1], 0x0
	s_load_dword s12, s[0:1], 0x30
	v_lshlrev_b32_e32 v0, 8, v6
	v_lshlrev_b32_e32 v4, 3, v10
	v_ashrrev_i32_e32 v1, 31, v0
	v_and_b32_e32 v12, 0xf8, v4
	s_waitcnt lgkmcnt(0)
	v_mov_b32_e32 v2, s8
	v_mov_b32_e32 v3, s9
	v_lshl_add_u64 v[0:1], v[0:1], 1, s[2:3]
	v_lshlrev_b32_e32 v4, 1, v12
	v_mov_b32_e32 v5, 0
	v_ashrrev_i32_e32 v7, 31, v6
	v_lshl_add_u64 v[2:3], v[6:7], 3, v[2:3]
	v_lshl_add_u64 v[0:1], v[0:1], 0, v[4:5]
	global_load_dwordx2 v[8:9], v[2:3], off
	s_mov_b32 s21, 0x800000
	global_load_dwordx4 v[0:3], v[0:1], off
	s_ashr_i32 s13, s12, 31
	v_mov_b32_e32 v4, 0x4f800000
	s_mov_b32 s19, 0x3f317217
	s_mov_b32 s20, 0x7f800000
	v_mov_b32_e32 v7, 0x41b17218
	s_movk_i32 s15, 0x4d00
	s_mov_b32 s18, 0xf800000
	v_mov_b32_e32 v11, 0x260
	v_cmp_lt_i64_e64 s[16:17], s[12:13], 1
	s_mov_b32 s14, 0
	v_cmp_gt_i64_e64 s[8:9], s[12:13], 0
	s_waitcnt vmcnt(1)
	v_mul_lo_u32 v13, v9, s12
	v_mul_lo_u32 v18, v8, s13
	s_waitcnt vmcnt(0)
	v_cvt_f32_f16_e32 v19, v0
	v_cvt_f32_f16_sdwa v20, v0 dst_sel:DWORD dst_unused:UNUSED_PAD src0_sel:WORD_1
	v_cvt_f32_f16_e32 v21, v1
	v_cvt_f32_f16_sdwa v22, v1 dst_sel:DWORD dst_unused:UNUSED_PAD src0_sel:WORD_1
	v_mul_f32_e32 v9, 0x3fb8aa3b, v19
	v_mul_f32_e32 v15, 0x3fb8aa3b, v20
	v_exp_f32_e32 v14, v9
	v_exp_f32_e32 v15, v15
	v_mul_f32_e32 v16, 0x3fb8aa3b, v21
	v_mul_f32_e32 v17, 0x3fb8aa3b, v22
	v_exp_f32_e32 v16, v16
	v_pk_add_f32 v[14:15], v[14:15], 1.0 op_sel_hi:[1,0]
	v_exp_f32_e32 v17, v17
	v_mad_u64_u32 v[8:9], s[2:3], v8, s12, 0
	v_cmp_gt_f32_e32 vcc, s21, v15
	v_add3_u32 v9, v9, v18, v13
	v_cmp_gt_f32_e64 s[2:3], s21, v14
	v_cndmask_b32_e32 v13, 1.0, v4, vcc
	v_mul_f32_e32 v13, v15, v13
	v_cndmask_b32_e64 v18, 1.0, v4, s[2:3]
	v_mul_f32_e32 v14, v14, v18
	v_log_f32_e32 v13, v13
	v_pk_add_f32 v[16:17], v[16:17], 1.0 op_sel_hi:[1,0]
	v_log_f32_e32 v14, v14
	v_cmp_gt_f32_e64 s[6:7], s21, v16
	v_cndmask_b32_e32 v15, 0, v7, vcc
	v_cmp_lt_f32_e64 vcc, |v13|, s20
	v_cndmask_b32_e64 v24, 1.0, v4, s[6:7]
	v_mul_f32_e32 v16, v16, v24
	v_mul_f32_e32 v24, 0x3f317217, v13
	;; [unrolled: 1-line block ×3, first 2 shown]
	v_fma_f32 v24, v13, s19, -v24
	v_fma_f32 v25, v14, s19, -v25
	v_fmac_f32_e32 v24, 0x3377d1cf, v13
	v_fmac_f32_e32 v25, 0x3377d1cf, v14
	;; [unrolled: 1-line block ×4, first 2 shown]
	v_cndmask_b32_e32 v13, v13, v24, vcc
	v_cmp_lt_f32_e64 vcc, |v14|, s20
	v_cndmask_b32_e64 v18, 0, v7, s[2:3]
	v_cmp_gt_f32_e64 s[4:5], s21, v17
	v_cndmask_b32_e32 v14, v14, v25, vcc
	v_sub_f32_e32 v14, v14, v18
	v_cmp_lt_f16_e32 vcc, s15, v0
	v_cndmask_b32_e64 v23, 1.0, v4, s[4:5]
	v_sub_f32_e32 v13, v13, v15
	v_cndmask_b32_e32 v14, v14, v19, vcc
	v_cmp_gt_f16_sdwa vcc, v0, s15 src0_sel:WORD_1 src1_sel:DWORD
	v_mul_f32_e32 v17, v17, v23
	v_log_f32_e32 v17, v17
	v_cndmask_b32_e32 v0, v13, v20, vcc
	v_mul_f32_e32 v13, 0x4f800000, v0
	v_cmp_gt_f32_e32 vcc, s18, v0
	v_mul_f32_e32 v15, 0x4f800000, v14
	v_cmp_gt_f32_e64 s[2:3], s18, v14
	v_cndmask_b32_e32 v0, v0, v13, vcc
	v_mul_f32_e32 v26, 0x3f317217, v17
	v_cndmask_b32_e64 v13, v14, v15, s[2:3]
	v_sqrt_f32_e32 v14, v0
	v_sqrt_f32_e32 v15, v13
	v_fma_f32 v26, v17, s19, -v26
	v_fmac_f32_e32 v26, 0x3377d1cf, v17
	v_add_u32_e32 v18, -1, v14
	v_cndmask_b32_e64 v23, 0, v7, s[4:5]
	v_fmac_f32_e32 v26, 0x3f317217, v17
	v_cmp_lt_f32_e64 s[4:5], |v17|, s20
	v_add_u32_e32 v20, -1, v15
	v_fma_f32 v25, -v18, v14, v0
	v_cndmask_b32_e64 v17, v17, v26, s[4:5]
	v_add_u32_e32 v19, 1, v14
	v_fma_f32 v27, -v20, v15, v13
	v_cmp_ge_f32_e64 s[4:5], 0, v25
	v_add_u32_e32 v24, 1, v15
	v_fma_f32 v26, -v19, v14, v0
	v_cndmask_b32_e64 v14, v14, v18, s[4:5]
	v_cmp_ge_f32_e64 s[4:5], 0, v27
	v_fma_f32 v28, -v24, v15, v13
	v_log_f32_e32 v16, v16
	v_cndmask_b32_e64 v15, v15, v20, s[4:5]
	v_cmp_lt_f32_e64 s[4:5], 0, v26
	v_cvt_f32_f16_sdwa v20, v2 dst_sel:DWORD dst_unused:UNUSED_PAD src0_sel:WORD_1
	s_nop 0
	v_cndmask_b32_e64 v14, v14, v19, s[4:5]
	v_cmp_lt_f32_e64 s[4:5], 0, v28
	v_mul_f32_e32 v18, 0x37800000, v14
	v_cndmask_b32_e32 v14, v14, v18, vcc
	v_cndmask_b32_e64 v15, v15, v24, s[4:5]
	v_mul_f32_e32 v19, 0x37800000, v15
	v_cmp_class_f32_e32 vcc, v0, v11
	v_cndmask_b32_e64 v18, v15, v19, s[2:3]
	v_cmp_lt_f16_e64 s[2:3], s15, v1
	v_cndmask_b32_e32 v15, v14, v0, vcc
	v_cmp_class_f32_e32 vcc, v13, v11
	v_sub_f32_e32 v0, v17, v23
	v_cvt_f32_f16_e32 v19, v2
	v_cndmask_b32_e32 v14, v18, v13, vcc
	v_mul_f32_e32 v13, 0x3f317217, v16
	v_fma_f32 v13, v16, s19, -v13
	v_fmac_f32_e32 v13, 0x3377d1cf, v16
	v_fmac_f32_e32 v13, 0x3f317217, v16
	v_cmp_lt_f32_e64 vcc, |v16|, s20
	s_nop 1
	v_cndmask_b32_e32 v13, v16, v13, vcc
	v_cmp_gt_f16_sdwa vcc, v1, s15 src0_sel:WORD_1 src1_sel:DWORD
	v_cndmask_b32_e64 v16, 0, v7, s[6:7]
	v_sub_f32_e32 v13, v13, v16
	v_cndmask_b32_e32 v0, v0, v22, vcc
	v_mul_f32_e32 v17, 0x4f800000, v0
	v_cmp_gt_f32_e32 vcc, s18, v0
	v_cndmask_b32_e64 v1, v13, v21, s[2:3]
	s_nop 0
	v_cndmask_b32_e32 v0, v0, v17, vcc
	v_sqrt_f32_e32 v17, v0
	s_nop 0
	v_add_u32_e32 v13, -1, v17
	v_fma_f32 v16, -v13, v17, v0
	v_cmp_ge_f32_e64 s[2:3], 0, v16
	v_add_u32_e32 v16, 1, v17
	s_nop 0
	v_cndmask_b32_e64 v13, v17, v13, s[2:3]
	v_fma_f32 v17, -v16, v17, v0
	v_cmp_lt_f32_e64 s[2:3], 0, v17
	v_mul_f32_e32 v17, 0x4f800000, v1
	s_nop 0
	v_cndmask_b32_e64 v13, v13, v16, s[2:3]
	v_cmp_gt_f32_e64 s[2:3], s18, v1
	v_mul_f32_e32 v16, 0x37800000, v13
	v_cndmask_b32_e32 v13, v13, v16, vcc
	v_cndmask_b32_e64 v18, v1, v17, s[2:3]
	v_sqrt_f32_e32 v1, v18
	v_cmp_class_f32_e32 vcc, v0, v11
	v_add_u32_e32 v16, 1, v1
	s_nop 0
	v_cndmask_b32_e32 v17, v13, v0, vcc
	v_add_u32_e32 v0, -1, v1
	v_fma_f32 v13, -v0, v1, v18
	v_cmp_ge_f32_e32 vcc, 0, v13
	v_fma_f32 v21, -v16, v1, v18
	s_nop 0
	v_cndmask_b32_e32 v13, v1, v0, vcc
	v_mul_f32_e32 v0, 0x3fb8aa3b, v19
	v_mul_f32_e32 v1, 0x3fb8aa3b, v20
	v_exp_f32_e32 v0, v0
	v_exp_f32_e32 v1, v1
	v_cmp_lt_f32_e32 vcc, 0, v21
	v_pk_add_f32 v[0:1], v[0:1], 1.0 op_sel_hi:[1,0]
	s_nop 0
	v_cndmask_b32_e32 v13, v13, v16, vcc
	v_mul_f32_e32 v16, 0x37800000, v13
	v_cmp_gt_f32_e32 vcc, s21, v1
	v_cndmask_b32_e64 v13, v13, v16, s[2:3]
	v_cmp_class_f32_e64 s[2:3], v18, v11
	v_cndmask_b32_e32 v16, 1.0, v4, vcc
	v_mul_f32_e32 v1, v1, v16
	v_log_f32_e32 v1, v1
	v_cndmask_b32_e64 v16, v13, v18, s[2:3]
	v_cmp_gt_f32_e64 s[2:3], s21, v0
	scratch_store_dwordx4 off, v[14:17], off
	v_mul_f32_e32 v13, 0x3f317217, v1
	v_fma_f32 v13, v1, s19, -v13
	v_cndmask_b32_e64 v14, 1.0, v4, s[2:3]
	v_mul_f32_e32 v0, v0, v14
	v_log_f32_e32 v0, v0
	v_fmac_f32_e32 v13, 0x3377d1cf, v1
	v_fmac_f32_e32 v13, 0x3f317217, v1
	v_cmp_lt_f32_e64 s[4:5], |v1|, s20
	v_cvt_f32_f16_sdwa v17, v3 dst_sel:DWORD dst_unused:UNUSED_PAD src0_sel:WORD_1
	v_mul_f32_e32 v15, 0x3fb8aa3b, v17
	v_cndmask_b32_e64 v1, v1, v13, s[4:5]
	v_cndmask_b32_e32 v13, 0, v7, vcc
	v_sub_f32_e32 v1, v1, v13
	v_mul_f32_e32 v13, 0x3f317217, v0
	v_fma_f32 v13, v0, s19, -v13
	v_fmac_f32_e32 v13, 0x3377d1cf, v0
	v_fmac_f32_e32 v13, 0x3f317217, v0
	v_cmp_lt_f32_e64 vcc, |v0|, s20
	v_exp_f32_e32 v15, v15
	s_nop 0
	v_cndmask_b32_e32 v0, v0, v13, vcc
	v_cmp_gt_f16_sdwa vcc, v2, s15 src0_sel:WORD_1 src1_sel:DWORD
	v_cndmask_b32_e64 v13, 0, v7, s[2:3]
	v_cmp_lt_f16_e64 s[2:3], s15, v2
	v_cndmask_b32_e32 v1, v1, v20, vcc
	v_mul_f32_e32 v14, 0x4f800000, v1
	v_cmp_gt_f32_e32 vcc, s18, v1
	v_sub_f32_e32 v0, v0, v13
	v_cndmask_b32_e64 v0, v0, v19, s[2:3]
	v_cndmask_b32_e32 v1, v1, v14, vcc
	v_sqrt_f32_e32 v14, v1
	s_nop 0
	v_add_u32_e32 v2, -1, v14
	v_fma_f32 v13, -v2, v14, v1
	v_cmp_ge_f32_e64 s[2:3], 0, v13
	v_add_u32_e32 v13, 1, v14
	s_nop 0
	v_cndmask_b32_e64 v2, v14, v2, s[2:3]
	v_fma_f32 v14, -v13, v14, v1
	v_cmp_lt_f32_e64 s[2:3], 0, v14
	v_mul_f32_e32 v14, 0x4f800000, v0
	s_nop 0
	v_cndmask_b32_e64 v2, v2, v13, s[2:3]
	v_cmp_gt_f32_e64 s[2:3], s18, v0
	v_mul_f32_e32 v13, 0x37800000, v2
	v_cndmask_b32_e32 v2, v2, v13, vcc
	v_cndmask_b32_e64 v0, v0, v14, s[2:3]
	v_sqrt_f32_e32 v14, v0
	v_cmp_class_f32_e32 vcc, v1, v11
	v_add_u32_e32 v16, 1, v14
	s_nop 0
	v_cndmask_b32_e32 v1, v2, v1, vcc
	v_add_u32_e32 v2, -1, v14
	v_fma_f32 v13, -v2, v14, v0
	v_cmp_ge_f32_e32 vcc, 0, v13
	v_cvt_f32_f16_e32 v13, v3
	v_fma_f32 v18, -v16, v14, v0
	v_cndmask_b32_e32 v2, v14, v2, vcc
	v_cmp_lt_f32_e32 vcc, 0, v18
	v_mul_f32_e32 v14, 0x3fb8aa3b, v13
	v_exp_f32_e32 v14, v14
	v_cndmask_b32_e32 v2, v2, v16, vcc
	v_mul_f32_e32 v16, 0x37800000, v2
	v_cndmask_b32_e64 v2, v2, v16, s[2:3]
	v_pk_add_f32 v[14:15], v[14:15], 1.0 op_sel_hi:[1,0]
	v_cmp_class_f32_e64 s[2:3], v0, v11
	v_cmp_gt_f32_e32 vcc, s21, v15
	s_nop 0
	v_cndmask_b32_e64 v0, v2, v0, s[2:3]
	v_cndmask_b32_e32 v18, 1.0, v4, vcc
	v_mul_f32_e32 v15, v15, v18
	v_log_f32_e32 v15, v15
	v_cmp_gt_f32_e64 s[2:3], s21, v14
	v_mul_f32_e32 v2, 0x3f317217, v15
	s_nop 0
	v_cndmask_b32_e64 v4, 1.0, v4, s[2:3]
	v_mul_f32_e32 v4, v14, v4
	v_fma_f32 v2, v15, s19, -v2
	v_log_f32_e32 v4, v4
	v_fmac_f32_e32 v2, 0x3377d1cf, v15
	v_fmac_f32_e32 v2, 0x3f317217, v15
	v_cmp_lt_f32_e64 s[4:5], |v15|, s20
	v_cndmask_b32_e32 v14, 0, v7, vcc
	v_cmp_lt_f32_e64 vcc, |v4|, s20
	v_cndmask_b32_e64 v2, v15, v2, s[4:5]
	v_sub_f32_e32 v2, v2, v14
	v_mul_f32_e32 v14, 0x3f317217, v4
	v_fma_f32 v14, v4, s19, -v14
	v_fmac_f32_e32 v14, 0x3377d1cf, v4
	v_fmac_f32_e32 v14, 0x3f317217, v4
	v_cndmask_b32_e32 v4, v4, v14, vcc
	v_cmp_gt_f16_sdwa vcc, v3, s15 src0_sel:WORD_1 src1_sel:DWORD
	v_cndmask_b32_e64 v7, 0, v7, s[2:3]
	v_sub_f32_e32 v4, v4, v7
	v_cndmask_b32_e32 v2, v2, v17, vcc
	v_mul_f32_e32 v14, 0x4f800000, v2
	v_cmp_gt_f32_e32 vcc, s18, v2
	v_cmp_lt_f16_e64 s[2:3], s15, v3
	s_nop 0
	v_cndmask_b32_e32 v2, v2, v14, vcc
	v_sqrt_f32_e32 v14, v2
	v_cndmask_b32_e64 v3, v4, v13, s[2:3]
	v_add_u32_e32 v4, -1, v14
	v_fma_f32 v7, -v4, v14, v2
	v_cmp_ge_f32_e64 s[2:3], 0, v7
	v_add_u32_e32 v7, 1, v14
	v_fma_f32 v13, -v7, v14, v2
	v_cndmask_b32_e64 v4, v14, v4, s[2:3]
	v_cmp_lt_f32_e64 s[2:3], 0, v13
	v_mul_f32_e32 v13, 0x4f800000, v3
	s_nop 0
	v_cndmask_b32_e64 v4, v4, v7, s[2:3]
	v_cmp_gt_f32_e64 s[2:3], s18, v3
	v_mul_f32_e32 v7, 0x37800000, v4
	s_nop 0
	v_cndmask_b32_e64 v13, v3, v13, s[2:3]
	v_sqrt_f32_e32 v14, v13
	v_cndmask_b32_e32 v3, v4, v7, vcc
	v_cmp_class_f32_e32 vcc, v2, v11
	s_nop 1
	v_cndmask_b32_e32 v3, v3, v2, vcc
	v_add_u32_e32 v2, -1, v14
	v_fma_f32 v4, -v2, v14, v13
	v_cmp_ge_f32_e32 vcc, 0, v4
	v_add_u32_e32 v4, 1, v14
	v_fma_f32 v7, -v4, v14, v13
	v_cndmask_b32_e32 v2, v14, v2, vcc
	v_cmp_lt_f32_e32 vcc, 0, v7
	s_nop 1
	v_cndmask_b32_e32 v2, v2, v4, vcc
	v_mul_f32_e32 v4, 0x37800000, v2
	v_cndmask_b32_e64 v2, v2, v4, s[2:3]
	v_cmp_class_f32_e32 vcc, v13, v11
	s_nop 1
	v_cndmask_b32_e32 v2, v2, v13, vcc
	scratch_store_dwordx4 off, v[0:3], off offset:16
	s_and_b64 vcc, exec, s[16:17]
	s_nop 0
	v_lshl_add_u64 v[2:3], v[8:9], 3, s[10:11]
	v_mul_lo_u32 v0, v6, s12
	s_cbranch_vccnz .LBB334_28
; %bb.2:
	s_load_dwordx2 s[4:5], s[0:1], 0x20
	s_cmp_lt_u32 s12, 4
	v_and_b32_e32 v4, 31, v10
	s_cbranch_scc1 .LBB334_21
; %bb.3:
	v_lshlrev_b32_e32 v5, 3, v4
	s_mov_b32 s7, 0
	s_and_b32 s14, s12, 0x7ffffffc
	v_ashrrev_i32_e32 v1, 31, v0
	v_sub_u32_e32 v13, 0, v5
	v_mov_b32_e32 v5, 0
	s_mov_b32 s6, s7
	s_branch .LBB334_5
.LBB334_4:                              ;   in Loop: Header=BB334_5 Depth=1
	s_or_b64 exec, exec, s[10:11]
	s_add_i32 s6, s6, 4
	s_cmp_eq_u32 s6, s14
	s_cbranch_scc1 .LBB334_21
.LBB334_5:                              ; =>This Loop Header: Depth=1
                                        ;     Child Loop BB334_7 Depth 2
                                        ;     Child Loop BB334_11 Depth 2
	;; [unrolled: 1-line block ×4, first 2 shown]
	v_lshl_add_u64 v[6:7], s[6:7], 3, v[2:3]
	global_load_dwordx2 v[8:9], v[6:7], off
	v_add_u32_e32 v10, s6, v0
	v_ashrrev_i32_e32 v11, 31, v10
	v_mov_b32_e32 v14, 0
	s_mov_b64 s[10:11], 0
	s_waitcnt lgkmcnt(0)
	v_lshl_add_u64 v[10:11], v[10:11], 3, s[4:5]
	s_mov_b32 s13, 0
	s_waitcnt vmcnt(0)
	v_ashrrev_i32_e32 v9, 31, v8
	v_add_u32_e32 v15, v13, v8
	s_branch .LBB334_7
.LBB334_6:                              ;   in Loop: Header=BB334_7 Depth=2
	s_or_b64 exec, exec, s[16:17]
	s_add_i32 s15, s13, 1
	s_cmp_gt_u32 s13, 6
	s_cselect_b64 s[2:3], -1, 0
	s_xor_b64 s[16:17], vcc, -1
	s_or_b64 s[2:3], s[16:17], s[2:3]
	s_and_b64 s[2:3], exec, s[2:3]
	v_add_u32_e32 v14, 4, v14
	s_or_b64 s[10:11], s[2:3], s[10:11]
	s_mov_b32 s13, s15
	s_andn2_b64 exec, exec, s[10:11]
	s_cbranch_execz .LBB334_9
.LBB334_7:                              ;   Parent Loop BB334_5 Depth=1
                                        ; =>  This Inner Loop Header: Depth=2
	v_cmp_ne_u32_e32 vcc, s13, v15
	v_cmp_eq_u32_e64 s[2:3], s13, v15
	s_and_saveexec_b64 s[16:17], s[2:3]
	s_cbranch_execz .LBB334_6
; %bb.8:                                ;   in Loop: Header=BB334_7 Depth=2
	scratch_load_dword v16, v14, off
	s_waitcnt vmcnt(0)
	v_add_f32_e32 v5, v5, v16
	global_store_dwordx2 v[10:11], v[8:9], off
	s_branch .LBB334_6
.LBB334_9:                              ;   in Loop: Header=BB334_5 Depth=1
	s_or_b64 exec, exec, s[10:11]
	global_load_dwordx2 v[10:11], v[6:7], off offset:8
	s_ashr_i32 s3, s6, 31
	s_mov_b32 s2, s6
	v_lshl_add_u64 v[8:9], s[2:3], 0, v[0:1]
	v_mov_b32_e32 v14, 0
	s_mov_b32 s13, 0
	v_lshl_add_u64 v[8:9], v[8:9], 3, s[4:5]
	s_mov_b64 s[10:11], 0
	s_waitcnt vmcnt(0)
	v_ashrrev_i32_e32 v11, 31, v10
	v_add_u32_e32 v15, v13, v10
	s_branch .LBB334_11
.LBB334_10:                             ;   in Loop: Header=BB334_11 Depth=2
	s_or_b64 exec, exec, s[16:17]
	s_add_i32 s15, s13, 1
	s_cmp_gt_u32 s13, 6
	s_cselect_b64 s[2:3], -1, 0
	s_xor_b64 s[16:17], vcc, -1
	s_or_b64 s[2:3], s[16:17], s[2:3]
	s_and_b64 s[2:3], exec, s[2:3]
	v_add_u32_e32 v14, 4, v14
	s_or_b64 s[10:11], s[2:3], s[10:11]
	s_mov_b32 s13, s15
	s_andn2_b64 exec, exec, s[10:11]
	s_cbranch_execz .LBB334_13
.LBB334_11:                             ;   Parent Loop BB334_5 Depth=1
                                        ; =>  This Inner Loop Header: Depth=2
	v_cmp_ne_u32_e32 vcc, s13, v15
	v_cmp_eq_u32_e64 s[2:3], s13, v15
	s_and_saveexec_b64 s[16:17], s[2:3]
	s_cbranch_execz .LBB334_10
; %bb.12:                               ;   in Loop: Header=BB334_11 Depth=2
	scratch_load_dword v16, v14, off
	s_waitcnt vmcnt(0)
	v_add_f32_e32 v5, v5, v16
	global_store_dwordx2 v[8:9], v[10:11], off offset:8
	s_branch .LBB334_10
.LBB334_13:                             ;   in Loop: Header=BB334_5 Depth=1
	s_or_b64 exec, exec, s[10:11]
	global_load_dwordx2 v[10:11], v[6:7], off offset:16
	v_mov_b32_e32 v14, 0
	s_mov_b32 s13, 0
	s_mov_b64 s[10:11], 0
	s_waitcnt vmcnt(0)
	v_ashrrev_i32_e32 v11, 31, v10
	v_add_u32_e32 v15, v13, v10
	s_branch .LBB334_15
.LBB334_14:                             ;   in Loop: Header=BB334_15 Depth=2
	s_or_b64 exec, exec, s[16:17]
	s_add_i32 s15, s13, 1
	s_cmp_gt_u32 s13, 6
	s_cselect_b64 s[2:3], -1, 0
	s_xor_b64 s[16:17], vcc, -1
	s_or_b64 s[2:3], s[16:17], s[2:3]
	s_and_b64 s[2:3], exec, s[2:3]
	v_add_u32_e32 v14, 4, v14
	s_or_b64 s[10:11], s[2:3], s[10:11]
	s_mov_b32 s13, s15
	s_andn2_b64 exec, exec, s[10:11]
	s_cbranch_execz .LBB334_17
.LBB334_15:                             ;   Parent Loop BB334_5 Depth=1
                                        ; =>  This Inner Loop Header: Depth=2
	v_cmp_ne_u32_e32 vcc, s13, v15
	v_cmp_eq_u32_e64 s[2:3], s13, v15
	s_and_saveexec_b64 s[16:17], s[2:3]
	s_cbranch_execz .LBB334_14
; %bb.16:                               ;   in Loop: Header=BB334_15 Depth=2
	scratch_load_dword v16, v14, off
	s_waitcnt vmcnt(0)
	v_add_f32_e32 v5, v5, v16
	global_store_dwordx2 v[8:9], v[10:11], off offset:16
	s_branch .LBB334_14
.LBB334_17:                             ;   in Loop: Header=BB334_5 Depth=1
	s_or_b64 exec, exec, s[10:11]
	global_load_dwordx2 v[6:7], v[6:7], off offset:24
	v_mov_b32_e32 v10, 0
	s_mov_b32 s13, 0
	s_mov_b64 s[10:11], 0
	s_waitcnt vmcnt(0)
	v_ashrrev_i32_e32 v7, 31, v6
	v_add_u32_e32 v11, v13, v6
	s_branch .LBB334_19
.LBB334_18:                             ;   in Loop: Header=BB334_19 Depth=2
	s_or_b64 exec, exec, s[16:17]
	s_add_i32 s15, s13, 1
	s_cmp_gt_u32 s13, 6
	s_cselect_b64 s[2:3], -1, 0
	s_xor_b64 s[16:17], vcc, -1
	s_or_b64 s[2:3], s[16:17], s[2:3]
	s_and_b64 s[2:3], exec, s[2:3]
	v_add_u32_e32 v10, 4, v10
	s_or_b64 s[10:11], s[2:3], s[10:11]
	s_mov_b32 s13, s15
	s_andn2_b64 exec, exec, s[10:11]
	s_cbranch_execz .LBB334_4
.LBB334_19:                             ;   Parent Loop BB334_5 Depth=1
                                        ; =>  This Inner Loop Header: Depth=2
	v_cmp_ne_u32_e32 vcc, s13, v11
	v_cmp_eq_u32_e64 s[2:3], s13, v11
	s_and_saveexec_b64 s[16:17], s[2:3]
	s_cbranch_execz .LBB334_18
; %bb.20:                               ;   in Loop: Header=BB334_19 Depth=2
	scratch_load_dword v14, v10, off
	s_waitcnt vmcnt(0)
	v_add_f32_e32 v5, v5, v14
	global_store_dwordx2 v[8:9], v[6:7], off offset:24
	s_branch .LBB334_18
.LBB334_21:
	s_and_b32 s13, s12, 3
	s_cmp_eq_u32 s13, 0
	s_mov_b32 s15, 0
	s_cbranch_scc1 .LBB334_28
; %bb.22:
	v_lshlrev_b32_e32 v1, 3, v4
	v_sub_u32_e32 v1, 0, v1
	s_mov_b32 s16, s15
	s_branch .LBB334_24
.LBB334_23:                             ;   in Loop: Header=BB334_24 Depth=1
	s_or_b64 exec, exec, s[6:7]
	s_add_i32 s14, s14, 1
	s_add_i32 s16, s16, 1
	s_cmp_lg_u32 s16, s13
	s_cbranch_scc0 .LBB334_28
.LBB334_24:                             ; =>This Loop Header: Depth=1
                                        ;     Child Loop BB334_26 Depth 2
	v_lshl_add_u64 v[6:7], s[14:15], 3, v[2:3]
	global_load_dwordx2 v[6:7], v[6:7], off
	v_add_u32_e32 v8, s14, v0
	v_ashrrev_i32_e32 v9, 31, v8
	v_mov_b32_e32 v4, 0
	s_mov_b32 s17, 0
	s_waitcnt lgkmcnt(0)
	v_lshl_add_u64 v[8:9], v[8:9], 3, s[4:5]
	s_mov_b64 s[6:7], 0
	s_waitcnt vmcnt(0)
	v_ashrrev_i32_e32 v7, 31, v6
	v_add_u32_e32 v10, v1, v6
	s_branch .LBB334_26
.LBB334_25:                             ;   in Loop: Header=BB334_26 Depth=2
	s_or_b64 exec, exec, s[10:11]
	s_add_i32 s18, s17, 1
	s_cmp_gt_u32 s17, 6
	s_cselect_b64 s[2:3], -1, 0
	s_xor_b64 s[10:11], vcc, -1
	s_or_b64 s[2:3], s[10:11], s[2:3]
	s_and_b64 s[2:3], exec, s[2:3]
	v_add_u32_e32 v4, 4, v4
	s_or_b64 s[6:7], s[2:3], s[6:7]
	s_mov_b32 s17, s18
	s_andn2_b64 exec, exec, s[6:7]
	s_cbranch_execz .LBB334_23
.LBB334_26:                             ;   Parent Loop BB334_24 Depth=1
                                        ; =>  This Inner Loop Header: Depth=2
	v_cmp_ne_u32_e32 vcc, s17, v10
	v_cmp_eq_u32_e64 s[2:3], s17, v10
	s_and_saveexec_b64 s[10:11], s[2:3]
	s_cbranch_execz .LBB334_25
; %bb.27:                               ;   in Loop: Header=BB334_26 Depth=2
	scratch_load_dword v11, v4, off
	s_waitcnt vmcnt(0)
	v_add_f32_e32 v5, v5, v11
	global_store_dwordx2 v[8:9], v[6:7], off
	s_branch .LBB334_25
.LBB334_28:
	s_waitcnt lgkmcnt(0)
	s_load_dword s4, s[0:1], 0x3c
	s_waitcnt lgkmcnt(0)
	s_bitcmp1_b32 s4, 0
	s_cselect_b64 s[2:3], -1, 0
	s_bitcmp0_b32 s4, 0
	s_cbranch_scc0 .LBB334_32
; %bb.29:
	s_load_dwordx2 s[4:5], s[0:1], 0x40
	s_andn2_b64 vcc, exec, s[2:3]
	s_waitcnt lgkmcnt(0)
	v_cvt_f32_f64_e32 v8, s[4:5]
	s_cbranch_vccz .LBB334_33
.LBB334_30:
	s_andn2_b64 vcc, exec, s[8:9]
	s_cbranch_vccz .LBB334_34
.LBB334_31:
	s_endpgm
.LBB334_32:
	v_mbcnt_lo_u32_b32 v1, -1, 0
	v_mbcnt_hi_u32_b32 v1, -1, v1
	v_and_b32_e32 v4, 0x60, v1
	v_add_u32_e32 v4, 32, v4
	v_xor_b32_e32 v6, 16, v1
	v_cmp_lt_i32_e32 vcc, v6, v4
	v_xor_b32_e32 v7, 8, v1
	s_nop 0
	v_cndmask_b32_e32 v6, v1, v6, vcc
	v_lshlrev_b32_e32 v6, 2, v6
	ds_bpermute_b32 v6, v6, v5
	v_cmp_lt_i32_e32 vcc, v7, v4
	s_waitcnt lgkmcnt(0)
	v_add_f32_e32 v5, v5, v6
	v_cndmask_b32_e32 v6, v1, v7, vcc
	v_lshlrev_b32_e32 v6, 2, v6
	ds_bpermute_b32 v6, v6, v5
	v_xor_b32_e32 v7, 4, v1
	v_cmp_lt_i32_e32 vcc, v7, v4
	s_waitcnt lgkmcnt(0)
	v_add_f32_e32 v5, v5, v6
	v_cndmask_b32_e32 v6, v1, v7, vcc
	v_lshlrev_b32_e32 v6, 2, v6
	ds_bpermute_b32 v6, v6, v5
	v_xor_b32_e32 v7, 2, v1
	;; [unrolled: 7-line block ×3, first 2 shown]
	v_cmp_lt_i32_e32 vcc, v7, v4
	s_waitcnt lgkmcnt(0)
	v_add_f32_e32 v5, v5, v6
	v_cndmask_b32_e32 v1, v1, v7, vcc
	v_lshlrev_b32_e32 v1, 2, v1
	ds_bpermute_b32 v1, v1, v5
	s_waitcnt lgkmcnt(0)
	v_add_f32_e32 v5, v5, v1
	s_load_dwordx2 s[4:5], s[0:1], 0x40
	s_andn2_b64 vcc, exec, s[2:3]
	s_waitcnt lgkmcnt(0)
	v_cvt_f32_f64_e32 v8, s[4:5]
	s_cbranch_vccnz .LBB334_30
.LBB334_33:
	v_cmp_lt_f32_e32 vcc, 0, v5
	s_nop 1
	v_cndmask_b32_e32 v1, 1.0, v5, vcc
	v_div_scale_f32 v4, s[2:3], v1, v1, v8
	v_rcp_f32_e32 v5, v4
	s_nop 0
	v_fma_f32 v6, -v4, v5, 1.0
	v_fmac_f32_e32 v5, v6, v5
	v_div_scale_f32 v6, vcc, v8, v1, v8
	v_mul_f32_e32 v7, v6, v5
	v_fma_f32 v9, -v4, v7, v6
	v_fmac_f32_e32 v7, v9, v5
	v_fma_f32 v4, -v4, v7, v6
	v_div_fmas_f32 v4, v4, v5, v7
	v_div_fixup_f32 v8, v4, v1, v8
	s_andn2_b64 vcc, exec, s[8:9]
	s_cbranch_vccnz .LBB334_31
.LBB334_34:
	s_load_dwordx2 s[14:15], s[0:1], 0x10
	v_mov_b32_e32 v1, 0
	v_or_b32_e32 v20, 4, v1
	v_or_b32_e32 v18, 8, v1
	;; [unrolled: 1-line block ×3, first 2 shown]
	v_add_u32_e32 v14, 16, v1
	v_add_u32_e32 v11, 20, v1
	v_add_u32_e32 v9, 24, v1
	v_add_u32_e32 v10, 28, v1
	v_or_b32_e32 v23, 1, v12
	v_or_b32_e32 v22, 2, v12
	;; [unrolled: 1-line block ×7, first 2 shown]
	s_cmp_eq_u32 s12, 1
	s_mov_b32 s16, 0
	s_cbranch_scc1 .LBB334_69
; %bb.35:
	v_ashrrev_i32_e32 v1, 31, v0
	s_waitcnt lgkmcnt(0)
	v_lshl_add_u64 v[4:5], v[0:1], 2, s[14:15]
	s_and_b32 s16, s12, 0x7ffffffe
	v_lshl_add_u64 v[4:5], v[4:5], 0, 4
	v_lshl_add_u64 v[6:7], v[2:3], 0, 8
	s_mov_b32 s13, 0
	s_branch .LBB334_37
.LBB334_36:                             ;   in Loop: Header=BB334_37 Depth=1
	s_or_b64 exec, exec, s[0:1]
	s_add_i32 s13, s13, 2
	v_lshl_add_u64 v[4:5], v[4:5], 0, 8
	s_cmp_eq_u32 s16, s13
	v_lshl_add_u64 v[6:7], v[6:7], 0, 16
	s_cbranch_scc1 .LBB334_69
.LBB334_37:                             ; =>This Inner Loop Header: Depth=1
	global_load_dword v24, v[6:7], off offset:-8
	v_mov_b32_e32 v1, 0
	s_waitcnt vmcnt(0)
	v_cmp_eq_u32_e32 vcc, v12, v24
	v_cmp_ne_u32_e64 s[0:1], v12, v24
	s_and_saveexec_b64 s[18:19], s[0:1]
	s_cbranch_execz .LBB334_51
; %bb.38:                               ;   in Loop: Header=BB334_37 Depth=1
	v_cmp_eq_u32_e64 s[0:1], v23, v24
	v_cmp_ne_u32_e64 s[2:3], v23, v24
	v_mov_b32_e32 v1, v20
	s_and_saveexec_b64 s[20:21], s[2:3]
	s_cbranch_execz .LBB334_50
; %bb.39:                               ;   in Loop: Header=BB334_37 Depth=1
	v_cmp_eq_u32_e64 s[2:3], v22, v24
	v_cmp_ne_u32_e64 s[4:5], v22, v24
	v_mov_b32_e32 v1, v18
	;; [unrolled: 6-line block ×6, first 2 shown]
	s_and_saveexec_b64 s[34:35], s[10:11]
	s_xor_b64 s[34:35], exec, s[34:35]
; %bb.44:                               ;   in Loop: Header=BB334_37 Depth=1
	v_cmp_eq_u32_e64 s[10:11], v13, v24
	s_andn2_b64 s[30:31], s[30:31], exec
	s_and_b64 s[10:11], s[10:11], exec
	s_or_b64 s[30:31], s[30:31], s[10:11]
	v_mov_b32_e32 v1, v10
; %bb.45:                               ;   in Loop: Header=BB334_37 Depth=1
	s_or_b64 exec, exec, s[34:35]
	s_andn2_b64 s[8:9], s[8:9], exec
	s_and_b64 s[10:11], s[30:31], exec
	s_or_b64 s[8:9], s[8:9], s[10:11]
.LBB334_46:                             ;   in Loop: Header=BB334_37 Depth=1
	s_or_b64 exec, exec, s[28:29]
	s_andn2_b64 s[6:7], s[6:7], exec
	s_and_b64 s[8:9], s[8:9], exec
	s_or_b64 s[6:7], s[6:7], s[8:9]
.LBB334_47:                             ;   in Loop: Header=BB334_37 Depth=1
	s_or_b64 exec, exec, s[26:27]
	s_andn2_b64 s[4:5], s[4:5], exec
	s_and_b64 s[6:7], s[6:7], exec
	s_or_b64 s[4:5], s[4:5], s[6:7]
.LBB334_48:                             ;   in Loop: Header=BB334_37 Depth=1
	s_or_b64 exec, exec, s[24:25]
	s_andn2_b64 s[2:3], s[2:3], exec
	s_and_b64 s[4:5], s[4:5], exec
	s_or_b64 s[2:3], s[2:3], s[4:5]
.LBB334_49:                             ;   in Loop: Header=BB334_37 Depth=1
	s_or_b64 exec, exec, s[22:23]
	s_andn2_b64 s[0:1], s[0:1], exec
	s_and_b64 s[2:3], s[2:3], exec
	s_or_b64 s[0:1], s[0:1], s[2:3]
.LBB334_50:                             ;   in Loop: Header=BB334_37 Depth=1
	s_or_b64 exec, exec, s[20:21]
	s_andn2_b64 s[2:3], vcc, exec
	s_and_b64 s[0:1], s[0:1], exec
	s_or_b64 vcc, s[2:3], s[0:1]
.LBB334_51:                             ;   in Loop: Header=BB334_37 Depth=1
	s_or_b64 exec, exec, s[18:19]
	s_and_saveexec_b64 s[0:1], vcc
	s_cbranch_execz .LBB334_53
; %bb.52:                               ;   in Loop: Header=BB334_37 Depth=1
	scratch_load_dword v1, v1, off
	v_add_u32_e32 v24, s13, v0
	v_ashrrev_i32_e32 v25, 31, v24
	v_lshl_add_u64 v[24:25], v[24:25], 2, s[14:15]
	s_waitcnt vmcnt(0)
	v_mul_f32_e32 v1, v8, v1
	global_store_dword v[24:25], v1, off
.LBB334_53:                             ;   in Loop: Header=BB334_37 Depth=1
	s_or_b64 exec, exec, s[0:1]
	global_load_dword v24, v[6:7], off
	v_mov_b32_e32 v1, 0
	s_waitcnt vmcnt(0)
	v_cmp_eq_u32_e64 s[8:9], v12, v24
	v_cmp_ne_u32_e32 vcc, v12, v24
	s_and_saveexec_b64 s[10:11], vcc
	s_cbranch_execz .LBB334_67
; %bb.54:                               ;   in Loop: Header=BB334_37 Depth=1
	v_cmp_eq_u32_e32 vcc, v23, v24
	v_cmp_ne_u32_e64 s[0:1], v23, v24
	v_mov_b32_e32 v1, v20
	s_and_saveexec_b64 s[18:19], s[0:1]
	s_cbranch_execz .LBB334_66
; %bb.55:                               ;   in Loop: Header=BB334_37 Depth=1
	v_cmp_eq_u32_e64 s[0:1], v22, v24
	v_cmp_ne_u32_e64 s[2:3], v22, v24
	v_mov_b32_e32 v1, v18
	s_and_saveexec_b64 s[20:21], s[2:3]
	s_cbranch_execz .LBB334_65
; %bb.56:                               ;   in Loop: Header=BB334_37 Depth=1
	v_cmp_eq_u32_e64 s[2:3], v21, v24
	;; [unrolled: 6-line block ×5, first 2 shown]
	v_cmp_ne_u32_e64 s[6:7], v15, v24
	v_mov_b32_e32 v1, v9
	s_and_saveexec_b64 s[34:35], s[6:7]
; %bb.60:                               ;   in Loop: Header=BB334_37 Depth=1
	v_cmp_eq_u32_e64 s[6:7], v13, v24
	s_andn2_b64 s[30:31], s[30:31], exec
	s_and_b64 s[6:7], s[6:7], exec
	s_or_b64 s[30:31], s[30:31], s[6:7]
	v_mov_b32_e32 v1, v10
; %bb.61:                               ;   in Loop: Header=BB334_37 Depth=1
	s_or_b64 exec, exec, s[34:35]
	s_andn2_b64 s[6:7], s[26:27], exec
	s_and_b64 s[26:27], s[30:31], exec
	s_or_b64 s[26:27], s[6:7], s[26:27]
.LBB334_62:                             ;   in Loop: Header=BB334_37 Depth=1
	s_or_b64 exec, exec, s[28:29]
	s_andn2_b64 s[4:5], s[4:5], exec
	s_and_b64 s[6:7], s[26:27], exec
	s_or_b64 s[4:5], s[4:5], s[6:7]
.LBB334_63:                             ;   in Loop: Header=BB334_37 Depth=1
	s_or_b64 exec, exec, s[24:25]
	s_andn2_b64 s[2:3], s[2:3], exec
	s_and_b64 s[4:5], s[4:5], exec
	s_or_b64 s[2:3], s[2:3], s[4:5]
.LBB334_64:                             ;   in Loop: Header=BB334_37 Depth=1
	s_or_b64 exec, exec, s[22:23]
	s_andn2_b64 s[0:1], s[0:1], exec
	s_and_b64 s[2:3], s[2:3], exec
	s_or_b64 s[0:1], s[0:1], s[2:3]
.LBB334_65:                             ;   in Loop: Header=BB334_37 Depth=1
	s_or_b64 exec, exec, s[20:21]
	s_andn2_b64 s[2:3], vcc, exec
	s_and_b64 s[0:1], s[0:1], exec
	s_or_b64 vcc, s[2:3], s[0:1]
.LBB334_66:                             ;   in Loop: Header=BB334_37 Depth=1
	s_or_b64 exec, exec, s[18:19]
	s_andn2_b64 s[0:1], s[8:9], exec
	s_and_b64 s[2:3], vcc, exec
	s_or_b64 s[8:9], s[0:1], s[2:3]
.LBB334_67:                             ;   in Loop: Header=BB334_37 Depth=1
	s_or_b64 exec, exec, s[10:11]
	s_and_saveexec_b64 s[0:1], s[8:9]
	s_cbranch_execz .LBB334_36
; %bb.68:                               ;   in Loop: Header=BB334_37 Depth=1
	scratch_load_dword v1, v1, off
	s_waitcnt vmcnt(0)
	v_mul_f32_e32 v1, v8, v1
	global_store_dword v[4:5], v1, off
	s_branch .LBB334_36
.LBB334_69:
	s_bitcmp0_b32 s12, 0
	s_mov_b32 s17, 0
	s_cbranch_scc1 .LBB334_31
; %bb.70:
	v_lshl_add_u64 v[2:3], s[16:17], 3, v[2:3]
	global_load_dword v1, v[2:3], off
	v_mov_b32_e32 v2, 0
	s_waitcnt vmcnt(0)
	v_cmp_eq_u32_e64 s[8:9], v12, v1
	v_cmp_ne_u32_e32 vcc, v12, v1
	s_and_saveexec_b64 s[10:11], vcc
	s_cbranch_execz .LBB334_84
; %bb.71:
	v_cmp_eq_u32_e32 vcc, v23, v1
	v_cmp_ne_u32_e64 s[0:1], v23, v1
	s_and_saveexec_b64 s[12:13], s[0:1]
	s_cbranch_execz .LBB334_83
; %bb.72:
	v_cmp_eq_u32_e64 s[0:1], v22, v1
	v_cmp_ne_u32_e64 s[2:3], v22, v1
	s_and_saveexec_b64 s[18:19], s[2:3]
	s_cbranch_execz .LBB334_82
; %bb.73:
	v_cmp_eq_u32_e64 s[2:3], v21, v1
	;; [unrolled: 5-line block ×5, first 2 shown]
	v_cmp_ne_u32_e64 s[6:7], v15, v1
	s_and_saveexec_b64 s[30:31], s[6:7]
; %bb.77:
	v_cmp_eq_u32_e64 s[6:7], v13, v1
	s_andn2_b64 s[28:29], s[28:29], exec
	s_and_b64 s[6:7], s[6:7], exec
	s_or_b64 s[28:29], s[28:29], s[6:7]
	v_mov_b32_e32 v9, v10
; %bb.78:
	s_or_b64 exec, exec, s[30:31]
	s_andn2_b64 s[6:7], s[24:25], exec
	s_and_b64 s[24:25], s[28:29], exec
	s_or_b64 s[24:25], s[6:7], s[24:25]
	v_mov_b32_e32 v11, v9
.LBB334_79:
	s_or_b64 exec, exec, s[26:27]
	s_andn2_b64 s[4:5], s[4:5], exec
	s_and_b64 s[6:7], s[24:25], exec
	s_or_b64 s[4:5], s[4:5], s[6:7]
	v_mov_b32_e32 v14, v11
.LBB334_80:
	s_or_b64 exec, exec, s[22:23]
	s_andn2_b64 s[2:3], s[2:3], exec
	s_and_b64 s[4:5], s[4:5], exec
	s_or_b64 s[2:3], s[2:3], s[4:5]
	v_mov_b32_e32 v16, v14
.LBB334_81:
	s_or_b64 exec, exec, s[20:21]
	s_andn2_b64 s[0:1], s[0:1], exec
	s_and_b64 s[2:3], s[2:3], exec
	s_or_b64 s[0:1], s[0:1], s[2:3]
	v_mov_b32_e32 v18, v16
.LBB334_82:
	s_or_b64 exec, exec, s[18:19]
	s_andn2_b64 s[2:3], vcc, exec
	s_and_b64 s[0:1], s[0:1], exec
	s_or_b64 vcc, s[2:3], s[0:1]
	v_mov_b32_e32 v20, v18
.LBB334_83:
	s_or_b64 exec, exec, s[12:13]
	s_andn2_b64 s[0:1], s[8:9], exec
	s_and_b64 s[2:3], vcc, exec
	s_or_b64 s[8:9], s[0:1], s[2:3]
	v_mov_b32_e32 v2, v20
.LBB334_84:
	s_or_b64 exec, exec, s[10:11]
	s_and_b64 exec, exec, s[8:9]
	s_cbranch_execz .LBB334_31
; %bb.85:
	scratch_load_dword v2, v2, off
	v_add_u32_e32 v0, s16, v0
	v_ashrrev_i32_e32 v1, 31, v0
	s_waitcnt lgkmcnt(0)
	v_lshl_add_u64 v[0:1], v[0:1], 2, s[14:15]
	s_waitcnt vmcnt(0)
	v_mul_f32_e32 v2, v8, v2
	global_store_dword v[0:1], v2, off
	s_endpgm
	.section	.rodata,"a",@progbits
	.p2align	6, 0x0
	.amdhsa_kernel _ZN4vllm3moe22topkGatingSoftplusSqrtILi8ELi256ELi4ELi16ELi32ELb1El6__halfEEvPKT6_PKbPfiPT5_PiiiibdPKfPKS9_SF_
		.amdhsa_group_segment_fixed_size 0
		.amdhsa_private_segment_fixed_size 48
		.amdhsa_kernarg_size 96
		.amdhsa_user_sgpr_count 2
		.amdhsa_user_sgpr_dispatch_ptr 0
		.amdhsa_user_sgpr_queue_ptr 0
		.amdhsa_user_sgpr_kernarg_segment_ptr 1
		.amdhsa_user_sgpr_dispatch_id 0
		.amdhsa_user_sgpr_kernarg_preload_length 0
		.amdhsa_user_sgpr_kernarg_preload_offset 0
		.amdhsa_user_sgpr_private_segment_size 0
		.amdhsa_uses_dynamic_stack 0
		.amdhsa_enable_private_segment 1
		.amdhsa_system_sgpr_workgroup_id_x 1
		.amdhsa_system_sgpr_workgroup_id_y 0
		.amdhsa_system_sgpr_workgroup_id_z 0
		.amdhsa_system_sgpr_workgroup_info 0
		.amdhsa_system_vgpr_workitem_id 1
		.amdhsa_next_free_vgpr 29
		.amdhsa_next_free_sgpr 36
		.amdhsa_accum_offset 32
		.amdhsa_reserve_vcc 1
		.amdhsa_float_round_mode_32 0
		.amdhsa_float_round_mode_16_64 0
		.amdhsa_float_denorm_mode_32 3
		.amdhsa_float_denorm_mode_16_64 3
		.amdhsa_dx10_clamp 1
		.amdhsa_ieee_mode 1
		.amdhsa_fp16_overflow 0
		.amdhsa_tg_split 0
		.amdhsa_exception_fp_ieee_invalid_op 0
		.amdhsa_exception_fp_denorm_src 0
		.amdhsa_exception_fp_ieee_div_zero 0
		.amdhsa_exception_fp_ieee_overflow 0
		.amdhsa_exception_fp_ieee_underflow 0
		.amdhsa_exception_fp_ieee_inexact 0
		.amdhsa_exception_int_div_zero 0
	.end_amdhsa_kernel
	.section	.text._ZN4vllm3moe22topkGatingSoftplusSqrtILi8ELi256ELi4ELi16ELi32ELb1El6__halfEEvPKT6_PKbPfiPT5_PiiiibdPKfPKS9_SF_,"axG",@progbits,_ZN4vllm3moe22topkGatingSoftplusSqrtILi8ELi256ELi4ELi16ELi32ELb1El6__halfEEvPKT6_PKbPfiPT5_PiiiibdPKfPKS9_SF_,comdat
.Lfunc_end334:
	.size	_ZN4vllm3moe22topkGatingSoftplusSqrtILi8ELi256ELi4ELi16ELi32ELb1El6__halfEEvPKT6_PKbPfiPT5_PiiiibdPKfPKS9_SF_, .Lfunc_end334-_ZN4vllm3moe22topkGatingSoftplusSqrtILi8ELi256ELi4ELi16ELi32ELb1El6__halfEEvPKT6_PKbPfiPT5_PiiiibdPKfPKS9_SF_
                                        ; -- End function
	.section	.AMDGPU.csdata,"",@progbits
; Kernel info:
; codeLenInByte = 4648
; NumSgprs: 42
; NumVgprs: 29
; NumAgprs: 0
; TotalNumVgprs: 29
; ScratchSize: 48
; MemoryBound: 0
; FloatMode: 240
; IeeeMode: 1
; LDSByteSize: 0 bytes/workgroup (compile time only)
; SGPRBlocks: 5
; VGPRBlocks: 3
; NumSGPRsForWavesPerEU: 42
; NumVGPRsForWavesPerEU: 29
; AccumOffset: 32
; Occupancy: 8
; WaveLimiterHint : 1
; COMPUTE_PGM_RSRC2:SCRATCH_EN: 1
; COMPUTE_PGM_RSRC2:USER_SGPR: 2
; COMPUTE_PGM_RSRC2:TRAP_HANDLER: 0
; COMPUTE_PGM_RSRC2:TGID_X_EN: 1
; COMPUTE_PGM_RSRC2:TGID_Y_EN: 0
; COMPUTE_PGM_RSRC2:TGID_Z_EN: 0
; COMPUTE_PGM_RSRC2:TIDIG_COMP_CNT: 1
; COMPUTE_PGM_RSRC3_GFX90A:ACCUM_OFFSET: 7
; COMPUTE_PGM_RSRC3_GFX90A:TG_SPLIT: 0
	.section	.text._ZN4vllm3moe22topkGatingSoftplusSqrtILi8ELi256ELi4ELi16ELi32ELb0El6__halfEEvPKT6_PKbPfiPT5_PiiiibdPKfPKS9_SF_,"axG",@progbits,_ZN4vllm3moe22topkGatingSoftplusSqrtILi8ELi256ELi4ELi16ELi32ELb0El6__halfEEvPKT6_PKbPfiPT5_PiiiibdPKfPKS9_SF_,comdat
	.protected	_ZN4vllm3moe22topkGatingSoftplusSqrtILi8ELi256ELi4ELi16ELi32ELb0El6__halfEEvPKT6_PKbPfiPT5_PiiiibdPKfPKS9_SF_ ; -- Begin function _ZN4vllm3moe22topkGatingSoftplusSqrtILi8ELi256ELi4ELi16ELi32ELb0El6__halfEEvPKT6_PKbPfiPT5_PiiiibdPKfPKS9_SF_
	.globl	_ZN4vllm3moe22topkGatingSoftplusSqrtILi8ELi256ELi4ELi16ELi32ELb0El6__halfEEvPKT6_PKbPfiPT5_PiiiibdPKfPKS9_SF_
	.p2align	8
	.type	_ZN4vllm3moe22topkGatingSoftplusSqrtILi8ELi256ELi4ELi16ELi32ELb0El6__halfEEvPKT6_PKbPfiPT5_PiiiibdPKfPKS9_SF_,@function
_ZN4vllm3moe22topkGatingSoftplusSqrtILi8ELi256ELi4ELi16ELi32ELb0El6__halfEEvPKT6_PKbPfiPT5_PiiiibdPKfPKS9_SF_: ; @_ZN4vllm3moe22topkGatingSoftplusSqrtILi8ELi256ELi4ELi16ELi32ELb0El6__halfEEvPKT6_PKbPfiPT5_PiiiibdPKfPKS9_SF_
; %bb.0:
	s_load_dword s33, s[0:1], 0x18
	v_and_b32_e32 v1, 0x3ff, v0
	s_lshl_b32 s2, s2, 2
	v_lshrrev_b32_e32 v2, 5, v1
	v_bfe_u32 v0, v0, 10, 10
	v_add3_u32 v8, s2, v0, v2
	s_waitcnt lgkmcnt(0)
	v_cmp_gt_i32_e32 vcc, s33, v8
	s_and_saveexec_b64 s[2:3], vcc
	s_cbranch_execz .LBB335_65
; %bb.1:
	s_load_dwordx4 s[4:7], s[0:1], 0x0
	s_load_dwordx2 s[34:35], s[0:1], 0x10
	s_waitcnt lgkmcnt(0)
	s_cmp_eq_u64 s[6:7], 0
	s_cbranch_scc1 .LBB335_3
; %bb.2:
	v_ashrrev_i32_e32 v9, 31, v8
	v_lshl_add_u64 v[2:3], s[6:7], 0, v[8:9]
	global_load_ubyte v0, v[2:3], off
	s_waitcnt vmcnt(0)
	v_and_b32_e32 v0, 1, v0
	v_cmp_eq_u32_e32 vcc, 1, v0
	s_xor_b64 s[2:3], vcc, -1
	s_orn2_b64 s[36:37], s[2:3], exec
	s_branch .LBB335_4
.LBB335_3:
	s_mov_b64 s[36:37], -1
.LBB335_4:
	v_lshlrev_b32_e32 v4, 8, v8
	v_mov_b32_e32 v2, s4
	v_mov_b32_e32 v3, s5
	v_ashrrev_i32_e32 v5, 31, v4
	v_and_b32_e32 v9, 31, v1
	v_lshl_add_u64 v[2:3], v[4:5], 1, v[2:3]
	v_mov_b32_e32 v1, 0
	v_lshlrev_b32_e32 v0, 4, v9
	v_lshl_add_u64 v[0:1], v[2:3], 0, v[0:1]
	global_load_dwordx4 v[4:7], v[0:1], off
	s_mov_b32 s12, 0x800000
	v_mov_b32_e32 v2, 0x4f800000
	s_mov_b32 s9, 0x3f317217
	s_mov_b32 s10, 0x7f800000
	v_mov_b32_e32 v3, 0x41b17218
	s_movk_i32 s8, 0x4d00
	s_mov_b32 s11, 0xf800000
	s_load_dwordx4 s[20:23], s[0:1], 0x40
	v_lshlrev_b32_e32 v12, 3, v9
	s_waitcnt lgkmcnt(0)
	s_cmp_lg_u64 s[22:23], 0
	s_cselect_b64 s[6:7], -1, 0
	s_and_b64 s[2:3], exec, s[6:7]
	s_waitcnt vmcnt(0)
	v_cvt_f32_f16_e32 v0, v4
	v_mul_f32_e32 v1, 0x3fb8aa3b, v0
	v_exp_f32_e32 v10, v1
	v_mov_b32_e32 v1, 0x260
	v_add_f32_e32 v10, 1.0, v10
	v_cmp_gt_f32_e32 vcc, s12, v10
	s_nop 1
	v_cndmask_b32_e32 v11, 1.0, v2, vcc
	v_mul_f32_e32 v10, v10, v11
	v_log_f32_e32 v11, v10
	v_cndmask_b32_e32 v13, 0, v3, vcc
	v_lshlrev_b32_e32 v10, 2, v12
	v_mul_f32_e32 v14, 0x3f317217, v11
	v_fma_f32 v14, v11, s9, -v14
	v_fmac_f32_e32 v14, 0x3377d1cf, v11
	v_fmac_f32_e32 v14, 0x3f317217, v11
	v_cmp_lt_f32_e64 vcc, |v11|, s10
	s_nop 1
	v_cndmask_b32_e32 v11, v11, v14, vcc
	v_sub_f32_e32 v11, v11, v13
	v_cmp_lt_f16_e32 vcc, s8, v4
	s_nop 1
	v_cndmask_b32_e32 v0, v11, v0, vcc
	v_mul_f32_e32 v11, 0x4f800000, v0
	v_cmp_gt_f32_e32 vcc, s11, v0
	s_nop 1
	v_cndmask_b32_e32 v0, v0, v11, vcc
	v_sqrt_f32_e32 v11, v0
	s_nop 0
	v_add_u32_e32 v13, -1, v11
	v_add_u32_e32 v14, 1, v11
	v_fma_f32 v15, -v13, v11, v0
	v_fma_f32 v16, -v14, v11, v0
	v_cmp_ge_f32_e64 s[4:5], 0, v15
	s_nop 1
	v_cndmask_b32_e64 v11, v11, v13, s[4:5]
	v_cmp_lt_f32_e64 s[4:5], 0, v16
	s_nop 1
	v_cndmask_b32_e64 v11, v11, v14, s[4:5]
	v_mul_f32_e32 v13, 0x37800000, v11
	v_cndmask_b32_e32 v11, v11, v13, vcc
	v_cmp_class_f32_e32 vcc, v0, v1
	s_nop 1
	v_cndmask_b32_e32 v0, v11, v0, vcc
	s_mov_b64 vcc, s[2:3]
	s_cbranch_vccz .LBB335_6
; %bb.5:
	global_load_dword v11, v10, s[22:23]
	s_waitcnt vmcnt(0)
	v_add_f32_e32 v0, v0, v11
.LBB335_6:
	v_cvt_f32_f16_sdwa v11, v4 dst_sel:DWORD dst_unused:UNUSED_PAD src0_sel:WORD_1
	v_mul_f32_e32 v13, 0x3fb8aa3b, v11
	v_exp_f32_e32 v13, v13
	s_nop 0
	v_add_f32_e32 v13, 1.0, v13
	v_cmp_gt_f32_e32 vcc, s12, v13
	s_nop 1
	v_cndmask_b32_e32 v2, 1.0, v2, vcc
	v_mul_f32_e32 v2, v13, v2
	v_log_f32_e32 v2, v2
	v_cndmask_b32_e32 v3, 0, v3, vcc
	v_mul_f32_e32 v13, 0x3f317217, v2
	v_fma_f32 v13, v2, s9, -v13
	v_fmac_f32_e32 v13, 0x3377d1cf, v2
	v_fmac_f32_e32 v13, 0x3f317217, v2
	v_cmp_lt_f32_e64 vcc, |v2|, s10
	s_nop 1
	v_cndmask_b32_e32 v2, v2, v13, vcc
	v_sub_f32_e32 v2, v2, v3
	v_cmp_gt_f16_sdwa vcc, v4, s8 src0_sel:WORD_1 src1_sel:DWORD
	v_cndmask_b32_e64 v4, 0, 1, s[6:7]
	v_cmp_ne_u32_e64 s[2:3], 1, v4
	v_cndmask_b32_e32 v2, v2, v11, vcc
	v_mul_f32_e32 v3, 0x4f800000, v2
	v_cmp_gt_f32_e64 s[4:5], s11, v2
	s_andn2_b64 vcc, exec, s[6:7]
	s_nop 0
	v_cndmask_b32_e64 v2, v2, v3, s[4:5]
	v_sqrt_f32_e32 v3, v2
	s_nop 0
	v_add_u32_e32 v4, -1, v3
	v_add_u32_e32 v11, 1, v3
	v_fma_f32 v13, -v4, v3, v2
	v_fma_f32 v14, -v11, v3, v2
	v_cmp_ge_f32_e64 s[6:7], 0, v13
	s_nop 1
	v_cndmask_b32_e64 v3, v3, v4, s[6:7]
	v_cmp_lt_f32_e64 s[6:7], 0, v14
	s_nop 1
	v_cndmask_b32_e64 v3, v3, v11, s[6:7]
	v_mul_f32_e32 v4, 0x37800000, v3
	v_cndmask_b32_e64 v3, v3, v4, s[4:5]
	v_cmp_class_f32_e64 s[4:5], v2, v1
	s_nop 1
	v_cndmask_b32_e64 v1, v3, v2, s[4:5]
	s_cbranch_vccnz .LBB335_8
; %bb.7:
	global_load_dword v2, v10, s[22:23] offset:4
	s_waitcnt vmcnt(0)
	v_add_f32_e32 v1, v1, v2
.LBB335_8:
	v_cvt_f32_f16_e32 v2, v5
	s_mov_b32 s8, 0x800000
	v_mov_b32_e32 v4, 0x4f800000
	s_mov_b32 s7, 0x3f317217
	v_mul_f32_e32 v3, 0x3fb8aa3b, v2
	v_exp_f32_e32 v3, v3
	s_mov_b32 s9, 0x7f800000
	s_movk_i32 s6, 0x4d00
	s_mov_b32 s10, 0xf800000
	v_add_f32_e32 v3, 1.0, v3
	v_cmp_gt_f32_e32 vcc, s8, v3
	s_nop 1
	v_cndmask_b32_e32 v11, 1.0, v4, vcc
	v_mul_f32_e32 v3, v3, v11
	v_log_f32_e32 v3, v3
	v_mov_b32_e32 v11, 0x41b17218
	v_cndmask_b32_e32 v13, 0, v11, vcc
	v_mul_f32_e32 v14, 0x3f317217, v3
	v_fma_f32 v14, v3, s7, -v14
	v_fmac_f32_e32 v14, 0x3377d1cf, v3
	v_fmac_f32_e32 v14, 0x3f317217, v3
	v_cmp_lt_f32_e64 vcc, |v3|, s9
	s_nop 1
	v_cndmask_b32_e32 v3, v3, v14, vcc
	v_sub_f32_e32 v3, v3, v13
	v_cmp_lt_f16_e32 vcc, s6, v5
	s_nop 1
	v_cndmask_b32_e32 v2, v3, v2, vcc
	v_mul_f32_e32 v3, 0x4f800000, v2
	v_cmp_gt_f32_e32 vcc, s10, v2
	s_nop 1
	v_cndmask_b32_e32 v2, v2, v3, vcc
	v_sqrt_f32_e32 v3, v2
	s_nop 0
	v_add_u32_e32 v13, -1, v3
	v_fma_f32 v14, -v13, v3, v2
	v_cmp_ge_f32_e64 s[4:5], 0, v14
	v_add_u32_e32 v14, 1, v3
	s_nop 0
	v_cndmask_b32_e64 v13, v3, v13, s[4:5]
	v_fma_f32 v3, -v14, v3, v2
	v_cmp_lt_f32_e64 s[4:5], 0, v3
	s_nop 1
	v_cndmask_b32_e64 v3, v13, v14, s[4:5]
	v_mul_f32_e32 v13, 0x37800000, v3
	v_cndmask_b32_e32 v13, v3, v13, vcc
	v_mov_b32_e32 v3, 0x260
	v_cmp_class_f32_e64 s[4:5], v2, v3
	s_and_b64 vcc, exec, s[2:3]
	s_nop 0
	v_cndmask_b32_e64 v2, v13, v2, s[4:5]
	s_cbranch_vccnz .LBB335_10
; %bb.9:
	global_load_dword v13, v10, s[22:23] offset:8
	s_waitcnt vmcnt(0)
	v_add_f32_e32 v2, v2, v13
.LBB335_10:
	v_cvt_f32_f16_sdwa v13, v5 dst_sel:DWORD dst_unused:UNUSED_PAD src0_sel:WORD_1
	v_mul_f32_e32 v14, 0x3fb8aa3b, v13
	v_exp_f32_e32 v14, v14
	s_nop 0
	v_add_f32_e32 v14, 1.0, v14
	v_cmp_gt_f32_e32 vcc, s8, v14
	s_nop 1
	v_cndmask_b32_e32 v4, 1.0, v4, vcc
	v_mul_f32_e32 v4, v14, v4
	v_log_f32_e32 v4, v4
	v_cndmask_b32_e32 v11, 0, v11, vcc
	v_mul_f32_e32 v14, 0x3f317217, v4
	v_fma_f32 v14, v4, s7, -v14
	v_fmac_f32_e32 v14, 0x3377d1cf, v4
	v_fmac_f32_e32 v14, 0x3f317217, v4
	v_cmp_lt_f32_e64 vcc, |v4|, s9
	s_nop 1
	v_cndmask_b32_e32 v4, v4, v14, vcc
	v_sub_f32_e32 v4, v4, v11
	v_cmp_gt_f16_sdwa vcc, v5, s6 src0_sel:WORD_1 src1_sel:DWORD
	s_nop 1
	v_cndmask_b32_e32 v4, v4, v13, vcc
	v_mul_f32_e32 v5, 0x4f800000, v4
	v_cmp_gt_f32_e64 s[4:5], s10, v4
	s_and_b64 vcc, exec, s[2:3]
	s_nop 0
	v_cndmask_b32_e64 v4, v4, v5, s[4:5]
	v_sqrt_f32_e32 v5, v4
	s_nop 0
	v_add_u32_e32 v11, -1, v5
	v_add_u32_e32 v13, 1, v5
	v_fma_f32 v14, -v11, v5, v4
	v_fma_f32 v15, -v13, v5, v4
	v_cmp_ge_f32_e64 s[6:7], 0, v14
	s_nop 1
	v_cndmask_b32_e64 v5, v5, v11, s[6:7]
	v_cmp_lt_f32_e64 s[6:7], 0, v15
	s_nop 1
	v_cndmask_b32_e64 v5, v5, v13, s[6:7]
	v_mul_f32_e32 v11, 0x37800000, v5
	v_cndmask_b32_e64 v5, v5, v11, s[4:5]
	v_cmp_class_f32_e64 s[4:5], v4, v3
	s_nop 1
	v_cndmask_b32_e64 v3, v5, v4, s[4:5]
	s_cbranch_vccnz .LBB335_12
; %bb.11:
	global_load_dword v4, v10, s[22:23] offset:12
	s_waitcnt vmcnt(0)
	v_add_f32_e32 v3, v3, v4
.LBB335_12:
	v_cvt_f32_f16_e32 v4, v6
	v_mov_b32_e32 v11, 0x4f800000
	s_mov_b32 s7, 0x3f317217
	s_movk_i32 s6, 0x4d00
	v_mul_f32_e32 v5, 0x3fb8aa3b, v4
	v_exp_f32_e32 v5, v5
	s_nop 0
	v_add_f32_e32 v5, 1.0, v5
	v_cmp_gt_f32_e32 vcc, s8, v5
	s_nop 1
	v_cndmask_b32_e32 v13, 1.0, v11, vcc
	v_mul_f32_e32 v5, v5, v13
	v_log_f32_e32 v5, v5
	v_mov_b32_e32 v13, 0x41b17218
	v_cndmask_b32_e32 v14, 0, v13, vcc
	v_mul_f32_e32 v15, 0x3f317217, v5
	v_fma_f32 v15, v5, s7, -v15
	v_fmac_f32_e32 v15, 0x3377d1cf, v5
	v_fmac_f32_e32 v15, 0x3f317217, v5
	v_cmp_lt_f32_e64 vcc, |v5|, s9
	s_nop 1
	v_cndmask_b32_e32 v5, v5, v15, vcc
	v_sub_f32_e32 v5, v5, v14
	v_cmp_lt_f16_e32 vcc, s6, v6
	s_nop 1
	v_cndmask_b32_e32 v4, v5, v4, vcc
	v_mul_f32_e32 v5, 0x4f800000, v4
	v_cmp_gt_f32_e32 vcc, s10, v4
	s_nop 1
	v_cndmask_b32_e32 v4, v4, v5, vcc
	v_sqrt_f32_e32 v5, v4
	s_nop 0
	v_add_u32_e32 v14, -1, v5
	v_fma_f32 v15, -v14, v5, v4
	v_cmp_ge_f32_e64 s[4:5], 0, v15
	v_add_u32_e32 v15, 1, v5
	s_nop 0
	v_cndmask_b32_e64 v14, v5, v14, s[4:5]
	v_fma_f32 v5, -v15, v5, v4
	v_cmp_lt_f32_e64 s[4:5], 0, v5
	s_nop 1
	v_cndmask_b32_e64 v5, v14, v15, s[4:5]
	v_mul_f32_e32 v14, 0x37800000, v5
	v_cndmask_b32_e32 v14, v5, v14, vcc
	v_mov_b32_e32 v5, 0x260
	v_cmp_class_f32_e64 s[4:5], v4, v5
	s_and_b64 vcc, exec, s[2:3]
	s_nop 0
	v_cndmask_b32_e64 v4, v14, v4, s[4:5]
	s_cbranch_vccnz .LBB335_14
; %bb.13:
	global_load_dword v14, v10, s[22:23] offset:16
	s_waitcnt vmcnt(0)
	v_add_f32_e32 v4, v4, v14
.LBB335_14:
	v_cvt_f32_f16_sdwa v14, v6 dst_sel:DWORD dst_unused:UNUSED_PAD src0_sel:WORD_1
	v_mul_f32_e32 v15, 0x3fb8aa3b, v14
	v_exp_f32_e32 v15, v15
	s_nop 0
	v_add_f32_e32 v15, 1.0, v15
	v_cmp_gt_f32_e32 vcc, s8, v15
	s_nop 1
	v_cndmask_b32_e32 v11, 1.0, v11, vcc
	v_mul_f32_e32 v11, v15, v11
	v_log_f32_e32 v11, v11
	v_cndmask_b32_e32 v13, 0, v13, vcc
	v_mul_f32_e32 v15, 0x3f317217, v11
	v_fma_f32 v15, v11, s7, -v15
	v_fmac_f32_e32 v15, 0x3377d1cf, v11
	v_fmac_f32_e32 v15, 0x3f317217, v11
	v_cmp_lt_f32_e64 vcc, |v11|, s9
	s_nop 1
	v_cndmask_b32_e32 v11, v11, v15, vcc
	v_sub_f32_e32 v11, v11, v13
	v_cmp_gt_f16_sdwa vcc, v6, s6 src0_sel:WORD_1 src1_sel:DWORD
	s_nop 1
	v_cndmask_b32_e32 v6, v11, v14, vcc
	v_mul_f32_e32 v11, 0x4f800000, v6
	v_cmp_gt_f32_e64 s[4:5], s10, v6
	s_and_b64 vcc, exec, s[2:3]
	s_nop 0
	v_cndmask_b32_e64 v6, v6, v11, s[4:5]
	v_sqrt_f32_e32 v11, v6
	s_nop 0
	v_add_u32_e32 v13, -1, v11
	v_add_u32_e32 v14, 1, v11
	v_fma_f32 v15, -v13, v11, v6
	v_fma_f32 v16, -v14, v11, v6
	v_cmp_ge_f32_e64 s[6:7], 0, v15
	s_nop 1
	v_cndmask_b32_e64 v11, v11, v13, s[6:7]
	v_cmp_lt_f32_e64 s[6:7], 0, v16
	s_nop 1
	v_cndmask_b32_e64 v11, v11, v14, s[6:7]
	v_mul_f32_e32 v13, 0x37800000, v11
	v_cndmask_b32_e64 v11, v11, v13, s[4:5]
	v_cmp_class_f32_e64 s[4:5], v6, v5
	s_nop 1
	v_cndmask_b32_e64 v5, v11, v6, s[4:5]
	s_cbranch_vccnz .LBB335_16
; %bb.15:
	global_load_dword v6, v10, s[22:23] offset:20
	s_waitcnt vmcnt(0)
	v_add_f32_e32 v5, v5, v6
.LBB335_16:
	v_cvt_f32_f16_e32 v6, v7
	v_mov_b32_e32 v13, 0x4f800000
	s_mov_b32 s7, 0x3f317217
	s_movk_i32 s6, 0x4d00
	v_mul_f32_e32 v11, 0x3fb8aa3b, v6
	v_exp_f32_e32 v11, v11
	s_nop 0
	v_add_f32_e32 v11, 1.0, v11
	v_cmp_gt_f32_e32 vcc, s8, v11
	s_nop 1
	v_cndmask_b32_e32 v14, 1.0, v13, vcc
	v_mul_f32_e32 v11, v11, v14
	v_log_f32_e32 v11, v11
	v_mov_b32_e32 v14, 0x41b17218
	v_cndmask_b32_e32 v15, 0, v14, vcc
	v_mul_f32_e32 v16, 0x3f317217, v11
	v_fma_f32 v16, v11, s7, -v16
	v_fmac_f32_e32 v16, 0x3377d1cf, v11
	v_fmac_f32_e32 v16, 0x3f317217, v11
	v_cmp_lt_f32_e64 vcc, |v11|, s9
	s_nop 1
	v_cndmask_b32_e32 v11, v11, v16, vcc
	v_sub_f32_e32 v11, v11, v15
	v_cmp_lt_f16_e32 vcc, s6, v7
	s_nop 1
	v_cndmask_b32_e32 v6, v11, v6, vcc
	v_mul_f32_e32 v11, 0x4f800000, v6
	v_cmp_gt_f32_e32 vcc, s10, v6
	s_nop 1
	v_cndmask_b32_e32 v6, v6, v11, vcc
	v_sqrt_f32_e32 v11, v6
	s_nop 0
	v_add_u32_e32 v15, -1, v11
	v_fma_f32 v16, -v15, v11, v6
	v_cmp_ge_f32_e64 s[4:5], 0, v16
	v_add_u32_e32 v16, 1, v11
	s_nop 0
	v_cndmask_b32_e64 v15, v11, v15, s[4:5]
	v_fma_f32 v11, -v16, v11, v6
	v_cmp_lt_f32_e64 s[4:5], 0, v11
	s_nop 1
	v_cndmask_b32_e64 v11, v15, v16, s[4:5]
	v_mul_f32_e32 v15, 0x37800000, v11
	v_cndmask_b32_e32 v15, v11, v15, vcc
	v_mov_b32_e32 v11, 0x260
	v_cmp_class_f32_e64 s[4:5], v6, v11
	s_and_b64 vcc, exec, s[2:3]
	s_nop 0
	v_cndmask_b32_e64 v6, v15, v6, s[4:5]
	s_cbranch_vccnz .LBB335_18
; %bb.17:
	global_load_dword v15, v10, s[22:23] offset:24
	s_waitcnt vmcnt(0)
	v_add_f32_e32 v6, v6, v15
.LBB335_18:
	v_cvt_f32_f16_sdwa v15, v7 dst_sel:DWORD dst_unused:UNUSED_PAD src0_sel:WORD_1
	v_mul_f32_e32 v16, 0x3fb8aa3b, v15
	v_exp_f32_e32 v16, v16
	s_nop 0
	v_add_f32_e32 v16, 1.0, v16
	v_cmp_gt_f32_e32 vcc, s8, v16
	s_nop 1
	v_cndmask_b32_e32 v13, 1.0, v13, vcc
	v_mul_f32_e32 v13, v16, v13
	v_log_f32_e32 v13, v13
	v_cndmask_b32_e32 v14, 0, v14, vcc
	v_mul_f32_e32 v16, 0x3f317217, v13
	v_fma_f32 v16, v13, s7, -v16
	v_fmac_f32_e32 v16, 0x3377d1cf, v13
	v_fmac_f32_e32 v16, 0x3f317217, v13
	v_cmp_lt_f32_e64 vcc, |v13|, s9
	s_nop 1
	v_cndmask_b32_e32 v13, v13, v16, vcc
	v_sub_f32_e32 v13, v13, v14
	v_cmp_gt_f16_sdwa vcc, v7, s6 src0_sel:WORD_1 src1_sel:DWORD
	s_nop 1
	v_cndmask_b32_e32 v7, v13, v15, vcc
	v_mul_f32_e32 v13, 0x4f800000, v7
	v_cmp_gt_f32_e64 s[4:5], s10, v7
	s_and_b64 vcc, exec, s[2:3]
	s_nop 0
	v_cndmask_b32_e64 v7, v7, v13, s[4:5]
	v_sqrt_f32_e32 v13, v7
	s_nop 0
	v_add_u32_e32 v14, -1, v13
	v_add_u32_e32 v15, 1, v13
	v_fma_f32 v16, -v14, v13, v7
	v_fma_f32 v17, -v15, v13, v7
	v_cmp_ge_f32_e64 s[6:7], 0, v16
	s_nop 1
	v_cndmask_b32_e64 v13, v13, v14, s[6:7]
	v_cmp_lt_f32_e64 s[6:7], 0, v17
	s_nop 1
	v_cndmask_b32_e64 v13, v13, v15, s[6:7]
	v_mul_f32_e32 v14, 0x37800000, v13
	v_cndmask_b32_e64 v13, v13, v14, s[4:5]
	v_cmp_class_f32_e64 s[4:5], v7, v11
	s_nop 1
	v_cndmask_b32_e64 v7, v13, v7, s[4:5]
	s_cbranch_vccnz .LBB335_20
; %bb.19:
	global_load_dword v10, v10, s[22:23] offset:28
	s_waitcnt vmcnt(0)
	v_add_f32_e32 v7, v7, v10
.LBB335_20:
	s_load_dwordx4 s[24:27], s[0:1], 0x30
	s_mov_b32 s42, 0
	v_cmp_eq_u32_e64 s[6:7], 0, v9
	s_waitcnt lgkmcnt(0)
	s_bitcmp1_b32 s27, 0
	s_cselect_b64 s[4:5], -1, 0
	s_cmp_gt_i32 s24, 0
	s_cselect_b64 s[38:39], -1, 0
	s_and_b64 vcc, exec, s[38:39]
	s_cbranch_vccz .LBB335_51
; %bb.21:
	v_mbcnt_lo_u32_b32 v10, -1, 0
	v_mbcnt_hi_u32_b32 v10, -1, v10
	v_and_b32_e32 v11, 0x60, v10
	v_add_u32_e32 v11, 32, v11
	v_xor_b32_e32 v13, 16, v10
	v_cmp_lt_i32_e32 vcc, v13, v11
	s_load_dwordx4 s[28:31], s[0:1], 0x20
	v_mul_lo_u32 v14, v8, s24
	v_cndmask_b32_e32 v13, v10, v13, vcc
	v_lshlrev_b32_e32 v15, 2, v13
	v_xor_b32_e32 v13, 8, v10
	v_cmp_lt_i32_e32 vcc, v13, v11
	v_mov_b32_e32 v20, 0x100
	v_mov_b32_e32 v21, 0xc61c4000
	v_cndmask_b32_e32 v13, v10, v13, vcc
	v_lshlrev_b32_e32 v16, 2, v13
	v_xor_b32_e32 v13, 4, v10
	v_cmp_lt_i32_e32 vcc, v13, v11
	v_mov_b32_e32 v22, v8
	s_nop 0
	v_cndmask_b32_e32 v13, v10, v13, vcc
	v_lshlrev_b32_e32 v17, 2, v13
	v_xor_b32_e32 v13, 2, v10
	v_cmp_lt_i32_e32 vcc, v13, v11
	s_nop 1
	v_cndmask_b32_e32 v13, v10, v13, vcc
	v_lshlrev_b32_e32 v18, 2, v13
	v_xor_b32_e32 v13, 1, v10
	v_cmp_lt_i32_e32 vcc, v13, v11
	s_nop 1
	v_cndmask_b32_e32 v10, v10, v13, vcc
	v_lshlrev_b32_e32 v19, 2, v10
	v_mov_b32_e32 v13, 0
	s_branch .LBB335_24
.LBB335_22:                             ;   in Loop: Header=BB335_24 Depth=1
	s_or_b64 exec, exec, s[40:41]
.LBB335_23:                             ;   in Loop: Header=BB335_24 Depth=1
	s_cmp_eq_u32 s24, s42
	v_add_u32_e32 v22, s33, v22
	s_cbranch_scc1 .LBB335_52
.LBB335_24:                             ; =>This Inner Loop Header: Depth=1
	v_cmp_gt_f32_e32 vcc, v1, v0
	s_nop 1
	v_cndmask_b32_e32 v11, v0, v1, vcc
	v_cndmask_b32_e64 v10, 0, 1, vcc
	v_cmp_gt_f32_e32 vcc, v2, v11
	s_nop 1
	v_cndmask_b32_e32 v11, v11, v2, vcc
	v_cndmask_b32_e64 v10, v10, 2, vcc
	;; [unrolled: 4-line block ×6, first 2 shown]
	v_cmp_gt_f32_e32 vcc, v7, v11
	s_nop 1
	v_cndmask_b32_e64 v10, v10, 7, vcc
	v_cndmask_b32_e32 v23, v11, v7, vcc
	ds_bpermute_b32 v11, v15, v23
	v_or_b32_e32 v10, v12, v10
	s_waitcnt lgkmcnt(0)
	ds_bpermute_b32 v24, v15, v10
	s_waitcnt lgkmcnt(0)
	v_cmp_lt_f32_e64 s[8:9], v23, v11
	v_cmp_nlt_f32_e32 vcc, v23, v11
	s_and_saveexec_b64 s[10:11], vcc
; %bb.25:                               ;   in Loop: Header=BB335_24 Depth=1
	v_cmp_eq_f32_e32 vcc, v23, v11
	v_cmp_lt_i32_e64 s[0:1], v24, v10
	s_and_b64 s[0:1], vcc, s[0:1]
	s_andn2_b64 s[8:9], s[8:9], exec
	s_and_b64 s[0:1], s[0:1], exec
	s_or_b64 s[8:9], s[8:9], s[0:1]
; %bb.26:                               ;   in Loop: Header=BB335_24 Depth=1
	s_or_b64 exec, exec, s[10:11]
	s_and_saveexec_b64 s[0:1], s[8:9]
; %bb.27:                               ;   in Loop: Header=BB335_24 Depth=1
	v_mov_b32_e32 v23, v11
	v_mov_b32_e32 v10, v24
; %bb.28:                               ;   in Loop: Header=BB335_24 Depth=1
	s_or_b64 exec, exec, s[0:1]
	ds_bpermute_b32 v11, v16, v23
	ds_bpermute_b32 v24, v16, v10
	s_waitcnt lgkmcnt(1)
	v_cmp_lt_f32_e64 s[8:9], v23, v11
	v_cmp_nlt_f32_e32 vcc, v23, v11
	s_and_saveexec_b64 s[10:11], vcc
	s_cbranch_execz .LBB335_30
; %bb.29:                               ;   in Loop: Header=BB335_24 Depth=1
	v_cmp_eq_f32_e32 vcc, v23, v11
	s_waitcnt lgkmcnt(0)
	v_cmp_lt_i32_e64 s[0:1], v24, v10
	s_and_b64 s[0:1], vcc, s[0:1]
	s_andn2_b64 s[8:9], s[8:9], exec
	s_and_b64 s[0:1], s[0:1], exec
	s_or_b64 s[8:9], s[8:9], s[0:1]
.LBB335_30:                             ;   in Loop: Header=BB335_24 Depth=1
	s_or_b64 exec, exec, s[10:11]
	s_and_saveexec_b64 s[0:1], s[8:9]
	s_cbranch_execz .LBB335_32
; %bb.31:                               ;   in Loop: Header=BB335_24 Depth=1
	v_mov_b32_e32 v23, v11
	s_waitcnt lgkmcnt(0)
	v_mov_b32_e32 v10, v24
.LBB335_32:                             ;   in Loop: Header=BB335_24 Depth=1
	s_or_b64 exec, exec, s[0:1]
	ds_bpermute_b32 v11, v17, v23
	s_waitcnt lgkmcnt(1)
	ds_bpermute_b32 v24, v17, v10
	s_waitcnt lgkmcnt(1)
	v_cmp_lt_f32_e64 s[8:9], v23, v11
	v_cmp_nlt_f32_e32 vcc, v23, v11
	s_and_saveexec_b64 s[10:11], vcc
	s_cbranch_execz .LBB335_34
; %bb.33:                               ;   in Loop: Header=BB335_24 Depth=1
	v_cmp_eq_f32_e32 vcc, v23, v11
	s_waitcnt lgkmcnt(0)
	v_cmp_lt_i32_e64 s[0:1], v24, v10
	s_and_b64 s[0:1], vcc, s[0:1]
	s_andn2_b64 s[8:9], s[8:9], exec
	s_and_b64 s[0:1], s[0:1], exec
	s_or_b64 s[8:9], s[8:9], s[0:1]
.LBB335_34:                             ;   in Loop: Header=BB335_24 Depth=1
	s_or_b64 exec, exec, s[10:11]
	s_and_saveexec_b64 s[0:1], s[8:9]
	s_cbranch_execz .LBB335_36
; %bb.35:                               ;   in Loop: Header=BB335_24 Depth=1
	v_mov_b32_e32 v23, v11
	s_waitcnt lgkmcnt(0)
	v_mov_b32_e32 v10, v24
.LBB335_36:                             ;   in Loop: Header=BB335_24 Depth=1
	s_or_b64 exec, exec, s[0:1]
	ds_bpermute_b32 v11, v18, v23
	s_waitcnt lgkmcnt(1)
	;; [unrolled: 26-line block ×3, first 2 shown]
	ds_bpermute_b32 v24, v19, v10
	s_waitcnt lgkmcnt(1)
	v_cmp_lt_f32_e64 s[8:9], v23, v11
	v_cmp_nlt_f32_e32 vcc, v23, v11
	s_and_saveexec_b64 s[10:11], vcc
	s_cbranch_execnz .LBB335_44
; %bb.41:                               ;   in Loop: Header=BB335_24 Depth=1
	s_or_b64 exec, exec, s[10:11]
	s_and_saveexec_b64 s[0:1], s[8:9]
	s_cbranch_execnz .LBB335_45
.LBB335_42:                             ;   in Loop: Header=BB335_24 Depth=1
	s_or_b64 exec, exec, s[0:1]
	s_and_saveexec_b64 s[8:9], s[6:7]
	s_cbranch_execnz .LBB335_46
.LBB335_43:                             ;   in Loop: Header=BB335_24 Depth=1
	s_or_b64 exec, exec, s[8:9]
	s_add_i32 s42, s42, 1
	s_cmp_ge_i32 s42, s24
	s_cbranch_scc1 .LBB335_23
	s_branch .LBB335_49
.LBB335_44:                             ;   in Loop: Header=BB335_24 Depth=1
	v_cmp_eq_f32_e32 vcc, v23, v11
	s_waitcnt lgkmcnt(0)
	v_cmp_lt_i32_e64 s[0:1], v24, v10
	s_and_b64 s[0:1], vcc, s[0:1]
	s_andn2_b64 s[8:9], s[8:9], exec
	s_and_b64 s[0:1], s[0:1], exec
	s_or_b64 s[8:9], s[8:9], s[0:1]
	s_or_b64 exec, exec, s[10:11]
	s_and_saveexec_b64 s[0:1], s[8:9]
	s_cbranch_execz .LBB335_42
.LBB335_45:                             ;   in Loop: Header=BB335_24 Depth=1
	s_waitcnt lgkmcnt(0)
	v_mov_b32_e32 v10, v24
	v_mov_b32_e32 v23, v11
	s_or_b64 exec, exec, s[0:1]
	s_and_saveexec_b64 s[8:9], s[6:7]
	s_cbranch_execz .LBB335_43
.LBB335_46:                             ;   in Loop: Header=BB335_24 Depth=1
	s_and_b64 vcc, exec, s[2:3]
	s_cbranch_vccnz .LBB335_48
; %bb.47:                               ;   in Loop: Header=BB335_24 Depth=1
	v_ashrrev_i32_e32 v11, 31, v10
	s_waitcnt lgkmcnt(0)
	v_lshl_add_u64 v[24:25], v[10:11], 2, s[22:23]
	global_load_dword v11, v[24:25], off
	s_waitcnt vmcnt(0)
	v_sub_f32_e32 v23, v23, v11
.LBB335_48:                             ;   in Loop: Header=BB335_24 Depth=1
	s_waitcnt lgkmcnt(0)
	v_add_u32_e32 v24, s42, v14
	v_ashrrev_i32_e32 v25, 31, v24
	v_cmp_le_i32_e32 vcc, s25, v10
	v_cmp_gt_i32_e64 s[0:1], s26, v10
	v_lshlrev_b64 v[26:27], 2, v[24:25]
	s_and_b64 s[0:1], vcc, s[0:1]
	v_lshl_add_u64 v[28:29], s[34:35], 0, v[26:27]
	v_subrev_u32_e32 v11, s25, v10
	global_store_dword v[28:29], v23, off
	v_ashrrev_i32_e32 v28, 31, v11
	s_and_b64 vcc, s[36:37], s[0:1]
	v_cndmask_b32_e32 v29, 0, v28, vcc
	v_cndmask_b32_e32 v28, v20, v11, vcc
	v_lshl_add_u64 v[24:25], v[24:25], 3, s[28:29]
	v_add_f32_e32 v11, v13, v23
	global_store_dwordx2 v[24:25], v[28:29], off
	v_lshl_add_u64 v[24:25], s[30:31], 0, v[26:27]
	v_cndmask_b32_e64 v13, v13, v11, s[4:5]
	global_store_dword v[24:25], v22, off
	s_or_b64 exec, exec, s[8:9]
	s_add_i32 s42, s42, 1
	s_cmp_ge_i32 s42, s24
	s_cbranch_scc1 .LBB335_23
.LBB335_49:                             ;   in Loop: Header=BB335_24 Depth=1
	v_ashrrev_i32_e32 v11, 31, v10
	v_lshrrev_b32_e32 v23, 29, v11
	s_waitcnt lgkmcnt(0)
	v_add_u32_e32 v24, v10, v23
	v_ashrrev_i32_e32 v23, 3, v24
	v_ashrrev_i32_e32 v24, 31, v24
	v_lshrrev_b32_e32 v24, 27, v24
	v_add_u32_e32 v24, v23, v24
	v_and_b32_e32 v24, 0xffffffe0, v24
	v_sub_u32_e32 v24, v23, v24
	v_cmp_eq_u32_e32 vcc, v9, v24
	s_and_saveexec_b64 s[40:41], vcc
	s_cbranch_execz .LBB335_22
; %bb.50:                               ;   in Loop: Header=BB335_24 Depth=1
	v_add_u32_sdwa v11, v10, v11 dst_sel:DWORD dst_unused:UNUSED_PAD src0_sel:DWORD src1_sel:BYTE_3
	v_lshlrev_b32_e32 v23, 3, v23
	v_sub_u32_e32 v10, v10, v23
	v_ashrrev_i32_e32 v11, 8, v11
	v_lshl_add_u32 v10, v11, 3, v10
	v_cmp_ne_u32_e32 vcc, 6, v10
	v_cmp_ne_u32_e64 s[0:1], 5, v10
	v_cmp_ne_u32_e64 s[8:9], 4, v10
	v_cmp_ne_u32_e64 s[10:11], 3, v10
	v_cmp_ne_u32_e64 s[12:13], 2, v10
	v_cmp_ne_u32_e64 s[14:15], 1, v10
	v_cmp_ne_u32_e64 s[16:17], 0, v10
	v_cmp_ne_u32_e64 s[18:19], 7, v10
	v_cndmask_b32_e32 v6, v21, v6, vcc
	v_cndmask_b32_e64 v5, v21, v5, s[0:1]
	v_cndmask_b32_e64 v7, v21, v7, s[18:19]
	;; [unrolled: 1-line block ×7, first 2 shown]
	s_branch .LBB335_22
.LBB335_51:
	v_mov_b32_e32 v13, 0
.LBB335_52:
	v_cmp_eq_u32_e32 vcc, 0, v9
	s_and_b64 exec, exec, vcc
	s_cbranch_execz .LBB335_65
; %bb.53:
	s_andn2_b64 vcc, exec, s[4:5]
	v_cvt_f32_f64_e32 v0, s[20:21]
	s_cbranch_vccnz .LBB335_55
; %bb.54:
	v_cmp_lt_f32_e32 vcc, 0, v13
	s_nop 1
	v_cndmask_b32_e32 v1, 1.0, v13, vcc
	v_div_scale_f32 v2, s[0:1], v1, v1, v0
	v_rcp_f32_e32 v3, v2
	s_nop 0
	v_fma_f32 v4, -v2, v3, 1.0
	v_fmac_f32_e32 v3, v4, v3
	v_div_scale_f32 v4, vcc, v0, v1, v0
	v_mul_f32_e32 v5, v4, v3
	v_fma_f32 v6, -v2, v5, v4
	v_fmac_f32_e32 v5, v6, v3
	v_fma_f32 v2, -v2, v5, v4
	v_div_fmas_f32 v2, v2, v3, v5
	v_div_fixup_f32 v0, v2, v1, v0
.LBB335_55:
	s_andn2_b64 vcc, exec, s[38:39]
	s_cbranch_vccnz .LBB335_65
; %bb.56:
	v_mul_lo_u32 v2, v8, s24
	s_cmp_gt_u32 s24, 3
	v_ashrrev_i32_e32 v3, 31, v2
	s_cbranch_scc0 .LBB335_60
; %bb.57:
	s_and_b32 s0, s24, 0x7ffffffc
	v_lshl_add_u64 v[4:5], v[2:3], 2, s[34:35]
	v_mov_b32_e32 v1, v0
	v_lshl_add_u64 v[4:5], v[4:5], 0, 8
	s_mov_b32 s1, s0
.LBB335_58:                             ; =>This Inner Loop Header: Depth=1
	global_load_dwordx4 v[6:9], v[4:5], off offset:-8
	s_add_i32 s1, s1, -4
	s_cmp_lg_u32 s1, 0
	s_waitcnt vmcnt(0)
	v_pk_mul_f32 v[6:7], v[0:1], v[6:7]
	v_pk_mul_f32 v[8:9], v[0:1], v[8:9]
	global_store_dwordx4 v[4:5], v[6:9], off offset:-8
	v_lshl_add_u64 v[4:5], v[4:5], 0, 16
	s_cbranch_scc1 .LBB335_58
; %bb.59:
	s_cmp_lg_u32 s0, s24
	s_cselect_b64 s[2:3], -1, 0
	s_branch .LBB335_62
.LBB335_60:
	s_mov_b64 s[2:3], 0
                                        ; implicit-def: $sgpr0
	s_cbranch_execz .LBB335_62
; %bb.61:
	s_mov_b64 s[2:3], -1
	s_mov_b32 s0, 0
.LBB335_62:
	s_andn2_b64 vcc, exec, s[2:3]
	s_cbranch_vccnz .LBB335_65
; %bb.63:
	s_mov_b32 s1, 0
	v_lshl_add_u64 v[2:3], v[2:3], 0, s[0:1]
	s_sub_i32 s2, s24, s0
	v_lshl_add_u64 v[2:3], v[2:3], 2, s[34:35]
.LBB335_64:                             ; =>This Inner Loop Header: Depth=1
	global_load_dword v1, v[2:3], off
	s_add_i32 s2, s2, -1
	s_cmp_lg_u32 s2, 0
	s_waitcnt vmcnt(0)
	v_mul_f32_e32 v1, v0, v1
	global_store_dword v[2:3], v1, off
	v_lshl_add_u64 v[2:3], v[2:3], 0, 4
	s_cbranch_scc1 .LBB335_64
.LBB335_65:
	s_endpgm
	.section	.rodata,"a",@progbits
	.p2align	6, 0x0
	.amdhsa_kernel _ZN4vllm3moe22topkGatingSoftplusSqrtILi8ELi256ELi4ELi16ELi32ELb0El6__halfEEvPKT6_PKbPfiPT5_PiiiibdPKfPKS9_SF_
		.amdhsa_group_segment_fixed_size 0
		.amdhsa_private_segment_fixed_size 0
		.amdhsa_kernarg_size 96
		.amdhsa_user_sgpr_count 2
		.amdhsa_user_sgpr_dispatch_ptr 0
		.amdhsa_user_sgpr_queue_ptr 0
		.amdhsa_user_sgpr_kernarg_segment_ptr 1
		.amdhsa_user_sgpr_dispatch_id 0
		.amdhsa_user_sgpr_kernarg_preload_length 0
		.amdhsa_user_sgpr_kernarg_preload_offset 0
		.amdhsa_user_sgpr_private_segment_size 0
		.amdhsa_uses_dynamic_stack 0
		.amdhsa_enable_private_segment 0
		.amdhsa_system_sgpr_workgroup_id_x 1
		.amdhsa_system_sgpr_workgroup_id_y 0
		.amdhsa_system_sgpr_workgroup_id_z 0
		.amdhsa_system_sgpr_workgroup_info 0
		.amdhsa_system_vgpr_workitem_id 1
		.amdhsa_next_free_vgpr 30
		.amdhsa_next_free_sgpr 43
		.amdhsa_accum_offset 32
		.amdhsa_reserve_vcc 1
		.amdhsa_float_round_mode_32 0
		.amdhsa_float_round_mode_16_64 0
		.amdhsa_float_denorm_mode_32 3
		.amdhsa_float_denorm_mode_16_64 3
		.amdhsa_dx10_clamp 1
		.amdhsa_ieee_mode 1
		.amdhsa_fp16_overflow 0
		.amdhsa_tg_split 0
		.amdhsa_exception_fp_ieee_invalid_op 0
		.amdhsa_exception_fp_denorm_src 0
		.amdhsa_exception_fp_ieee_div_zero 0
		.amdhsa_exception_fp_ieee_overflow 0
		.amdhsa_exception_fp_ieee_underflow 0
		.amdhsa_exception_fp_ieee_inexact 0
		.amdhsa_exception_int_div_zero 0
	.end_amdhsa_kernel
	.section	.text._ZN4vllm3moe22topkGatingSoftplusSqrtILi8ELi256ELi4ELi16ELi32ELb0El6__halfEEvPKT6_PKbPfiPT5_PiiiibdPKfPKS9_SF_,"axG",@progbits,_ZN4vllm3moe22topkGatingSoftplusSqrtILi8ELi256ELi4ELi16ELi32ELb0El6__halfEEvPKT6_PKbPfiPT5_PiiiibdPKfPKS9_SF_,comdat
.Lfunc_end335:
	.size	_ZN4vllm3moe22topkGatingSoftplusSqrtILi8ELi256ELi4ELi16ELi32ELb0El6__halfEEvPKT6_PKbPfiPT5_PiiiibdPKfPKS9_SF_, .Lfunc_end335-_ZN4vllm3moe22topkGatingSoftplusSqrtILi8ELi256ELi4ELi16ELi32ELb0El6__halfEEvPKT6_PKbPfiPT5_PiiiibdPKfPKS9_SF_
                                        ; -- End function
	.section	.AMDGPU.csdata,"",@progbits
; Kernel info:
; codeLenInByte = 4212
; NumSgprs: 49
; NumVgprs: 30
; NumAgprs: 0
; TotalNumVgprs: 30
; ScratchSize: 0
; MemoryBound: 0
; FloatMode: 240
; IeeeMode: 1
; LDSByteSize: 0 bytes/workgroup (compile time only)
; SGPRBlocks: 6
; VGPRBlocks: 3
; NumSGPRsForWavesPerEU: 49
; NumVGPRsForWavesPerEU: 30
; AccumOffset: 32
; Occupancy: 8
; WaveLimiterHint : 0
; COMPUTE_PGM_RSRC2:SCRATCH_EN: 0
; COMPUTE_PGM_RSRC2:USER_SGPR: 2
; COMPUTE_PGM_RSRC2:TRAP_HANDLER: 0
; COMPUTE_PGM_RSRC2:TGID_X_EN: 1
; COMPUTE_PGM_RSRC2:TGID_Y_EN: 0
; COMPUTE_PGM_RSRC2:TGID_Z_EN: 0
; COMPUTE_PGM_RSRC2:TIDIG_COMP_CNT: 1
; COMPUTE_PGM_RSRC3_GFX90A:ACCUM_OFFSET: 7
; COMPUTE_PGM_RSRC3_GFX90A:TG_SPLIT: 0
	.section	.text._ZN4vllm3moe22topkGatingSoftplusSqrtILi8ELi512ELi4ELi16ELi64ELb1El6__halfEEvPKT6_PKbPfiPT5_PiiiibdPKfPKS9_SF_,"axG",@progbits,_ZN4vllm3moe22topkGatingSoftplusSqrtILi8ELi512ELi4ELi16ELi64ELb1El6__halfEEvPKT6_PKbPfiPT5_PiiiibdPKfPKS9_SF_,comdat
	.protected	_ZN4vllm3moe22topkGatingSoftplusSqrtILi8ELi512ELi4ELi16ELi64ELb1El6__halfEEvPKT6_PKbPfiPT5_PiiiibdPKfPKS9_SF_ ; -- Begin function _ZN4vllm3moe22topkGatingSoftplusSqrtILi8ELi512ELi4ELi16ELi64ELb1El6__halfEEvPKT6_PKbPfiPT5_PiiiibdPKfPKS9_SF_
	.globl	_ZN4vllm3moe22topkGatingSoftplusSqrtILi8ELi512ELi4ELi16ELi64ELb1El6__halfEEvPKT6_PKbPfiPT5_PiiiibdPKfPKS9_SF_
	.p2align	8
	.type	_ZN4vllm3moe22topkGatingSoftplusSqrtILi8ELi512ELi4ELi16ELi64ELb1El6__halfEEvPKT6_PKbPfiPT5_PiiiibdPKfPKS9_SF_,@function
_ZN4vllm3moe22topkGatingSoftplusSqrtILi8ELi512ELi4ELi16ELi64ELb1El6__halfEEvPKT6_PKbPfiPT5_PiiiibdPKfPKS9_SF_: ; @_ZN4vllm3moe22topkGatingSoftplusSqrtILi8ELi512ELi4ELi16ELi64ELb1El6__halfEEvPKT6_PKbPfiPT5_PiiiibdPKfPKS9_SF_
; %bb.0:
	s_load_dword s3, s[0:1], 0x18
	v_and_b32_e32 v10, 0x3ff, v0
	s_lshl_b32 s2, s2, 2
	v_lshrrev_b32_e32 v1, 6, v10
	v_bfe_u32 v0, v0, 10, 10
	v_add3_u32 v6, s2, v0, v1
	s_waitcnt lgkmcnt(0)
	v_cmp_gt_i32_e32 vcc, s3, v6
	s_and_saveexec_b64 s[2:3], vcc
	s_cbranch_execz .LBB336_31
; %bb.1:
	s_load_dwordx4 s[8:11], s[0:1], 0x50
	s_load_dwordx2 s[2:3], s[0:1], 0x0
	s_load_dword s12, s[0:1], 0x30
	v_lshlrev_b32_e32 v0, 9, v6
	v_lshlrev_b32_e32 v4, 3, v10
	v_ashrrev_i32_e32 v1, 31, v0
	v_and_b32_e32 v12, 0x1f8, v4
	s_waitcnt lgkmcnt(0)
	v_mov_b32_e32 v2, s8
	v_mov_b32_e32 v3, s9
	v_lshl_add_u64 v[0:1], v[0:1], 1, s[2:3]
	v_lshlrev_b32_e32 v4, 1, v12
	v_mov_b32_e32 v5, 0
	v_ashrrev_i32_e32 v7, 31, v6
	v_lshl_add_u64 v[2:3], v[6:7], 3, v[2:3]
	v_lshl_add_u64 v[0:1], v[0:1], 0, v[4:5]
	global_load_dwordx2 v[8:9], v[2:3], off
	s_mov_b32 s21, 0x800000
	global_load_dwordx4 v[0:3], v[0:1], off
	s_ashr_i32 s13, s12, 31
	v_mov_b32_e32 v4, 0x4f800000
	s_mov_b32 s19, 0x3f317217
	s_mov_b32 s20, 0x7f800000
	v_mov_b32_e32 v7, 0x41b17218
	s_movk_i32 s15, 0x4d00
	s_mov_b32 s18, 0xf800000
	v_mov_b32_e32 v11, 0x260
	v_cmp_lt_i64_e64 s[16:17], s[12:13], 1
	s_mov_b32 s14, 0
	v_cmp_gt_i64_e64 s[8:9], s[12:13], 0
	s_waitcnt vmcnt(1)
	v_mul_lo_u32 v13, v9, s12
	v_mul_lo_u32 v18, v8, s13
	s_waitcnt vmcnt(0)
	v_cvt_f32_f16_e32 v19, v0
	v_cvt_f32_f16_sdwa v20, v0 dst_sel:DWORD dst_unused:UNUSED_PAD src0_sel:WORD_1
	v_cvt_f32_f16_e32 v21, v1
	v_cvt_f32_f16_sdwa v22, v1 dst_sel:DWORD dst_unused:UNUSED_PAD src0_sel:WORD_1
	v_mul_f32_e32 v9, 0x3fb8aa3b, v19
	v_mul_f32_e32 v15, 0x3fb8aa3b, v20
	v_exp_f32_e32 v14, v9
	v_exp_f32_e32 v15, v15
	v_mul_f32_e32 v16, 0x3fb8aa3b, v21
	v_mul_f32_e32 v17, 0x3fb8aa3b, v22
	v_exp_f32_e32 v16, v16
	v_pk_add_f32 v[14:15], v[14:15], 1.0 op_sel_hi:[1,0]
	v_exp_f32_e32 v17, v17
	v_mad_u64_u32 v[8:9], s[2:3], v8, s12, 0
	v_cmp_gt_f32_e32 vcc, s21, v15
	v_add3_u32 v9, v9, v18, v13
	v_cmp_gt_f32_e64 s[2:3], s21, v14
	v_cndmask_b32_e32 v13, 1.0, v4, vcc
	v_mul_f32_e32 v13, v15, v13
	v_cndmask_b32_e64 v18, 1.0, v4, s[2:3]
	v_mul_f32_e32 v14, v14, v18
	v_log_f32_e32 v13, v13
	v_pk_add_f32 v[16:17], v[16:17], 1.0 op_sel_hi:[1,0]
	v_log_f32_e32 v14, v14
	v_cmp_gt_f32_e64 s[6:7], s21, v16
	v_cndmask_b32_e32 v15, 0, v7, vcc
	v_cmp_lt_f32_e64 vcc, |v13|, s20
	v_cndmask_b32_e64 v24, 1.0, v4, s[6:7]
	v_mul_f32_e32 v16, v16, v24
	v_mul_f32_e32 v24, 0x3f317217, v13
	;; [unrolled: 1-line block ×3, first 2 shown]
	v_fma_f32 v24, v13, s19, -v24
	v_fma_f32 v25, v14, s19, -v25
	v_fmac_f32_e32 v24, 0x3377d1cf, v13
	v_fmac_f32_e32 v25, 0x3377d1cf, v14
	;; [unrolled: 1-line block ×4, first 2 shown]
	v_cndmask_b32_e32 v13, v13, v24, vcc
	v_cmp_lt_f32_e64 vcc, |v14|, s20
	v_cndmask_b32_e64 v18, 0, v7, s[2:3]
	v_cmp_gt_f32_e64 s[4:5], s21, v17
	v_cndmask_b32_e32 v14, v14, v25, vcc
	v_sub_f32_e32 v14, v14, v18
	v_cmp_lt_f16_e32 vcc, s15, v0
	v_cndmask_b32_e64 v23, 1.0, v4, s[4:5]
	v_sub_f32_e32 v13, v13, v15
	v_cndmask_b32_e32 v14, v14, v19, vcc
	v_cmp_gt_f16_sdwa vcc, v0, s15 src0_sel:WORD_1 src1_sel:DWORD
	v_mul_f32_e32 v17, v17, v23
	v_log_f32_e32 v17, v17
	v_cndmask_b32_e32 v0, v13, v20, vcc
	v_mul_f32_e32 v13, 0x4f800000, v0
	v_cmp_gt_f32_e32 vcc, s18, v0
	v_mul_f32_e32 v15, 0x4f800000, v14
	v_cmp_gt_f32_e64 s[2:3], s18, v14
	v_cndmask_b32_e32 v0, v0, v13, vcc
	v_mul_f32_e32 v26, 0x3f317217, v17
	v_cndmask_b32_e64 v13, v14, v15, s[2:3]
	v_sqrt_f32_e32 v14, v0
	v_sqrt_f32_e32 v15, v13
	v_fma_f32 v26, v17, s19, -v26
	v_fmac_f32_e32 v26, 0x3377d1cf, v17
	v_add_u32_e32 v18, -1, v14
	v_cndmask_b32_e64 v23, 0, v7, s[4:5]
	v_fmac_f32_e32 v26, 0x3f317217, v17
	v_cmp_lt_f32_e64 s[4:5], |v17|, s20
	v_add_u32_e32 v20, -1, v15
	v_fma_f32 v25, -v18, v14, v0
	v_cndmask_b32_e64 v17, v17, v26, s[4:5]
	v_add_u32_e32 v19, 1, v14
	v_fma_f32 v27, -v20, v15, v13
	v_cmp_ge_f32_e64 s[4:5], 0, v25
	v_add_u32_e32 v24, 1, v15
	v_fma_f32 v26, -v19, v14, v0
	v_cndmask_b32_e64 v14, v14, v18, s[4:5]
	v_cmp_ge_f32_e64 s[4:5], 0, v27
	v_fma_f32 v28, -v24, v15, v13
	v_log_f32_e32 v16, v16
	v_cndmask_b32_e64 v15, v15, v20, s[4:5]
	v_cmp_lt_f32_e64 s[4:5], 0, v26
	v_cvt_f32_f16_sdwa v20, v2 dst_sel:DWORD dst_unused:UNUSED_PAD src0_sel:WORD_1
	s_nop 0
	v_cndmask_b32_e64 v14, v14, v19, s[4:5]
	v_cmp_lt_f32_e64 s[4:5], 0, v28
	v_mul_f32_e32 v18, 0x37800000, v14
	v_cndmask_b32_e32 v14, v14, v18, vcc
	v_cndmask_b32_e64 v15, v15, v24, s[4:5]
	v_mul_f32_e32 v19, 0x37800000, v15
	v_cmp_class_f32_e32 vcc, v0, v11
	v_cndmask_b32_e64 v18, v15, v19, s[2:3]
	v_cmp_lt_f16_e64 s[2:3], s15, v1
	v_cndmask_b32_e32 v15, v14, v0, vcc
	v_cmp_class_f32_e32 vcc, v13, v11
	v_sub_f32_e32 v0, v17, v23
	v_cvt_f32_f16_e32 v19, v2
	v_cndmask_b32_e32 v14, v18, v13, vcc
	v_mul_f32_e32 v13, 0x3f317217, v16
	v_fma_f32 v13, v16, s19, -v13
	v_fmac_f32_e32 v13, 0x3377d1cf, v16
	v_fmac_f32_e32 v13, 0x3f317217, v16
	v_cmp_lt_f32_e64 vcc, |v16|, s20
	s_nop 1
	v_cndmask_b32_e32 v13, v16, v13, vcc
	v_cmp_gt_f16_sdwa vcc, v1, s15 src0_sel:WORD_1 src1_sel:DWORD
	v_cndmask_b32_e64 v16, 0, v7, s[6:7]
	v_sub_f32_e32 v13, v13, v16
	v_cndmask_b32_e32 v0, v0, v22, vcc
	v_mul_f32_e32 v17, 0x4f800000, v0
	v_cmp_gt_f32_e32 vcc, s18, v0
	v_cndmask_b32_e64 v1, v13, v21, s[2:3]
	s_nop 0
	v_cndmask_b32_e32 v0, v0, v17, vcc
	v_sqrt_f32_e32 v17, v0
	s_nop 0
	v_add_u32_e32 v13, -1, v17
	v_fma_f32 v16, -v13, v17, v0
	v_cmp_ge_f32_e64 s[2:3], 0, v16
	v_add_u32_e32 v16, 1, v17
	s_nop 0
	v_cndmask_b32_e64 v13, v17, v13, s[2:3]
	v_fma_f32 v17, -v16, v17, v0
	v_cmp_lt_f32_e64 s[2:3], 0, v17
	v_mul_f32_e32 v17, 0x4f800000, v1
	s_nop 0
	v_cndmask_b32_e64 v13, v13, v16, s[2:3]
	v_cmp_gt_f32_e64 s[2:3], s18, v1
	v_mul_f32_e32 v16, 0x37800000, v13
	v_cndmask_b32_e32 v13, v13, v16, vcc
	v_cndmask_b32_e64 v18, v1, v17, s[2:3]
	v_sqrt_f32_e32 v1, v18
	v_cmp_class_f32_e32 vcc, v0, v11
	v_add_u32_e32 v16, 1, v1
	s_nop 0
	v_cndmask_b32_e32 v17, v13, v0, vcc
	v_add_u32_e32 v0, -1, v1
	v_fma_f32 v13, -v0, v1, v18
	v_cmp_ge_f32_e32 vcc, 0, v13
	v_fma_f32 v21, -v16, v1, v18
	s_nop 0
	v_cndmask_b32_e32 v13, v1, v0, vcc
	v_mul_f32_e32 v0, 0x3fb8aa3b, v19
	v_mul_f32_e32 v1, 0x3fb8aa3b, v20
	v_exp_f32_e32 v0, v0
	v_exp_f32_e32 v1, v1
	v_cmp_lt_f32_e32 vcc, 0, v21
	v_pk_add_f32 v[0:1], v[0:1], 1.0 op_sel_hi:[1,0]
	s_nop 0
	v_cndmask_b32_e32 v13, v13, v16, vcc
	v_mul_f32_e32 v16, 0x37800000, v13
	v_cmp_gt_f32_e32 vcc, s21, v1
	v_cndmask_b32_e64 v13, v13, v16, s[2:3]
	v_cmp_class_f32_e64 s[2:3], v18, v11
	v_cndmask_b32_e32 v16, 1.0, v4, vcc
	v_mul_f32_e32 v1, v1, v16
	v_log_f32_e32 v1, v1
	v_cndmask_b32_e64 v16, v13, v18, s[2:3]
	v_cmp_gt_f32_e64 s[2:3], s21, v0
	scratch_store_dwordx4 off, v[14:17], off
	v_mul_f32_e32 v13, 0x3f317217, v1
	v_fma_f32 v13, v1, s19, -v13
	v_cndmask_b32_e64 v14, 1.0, v4, s[2:3]
	v_mul_f32_e32 v0, v0, v14
	v_log_f32_e32 v0, v0
	v_fmac_f32_e32 v13, 0x3377d1cf, v1
	v_fmac_f32_e32 v13, 0x3f317217, v1
	v_cmp_lt_f32_e64 s[4:5], |v1|, s20
	v_cvt_f32_f16_sdwa v17, v3 dst_sel:DWORD dst_unused:UNUSED_PAD src0_sel:WORD_1
	v_mul_f32_e32 v15, 0x3fb8aa3b, v17
	v_cndmask_b32_e64 v1, v1, v13, s[4:5]
	v_cndmask_b32_e32 v13, 0, v7, vcc
	v_sub_f32_e32 v1, v1, v13
	v_mul_f32_e32 v13, 0x3f317217, v0
	v_fma_f32 v13, v0, s19, -v13
	v_fmac_f32_e32 v13, 0x3377d1cf, v0
	v_fmac_f32_e32 v13, 0x3f317217, v0
	v_cmp_lt_f32_e64 vcc, |v0|, s20
	v_exp_f32_e32 v15, v15
	s_nop 0
	v_cndmask_b32_e32 v0, v0, v13, vcc
	v_cmp_gt_f16_sdwa vcc, v2, s15 src0_sel:WORD_1 src1_sel:DWORD
	v_cndmask_b32_e64 v13, 0, v7, s[2:3]
	v_cmp_lt_f16_e64 s[2:3], s15, v2
	v_cndmask_b32_e32 v1, v1, v20, vcc
	v_mul_f32_e32 v14, 0x4f800000, v1
	v_cmp_gt_f32_e32 vcc, s18, v1
	v_sub_f32_e32 v0, v0, v13
	v_cndmask_b32_e64 v0, v0, v19, s[2:3]
	v_cndmask_b32_e32 v1, v1, v14, vcc
	v_sqrt_f32_e32 v14, v1
	s_nop 0
	v_add_u32_e32 v2, -1, v14
	v_fma_f32 v13, -v2, v14, v1
	v_cmp_ge_f32_e64 s[2:3], 0, v13
	v_add_u32_e32 v13, 1, v14
	s_nop 0
	v_cndmask_b32_e64 v2, v14, v2, s[2:3]
	v_fma_f32 v14, -v13, v14, v1
	v_cmp_lt_f32_e64 s[2:3], 0, v14
	v_mul_f32_e32 v14, 0x4f800000, v0
	s_nop 0
	v_cndmask_b32_e64 v2, v2, v13, s[2:3]
	v_cmp_gt_f32_e64 s[2:3], s18, v0
	v_mul_f32_e32 v13, 0x37800000, v2
	v_cndmask_b32_e32 v2, v2, v13, vcc
	v_cndmask_b32_e64 v0, v0, v14, s[2:3]
	v_sqrt_f32_e32 v14, v0
	v_cmp_class_f32_e32 vcc, v1, v11
	v_add_u32_e32 v16, 1, v14
	s_nop 0
	v_cndmask_b32_e32 v1, v2, v1, vcc
	v_add_u32_e32 v2, -1, v14
	v_fma_f32 v13, -v2, v14, v0
	v_cmp_ge_f32_e32 vcc, 0, v13
	v_cvt_f32_f16_e32 v13, v3
	v_fma_f32 v18, -v16, v14, v0
	v_cndmask_b32_e32 v2, v14, v2, vcc
	v_cmp_lt_f32_e32 vcc, 0, v18
	v_mul_f32_e32 v14, 0x3fb8aa3b, v13
	v_exp_f32_e32 v14, v14
	v_cndmask_b32_e32 v2, v2, v16, vcc
	v_mul_f32_e32 v16, 0x37800000, v2
	v_cndmask_b32_e64 v2, v2, v16, s[2:3]
	v_pk_add_f32 v[14:15], v[14:15], 1.0 op_sel_hi:[1,0]
	v_cmp_class_f32_e64 s[2:3], v0, v11
	v_cmp_gt_f32_e32 vcc, s21, v15
	s_nop 0
	v_cndmask_b32_e64 v0, v2, v0, s[2:3]
	v_cndmask_b32_e32 v18, 1.0, v4, vcc
	v_mul_f32_e32 v15, v15, v18
	v_log_f32_e32 v15, v15
	v_cmp_gt_f32_e64 s[2:3], s21, v14
	v_mul_f32_e32 v2, 0x3f317217, v15
	s_nop 0
	v_cndmask_b32_e64 v4, 1.0, v4, s[2:3]
	v_mul_f32_e32 v4, v14, v4
	v_fma_f32 v2, v15, s19, -v2
	v_log_f32_e32 v4, v4
	v_fmac_f32_e32 v2, 0x3377d1cf, v15
	v_fmac_f32_e32 v2, 0x3f317217, v15
	v_cmp_lt_f32_e64 s[4:5], |v15|, s20
	v_cndmask_b32_e32 v14, 0, v7, vcc
	v_cmp_lt_f32_e64 vcc, |v4|, s20
	v_cndmask_b32_e64 v2, v15, v2, s[4:5]
	v_sub_f32_e32 v2, v2, v14
	v_mul_f32_e32 v14, 0x3f317217, v4
	v_fma_f32 v14, v4, s19, -v14
	v_fmac_f32_e32 v14, 0x3377d1cf, v4
	v_fmac_f32_e32 v14, 0x3f317217, v4
	v_cndmask_b32_e32 v4, v4, v14, vcc
	v_cmp_gt_f16_sdwa vcc, v3, s15 src0_sel:WORD_1 src1_sel:DWORD
	v_cndmask_b32_e64 v7, 0, v7, s[2:3]
	v_sub_f32_e32 v4, v4, v7
	v_cndmask_b32_e32 v2, v2, v17, vcc
	v_mul_f32_e32 v14, 0x4f800000, v2
	v_cmp_gt_f32_e32 vcc, s18, v2
	v_cmp_lt_f16_e64 s[2:3], s15, v3
	s_nop 0
	v_cndmask_b32_e32 v2, v2, v14, vcc
	v_sqrt_f32_e32 v14, v2
	v_cndmask_b32_e64 v3, v4, v13, s[2:3]
	v_add_u32_e32 v4, -1, v14
	v_fma_f32 v7, -v4, v14, v2
	v_cmp_ge_f32_e64 s[2:3], 0, v7
	v_add_u32_e32 v7, 1, v14
	v_fma_f32 v13, -v7, v14, v2
	v_cndmask_b32_e64 v4, v14, v4, s[2:3]
	v_cmp_lt_f32_e64 s[2:3], 0, v13
	v_mul_f32_e32 v13, 0x4f800000, v3
	s_nop 0
	v_cndmask_b32_e64 v4, v4, v7, s[2:3]
	v_cmp_gt_f32_e64 s[2:3], s18, v3
	v_mul_f32_e32 v7, 0x37800000, v4
	s_nop 0
	v_cndmask_b32_e64 v13, v3, v13, s[2:3]
	v_sqrt_f32_e32 v14, v13
	v_cndmask_b32_e32 v3, v4, v7, vcc
	v_cmp_class_f32_e32 vcc, v2, v11
	s_nop 1
	v_cndmask_b32_e32 v3, v3, v2, vcc
	v_add_u32_e32 v2, -1, v14
	v_fma_f32 v4, -v2, v14, v13
	v_cmp_ge_f32_e32 vcc, 0, v4
	v_add_u32_e32 v4, 1, v14
	v_fma_f32 v7, -v4, v14, v13
	v_cndmask_b32_e32 v2, v14, v2, vcc
	v_cmp_lt_f32_e32 vcc, 0, v7
	s_nop 1
	v_cndmask_b32_e32 v2, v2, v4, vcc
	v_mul_f32_e32 v4, 0x37800000, v2
	v_cndmask_b32_e64 v2, v2, v4, s[2:3]
	v_cmp_class_f32_e32 vcc, v13, v11
	s_nop 1
	v_cndmask_b32_e32 v2, v2, v13, vcc
	scratch_store_dwordx4 off, v[0:3], off offset:16
	s_and_b64 vcc, exec, s[16:17]
	s_nop 0
	v_lshl_add_u64 v[2:3], v[8:9], 3, s[10:11]
	v_mul_lo_u32 v0, v6, s12
	s_cbranch_vccnz .LBB336_28
; %bb.2:
	s_load_dwordx2 s[4:5], s[0:1], 0x20
	s_cmp_lt_u32 s12, 4
	v_and_b32_e32 v4, 63, v10
	s_cbranch_scc1 .LBB336_21
; %bb.3:
	v_lshlrev_b32_e32 v5, 3, v4
	s_mov_b32 s7, 0
	s_and_b32 s14, s12, 0x7ffffffc
	v_ashrrev_i32_e32 v1, 31, v0
	v_sub_u32_e32 v13, 0, v5
	v_mov_b32_e32 v5, 0
	s_mov_b32 s6, s7
	s_branch .LBB336_5
.LBB336_4:                              ;   in Loop: Header=BB336_5 Depth=1
	s_or_b64 exec, exec, s[10:11]
	s_add_i32 s6, s6, 4
	s_cmp_eq_u32 s6, s14
	s_cbranch_scc1 .LBB336_21
.LBB336_5:                              ; =>This Loop Header: Depth=1
                                        ;     Child Loop BB336_7 Depth 2
                                        ;     Child Loop BB336_11 Depth 2
	;; [unrolled: 1-line block ×4, first 2 shown]
	v_lshl_add_u64 v[6:7], s[6:7], 3, v[2:3]
	global_load_dwordx2 v[8:9], v[6:7], off
	v_add_u32_e32 v10, s6, v0
	v_ashrrev_i32_e32 v11, 31, v10
	v_mov_b32_e32 v14, 0
	s_mov_b64 s[10:11], 0
	s_waitcnt lgkmcnt(0)
	v_lshl_add_u64 v[10:11], v[10:11], 3, s[4:5]
	s_mov_b32 s13, 0
	s_waitcnt vmcnt(0)
	v_ashrrev_i32_e32 v9, 31, v8
	v_add_u32_e32 v15, v13, v8
	s_branch .LBB336_7
.LBB336_6:                              ;   in Loop: Header=BB336_7 Depth=2
	s_or_b64 exec, exec, s[16:17]
	s_add_i32 s15, s13, 1
	s_cmp_gt_u32 s13, 6
	s_cselect_b64 s[2:3], -1, 0
	s_xor_b64 s[16:17], vcc, -1
	s_or_b64 s[2:3], s[16:17], s[2:3]
	s_and_b64 s[2:3], exec, s[2:3]
	v_add_u32_e32 v14, 4, v14
	s_or_b64 s[10:11], s[2:3], s[10:11]
	s_mov_b32 s13, s15
	s_andn2_b64 exec, exec, s[10:11]
	s_cbranch_execz .LBB336_9
.LBB336_7:                              ;   Parent Loop BB336_5 Depth=1
                                        ; =>  This Inner Loop Header: Depth=2
	v_cmp_ne_u32_e32 vcc, s13, v15
	v_cmp_eq_u32_e64 s[2:3], s13, v15
	s_and_saveexec_b64 s[16:17], s[2:3]
	s_cbranch_execz .LBB336_6
; %bb.8:                                ;   in Loop: Header=BB336_7 Depth=2
	scratch_load_dword v16, v14, off
	s_waitcnt vmcnt(0)
	v_add_f32_e32 v5, v5, v16
	global_store_dwordx2 v[10:11], v[8:9], off
	s_branch .LBB336_6
.LBB336_9:                              ;   in Loop: Header=BB336_5 Depth=1
	s_or_b64 exec, exec, s[10:11]
	global_load_dwordx2 v[10:11], v[6:7], off offset:8
	s_ashr_i32 s3, s6, 31
	s_mov_b32 s2, s6
	v_lshl_add_u64 v[8:9], s[2:3], 0, v[0:1]
	v_mov_b32_e32 v14, 0
	s_mov_b32 s13, 0
	v_lshl_add_u64 v[8:9], v[8:9], 3, s[4:5]
	s_mov_b64 s[10:11], 0
	s_waitcnt vmcnt(0)
	v_ashrrev_i32_e32 v11, 31, v10
	v_add_u32_e32 v15, v13, v10
	s_branch .LBB336_11
.LBB336_10:                             ;   in Loop: Header=BB336_11 Depth=2
	s_or_b64 exec, exec, s[16:17]
	s_add_i32 s15, s13, 1
	s_cmp_gt_u32 s13, 6
	s_cselect_b64 s[2:3], -1, 0
	s_xor_b64 s[16:17], vcc, -1
	s_or_b64 s[2:3], s[16:17], s[2:3]
	s_and_b64 s[2:3], exec, s[2:3]
	v_add_u32_e32 v14, 4, v14
	s_or_b64 s[10:11], s[2:3], s[10:11]
	s_mov_b32 s13, s15
	s_andn2_b64 exec, exec, s[10:11]
	s_cbranch_execz .LBB336_13
.LBB336_11:                             ;   Parent Loop BB336_5 Depth=1
                                        ; =>  This Inner Loop Header: Depth=2
	v_cmp_ne_u32_e32 vcc, s13, v15
	v_cmp_eq_u32_e64 s[2:3], s13, v15
	s_and_saveexec_b64 s[16:17], s[2:3]
	s_cbranch_execz .LBB336_10
; %bb.12:                               ;   in Loop: Header=BB336_11 Depth=2
	scratch_load_dword v16, v14, off
	s_waitcnt vmcnt(0)
	v_add_f32_e32 v5, v5, v16
	global_store_dwordx2 v[8:9], v[10:11], off offset:8
	s_branch .LBB336_10
.LBB336_13:                             ;   in Loop: Header=BB336_5 Depth=1
	s_or_b64 exec, exec, s[10:11]
	global_load_dwordx2 v[10:11], v[6:7], off offset:16
	v_mov_b32_e32 v14, 0
	s_mov_b32 s13, 0
	s_mov_b64 s[10:11], 0
	s_waitcnt vmcnt(0)
	v_ashrrev_i32_e32 v11, 31, v10
	v_add_u32_e32 v15, v13, v10
	s_branch .LBB336_15
.LBB336_14:                             ;   in Loop: Header=BB336_15 Depth=2
	s_or_b64 exec, exec, s[16:17]
	s_add_i32 s15, s13, 1
	s_cmp_gt_u32 s13, 6
	s_cselect_b64 s[2:3], -1, 0
	s_xor_b64 s[16:17], vcc, -1
	s_or_b64 s[2:3], s[16:17], s[2:3]
	s_and_b64 s[2:3], exec, s[2:3]
	v_add_u32_e32 v14, 4, v14
	s_or_b64 s[10:11], s[2:3], s[10:11]
	s_mov_b32 s13, s15
	s_andn2_b64 exec, exec, s[10:11]
	s_cbranch_execz .LBB336_17
.LBB336_15:                             ;   Parent Loop BB336_5 Depth=1
                                        ; =>  This Inner Loop Header: Depth=2
	v_cmp_ne_u32_e32 vcc, s13, v15
	v_cmp_eq_u32_e64 s[2:3], s13, v15
	s_and_saveexec_b64 s[16:17], s[2:3]
	s_cbranch_execz .LBB336_14
; %bb.16:                               ;   in Loop: Header=BB336_15 Depth=2
	scratch_load_dword v16, v14, off
	s_waitcnt vmcnt(0)
	v_add_f32_e32 v5, v5, v16
	global_store_dwordx2 v[8:9], v[10:11], off offset:16
	s_branch .LBB336_14
.LBB336_17:                             ;   in Loop: Header=BB336_5 Depth=1
	s_or_b64 exec, exec, s[10:11]
	global_load_dwordx2 v[6:7], v[6:7], off offset:24
	v_mov_b32_e32 v10, 0
	s_mov_b32 s13, 0
	s_mov_b64 s[10:11], 0
	s_waitcnt vmcnt(0)
	v_ashrrev_i32_e32 v7, 31, v6
	v_add_u32_e32 v11, v13, v6
	s_branch .LBB336_19
.LBB336_18:                             ;   in Loop: Header=BB336_19 Depth=2
	s_or_b64 exec, exec, s[16:17]
	s_add_i32 s15, s13, 1
	s_cmp_gt_u32 s13, 6
	s_cselect_b64 s[2:3], -1, 0
	s_xor_b64 s[16:17], vcc, -1
	s_or_b64 s[2:3], s[16:17], s[2:3]
	s_and_b64 s[2:3], exec, s[2:3]
	v_add_u32_e32 v10, 4, v10
	s_or_b64 s[10:11], s[2:3], s[10:11]
	s_mov_b32 s13, s15
	s_andn2_b64 exec, exec, s[10:11]
	s_cbranch_execz .LBB336_4
.LBB336_19:                             ;   Parent Loop BB336_5 Depth=1
                                        ; =>  This Inner Loop Header: Depth=2
	v_cmp_ne_u32_e32 vcc, s13, v11
	v_cmp_eq_u32_e64 s[2:3], s13, v11
	s_and_saveexec_b64 s[16:17], s[2:3]
	s_cbranch_execz .LBB336_18
; %bb.20:                               ;   in Loop: Header=BB336_19 Depth=2
	scratch_load_dword v14, v10, off
	s_waitcnt vmcnt(0)
	v_add_f32_e32 v5, v5, v14
	global_store_dwordx2 v[8:9], v[6:7], off offset:24
	s_branch .LBB336_18
.LBB336_21:
	s_and_b32 s13, s12, 3
	s_cmp_eq_u32 s13, 0
	s_mov_b32 s15, 0
	s_cbranch_scc1 .LBB336_28
; %bb.22:
	v_lshlrev_b32_e32 v1, 3, v4
	v_sub_u32_e32 v1, 0, v1
	s_mov_b32 s16, s15
	s_branch .LBB336_24
.LBB336_23:                             ;   in Loop: Header=BB336_24 Depth=1
	s_or_b64 exec, exec, s[6:7]
	s_add_i32 s14, s14, 1
	s_add_i32 s16, s16, 1
	s_cmp_lg_u32 s16, s13
	s_cbranch_scc0 .LBB336_28
.LBB336_24:                             ; =>This Loop Header: Depth=1
                                        ;     Child Loop BB336_26 Depth 2
	v_lshl_add_u64 v[6:7], s[14:15], 3, v[2:3]
	global_load_dwordx2 v[6:7], v[6:7], off
	v_add_u32_e32 v8, s14, v0
	v_ashrrev_i32_e32 v9, 31, v8
	v_mov_b32_e32 v4, 0
	s_mov_b32 s17, 0
	s_waitcnt lgkmcnt(0)
	v_lshl_add_u64 v[8:9], v[8:9], 3, s[4:5]
	s_mov_b64 s[6:7], 0
	s_waitcnt vmcnt(0)
	v_ashrrev_i32_e32 v7, 31, v6
	v_add_u32_e32 v10, v1, v6
	s_branch .LBB336_26
.LBB336_25:                             ;   in Loop: Header=BB336_26 Depth=2
	s_or_b64 exec, exec, s[10:11]
	s_add_i32 s18, s17, 1
	s_cmp_gt_u32 s17, 6
	s_cselect_b64 s[2:3], -1, 0
	s_xor_b64 s[10:11], vcc, -1
	s_or_b64 s[2:3], s[10:11], s[2:3]
	s_and_b64 s[2:3], exec, s[2:3]
	v_add_u32_e32 v4, 4, v4
	s_or_b64 s[6:7], s[2:3], s[6:7]
	s_mov_b32 s17, s18
	s_andn2_b64 exec, exec, s[6:7]
	s_cbranch_execz .LBB336_23
.LBB336_26:                             ;   Parent Loop BB336_24 Depth=1
                                        ; =>  This Inner Loop Header: Depth=2
	v_cmp_ne_u32_e32 vcc, s17, v10
	v_cmp_eq_u32_e64 s[2:3], s17, v10
	s_and_saveexec_b64 s[10:11], s[2:3]
	s_cbranch_execz .LBB336_25
; %bb.27:                               ;   in Loop: Header=BB336_26 Depth=2
	scratch_load_dword v11, v4, off
	s_waitcnt vmcnt(0)
	v_add_f32_e32 v5, v5, v11
	global_store_dwordx2 v[8:9], v[6:7], off
	s_branch .LBB336_25
.LBB336_28:
	s_waitcnt lgkmcnt(0)
	s_load_dword s4, s[0:1], 0x3c
	s_waitcnt lgkmcnt(0)
	s_bitcmp1_b32 s4, 0
	s_cselect_b64 s[2:3], -1, 0
	s_bitcmp0_b32 s4, 0
	s_cbranch_scc0 .LBB336_32
; %bb.29:
	s_load_dwordx2 s[4:5], s[0:1], 0x40
	s_andn2_b64 vcc, exec, s[2:3]
	s_waitcnt lgkmcnt(0)
	v_cvt_f32_f64_e32 v8, s[4:5]
	s_cbranch_vccz .LBB336_33
.LBB336_30:
	s_andn2_b64 vcc, exec, s[8:9]
	s_cbranch_vccz .LBB336_34
.LBB336_31:
	s_endpgm
.LBB336_32:
	v_mbcnt_lo_u32_b32 v1, -1, 0
	v_mbcnt_hi_u32_b32 v1, -1, v1
	v_and_b32_e32 v4, 64, v1
	v_add_u32_e32 v4, 64, v4
	v_xor_b32_e32 v6, 32, v1
	v_cmp_lt_i32_e32 vcc, v6, v4
	v_xor_b32_e32 v7, 16, v1
	s_nop 0
	v_cndmask_b32_e32 v6, v1, v6, vcc
	v_lshlrev_b32_e32 v6, 2, v6
	ds_bpermute_b32 v6, v6, v5
	v_cmp_lt_i32_e32 vcc, v7, v4
	s_waitcnt lgkmcnt(0)
	v_add_f32_e32 v5, v5, v6
	v_cndmask_b32_e32 v6, v1, v7, vcc
	v_lshlrev_b32_e32 v6, 2, v6
	ds_bpermute_b32 v6, v6, v5
	v_xor_b32_e32 v7, 8, v1
	v_cmp_lt_i32_e32 vcc, v7, v4
	s_waitcnt lgkmcnt(0)
	v_add_f32_e32 v5, v5, v6
	v_cndmask_b32_e32 v6, v1, v7, vcc
	v_lshlrev_b32_e32 v6, 2, v6
	ds_bpermute_b32 v6, v6, v5
	v_xor_b32_e32 v7, 4, v1
	;; [unrolled: 7-line block ×4, first 2 shown]
	v_cmp_lt_i32_e32 vcc, v7, v4
	s_waitcnt lgkmcnt(0)
	v_add_f32_e32 v5, v5, v6
	v_cndmask_b32_e32 v1, v1, v7, vcc
	v_lshlrev_b32_e32 v1, 2, v1
	ds_bpermute_b32 v1, v1, v5
	s_waitcnt lgkmcnt(0)
	v_add_f32_e32 v5, v5, v1
	s_load_dwordx2 s[4:5], s[0:1], 0x40
	s_andn2_b64 vcc, exec, s[2:3]
	s_waitcnt lgkmcnt(0)
	v_cvt_f32_f64_e32 v8, s[4:5]
	s_cbranch_vccnz .LBB336_30
.LBB336_33:
	v_cmp_lt_f32_e32 vcc, 0, v5
	s_nop 1
	v_cndmask_b32_e32 v1, 1.0, v5, vcc
	v_div_scale_f32 v4, s[2:3], v1, v1, v8
	v_rcp_f32_e32 v5, v4
	s_nop 0
	v_fma_f32 v6, -v4, v5, 1.0
	v_fmac_f32_e32 v5, v6, v5
	v_div_scale_f32 v6, vcc, v8, v1, v8
	v_mul_f32_e32 v7, v6, v5
	v_fma_f32 v9, -v4, v7, v6
	v_fmac_f32_e32 v7, v9, v5
	v_fma_f32 v4, -v4, v7, v6
	v_div_fmas_f32 v4, v4, v5, v7
	v_div_fixup_f32 v8, v4, v1, v8
	s_andn2_b64 vcc, exec, s[8:9]
	s_cbranch_vccnz .LBB336_31
.LBB336_34:
	s_load_dwordx2 s[14:15], s[0:1], 0x10
	v_mov_b32_e32 v1, 0
	v_or_b32_e32 v20, 4, v1
	v_or_b32_e32 v18, 8, v1
	;; [unrolled: 1-line block ×3, first 2 shown]
	v_add_u32_e32 v14, 16, v1
	v_add_u32_e32 v11, 20, v1
	;; [unrolled: 1-line block ×4, first 2 shown]
	v_or_b32_e32 v23, 1, v12
	v_or_b32_e32 v22, 2, v12
	;; [unrolled: 1-line block ×7, first 2 shown]
	s_cmp_eq_u32 s12, 1
	s_mov_b32 s16, 0
	s_cbranch_scc1 .LBB336_69
; %bb.35:
	v_ashrrev_i32_e32 v1, 31, v0
	s_waitcnt lgkmcnt(0)
	v_lshl_add_u64 v[4:5], v[0:1], 2, s[14:15]
	s_and_b32 s16, s12, 0x7ffffffe
	v_lshl_add_u64 v[4:5], v[4:5], 0, 4
	v_lshl_add_u64 v[6:7], v[2:3], 0, 8
	s_mov_b32 s13, 0
	s_branch .LBB336_37
.LBB336_36:                             ;   in Loop: Header=BB336_37 Depth=1
	s_or_b64 exec, exec, s[0:1]
	s_add_i32 s13, s13, 2
	v_lshl_add_u64 v[4:5], v[4:5], 0, 8
	s_cmp_eq_u32 s16, s13
	v_lshl_add_u64 v[6:7], v[6:7], 0, 16
	s_cbranch_scc1 .LBB336_69
.LBB336_37:                             ; =>This Inner Loop Header: Depth=1
	global_load_dword v24, v[6:7], off offset:-8
	v_mov_b32_e32 v1, 0
	s_waitcnt vmcnt(0)
	v_cmp_eq_u32_e32 vcc, v12, v24
	v_cmp_ne_u32_e64 s[0:1], v12, v24
	s_and_saveexec_b64 s[18:19], s[0:1]
	s_cbranch_execz .LBB336_51
; %bb.38:                               ;   in Loop: Header=BB336_37 Depth=1
	v_cmp_eq_u32_e64 s[0:1], v23, v24
	v_cmp_ne_u32_e64 s[2:3], v23, v24
	v_mov_b32_e32 v1, v20
	s_and_saveexec_b64 s[20:21], s[2:3]
	s_cbranch_execz .LBB336_50
; %bb.39:                               ;   in Loop: Header=BB336_37 Depth=1
	v_cmp_eq_u32_e64 s[2:3], v22, v24
	v_cmp_ne_u32_e64 s[4:5], v22, v24
	v_mov_b32_e32 v1, v18
	s_and_saveexec_b64 s[22:23], s[4:5]
	s_cbranch_execz .LBB336_49
; %bb.40:                               ;   in Loop: Header=BB336_37 Depth=1
	v_cmp_eq_u32_e64 s[4:5], v21, v24
	v_cmp_ne_u32_e64 s[6:7], v21, v24
	v_mov_b32_e32 v1, v16
	s_and_saveexec_b64 s[24:25], s[6:7]
	s_cbranch_execz .LBB336_48
; %bb.41:                               ;   in Loop: Header=BB336_37 Depth=1
	v_cmp_eq_u32_e64 s[6:7], v19, v24
	v_cmp_ne_u32_e64 s[8:9], v19, v24
	v_mov_b32_e32 v1, v14
	s_and_saveexec_b64 s[26:27], s[8:9]
	s_cbranch_execz .LBB336_47
; %bb.42:                               ;   in Loop: Header=BB336_37 Depth=1
	v_cmp_eq_u32_e64 s[8:9], v17, v24
	v_cmp_ne_u32_e64 s[10:11], v17, v24
	v_mov_b32_e32 v1, v11
	s_and_saveexec_b64 s[28:29], s[10:11]
	s_cbranch_execz .LBB336_46
; %bb.43:                               ;   in Loop: Header=BB336_37 Depth=1
	v_cmp_eq_u32_e64 s[30:31], v15, v24
	v_cmp_ne_u32_e64 s[10:11], v15, v24
	v_mov_b32_e32 v1, v9
	s_and_saveexec_b64 s[34:35], s[10:11]
	s_xor_b64 s[34:35], exec, s[34:35]
; %bb.44:                               ;   in Loop: Header=BB336_37 Depth=1
	v_cmp_eq_u32_e64 s[10:11], v13, v24
	s_andn2_b64 s[30:31], s[30:31], exec
	s_and_b64 s[10:11], s[10:11], exec
	s_or_b64 s[30:31], s[30:31], s[10:11]
	v_mov_b32_e32 v1, v10
; %bb.45:                               ;   in Loop: Header=BB336_37 Depth=1
	s_or_b64 exec, exec, s[34:35]
	s_andn2_b64 s[8:9], s[8:9], exec
	s_and_b64 s[10:11], s[30:31], exec
	s_or_b64 s[8:9], s[8:9], s[10:11]
.LBB336_46:                             ;   in Loop: Header=BB336_37 Depth=1
	s_or_b64 exec, exec, s[28:29]
	s_andn2_b64 s[6:7], s[6:7], exec
	s_and_b64 s[8:9], s[8:9], exec
	s_or_b64 s[6:7], s[6:7], s[8:9]
.LBB336_47:                             ;   in Loop: Header=BB336_37 Depth=1
	s_or_b64 exec, exec, s[26:27]
	s_andn2_b64 s[4:5], s[4:5], exec
	s_and_b64 s[6:7], s[6:7], exec
	s_or_b64 s[4:5], s[4:5], s[6:7]
.LBB336_48:                             ;   in Loop: Header=BB336_37 Depth=1
	s_or_b64 exec, exec, s[24:25]
	s_andn2_b64 s[2:3], s[2:3], exec
	s_and_b64 s[4:5], s[4:5], exec
	s_or_b64 s[2:3], s[2:3], s[4:5]
.LBB336_49:                             ;   in Loop: Header=BB336_37 Depth=1
	s_or_b64 exec, exec, s[22:23]
	s_andn2_b64 s[0:1], s[0:1], exec
	s_and_b64 s[2:3], s[2:3], exec
	s_or_b64 s[0:1], s[0:1], s[2:3]
.LBB336_50:                             ;   in Loop: Header=BB336_37 Depth=1
	s_or_b64 exec, exec, s[20:21]
	s_andn2_b64 s[2:3], vcc, exec
	s_and_b64 s[0:1], s[0:1], exec
	s_or_b64 vcc, s[2:3], s[0:1]
.LBB336_51:                             ;   in Loop: Header=BB336_37 Depth=1
	s_or_b64 exec, exec, s[18:19]
	s_and_saveexec_b64 s[0:1], vcc
	s_cbranch_execz .LBB336_53
; %bb.52:                               ;   in Loop: Header=BB336_37 Depth=1
	scratch_load_dword v1, v1, off
	v_add_u32_e32 v24, s13, v0
	v_ashrrev_i32_e32 v25, 31, v24
	v_lshl_add_u64 v[24:25], v[24:25], 2, s[14:15]
	s_waitcnt vmcnt(0)
	v_mul_f32_e32 v1, v8, v1
	global_store_dword v[24:25], v1, off
.LBB336_53:                             ;   in Loop: Header=BB336_37 Depth=1
	s_or_b64 exec, exec, s[0:1]
	global_load_dword v24, v[6:7], off
	v_mov_b32_e32 v1, 0
	s_waitcnt vmcnt(0)
	v_cmp_eq_u32_e64 s[8:9], v12, v24
	v_cmp_ne_u32_e32 vcc, v12, v24
	s_and_saveexec_b64 s[10:11], vcc
	s_cbranch_execz .LBB336_67
; %bb.54:                               ;   in Loop: Header=BB336_37 Depth=1
	v_cmp_eq_u32_e32 vcc, v23, v24
	v_cmp_ne_u32_e64 s[0:1], v23, v24
	v_mov_b32_e32 v1, v20
	s_and_saveexec_b64 s[18:19], s[0:1]
	s_cbranch_execz .LBB336_66
; %bb.55:                               ;   in Loop: Header=BB336_37 Depth=1
	v_cmp_eq_u32_e64 s[0:1], v22, v24
	v_cmp_ne_u32_e64 s[2:3], v22, v24
	v_mov_b32_e32 v1, v18
	s_and_saveexec_b64 s[20:21], s[2:3]
	s_cbranch_execz .LBB336_65
; %bb.56:                               ;   in Loop: Header=BB336_37 Depth=1
	v_cmp_eq_u32_e64 s[2:3], v21, v24
	;; [unrolled: 6-line block ×5, first 2 shown]
	v_cmp_ne_u32_e64 s[6:7], v15, v24
	v_mov_b32_e32 v1, v9
	s_and_saveexec_b64 s[34:35], s[6:7]
; %bb.60:                               ;   in Loop: Header=BB336_37 Depth=1
	v_cmp_eq_u32_e64 s[6:7], v13, v24
	s_andn2_b64 s[30:31], s[30:31], exec
	s_and_b64 s[6:7], s[6:7], exec
	s_or_b64 s[30:31], s[30:31], s[6:7]
	v_mov_b32_e32 v1, v10
; %bb.61:                               ;   in Loop: Header=BB336_37 Depth=1
	s_or_b64 exec, exec, s[34:35]
	s_andn2_b64 s[6:7], s[26:27], exec
	s_and_b64 s[26:27], s[30:31], exec
	s_or_b64 s[26:27], s[6:7], s[26:27]
.LBB336_62:                             ;   in Loop: Header=BB336_37 Depth=1
	s_or_b64 exec, exec, s[28:29]
	s_andn2_b64 s[4:5], s[4:5], exec
	s_and_b64 s[6:7], s[26:27], exec
	s_or_b64 s[4:5], s[4:5], s[6:7]
.LBB336_63:                             ;   in Loop: Header=BB336_37 Depth=1
	s_or_b64 exec, exec, s[24:25]
	s_andn2_b64 s[2:3], s[2:3], exec
	s_and_b64 s[4:5], s[4:5], exec
	s_or_b64 s[2:3], s[2:3], s[4:5]
.LBB336_64:                             ;   in Loop: Header=BB336_37 Depth=1
	s_or_b64 exec, exec, s[22:23]
	s_andn2_b64 s[0:1], s[0:1], exec
	s_and_b64 s[2:3], s[2:3], exec
	s_or_b64 s[0:1], s[0:1], s[2:3]
.LBB336_65:                             ;   in Loop: Header=BB336_37 Depth=1
	s_or_b64 exec, exec, s[20:21]
	s_andn2_b64 s[2:3], vcc, exec
	s_and_b64 s[0:1], s[0:1], exec
	s_or_b64 vcc, s[2:3], s[0:1]
.LBB336_66:                             ;   in Loop: Header=BB336_37 Depth=1
	s_or_b64 exec, exec, s[18:19]
	s_andn2_b64 s[0:1], s[8:9], exec
	s_and_b64 s[2:3], vcc, exec
	s_or_b64 s[8:9], s[0:1], s[2:3]
.LBB336_67:                             ;   in Loop: Header=BB336_37 Depth=1
	s_or_b64 exec, exec, s[10:11]
	s_and_saveexec_b64 s[0:1], s[8:9]
	s_cbranch_execz .LBB336_36
; %bb.68:                               ;   in Loop: Header=BB336_37 Depth=1
	scratch_load_dword v1, v1, off
	s_waitcnt vmcnt(0)
	v_mul_f32_e32 v1, v8, v1
	global_store_dword v[4:5], v1, off
	s_branch .LBB336_36
.LBB336_69:
	s_bitcmp0_b32 s12, 0
	s_mov_b32 s17, 0
	s_cbranch_scc1 .LBB336_31
; %bb.70:
	v_lshl_add_u64 v[2:3], s[16:17], 3, v[2:3]
	global_load_dword v1, v[2:3], off
	v_mov_b32_e32 v2, 0
	s_waitcnt vmcnt(0)
	v_cmp_eq_u32_e64 s[8:9], v12, v1
	v_cmp_ne_u32_e32 vcc, v12, v1
	s_and_saveexec_b64 s[10:11], vcc
	s_cbranch_execz .LBB336_84
; %bb.71:
	v_cmp_eq_u32_e32 vcc, v23, v1
	v_cmp_ne_u32_e64 s[0:1], v23, v1
	s_and_saveexec_b64 s[12:13], s[0:1]
	s_cbranch_execz .LBB336_83
; %bb.72:
	v_cmp_eq_u32_e64 s[0:1], v22, v1
	v_cmp_ne_u32_e64 s[2:3], v22, v1
	s_and_saveexec_b64 s[18:19], s[2:3]
	s_cbranch_execz .LBB336_82
; %bb.73:
	v_cmp_eq_u32_e64 s[2:3], v21, v1
	;; [unrolled: 5-line block ×5, first 2 shown]
	v_cmp_ne_u32_e64 s[6:7], v15, v1
	s_and_saveexec_b64 s[30:31], s[6:7]
; %bb.77:
	v_cmp_eq_u32_e64 s[6:7], v13, v1
	s_andn2_b64 s[28:29], s[28:29], exec
	s_and_b64 s[6:7], s[6:7], exec
	s_or_b64 s[28:29], s[28:29], s[6:7]
	v_mov_b32_e32 v9, v10
; %bb.78:
	s_or_b64 exec, exec, s[30:31]
	s_andn2_b64 s[6:7], s[24:25], exec
	s_and_b64 s[24:25], s[28:29], exec
	s_or_b64 s[24:25], s[6:7], s[24:25]
	v_mov_b32_e32 v11, v9
.LBB336_79:
	s_or_b64 exec, exec, s[26:27]
	s_andn2_b64 s[4:5], s[4:5], exec
	s_and_b64 s[6:7], s[24:25], exec
	s_or_b64 s[4:5], s[4:5], s[6:7]
	v_mov_b32_e32 v14, v11
.LBB336_80:
	s_or_b64 exec, exec, s[22:23]
	s_andn2_b64 s[2:3], s[2:3], exec
	s_and_b64 s[4:5], s[4:5], exec
	s_or_b64 s[2:3], s[2:3], s[4:5]
	v_mov_b32_e32 v16, v14
.LBB336_81:
	s_or_b64 exec, exec, s[20:21]
	s_andn2_b64 s[0:1], s[0:1], exec
	s_and_b64 s[2:3], s[2:3], exec
	s_or_b64 s[0:1], s[0:1], s[2:3]
	v_mov_b32_e32 v18, v16
.LBB336_82:
	s_or_b64 exec, exec, s[18:19]
	s_andn2_b64 s[2:3], vcc, exec
	s_and_b64 s[0:1], s[0:1], exec
	s_or_b64 vcc, s[2:3], s[0:1]
	v_mov_b32_e32 v20, v18
.LBB336_83:
	s_or_b64 exec, exec, s[12:13]
	s_andn2_b64 s[0:1], s[8:9], exec
	s_and_b64 s[2:3], vcc, exec
	s_or_b64 s[8:9], s[0:1], s[2:3]
	v_mov_b32_e32 v2, v20
.LBB336_84:
	s_or_b64 exec, exec, s[10:11]
	s_and_b64 exec, exec, s[8:9]
	s_cbranch_execz .LBB336_31
; %bb.85:
	scratch_load_dword v2, v2, off
	v_add_u32_e32 v0, s16, v0
	v_ashrrev_i32_e32 v1, 31, v0
	s_waitcnt lgkmcnt(0)
	v_lshl_add_u64 v[0:1], v[0:1], 2, s[14:15]
	s_waitcnt vmcnt(0)
	v_mul_f32_e32 v2, v8, v2
	global_store_dword v[0:1], v2, off
	s_endpgm
	.section	.rodata,"a",@progbits
	.p2align	6, 0x0
	.amdhsa_kernel _ZN4vllm3moe22topkGatingSoftplusSqrtILi8ELi512ELi4ELi16ELi64ELb1El6__halfEEvPKT6_PKbPfiPT5_PiiiibdPKfPKS9_SF_
		.amdhsa_group_segment_fixed_size 0
		.amdhsa_private_segment_fixed_size 48
		.amdhsa_kernarg_size 96
		.amdhsa_user_sgpr_count 2
		.amdhsa_user_sgpr_dispatch_ptr 0
		.amdhsa_user_sgpr_queue_ptr 0
		.amdhsa_user_sgpr_kernarg_segment_ptr 1
		.amdhsa_user_sgpr_dispatch_id 0
		.amdhsa_user_sgpr_kernarg_preload_length 0
		.amdhsa_user_sgpr_kernarg_preload_offset 0
		.amdhsa_user_sgpr_private_segment_size 0
		.amdhsa_uses_dynamic_stack 0
		.amdhsa_enable_private_segment 1
		.amdhsa_system_sgpr_workgroup_id_x 1
		.amdhsa_system_sgpr_workgroup_id_y 0
		.amdhsa_system_sgpr_workgroup_id_z 0
		.amdhsa_system_sgpr_workgroup_info 0
		.amdhsa_system_vgpr_workitem_id 1
		.amdhsa_next_free_vgpr 29
		.amdhsa_next_free_sgpr 36
		.amdhsa_accum_offset 32
		.amdhsa_reserve_vcc 1
		.amdhsa_float_round_mode_32 0
		.amdhsa_float_round_mode_16_64 0
		.amdhsa_float_denorm_mode_32 3
		.amdhsa_float_denorm_mode_16_64 3
		.amdhsa_dx10_clamp 1
		.amdhsa_ieee_mode 1
		.amdhsa_fp16_overflow 0
		.amdhsa_tg_split 0
		.amdhsa_exception_fp_ieee_invalid_op 0
		.amdhsa_exception_fp_denorm_src 0
		.amdhsa_exception_fp_ieee_div_zero 0
		.amdhsa_exception_fp_ieee_overflow 0
		.amdhsa_exception_fp_ieee_underflow 0
		.amdhsa_exception_fp_ieee_inexact 0
		.amdhsa_exception_int_div_zero 0
	.end_amdhsa_kernel
	.section	.text._ZN4vllm3moe22topkGatingSoftplusSqrtILi8ELi512ELi4ELi16ELi64ELb1El6__halfEEvPKT6_PKbPfiPT5_PiiiibdPKfPKS9_SF_,"axG",@progbits,_ZN4vllm3moe22topkGatingSoftplusSqrtILi8ELi512ELi4ELi16ELi64ELb1El6__halfEEvPKT6_PKbPfiPT5_PiiiibdPKfPKS9_SF_,comdat
.Lfunc_end336:
	.size	_ZN4vllm3moe22topkGatingSoftplusSqrtILi8ELi512ELi4ELi16ELi64ELb1El6__halfEEvPKT6_PKbPfiPT5_PiiiibdPKfPKS9_SF_, .Lfunc_end336-_ZN4vllm3moe22topkGatingSoftplusSqrtILi8ELi512ELi4ELi16ELi64ELb1El6__halfEEvPKT6_PKbPfiPT5_PiiiibdPKfPKS9_SF_
                                        ; -- End function
	.section	.AMDGPU.csdata,"",@progbits
; Kernel info:
; codeLenInByte = 4676
; NumSgprs: 42
; NumVgprs: 29
; NumAgprs: 0
; TotalNumVgprs: 29
; ScratchSize: 48
; MemoryBound: 0
; FloatMode: 240
; IeeeMode: 1
; LDSByteSize: 0 bytes/workgroup (compile time only)
; SGPRBlocks: 5
; VGPRBlocks: 3
; NumSGPRsForWavesPerEU: 42
; NumVGPRsForWavesPerEU: 29
; AccumOffset: 32
; Occupancy: 8
; WaveLimiterHint : 1
; COMPUTE_PGM_RSRC2:SCRATCH_EN: 1
; COMPUTE_PGM_RSRC2:USER_SGPR: 2
; COMPUTE_PGM_RSRC2:TRAP_HANDLER: 0
; COMPUTE_PGM_RSRC2:TGID_X_EN: 1
; COMPUTE_PGM_RSRC2:TGID_Y_EN: 0
; COMPUTE_PGM_RSRC2:TGID_Z_EN: 0
; COMPUTE_PGM_RSRC2:TIDIG_COMP_CNT: 1
; COMPUTE_PGM_RSRC3_GFX90A:ACCUM_OFFSET: 7
; COMPUTE_PGM_RSRC3_GFX90A:TG_SPLIT: 0
	.section	.text._ZN4vllm3moe22topkGatingSoftplusSqrtILi8ELi512ELi4ELi16ELi64ELb0El6__halfEEvPKT6_PKbPfiPT5_PiiiibdPKfPKS9_SF_,"axG",@progbits,_ZN4vllm3moe22topkGatingSoftplusSqrtILi8ELi512ELi4ELi16ELi64ELb0El6__halfEEvPKT6_PKbPfiPT5_PiiiibdPKfPKS9_SF_,comdat
	.protected	_ZN4vllm3moe22topkGatingSoftplusSqrtILi8ELi512ELi4ELi16ELi64ELb0El6__halfEEvPKT6_PKbPfiPT5_PiiiibdPKfPKS9_SF_ ; -- Begin function _ZN4vllm3moe22topkGatingSoftplusSqrtILi8ELi512ELi4ELi16ELi64ELb0El6__halfEEvPKT6_PKbPfiPT5_PiiiibdPKfPKS9_SF_
	.globl	_ZN4vllm3moe22topkGatingSoftplusSqrtILi8ELi512ELi4ELi16ELi64ELb0El6__halfEEvPKT6_PKbPfiPT5_PiiiibdPKfPKS9_SF_
	.p2align	8
	.type	_ZN4vllm3moe22topkGatingSoftplusSqrtILi8ELi512ELi4ELi16ELi64ELb0El6__halfEEvPKT6_PKbPfiPT5_PiiiibdPKfPKS9_SF_,@function
_ZN4vllm3moe22topkGatingSoftplusSqrtILi8ELi512ELi4ELi16ELi64ELb0El6__halfEEvPKT6_PKbPfiPT5_PiiiibdPKfPKS9_SF_: ; @_ZN4vllm3moe22topkGatingSoftplusSqrtILi8ELi512ELi4ELi16ELi64ELb0El6__halfEEvPKT6_PKbPfiPT5_PiiiibdPKfPKS9_SF_
; %bb.0:
	s_load_dword s33, s[0:1], 0x18
	v_and_b32_e32 v1, 0x3ff, v0
	s_lshl_b32 s2, s2, 2
	v_lshrrev_b32_e32 v2, 6, v1
	v_bfe_u32 v0, v0, 10, 10
	v_add3_u32 v8, s2, v0, v2
	s_waitcnt lgkmcnt(0)
	v_cmp_gt_i32_e32 vcc, s33, v8
	s_and_saveexec_b64 s[2:3], vcc
	s_cbranch_execz .LBB337_69
; %bb.1:
	s_load_dwordx4 s[4:7], s[0:1], 0x0
	s_load_dwordx2 s[34:35], s[0:1], 0x10
	s_waitcnt lgkmcnt(0)
	s_cmp_eq_u64 s[6:7], 0
	s_cbranch_scc1 .LBB337_3
; %bb.2:
	v_ashrrev_i32_e32 v9, 31, v8
	v_lshl_add_u64 v[2:3], s[6:7], 0, v[8:9]
	global_load_ubyte v0, v[2:3], off
	s_waitcnt vmcnt(0)
	v_and_b32_e32 v0, 1, v0
	v_cmp_eq_u32_e32 vcc, 1, v0
	s_xor_b64 s[2:3], vcc, -1
	s_orn2_b64 s[36:37], s[2:3], exec
	s_branch .LBB337_4
.LBB337_3:
	s_mov_b64 s[36:37], -1
.LBB337_4:
	v_lshlrev_b32_e32 v4, 9, v8
	v_mov_b32_e32 v2, s4
	v_mov_b32_e32 v3, s5
	v_ashrrev_i32_e32 v5, 31, v4
	v_and_b32_e32 v9, 63, v1
	v_lshl_add_u64 v[2:3], v[4:5], 1, v[2:3]
	v_mov_b32_e32 v1, 0
	v_lshlrev_b32_e32 v0, 4, v9
	v_lshl_add_u64 v[0:1], v[2:3], 0, v[0:1]
	global_load_dwordx4 v[4:7], v[0:1], off
	s_mov_b32 s12, 0x800000
	v_mov_b32_e32 v2, 0x4f800000
	s_mov_b32 s9, 0x3f317217
	s_mov_b32 s10, 0x7f800000
	v_mov_b32_e32 v3, 0x41b17218
	s_movk_i32 s8, 0x4d00
	s_mov_b32 s11, 0xf800000
	s_load_dwordx4 s[20:23], s[0:1], 0x40
	v_lshlrev_b32_e32 v12, 3, v9
	s_waitcnt lgkmcnt(0)
	s_cmp_lg_u64 s[22:23], 0
	s_cselect_b64 s[6:7], -1, 0
	s_and_b64 s[2:3], exec, s[6:7]
	s_waitcnt vmcnt(0)
	v_cvt_f32_f16_e32 v0, v4
	v_mul_f32_e32 v1, 0x3fb8aa3b, v0
	v_exp_f32_e32 v10, v1
	v_mov_b32_e32 v1, 0x260
	v_add_f32_e32 v10, 1.0, v10
	v_cmp_gt_f32_e32 vcc, s12, v10
	s_nop 1
	v_cndmask_b32_e32 v11, 1.0, v2, vcc
	v_mul_f32_e32 v10, v10, v11
	v_log_f32_e32 v11, v10
	v_cndmask_b32_e32 v13, 0, v3, vcc
	v_lshlrev_b32_e32 v10, 2, v12
	v_mul_f32_e32 v14, 0x3f317217, v11
	v_fma_f32 v14, v11, s9, -v14
	v_fmac_f32_e32 v14, 0x3377d1cf, v11
	v_fmac_f32_e32 v14, 0x3f317217, v11
	v_cmp_lt_f32_e64 vcc, |v11|, s10
	s_nop 1
	v_cndmask_b32_e32 v11, v11, v14, vcc
	v_sub_f32_e32 v11, v11, v13
	v_cmp_lt_f16_e32 vcc, s8, v4
	s_nop 1
	v_cndmask_b32_e32 v0, v11, v0, vcc
	v_mul_f32_e32 v11, 0x4f800000, v0
	v_cmp_gt_f32_e32 vcc, s11, v0
	s_nop 1
	v_cndmask_b32_e32 v0, v0, v11, vcc
	v_sqrt_f32_e32 v11, v0
	s_nop 0
	v_add_u32_e32 v13, -1, v11
	v_add_u32_e32 v14, 1, v11
	v_fma_f32 v15, -v13, v11, v0
	v_fma_f32 v16, -v14, v11, v0
	v_cmp_ge_f32_e64 s[4:5], 0, v15
	s_nop 1
	v_cndmask_b32_e64 v11, v11, v13, s[4:5]
	v_cmp_lt_f32_e64 s[4:5], 0, v16
	s_nop 1
	v_cndmask_b32_e64 v11, v11, v14, s[4:5]
	v_mul_f32_e32 v13, 0x37800000, v11
	v_cndmask_b32_e32 v11, v11, v13, vcc
	v_cmp_class_f32_e32 vcc, v0, v1
	s_nop 1
	v_cndmask_b32_e32 v0, v11, v0, vcc
	s_mov_b64 vcc, s[2:3]
	s_cbranch_vccz .LBB337_6
; %bb.5:
	global_load_dword v11, v10, s[22:23]
	s_waitcnt vmcnt(0)
	v_add_f32_e32 v0, v0, v11
.LBB337_6:
	v_cvt_f32_f16_sdwa v11, v4 dst_sel:DWORD dst_unused:UNUSED_PAD src0_sel:WORD_1
	v_mul_f32_e32 v13, 0x3fb8aa3b, v11
	v_exp_f32_e32 v13, v13
	s_nop 0
	v_add_f32_e32 v13, 1.0, v13
	v_cmp_gt_f32_e32 vcc, s12, v13
	s_nop 1
	v_cndmask_b32_e32 v2, 1.0, v2, vcc
	v_mul_f32_e32 v2, v13, v2
	v_log_f32_e32 v2, v2
	v_cndmask_b32_e32 v3, 0, v3, vcc
	v_mul_f32_e32 v13, 0x3f317217, v2
	v_fma_f32 v13, v2, s9, -v13
	v_fmac_f32_e32 v13, 0x3377d1cf, v2
	v_fmac_f32_e32 v13, 0x3f317217, v2
	v_cmp_lt_f32_e64 vcc, |v2|, s10
	s_nop 1
	v_cndmask_b32_e32 v2, v2, v13, vcc
	v_sub_f32_e32 v2, v2, v3
	v_cmp_gt_f16_sdwa vcc, v4, s8 src0_sel:WORD_1 src1_sel:DWORD
	v_cndmask_b32_e64 v4, 0, 1, s[6:7]
	v_cmp_ne_u32_e64 s[2:3], 1, v4
	v_cndmask_b32_e32 v2, v2, v11, vcc
	v_mul_f32_e32 v3, 0x4f800000, v2
	v_cmp_gt_f32_e64 s[4:5], s11, v2
	s_andn2_b64 vcc, exec, s[6:7]
	s_nop 0
	v_cndmask_b32_e64 v2, v2, v3, s[4:5]
	v_sqrt_f32_e32 v3, v2
	s_nop 0
	v_add_u32_e32 v4, -1, v3
	v_add_u32_e32 v11, 1, v3
	v_fma_f32 v13, -v4, v3, v2
	v_fma_f32 v14, -v11, v3, v2
	v_cmp_ge_f32_e64 s[6:7], 0, v13
	s_nop 1
	v_cndmask_b32_e64 v3, v3, v4, s[6:7]
	v_cmp_lt_f32_e64 s[6:7], 0, v14
	s_nop 1
	v_cndmask_b32_e64 v3, v3, v11, s[6:7]
	v_mul_f32_e32 v4, 0x37800000, v3
	v_cndmask_b32_e64 v3, v3, v4, s[4:5]
	v_cmp_class_f32_e64 s[4:5], v2, v1
	s_nop 1
	v_cndmask_b32_e64 v1, v3, v2, s[4:5]
	s_cbranch_vccnz .LBB337_8
; %bb.7:
	global_load_dword v2, v10, s[22:23] offset:4
	s_waitcnt vmcnt(0)
	v_add_f32_e32 v1, v1, v2
.LBB337_8:
	v_cvt_f32_f16_e32 v2, v5
	s_mov_b32 s8, 0x800000
	v_mov_b32_e32 v4, 0x4f800000
	s_mov_b32 s7, 0x3f317217
	v_mul_f32_e32 v3, 0x3fb8aa3b, v2
	v_exp_f32_e32 v3, v3
	s_mov_b32 s9, 0x7f800000
	s_movk_i32 s6, 0x4d00
	s_mov_b32 s10, 0xf800000
	v_add_f32_e32 v3, 1.0, v3
	v_cmp_gt_f32_e32 vcc, s8, v3
	s_nop 1
	v_cndmask_b32_e32 v11, 1.0, v4, vcc
	v_mul_f32_e32 v3, v3, v11
	v_log_f32_e32 v3, v3
	v_mov_b32_e32 v11, 0x41b17218
	v_cndmask_b32_e32 v13, 0, v11, vcc
	v_mul_f32_e32 v14, 0x3f317217, v3
	v_fma_f32 v14, v3, s7, -v14
	v_fmac_f32_e32 v14, 0x3377d1cf, v3
	v_fmac_f32_e32 v14, 0x3f317217, v3
	v_cmp_lt_f32_e64 vcc, |v3|, s9
	s_nop 1
	v_cndmask_b32_e32 v3, v3, v14, vcc
	v_sub_f32_e32 v3, v3, v13
	v_cmp_lt_f16_e32 vcc, s6, v5
	s_nop 1
	v_cndmask_b32_e32 v2, v3, v2, vcc
	v_mul_f32_e32 v3, 0x4f800000, v2
	v_cmp_gt_f32_e32 vcc, s10, v2
	s_nop 1
	v_cndmask_b32_e32 v2, v2, v3, vcc
	v_sqrt_f32_e32 v3, v2
	s_nop 0
	v_add_u32_e32 v13, -1, v3
	v_fma_f32 v14, -v13, v3, v2
	v_cmp_ge_f32_e64 s[4:5], 0, v14
	v_add_u32_e32 v14, 1, v3
	s_nop 0
	v_cndmask_b32_e64 v13, v3, v13, s[4:5]
	v_fma_f32 v3, -v14, v3, v2
	v_cmp_lt_f32_e64 s[4:5], 0, v3
	s_nop 1
	v_cndmask_b32_e64 v3, v13, v14, s[4:5]
	v_mul_f32_e32 v13, 0x37800000, v3
	v_cndmask_b32_e32 v13, v3, v13, vcc
	v_mov_b32_e32 v3, 0x260
	v_cmp_class_f32_e64 s[4:5], v2, v3
	s_and_b64 vcc, exec, s[2:3]
	s_nop 0
	v_cndmask_b32_e64 v2, v13, v2, s[4:5]
	s_cbranch_vccnz .LBB337_10
; %bb.9:
	global_load_dword v13, v10, s[22:23] offset:8
	s_waitcnt vmcnt(0)
	v_add_f32_e32 v2, v2, v13
.LBB337_10:
	v_cvt_f32_f16_sdwa v13, v5 dst_sel:DWORD dst_unused:UNUSED_PAD src0_sel:WORD_1
	v_mul_f32_e32 v14, 0x3fb8aa3b, v13
	v_exp_f32_e32 v14, v14
	s_nop 0
	v_add_f32_e32 v14, 1.0, v14
	v_cmp_gt_f32_e32 vcc, s8, v14
	s_nop 1
	v_cndmask_b32_e32 v4, 1.0, v4, vcc
	v_mul_f32_e32 v4, v14, v4
	v_log_f32_e32 v4, v4
	v_cndmask_b32_e32 v11, 0, v11, vcc
	v_mul_f32_e32 v14, 0x3f317217, v4
	v_fma_f32 v14, v4, s7, -v14
	v_fmac_f32_e32 v14, 0x3377d1cf, v4
	v_fmac_f32_e32 v14, 0x3f317217, v4
	v_cmp_lt_f32_e64 vcc, |v4|, s9
	s_nop 1
	v_cndmask_b32_e32 v4, v4, v14, vcc
	v_sub_f32_e32 v4, v4, v11
	v_cmp_gt_f16_sdwa vcc, v5, s6 src0_sel:WORD_1 src1_sel:DWORD
	s_nop 1
	v_cndmask_b32_e32 v4, v4, v13, vcc
	v_mul_f32_e32 v5, 0x4f800000, v4
	v_cmp_gt_f32_e64 s[4:5], s10, v4
	s_and_b64 vcc, exec, s[2:3]
	s_nop 0
	v_cndmask_b32_e64 v4, v4, v5, s[4:5]
	v_sqrt_f32_e32 v5, v4
	s_nop 0
	v_add_u32_e32 v11, -1, v5
	v_add_u32_e32 v13, 1, v5
	v_fma_f32 v14, -v11, v5, v4
	v_fma_f32 v15, -v13, v5, v4
	v_cmp_ge_f32_e64 s[6:7], 0, v14
	s_nop 1
	v_cndmask_b32_e64 v5, v5, v11, s[6:7]
	v_cmp_lt_f32_e64 s[6:7], 0, v15
	s_nop 1
	v_cndmask_b32_e64 v5, v5, v13, s[6:7]
	v_mul_f32_e32 v11, 0x37800000, v5
	v_cndmask_b32_e64 v5, v5, v11, s[4:5]
	v_cmp_class_f32_e64 s[4:5], v4, v3
	s_nop 1
	v_cndmask_b32_e64 v3, v5, v4, s[4:5]
	s_cbranch_vccnz .LBB337_12
; %bb.11:
	global_load_dword v4, v10, s[22:23] offset:12
	s_waitcnt vmcnt(0)
	v_add_f32_e32 v3, v3, v4
.LBB337_12:
	v_cvt_f32_f16_e32 v4, v6
	v_mov_b32_e32 v11, 0x4f800000
	s_mov_b32 s7, 0x3f317217
	s_movk_i32 s6, 0x4d00
	v_mul_f32_e32 v5, 0x3fb8aa3b, v4
	v_exp_f32_e32 v5, v5
	s_nop 0
	v_add_f32_e32 v5, 1.0, v5
	v_cmp_gt_f32_e32 vcc, s8, v5
	s_nop 1
	v_cndmask_b32_e32 v13, 1.0, v11, vcc
	v_mul_f32_e32 v5, v5, v13
	v_log_f32_e32 v5, v5
	v_mov_b32_e32 v13, 0x41b17218
	v_cndmask_b32_e32 v14, 0, v13, vcc
	v_mul_f32_e32 v15, 0x3f317217, v5
	v_fma_f32 v15, v5, s7, -v15
	v_fmac_f32_e32 v15, 0x3377d1cf, v5
	v_fmac_f32_e32 v15, 0x3f317217, v5
	v_cmp_lt_f32_e64 vcc, |v5|, s9
	s_nop 1
	v_cndmask_b32_e32 v5, v5, v15, vcc
	v_sub_f32_e32 v5, v5, v14
	v_cmp_lt_f16_e32 vcc, s6, v6
	s_nop 1
	v_cndmask_b32_e32 v4, v5, v4, vcc
	v_mul_f32_e32 v5, 0x4f800000, v4
	v_cmp_gt_f32_e32 vcc, s10, v4
	s_nop 1
	v_cndmask_b32_e32 v4, v4, v5, vcc
	v_sqrt_f32_e32 v5, v4
	s_nop 0
	v_add_u32_e32 v14, -1, v5
	v_fma_f32 v15, -v14, v5, v4
	v_cmp_ge_f32_e64 s[4:5], 0, v15
	v_add_u32_e32 v15, 1, v5
	s_nop 0
	v_cndmask_b32_e64 v14, v5, v14, s[4:5]
	v_fma_f32 v5, -v15, v5, v4
	v_cmp_lt_f32_e64 s[4:5], 0, v5
	s_nop 1
	v_cndmask_b32_e64 v5, v14, v15, s[4:5]
	v_mul_f32_e32 v14, 0x37800000, v5
	v_cndmask_b32_e32 v14, v5, v14, vcc
	v_mov_b32_e32 v5, 0x260
	v_cmp_class_f32_e64 s[4:5], v4, v5
	s_and_b64 vcc, exec, s[2:3]
	s_nop 0
	v_cndmask_b32_e64 v4, v14, v4, s[4:5]
	s_cbranch_vccnz .LBB337_14
; %bb.13:
	global_load_dword v14, v10, s[22:23] offset:16
	s_waitcnt vmcnt(0)
	v_add_f32_e32 v4, v4, v14
.LBB337_14:
	v_cvt_f32_f16_sdwa v14, v6 dst_sel:DWORD dst_unused:UNUSED_PAD src0_sel:WORD_1
	v_mul_f32_e32 v15, 0x3fb8aa3b, v14
	v_exp_f32_e32 v15, v15
	s_nop 0
	v_add_f32_e32 v15, 1.0, v15
	v_cmp_gt_f32_e32 vcc, s8, v15
	s_nop 1
	v_cndmask_b32_e32 v11, 1.0, v11, vcc
	v_mul_f32_e32 v11, v15, v11
	v_log_f32_e32 v11, v11
	v_cndmask_b32_e32 v13, 0, v13, vcc
	v_mul_f32_e32 v15, 0x3f317217, v11
	v_fma_f32 v15, v11, s7, -v15
	v_fmac_f32_e32 v15, 0x3377d1cf, v11
	v_fmac_f32_e32 v15, 0x3f317217, v11
	v_cmp_lt_f32_e64 vcc, |v11|, s9
	s_nop 1
	v_cndmask_b32_e32 v11, v11, v15, vcc
	v_sub_f32_e32 v11, v11, v13
	v_cmp_gt_f16_sdwa vcc, v6, s6 src0_sel:WORD_1 src1_sel:DWORD
	s_nop 1
	v_cndmask_b32_e32 v6, v11, v14, vcc
	v_mul_f32_e32 v11, 0x4f800000, v6
	v_cmp_gt_f32_e64 s[4:5], s10, v6
	s_and_b64 vcc, exec, s[2:3]
	s_nop 0
	v_cndmask_b32_e64 v6, v6, v11, s[4:5]
	v_sqrt_f32_e32 v11, v6
	s_nop 0
	v_add_u32_e32 v13, -1, v11
	v_add_u32_e32 v14, 1, v11
	v_fma_f32 v15, -v13, v11, v6
	v_fma_f32 v16, -v14, v11, v6
	v_cmp_ge_f32_e64 s[6:7], 0, v15
	s_nop 1
	v_cndmask_b32_e64 v11, v11, v13, s[6:7]
	v_cmp_lt_f32_e64 s[6:7], 0, v16
	s_nop 1
	v_cndmask_b32_e64 v11, v11, v14, s[6:7]
	v_mul_f32_e32 v13, 0x37800000, v11
	v_cndmask_b32_e64 v11, v11, v13, s[4:5]
	v_cmp_class_f32_e64 s[4:5], v6, v5
	s_nop 1
	v_cndmask_b32_e64 v5, v11, v6, s[4:5]
	s_cbranch_vccnz .LBB337_16
; %bb.15:
	global_load_dword v6, v10, s[22:23] offset:20
	s_waitcnt vmcnt(0)
	v_add_f32_e32 v5, v5, v6
.LBB337_16:
	v_cvt_f32_f16_e32 v6, v7
	v_mov_b32_e32 v13, 0x4f800000
	s_mov_b32 s7, 0x3f317217
	s_movk_i32 s6, 0x4d00
	v_mul_f32_e32 v11, 0x3fb8aa3b, v6
	v_exp_f32_e32 v11, v11
	s_nop 0
	v_add_f32_e32 v11, 1.0, v11
	v_cmp_gt_f32_e32 vcc, s8, v11
	s_nop 1
	v_cndmask_b32_e32 v14, 1.0, v13, vcc
	v_mul_f32_e32 v11, v11, v14
	v_log_f32_e32 v11, v11
	v_mov_b32_e32 v14, 0x41b17218
	v_cndmask_b32_e32 v15, 0, v14, vcc
	v_mul_f32_e32 v16, 0x3f317217, v11
	v_fma_f32 v16, v11, s7, -v16
	v_fmac_f32_e32 v16, 0x3377d1cf, v11
	v_fmac_f32_e32 v16, 0x3f317217, v11
	v_cmp_lt_f32_e64 vcc, |v11|, s9
	s_nop 1
	v_cndmask_b32_e32 v11, v11, v16, vcc
	v_sub_f32_e32 v11, v11, v15
	v_cmp_lt_f16_e32 vcc, s6, v7
	s_nop 1
	v_cndmask_b32_e32 v6, v11, v6, vcc
	v_mul_f32_e32 v11, 0x4f800000, v6
	v_cmp_gt_f32_e32 vcc, s10, v6
	s_nop 1
	v_cndmask_b32_e32 v6, v6, v11, vcc
	v_sqrt_f32_e32 v11, v6
	s_nop 0
	v_add_u32_e32 v15, -1, v11
	v_fma_f32 v16, -v15, v11, v6
	v_cmp_ge_f32_e64 s[4:5], 0, v16
	v_add_u32_e32 v16, 1, v11
	s_nop 0
	v_cndmask_b32_e64 v15, v11, v15, s[4:5]
	v_fma_f32 v11, -v16, v11, v6
	v_cmp_lt_f32_e64 s[4:5], 0, v11
	s_nop 1
	v_cndmask_b32_e64 v11, v15, v16, s[4:5]
	v_mul_f32_e32 v15, 0x37800000, v11
	v_cndmask_b32_e32 v15, v11, v15, vcc
	v_mov_b32_e32 v11, 0x260
	v_cmp_class_f32_e64 s[4:5], v6, v11
	s_and_b64 vcc, exec, s[2:3]
	s_nop 0
	v_cndmask_b32_e64 v6, v15, v6, s[4:5]
	s_cbranch_vccnz .LBB337_18
; %bb.17:
	global_load_dword v15, v10, s[22:23] offset:24
	s_waitcnt vmcnt(0)
	v_add_f32_e32 v6, v6, v15
.LBB337_18:
	v_cvt_f32_f16_sdwa v15, v7 dst_sel:DWORD dst_unused:UNUSED_PAD src0_sel:WORD_1
	v_mul_f32_e32 v16, 0x3fb8aa3b, v15
	v_exp_f32_e32 v16, v16
	s_nop 0
	v_add_f32_e32 v16, 1.0, v16
	v_cmp_gt_f32_e32 vcc, s8, v16
	s_nop 1
	v_cndmask_b32_e32 v13, 1.0, v13, vcc
	v_mul_f32_e32 v13, v16, v13
	v_log_f32_e32 v13, v13
	v_cndmask_b32_e32 v14, 0, v14, vcc
	v_mul_f32_e32 v16, 0x3f317217, v13
	v_fma_f32 v16, v13, s7, -v16
	v_fmac_f32_e32 v16, 0x3377d1cf, v13
	v_fmac_f32_e32 v16, 0x3f317217, v13
	v_cmp_lt_f32_e64 vcc, |v13|, s9
	s_nop 1
	v_cndmask_b32_e32 v13, v13, v16, vcc
	v_sub_f32_e32 v13, v13, v14
	v_cmp_gt_f16_sdwa vcc, v7, s6 src0_sel:WORD_1 src1_sel:DWORD
	s_nop 1
	v_cndmask_b32_e32 v7, v13, v15, vcc
	v_mul_f32_e32 v13, 0x4f800000, v7
	v_cmp_gt_f32_e64 s[4:5], s10, v7
	s_and_b64 vcc, exec, s[2:3]
	s_nop 0
	v_cndmask_b32_e64 v7, v7, v13, s[4:5]
	v_sqrt_f32_e32 v13, v7
	s_nop 0
	v_add_u32_e32 v14, -1, v13
	v_add_u32_e32 v15, 1, v13
	v_fma_f32 v16, -v14, v13, v7
	v_fma_f32 v17, -v15, v13, v7
	v_cmp_ge_f32_e64 s[6:7], 0, v16
	s_nop 1
	v_cndmask_b32_e64 v13, v13, v14, s[6:7]
	v_cmp_lt_f32_e64 s[6:7], 0, v17
	s_nop 1
	v_cndmask_b32_e64 v13, v13, v15, s[6:7]
	v_mul_f32_e32 v14, 0x37800000, v13
	v_cndmask_b32_e64 v13, v13, v14, s[4:5]
	v_cmp_class_f32_e64 s[4:5], v7, v11
	s_nop 1
	v_cndmask_b32_e64 v7, v13, v7, s[4:5]
	s_cbranch_vccnz .LBB337_20
; %bb.19:
	global_load_dword v10, v10, s[22:23] offset:28
	s_waitcnt vmcnt(0)
	v_add_f32_e32 v7, v7, v10
.LBB337_20:
	s_load_dwordx4 s[24:27], s[0:1], 0x30
	s_mov_b32 s42, 0
	v_cmp_eq_u32_e64 s[6:7], 0, v9
	s_waitcnt lgkmcnt(0)
	s_bitcmp1_b32 s27, 0
	s_cselect_b64 s[4:5], -1, 0
	s_cmp_gt_i32 s24, 0
	s_cselect_b64 s[38:39], -1, 0
	s_and_b64 vcc, exec, s[38:39]
	s_cbranch_vccz .LBB337_55
; %bb.21:
	v_mbcnt_lo_u32_b32 v10, -1, 0
	v_mbcnt_hi_u32_b32 v10, -1, v10
	v_and_b32_e32 v11, 64, v10
	v_add_u32_e32 v11, 64, v11
	v_xor_b32_e32 v13, 32, v10
	v_cmp_lt_i32_e32 vcc, v13, v11
	s_load_dwordx4 s[28:31], s[0:1], 0x20
	v_mul_lo_u32 v14, v8, s24
	v_cndmask_b32_e32 v13, v10, v13, vcc
	v_lshlrev_b32_e32 v15, 2, v13
	v_xor_b32_e32 v13, 16, v10
	v_cmp_lt_i32_e32 vcc, v13, v11
	v_mov_b32_e32 v21, 0x200
	v_mov_b32_e32 v22, 0xc61c4000
	v_cndmask_b32_e32 v13, v10, v13, vcc
	v_lshlrev_b32_e32 v16, 2, v13
	v_xor_b32_e32 v13, 8, v10
	v_cmp_lt_i32_e32 vcc, v13, v11
	v_mov_b32_e32 v23, v8
	s_nop 0
	v_cndmask_b32_e32 v13, v10, v13, vcc
	v_lshlrev_b32_e32 v17, 2, v13
	v_xor_b32_e32 v13, 4, v10
	v_cmp_lt_i32_e32 vcc, v13, v11
	s_nop 1
	v_cndmask_b32_e32 v13, v10, v13, vcc
	v_lshlrev_b32_e32 v18, 2, v13
	v_xor_b32_e32 v13, 2, v10
	v_cmp_lt_i32_e32 vcc, v13, v11
	;; [unrolled: 5-line block ×3, first 2 shown]
	s_nop 1
	v_cndmask_b32_e32 v10, v10, v13, vcc
	v_lshlrev_b32_e32 v20, 2, v10
	v_mov_b32_e32 v13, 0
	s_branch .LBB337_24
.LBB337_22:                             ;   in Loop: Header=BB337_24 Depth=1
	s_or_b64 exec, exec, s[40:41]
.LBB337_23:                             ;   in Loop: Header=BB337_24 Depth=1
	s_cmp_eq_u32 s24, s42
	v_add_u32_e32 v23, s33, v23
	s_cbranch_scc1 .LBB337_56
.LBB337_24:                             ; =>This Inner Loop Header: Depth=1
	v_cmp_gt_f32_e32 vcc, v1, v0
	s_nop 1
	v_cndmask_b32_e32 v11, v0, v1, vcc
	v_cndmask_b32_e64 v10, 0, 1, vcc
	v_cmp_gt_f32_e32 vcc, v2, v11
	s_nop 1
	v_cndmask_b32_e32 v11, v11, v2, vcc
	v_cndmask_b32_e64 v10, v10, 2, vcc
	;; [unrolled: 4-line block ×6, first 2 shown]
	v_cmp_gt_f32_e32 vcc, v7, v11
	s_nop 1
	v_cndmask_b32_e64 v10, v10, 7, vcc
	v_cndmask_b32_e32 v24, v11, v7, vcc
	ds_bpermute_b32 v11, v15, v24
	v_or_b32_e32 v10, v12, v10
	s_waitcnt lgkmcnt(0)
	ds_bpermute_b32 v25, v15, v10
	s_waitcnt lgkmcnt(0)
	v_cmp_lt_f32_e64 s[8:9], v24, v11
	v_cmp_nlt_f32_e32 vcc, v24, v11
	s_and_saveexec_b64 s[10:11], vcc
; %bb.25:                               ;   in Loop: Header=BB337_24 Depth=1
	v_cmp_eq_f32_e32 vcc, v24, v11
	v_cmp_lt_i32_e64 s[0:1], v25, v10
	s_and_b64 s[0:1], vcc, s[0:1]
	s_andn2_b64 s[8:9], s[8:9], exec
	s_and_b64 s[0:1], s[0:1], exec
	s_or_b64 s[8:9], s[8:9], s[0:1]
; %bb.26:                               ;   in Loop: Header=BB337_24 Depth=1
	s_or_b64 exec, exec, s[10:11]
	s_and_saveexec_b64 s[0:1], s[8:9]
; %bb.27:                               ;   in Loop: Header=BB337_24 Depth=1
	v_mov_b32_e32 v24, v11
	v_mov_b32_e32 v10, v25
; %bb.28:                               ;   in Loop: Header=BB337_24 Depth=1
	s_or_b64 exec, exec, s[0:1]
	ds_bpermute_b32 v11, v16, v24
	ds_bpermute_b32 v25, v16, v10
	s_waitcnt lgkmcnt(1)
	v_cmp_lt_f32_e64 s[8:9], v24, v11
	v_cmp_nlt_f32_e32 vcc, v24, v11
	s_and_saveexec_b64 s[10:11], vcc
	s_cbranch_execz .LBB337_30
; %bb.29:                               ;   in Loop: Header=BB337_24 Depth=1
	v_cmp_eq_f32_e32 vcc, v24, v11
	s_waitcnt lgkmcnt(0)
	v_cmp_lt_i32_e64 s[0:1], v25, v10
	s_and_b64 s[0:1], vcc, s[0:1]
	s_andn2_b64 s[8:9], s[8:9], exec
	s_and_b64 s[0:1], s[0:1], exec
	s_or_b64 s[8:9], s[8:9], s[0:1]
.LBB337_30:                             ;   in Loop: Header=BB337_24 Depth=1
	s_or_b64 exec, exec, s[10:11]
	s_and_saveexec_b64 s[0:1], s[8:9]
	s_cbranch_execz .LBB337_32
; %bb.31:                               ;   in Loop: Header=BB337_24 Depth=1
	v_mov_b32_e32 v24, v11
	s_waitcnt lgkmcnt(0)
	v_mov_b32_e32 v10, v25
.LBB337_32:                             ;   in Loop: Header=BB337_24 Depth=1
	s_or_b64 exec, exec, s[0:1]
	ds_bpermute_b32 v11, v17, v24
	s_waitcnt lgkmcnt(1)
	ds_bpermute_b32 v25, v17, v10
	s_waitcnt lgkmcnt(1)
	v_cmp_lt_f32_e64 s[8:9], v24, v11
	v_cmp_nlt_f32_e32 vcc, v24, v11
	s_and_saveexec_b64 s[10:11], vcc
	s_cbranch_execz .LBB337_34
; %bb.33:                               ;   in Loop: Header=BB337_24 Depth=1
	v_cmp_eq_f32_e32 vcc, v24, v11
	s_waitcnt lgkmcnt(0)
	v_cmp_lt_i32_e64 s[0:1], v25, v10
	s_and_b64 s[0:1], vcc, s[0:1]
	s_andn2_b64 s[8:9], s[8:9], exec
	s_and_b64 s[0:1], s[0:1], exec
	s_or_b64 s[8:9], s[8:9], s[0:1]
.LBB337_34:                             ;   in Loop: Header=BB337_24 Depth=1
	s_or_b64 exec, exec, s[10:11]
	s_and_saveexec_b64 s[0:1], s[8:9]
	s_cbranch_execz .LBB337_36
; %bb.35:                               ;   in Loop: Header=BB337_24 Depth=1
	v_mov_b32_e32 v24, v11
	s_waitcnt lgkmcnt(0)
	v_mov_b32_e32 v10, v25
.LBB337_36:                             ;   in Loop: Header=BB337_24 Depth=1
	s_or_b64 exec, exec, s[0:1]
	ds_bpermute_b32 v11, v18, v24
	s_waitcnt lgkmcnt(1)
	;; [unrolled: 26-line block ×4, first 2 shown]
	ds_bpermute_b32 v25, v20, v10
	s_waitcnt lgkmcnt(1)
	v_cmp_lt_f32_e64 s[8:9], v24, v11
	v_cmp_nlt_f32_e32 vcc, v24, v11
	s_and_saveexec_b64 s[10:11], vcc
	s_cbranch_execnz .LBB337_48
; %bb.45:                               ;   in Loop: Header=BB337_24 Depth=1
	s_or_b64 exec, exec, s[10:11]
	s_and_saveexec_b64 s[0:1], s[8:9]
	s_cbranch_execnz .LBB337_49
.LBB337_46:                             ;   in Loop: Header=BB337_24 Depth=1
	s_or_b64 exec, exec, s[0:1]
	s_and_saveexec_b64 s[8:9], s[6:7]
	s_cbranch_execnz .LBB337_50
.LBB337_47:                             ;   in Loop: Header=BB337_24 Depth=1
	s_or_b64 exec, exec, s[8:9]
	s_add_i32 s42, s42, 1
	s_cmp_ge_i32 s42, s24
	s_cbranch_scc1 .LBB337_23
	s_branch .LBB337_53
.LBB337_48:                             ;   in Loop: Header=BB337_24 Depth=1
	v_cmp_eq_f32_e32 vcc, v24, v11
	s_waitcnt lgkmcnt(0)
	v_cmp_lt_i32_e64 s[0:1], v25, v10
	s_and_b64 s[0:1], vcc, s[0:1]
	s_andn2_b64 s[8:9], s[8:9], exec
	s_and_b64 s[0:1], s[0:1], exec
	s_or_b64 s[8:9], s[8:9], s[0:1]
	s_or_b64 exec, exec, s[10:11]
	s_and_saveexec_b64 s[0:1], s[8:9]
	s_cbranch_execz .LBB337_46
.LBB337_49:                             ;   in Loop: Header=BB337_24 Depth=1
	s_waitcnt lgkmcnt(0)
	v_mov_b32_e32 v10, v25
	v_mov_b32_e32 v24, v11
	s_or_b64 exec, exec, s[0:1]
	s_and_saveexec_b64 s[8:9], s[6:7]
	s_cbranch_execz .LBB337_47
.LBB337_50:                             ;   in Loop: Header=BB337_24 Depth=1
	s_and_b64 vcc, exec, s[2:3]
	s_cbranch_vccnz .LBB337_52
; %bb.51:                               ;   in Loop: Header=BB337_24 Depth=1
	v_ashrrev_i32_e32 v11, 31, v10
	v_lshl_add_u64 v[26:27], v[10:11], 2, s[22:23]
	global_load_dword v11, v[26:27], off
	s_waitcnt vmcnt(0)
	v_sub_f32_e32 v24, v24, v11
.LBB337_52:                             ;   in Loop: Header=BB337_24 Depth=1
	v_add_u32_e32 v26, s42, v14
	v_cmp_le_i32_e32 vcc, s25, v10
	v_cmp_gt_i32_e64 s[0:1], s26, v10
	v_ashrrev_i32_e32 v27, 31, v26
	s_and_b64 s[0:1], vcc, s[0:1]
	v_lshlrev_b64 v[28:29], 2, v[26:27]
	v_subrev_u32_e32 v11, s25, v10
	v_lshl_add_u64 v[30:31], s[34:35], 0, v[28:29]
	s_waitcnt lgkmcnt(0)
	v_ashrrev_i32_e32 v25, 31, v11
	s_and_b64 vcc, s[36:37], s[0:1]
	global_store_dword v[30:31], v24, off
	v_cndmask_b32_e32 v31, 0, v25, vcc
	v_cndmask_b32_e32 v30, v21, v11, vcc
	v_lshl_add_u64 v[26:27], v[26:27], 3, s[28:29]
	v_add_f32_e32 v11, v13, v24
	global_store_dwordx2 v[26:27], v[30:31], off
	v_lshl_add_u64 v[26:27], s[30:31], 0, v[28:29]
	v_cndmask_b32_e64 v13, v13, v11, s[4:5]
	global_store_dword v[26:27], v23, off
	s_or_b64 exec, exec, s[8:9]
	s_add_i32 s42, s42, 1
	s_cmp_ge_i32 s42, s24
	s_cbranch_scc1 .LBB337_23
.LBB337_53:                             ;   in Loop: Header=BB337_24 Depth=1
	v_ashrrev_i32_e32 v24, 31, v10
	v_lshrrev_b32_e32 v11, 29, v24
	s_waitcnt lgkmcnt(0)
	v_add_u32_e32 v25, v10, v11
	v_ashrrev_i32_e32 v11, 3, v25
	v_ashrrev_i32_e32 v25, 31, v25
	v_lshrrev_b32_e32 v25, 26, v25
	v_add_u32_e32 v25, v11, v25
	v_and_b32_e32 v25, 0xffffffc0, v25
	v_sub_u32_e32 v25, v11, v25
	v_cmp_eq_u32_e32 vcc, v9, v25
	s_and_saveexec_b64 s[40:41], vcc
	s_cbranch_execz .LBB337_22
; %bb.54:                               ;   in Loop: Header=BB337_24 Depth=1
	v_lshrrev_b32_e32 v24, 23, v24
	v_add_u32_e32 v24, v10, v24
	v_lshlrev_b32_e32 v11, 3, v11
	v_sub_u32_e32 v10, v10, v11
	v_ashrrev_i32_e32 v11, 9, v24
	v_lshl_add_u32 v10, v11, 3, v10
	v_cmp_ne_u32_e32 vcc, 6, v10
	v_cmp_ne_u32_e64 s[0:1], 5, v10
	v_cmp_ne_u32_e64 s[8:9], 4, v10
	v_cmp_ne_u32_e64 s[10:11], 3, v10
	v_cmp_ne_u32_e64 s[12:13], 2, v10
	v_cmp_ne_u32_e64 s[14:15], 1, v10
	v_cmp_ne_u32_e64 s[16:17], 0, v10
	v_cmp_ne_u32_e64 s[18:19], 7, v10
	v_cndmask_b32_e32 v6, v22, v6, vcc
	v_cndmask_b32_e64 v5, v22, v5, s[0:1]
	v_cndmask_b32_e64 v7, v22, v7, s[18:19]
	v_cndmask_b32_e64 v4, v22, v4, s[8:9]
	v_cndmask_b32_e64 v3, v22, v3, s[10:11]
	v_cndmask_b32_e64 v2, v22, v2, s[12:13]
	v_cndmask_b32_e64 v1, v22, v1, s[14:15]
	v_cndmask_b32_e64 v0, v22, v0, s[16:17]
	s_branch .LBB337_22
.LBB337_55:
	v_mov_b32_e32 v13, 0
.LBB337_56:
	v_cmp_eq_u32_e32 vcc, 0, v9
	s_and_b64 exec, exec, vcc
	s_cbranch_execz .LBB337_69
; %bb.57:
	s_andn2_b64 vcc, exec, s[4:5]
	v_cvt_f32_f64_e32 v0, s[20:21]
	s_cbranch_vccnz .LBB337_59
; %bb.58:
	v_cmp_lt_f32_e32 vcc, 0, v13
	s_nop 1
	v_cndmask_b32_e32 v1, 1.0, v13, vcc
	v_div_scale_f32 v2, s[0:1], v1, v1, v0
	v_rcp_f32_e32 v3, v2
	s_nop 0
	v_fma_f32 v4, -v2, v3, 1.0
	v_fmac_f32_e32 v3, v4, v3
	v_div_scale_f32 v4, vcc, v0, v1, v0
	v_mul_f32_e32 v5, v4, v3
	v_fma_f32 v6, -v2, v5, v4
	v_fmac_f32_e32 v5, v6, v3
	v_fma_f32 v2, -v2, v5, v4
	v_div_fmas_f32 v2, v2, v3, v5
	v_div_fixup_f32 v0, v2, v1, v0
.LBB337_59:
	s_andn2_b64 vcc, exec, s[38:39]
	s_cbranch_vccnz .LBB337_69
; %bb.60:
	v_mul_lo_u32 v2, v8, s24
	s_cmp_gt_u32 s24, 3
	v_ashrrev_i32_e32 v3, 31, v2
	s_cbranch_scc0 .LBB337_64
; %bb.61:
	s_and_b32 s0, s24, 0x7ffffffc
	v_lshl_add_u64 v[4:5], v[2:3], 2, s[34:35]
	v_mov_b32_e32 v1, v0
	v_lshl_add_u64 v[4:5], v[4:5], 0, 8
	s_mov_b32 s1, s0
.LBB337_62:                             ; =>This Inner Loop Header: Depth=1
	global_load_dwordx4 v[6:9], v[4:5], off offset:-8
	s_add_i32 s1, s1, -4
	s_cmp_lg_u32 s1, 0
	s_waitcnt vmcnt(0)
	v_pk_mul_f32 v[6:7], v[0:1], v[6:7]
	v_pk_mul_f32 v[8:9], v[0:1], v[8:9]
	global_store_dwordx4 v[4:5], v[6:9], off offset:-8
	v_lshl_add_u64 v[4:5], v[4:5], 0, 16
	s_cbranch_scc1 .LBB337_62
; %bb.63:
	s_cmp_lg_u32 s0, s24
	s_cselect_b64 s[2:3], -1, 0
	s_branch .LBB337_66
.LBB337_64:
	s_mov_b64 s[2:3], 0
                                        ; implicit-def: $sgpr0
	s_cbranch_execz .LBB337_66
; %bb.65:
	s_mov_b64 s[2:3], -1
	s_mov_b32 s0, 0
.LBB337_66:
	s_andn2_b64 vcc, exec, s[2:3]
	s_cbranch_vccnz .LBB337_69
; %bb.67:
	s_mov_b32 s1, 0
	v_lshl_add_u64 v[2:3], v[2:3], 0, s[0:1]
	s_sub_i32 s2, s24, s0
	v_lshl_add_u64 v[2:3], v[2:3], 2, s[34:35]
.LBB337_68:                             ; =>This Inner Loop Header: Depth=1
	global_load_dword v1, v[2:3], off
	s_add_i32 s2, s2, -1
	s_cmp_lg_u32 s2, 0
	s_waitcnt vmcnt(0)
	v_mul_f32_e32 v1, v0, v1
	global_store_dword v[2:3], v1, off
	v_lshl_add_u64 v[2:3], v[2:3], 0, 4
	s_cbranch_scc1 .LBB337_68
.LBB337_69:
	s_endpgm
	.section	.rodata,"a",@progbits
	.p2align	6, 0x0
	.amdhsa_kernel _ZN4vllm3moe22topkGatingSoftplusSqrtILi8ELi512ELi4ELi16ELi64ELb0El6__halfEEvPKT6_PKbPfiPT5_PiiiibdPKfPKS9_SF_
		.amdhsa_group_segment_fixed_size 0
		.amdhsa_private_segment_fixed_size 0
		.amdhsa_kernarg_size 96
		.amdhsa_user_sgpr_count 2
		.amdhsa_user_sgpr_dispatch_ptr 0
		.amdhsa_user_sgpr_queue_ptr 0
		.amdhsa_user_sgpr_kernarg_segment_ptr 1
		.amdhsa_user_sgpr_dispatch_id 0
		.amdhsa_user_sgpr_kernarg_preload_length 0
		.amdhsa_user_sgpr_kernarg_preload_offset 0
		.amdhsa_user_sgpr_private_segment_size 0
		.amdhsa_uses_dynamic_stack 0
		.amdhsa_enable_private_segment 0
		.amdhsa_system_sgpr_workgroup_id_x 1
		.amdhsa_system_sgpr_workgroup_id_y 0
		.amdhsa_system_sgpr_workgroup_id_z 0
		.amdhsa_system_sgpr_workgroup_info 0
		.amdhsa_system_vgpr_workitem_id 1
		.amdhsa_next_free_vgpr 32
		.amdhsa_next_free_sgpr 43
		.amdhsa_accum_offset 32
		.amdhsa_reserve_vcc 1
		.amdhsa_float_round_mode_32 0
		.amdhsa_float_round_mode_16_64 0
		.amdhsa_float_denorm_mode_32 3
		.amdhsa_float_denorm_mode_16_64 3
		.amdhsa_dx10_clamp 1
		.amdhsa_ieee_mode 1
		.amdhsa_fp16_overflow 0
		.amdhsa_tg_split 0
		.amdhsa_exception_fp_ieee_invalid_op 0
		.amdhsa_exception_fp_denorm_src 0
		.amdhsa_exception_fp_ieee_div_zero 0
		.amdhsa_exception_fp_ieee_overflow 0
		.amdhsa_exception_fp_ieee_underflow 0
		.amdhsa_exception_fp_ieee_inexact 0
		.amdhsa_exception_int_div_zero 0
	.end_amdhsa_kernel
	.section	.text._ZN4vllm3moe22topkGatingSoftplusSqrtILi8ELi512ELi4ELi16ELi64ELb0El6__halfEEvPKT6_PKbPfiPT5_PiiiibdPKfPKS9_SF_,"axG",@progbits,_ZN4vllm3moe22topkGatingSoftplusSqrtILi8ELi512ELi4ELi16ELi64ELb0El6__halfEEvPKT6_PKbPfiPT5_PiiiibdPKfPKS9_SF_,comdat
.Lfunc_end337:
	.size	_ZN4vllm3moe22topkGatingSoftplusSqrtILi8ELi512ELi4ELi16ELi64ELb0El6__halfEEvPKT6_PKbPfiPT5_PiiiibdPKfPKS9_SF_, .Lfunc_end337-_ZN4vllm3moe22topkGatingSoftplusSqrtILi8ELi512ELi4ELi16ELi64ELb0El6__halfEEvPKT6_PKbPfiPT5_PiiiibdPKfPKS9_SF_
                                        ; -- End function
	.section	.AMDGPU.csdata,"",@progbits
; Kernel info:
; codeLenInByte = 4328
; NumSgprs: 49
; NumVgprs: 32
; NumAgprs: 0
; TotalNumVgprs: 32
; ScratchSize: 0
; MemoryBound: 0
; FloatMode: 240
; IeeeMode: 1
; LDSByteSize: 0 bytes/workgroup (compile time only)
; SGPRBlocks: 6
; VGPRBlocks: 3
; NumSGPRsForWavesPerEU: 49
; NumVGPRsForWavesPerEU: 32
; AccumOffset: 32
; Occupancy: 8
; WaveLimiterHint : 0
; COMPUTE_PGM_RSRC2:SCRATCH_EN: 0
; COMPUTE_PGM_RSRC2:USER_SGPR: 2
; COMPUTE_PGM_RSRC2:TRAP_HANDLER: 0
; COMPUTE_PGM_RSRC2:TGID_X_EN: 1
; COMPUTE_PGM_RSRC2:TGID_Y_EN: 0
; COMPUTE_PGM_RSRC2:TGID_Z_EN: 0
; COMPUTE_PGM_RSRC2:TIDIG_COMP_CNT: 1
; COMPUTE_PGM_RSRC3_GFX90A:ACCUM_OFFSET: 7
; COMPUTE_PGM_RSRC3_GFX90A:TG_SPLIT: 0
	.section	.text._ZN4vllm3moe22topkGatingSoftplusSqrtILi16ELi512ELi4ELi16ELi32ELb1El6__halfEEvPKT6_PKbPfiPT5_PiiiibdPKfPKS9_SF_,"axG",@progbits,_ZN4vllm3moe22topkGatingSoftplusSqrtILi16ELi512ELi4ELi16ELi32ELb1El6__halfEEvPKT6_PKbPfiPT5_PiiiibdPKfPKS9_SF_,comdat
	.protected	_ZN4vllm3moe22topkGatingSoftplusSqrtILi16ELi512ELi4ELi16ELi32ELb1El6__halfEEvPKT6_PKbPfiPT5_PiiiibdPKfPKS9_SF_ ; -- Begin function _ZN4vllm3moe22topkGatingSoftplusSqrtILi16ELi512ELi4ELi16ELi32ELb1El6__halfEEvPKT6_PKbPfiPT5_PiiiibdPKfPKS9_SF_
	.globl	_ZN4vllm3moe22topkGatingSoftplusSqrtILi16ELi512ELi4ELi16ELi32ELb1El6__halfEEvPKT6_PKbPfiPT5_PiiiibdPKfPKS9_SF_
	.p2align	8
	.type	_ZN4vllm3moe22topkGatingSoftplusSqrtILi16ELi512ELi4ELi16ELi32ELb1El6__halfEEvPKT6_PKbPfiPT5_PiiiibdPKfPKS9_SF_,@function
_ZN4vllm3moe22topkGatingSoftplusSqrtILi16ELi512ELi4ELi16ELi32ELb1El6__halfEEvPKT6_PKbPfiPT5_PiiiibdPKfPKS9_SF_: ; @_ZN4vllm3moe22topkGatingSoftplusSqrtILi16ELi512ELi4ELi16ELi32ELb1El6__halfEEvPKT6_PKbPfiPT5_PiiiibdPKfPKS9_SF_
; %bb.0:
	s_load_dword s3, s[0:1], 0x18
	v_and_b32_e32 v1, 0x3ff, v0
	s_lshl_b32 s2, s2, 2
	v_lshrrev_b32_e32 v2, 5, v1
	v_bfe_u32 v0, v0, 10, 10
	v_add3_u32 v2, s2, v0, v2
	s_waitcnt lgkmcnt(0)
	v_cmp_gt_i32_e32 vcc, s3, v2
	s_and_saveexec_b64 s[2:3], vcc
	s_cbranch_execz .LBB338_67
; %bb.1:
	s_load_dwordx2 s[2:3], s[0:1], 0x0
	s_load_dword s28, s[0:1], 0x30
	v_lshlrev_b32_e32 v0, 9, v2
	v_lshlrev_b32_e32 v3, 3, v1
	v_ashrrev_i32_e32 v1, 31, v0
	v_and_b32_e32 v12, 0xf8, v3
	s_load_dwordx4 s[4:7], s[0:1], 0x50
	s_waitcnt lgkmcnt(0)
	v_lshl_add_u64 v[4:5], v[0:1], 1, s[2:3]
	v_lshlrev_b32_e32 v0, 1, v12
	v_mov_b32_e32 v1, 0
	v_lshl_add_u64 v[4:5], v[4:5], 0, v[0:1]
	global_load_dwordx4 v[16:19], v[4:5], off
	global_load_dwordx4 v[20:23], v[4:5], off offset:512
	v_ashrrev_i32_e32 v3, 31, v2
	v_mov_b32_e32 v4, s4
	v_mov_b32_e32 v5, s5
	v_lshl_add_u64 v[4:5], v[2:3], 3, v[4:5]
	global_load_dwordx2 v[6:7], v[4:5], off
	s_mov_b32 s15, 0x800000
	s_ashr_i32 s29, s28, 31
	v_mov_b32_e32 v0, 0x4f800000
	s_mov_b32 s11, 0x3f317217
	s_mov_b32 s14, 0x7f800000
	v_mov_b32_e32 v3, 0x41b17218
	s_movk_i32 s17, 0x4d00
	s_mov_b32 s16, 0xf800000
	v_mov_b32_e32 v4, s6
	v_mov_b32_e32 v5, s7
	;; [unrolled: 1-line block ×3, first 2 shown]
	v_cmp_lt_i64_e64 s[12:13], s[28:29], 1
	s_mov_b32 s10, 0
	v_cmp_gt_i64_e64 s[8:9], s[28:29], 0
	s_waitcnt vmcnt(2)
	v_cvt_f32_f16_e32 v15, v17
	s_waitcnt vmcnt(1)
	v_cvt_f32_f16_e32 v28, v20
	v_cvt_f32_f16_e32 v30, v21
	v_cvt_f32_f16_sdwa v31, v20 dst_sel:DWORD dst_unused:UNUSED_PAD src0_sel:WORD_1
	v_cvt_f32_f16_sdwa v13, v21 dst_sel:DWORD dst_unused:UNUSED_PAD src0_sel:WORD_1
	v_cvt_f32_f16_e32 v20, v16
	v_cvt_f32_f16_sdwa v21, v16 dst_sel:DWORD dst_unused:UNUSED_PAD src0_sel:WORD_1
	v_cvt_f32_f16_e32 v26, v19
	;; [unrolled: 2-line block ×3, first 2 shown]
	v_cvt_f32_f16_sdwa v10, v22 dst_sel:DWORD dst_unused:UNUSED_PAD src0_sel:WORD_1
	s_waitcnt vmcnt(0)
	v_mul_lo_u32 v22, v7, s28
	v_mul_f32_e32 v7, 0x3fb8aa3b, v20
	v_mul_f32_e32 v19, 0x3fb8aa3b, v21
	v_cvt_f32_f16_e32 v24, v18
	v_cvt_f32_f16_sdwa v27, v18 dst_sel:DWORD dst_unused:UNUSED_PAD src0_sel:WORD_1
	v_exp_f32_e32 v18, v7
	v_exp_f32_e32 v19, v19
	v_mul_f32_e32 v32, 0x3fb8aa3b, v15
	v_exp_f32_e32 v32, v32
	v_cvt_f32_f16_sdwa v9, v23 dst_sel:DWORD dst_unused:UNUSED_PAD src0_sel:WORD_1
	v_pk_add_f32 v[18:19], v[18:19], 1.0 op_sel_hi:[1,0]
	v_cvt_f32_f16_e32 v11, v23
	v_mul_lo_u32 v23, v6, s29
	v_mad_u64_u32 v[6:7], s[2:3], v6, s28, 0
	v_cmp_gt_f32_e32 vcc, s15, v19
	v_add3_u32 v7, v7, v23, v22
	v_cmp_gt_f32_e64 s[2:3], s15, v18
	v_cndmask_b32_e32 v23, 1.0, v0, vcc
	v_add_f32_e32 v22, 1.0, v32
	v_cndmask_b32_e64 v32, 1.0, v0, s[2:3]
	v_mul_f32_e32 v19, v19, v23
	v_mul_f32_e32 v18, v18, v32
	v_log_f32_e32 v19, v19
	v_log_f32_e32 v18, v18
	v_cmp_gt_f32_e64 s[4:5], s15, v22
	v_cndmask_b32_e32 v23, 0, v3, vcc
	v_cmp_lt_f32_e64 vcc, |v19|, s14
	v_cndmask_b32_e64 v33, 1.0, v0, s[4:5]
	v_mul_f32_e32 v22, v22, v33
	v_mul_f32_e32 v33, 0x3f317217, v19
	;; [unrolled: 1-line block ×3, first 2 shown]
	v_fma_f32 v33, v19, s11, -v33
	v_fma_f32 v34, v18, s11, -v34
	v_fmac_f32_e32 v33, 0x3377d1cf, v19
	v_fmac_f32_e32 v34, 0x3377d1cf, v18
	;; [unrolled: 1-line block ×4, first 2 shown]
	v_cndmask_b32_e32 v19, v19, v33, vcc
	v_cmp_lt_f32_e64 vcc, |v18|, s14
	v_cndmask_b32_e64 v32, 0, v3, s[2:3]
	v_sub_f32_e32 v19, v19, v23
	v_cndmask_b32_e32 v18, v18, v34, vcc
	v_sub_f32_e32 v18, v18, v32
	v_cmp_lt_f16_e32 vcc, s17, v16
	v_log_f32_e32 v22, v22
	v_cvt_f32_f16_sdwa v25, v17 dst_sel:DWORD dst_unused:UNUSED_PAD src0_sel:WORD_1
	v_cndmask_b32_e32 v18, v18, v20, vcc
	v_cmp_gt_f16_sdwa vcc, v16, s17 src0_sel:WORD_1 src1_sel:DWORD
	v_mul_f32_e32 v20, 0x4f800000, v18
	v_cmp_gt_f32_e64 s[2:3], s16, v18
	v_cndmask_b32_e32 v16, v19, v21, vcc
	v_mul_f32_e32 v19, 0x4f800000, v16
	v_cmp_gt_f32_e32 vcc, s16, v16
	v_cndmask_b32_e64 v18, v18, v20, s[2:3]
	v_sqrt_f32_e32 v20, v18
	v_cndmask_b32_e32 v16, v16, v19, vcc
	v_sqrt_f32_e32 v19, v16
	v_mul_f32_e32 v21, 0x3f317217, v22
	v_add_u32_e32 v33, -1, v20
	v_fma_f32 v37, -v33, v20, v18
	v_add_u32_e32 v23, -1, v19
	v_fma_f32 v35, -v23, v19, v16
	v_add_u32_e32 v32, 1, v19
	v_cmp_ge_f32_e64 s[6:7], 0, v35
	v_add_u32_e32 v34, 1, v20
	v_fma_f32 v36, -v32, v19, v16
	v_cndmask_b32_e64 v19, v19, v23, s[6:7]
	v_cmp_ge_f32_e64 s[6:7], 0, v37
	v_fma_f32 v38, -v34, v20, v18
	v_lshl_add_u64 v[4:5], v[6:7], 3, v[4:5]
	v_cndmask_b32_e64 v20, v20, v33, s[6:7]
	v_cmp_lt_f32_e64 s[6:7], 0, v36
	s_nop 1
	v_cndmask_b32_e64 v19, v19, v32, s[6:7]
	v_mul_f32_e32 v23, 0x37800000, v19
	v_cndmask_b32_e32 v19, v19, v23, vcc
	v_cmp_class_f32_e32 vcc, v16, v8
	v_cmp_lt_f32_e64 s[6:7], 0, v38
	s_nop 0
	v_cndmask_b32_e32 v19, v19, v16, vcc
	v_fma_f32 v16, v22, s11, -v21
	v_fmac_f32_e32 v16, 0x3377d1cf, v22
	v_fmac_f32_e32 v16, 0x3f317217, v22
	v_cmp_lt_f32_e64 vcc, |v22|, s14
	v_cndmask_b32_e64 v21, 0, v3, s[4:5]
	v_cndmask_b32_e64 v20, v20, v34, s[6:7]
	v_cndmask_b32_e32 v16, v22, v16, vcc
	v_sub_f32_e32 v16, v16, v21
	v_cmp_lt_f16_e32 vcc, s17, v17
	v_mul_f32_e32 v32, 0x37800000, v20
	v_cndmask_b32_e64 v17, v20, v32, s[2:3]
	v_cndmask_b32_e32 v15, v16, v15, vcc
	v_mul_f32_e32 v16, 0x4f800000, v15
	v_cmp_gt_f32_e32 vcc, s16, v15
	v_cmp_class_f32_e64 s[2:3], v18, v8
	s_mov_b32 s6, 0x41a00000
	v_cndmask_b32_e32 v15, v15, v16, vcc
	v_sqrt_f32_e32 v16, v15
	v_cndmask_b32_e64 v18, v17, v18, s[2:3]
	v_add_u32_e32 v17, -1, v16
	v_fma_f32 v20, -v17, v16, v15
	v_cmp_ge_f32_e64 s[2:3], 0, v20
	v_add_u32_e32 v21, 1, v16
	v_fma_f32 v22, -v21, v16, v15
	v_cndmask_b32_e64 v20, v16, v17, s[2:3]
	v_mul_f32_e32 v16, 0x3fb8aa3b, v25
	v_mul_f32_e32 v17, 0x3fb8aa3b, v24
	v_exp_f32_e32 v16, v16
	v_exp_f32_e32 v17, v17
	v_cmp_lt_f32_e64 s[2:3], 0, v22
	v_pk_add_f32 v[16:17], v[16:17], 1.0 op_sel_hi:[1,0]
	s_nop 0
	v_cndmask_b32_e64 v20, v20, v21, s[2:3]
	v_mul_f32_e32 v21, 0x37800000, v20
	v_cndmask_b32_e32 v20, v20, v21, vcc
	v_cmp_gt_f32_e32 vcc, s15, v17
	v_cmp_class_f32_e64 s[2:3], v15, v8
	s_nop 0
	v_cndmask_b32_e32 v21, 1.0, v0, vcc
	v_mul_f32_e32 v17, v17, v21
	v_log_f32_e32 v17, v17
	v_cndmask_b32_e64 v20, v20, v15, s[2:3]
	v_cmp_gt_f32_e64 s[2:3], s15, v16
	scratch_store_dwordx3 off, v[18:20], off
	v_mul_f32_e32 v15, 0x3f317217, v17
	v_fma_f32 v15, v17, s11, -v15
	v_cndmask_b32_e64 v18, 1.0, v0, s[2:3]
	v_mul_f32_e32 v16, v16, v18
	v_log_f32_e32 v16, v16
	v_fmac_f32_e32 v15, 0x3377d1cf, v17
	v_fmac_f32_e32 v15, 0x3f317217, v17
	v_cmp_lt_f32_e64 s[4:5], |v17|, s14
	s_nop 1
	v_cndmask_b32_e64 v15, v17, v15, s[4:5]
	v_cndmask_b32_e32 v17, 0, v3, vcc
	v_sub_f32_e32 v15, v15, v17
	v_mul_f32_e32 v17, 0x3f317217, v16
	v_fma_f32 v17, v16, s11, -v17
	v_fmac_f32_e32 v17, 0x3377d1cf, v16
	v_fmac_f32_e32 v17, 0x3f317217, v16
	v_cmp_lt_f32_e64 vcc, |v16|, s14
	s_nop 1
	v_cndmask_b32_e32 v16, v16, v17, vcc
	v_cmp_lt_f32_e32 vcc, s6, v24
	v_cndmask_b32_e64 v17, 0, v3, s[2:3]
	v_sub_f32_e32 v16, v16, v17
	v_cndmask_b32_e32 v15, v15, v24, vcc
	v_mul_f32_e32 v18, 0x4f800000, v15
	v_cmp_gt_f32_e32 vcc, s16, v15
	v_cmp_lt_f32_e64 s[2:3], s6, v25
	s_nop 0
	v_cndmask_b32_e32 v15, v15, v18, vcc
	v_sqrt_f32_e32 v18, v15
	v_cndmask_b32_e64 v16, v16, v25, s[2:3]
	v_add_u32_e32 v17, -1, v18
	v_fma_f32 v19, -v17, v18, v15
	v_cmp_ge_f32_e64 s[2:3], 0, v19
	v_add_u32_e32 v19, 1, v18
	s_nop 0
	v_cndmask_b32_e64 v17, v18, v17, s[2:3]
	v_fma_f32 v18, -v19, v18, v15
	v_cmp_lt_f32_e64 s[2:3], 0, v18
	s_nop 1
	v_cndmask_b32_e64 v17, v17, v19, s[2:3]
	v_mul_f32_e32 v19, 0x4f800000, v16
	v_cmp_gt_f32_e64 s[2:3], s16, v16
	v_mul_f32_e32 v18, 0x37800000, v17
	v_cndmask_b32_e32 v17, v17, v18, vcc
	v_cndmask_b32_e64 v16, v16, v19, s[2:3]
	v_sqrt_f32_e32 v19, v16
	v_cmp_class_f32_e32 vcc, v15, v8
	v_add_u32_e32 v20, 1, v19
	s_nop 0
	v_cndmask_b32_e32 v17, v17, v15, vcc
	v_add_u32_e32 v15, -1, v19
	v_fma_f32 v18, -v15, v19, v16
	v_cmp_ge_f32_e32 vcc, 0, v18
	v_fma_f32 v21, -v20, v19, v16
	v_mul_f32_e32 v18, 0x3fb8aa3b, v27
	v_cndmask_b32_e32 v15, v19, v15, vcc
	v_mul_f32_e32 v19, 0x3fb8aa3b, v26
	v_exp_f32_e32 v18, v18
	v_exp_f32_e32 v19, v19
	v_cmp_lt_f32_e32 vcc, 0, v21
	v_pk_add_f32 v[18:19], v[18:19], 1.0 op_sel_hi:[1,0]
	s_nop 0
	v_cndmask_b32_e32 v15, v15, v20, vcc
	v_cmp_gt_f32_e32 vcc, s15, v19
	v_mul_f32_e32 v20, 0x37800000, v15
	v_cndmask_b32_e64 v15, v15, v20, s[2:3]
	v_cndmask_b32_e32 v21, 1.0, v0, vcc
	v_mul_f32_e32 v19, v19, v21
	v_log_f32_e32 v19, v19
	v_cmp_class_f32_e64 s[2:3], v16, v8
	v_cmp_lt_f32_e64 s[4:5], |v19|, s14
	s_nop 0
	v_cndmask_b32_e64 v16, v15, v16, s[2:3]
	v_cmp_gt_f32_e64 s[2:3], s15, v18
	v_mul_f32_e32 v15, 0x3f317217, v19
	v_fma_f32 v15, v19, s11, -v15
	v_cndmask_b32_e64 v20, 1.0, v0, s[2:3]
	v_mul_f32_e32 v18, v18, v20
	v_log_f32_e32 v18, v18
	v_fmac_f32_e32 v15, 0x3377d1cf, v19
	v_fmac_f32_e32 v15, 0x3f317217, v19
	v_cndmask_b32_e64 v15, v19, v15, s[4:5]
	v_cndmask_b32_e32 v19, 0, v3, vcc
	v_sub_f32_e32 v15, v15, v19
	v_mul_f32_e32 v19, 0x3f317217, v18
	v_fma_f32 v19, v18, s11, -v19
	v_fmac_f32_e32 v19, 0x3377d1cf, v18
	v_fmac_f32_e32 v19, 0x3f317217, v18
	v_cmp_lt_f32_e64 vcc, |v18|, s14
	s_nop 1
	v_cndmask_b32_e32 v18, v18, v19, vcc
	v_cmp_lt_f32_e32 vcc, s6, v26
	v_cndmask_b32_e64 v19, 0, v3, s[2:3]
	v_sub_f32_e32 v18, v18, v19
	v_cndmask_b32_e32 v15, v15, v26, vcc
	v_mul_f32_e32 v20, 0x4f800000, v15
	v_cmp_gt_f32_e32 vcc, s16, v15
	v_cmp_lt_f32_e64 s[2:3], s6, v27
	s_nop 0
	v_cndmask_b32_e32 v15, v15, v20, vcc
	v_sqrt_f32_e32 v20, v15
	v_cndmask_b32_e64 v18, v18, v27, s[2:3]
	v_add_u32_e32 v19, -1, v20
	v_fma_f32 v21, -v19, v20, v15
	v_cmp_ge_f32_e64 s[2:3], 0, v21
	v_add_u32_e32 v21, 1, v20
	s_nop 0
	v_cndmask_b32_e64 v19, v20, v19, s[2:3]
	v_fma_f32 v20, -v21, v20, v15
	v_cmp_lt_f32_e64 s[2:3], 0, v20
	s_nop 1
	v_cndmask_b32_e64 v19, v19, v21, s[2:3]
	v_mul_f32_e32 v21, 0x4f800000, v18
	v_cmp_gt_f32_e64 s[2:3], s16, v18
	v_mul_f32_e32 v20, 0x37800000, v19
	v_cndmask_b32_e32 v19, v19, v20, vcc
	v_cndmask_b32_e64 v18, v18, v21, s[2:3]
	v_sqrt_f32_e32 v21, v18
	v_cmp_class_f32_e32 vcc, v15, v8
	v_add_u32_e32 v22, 1, v21
	s_nop 0
	v_cndmask_b32_e32 v19, v19, v15, vcc
	v_add_u32_e32 v15, -1, v21
	v_fma_f32 v20, -v15, v21, v18
	v_cmp_ge_f32_e32 vcc, 0, v20
	v_fma_f32 v23, -v22, v21, v18
	v_mul_f32_e32 v20, 0x3fb8aa3b, v29
	v_cndmask_b32_e32 v15, v21, v15, vcc
	v_mul_f32_e32 v21, 0x3fb8aa3b, v28
	v_exp_f32_e32 v20, v20
	v_exp_f32_e32 v21, v21
	v_cmp_lt_f32_e32 vcc, 0, v23
	v_pk_add_f32 v[20:21], v[20:21], 1.0 op_sel_hi:[1,0]
	s_nop 0
	v_cndmask_b32_e32 v15, v15, v22, vcc
	v_mul_f32_e32 v22, 0x37800000, v15
	v_cmp_gt_f32_e32 vcc, s15, v21
	v_cndmask_b32_e64 v15, v15, v22, s[2:3]
	v_cmp_class_f32_e64 s[2:3], v18, v8
	v_cndmask_b32_e32 v22, 1.0, v0, vcc
	v_mul_f32_e32 v21, v21, v22
	v_log_f32_e32 v21, v21
	v_cndmask_b32_e64 v18, v15, v18, s[2:3]
	v_cmp_gt_f32_e64 s[2:3], s15, v20
	scratch_store_dwordx4 off, v[16:19], off offset:12
	v_mul_f32_e32 v15, 0x3f317217, v21
	v_fma_f32 v15, v21, s11, -v15
	v_cndmask_b32_e64 v16, 1.0, v0, s[2:3]
	v_mul_f32_e32 v16, v20, v16
	v_log_f32_e32 v16, v16
	v_fmac_f32_e32 v15, 0x3377d1cf, v21
	v_fmac_f32_e32 v15, 0x3f317217, v21
	v_cmp_lt_f32_e64 s[4:5], |v21|, s14
	v_cndmask_b32_e32 v17, 0, v3, vcc
	v_cmp_lt_f32_e64 vcc, |v16|, s14
	v_cndmask_b32_e64 v15, v21, v15, s[4:5]
	v_sub_f32_e32 v15, v15, v17
	v_mul_f32_e32 v17, 0x3f317217, v16
	v_fma_f32 v17, v16, s11, -v17
	v_fmac_f32_e32 v17, 0x3377d1cf, v16
	v_fmac_f32_e32 v17, 0x3f317217, v16
	v_cndmask_b32_e32 v16, v16, v17, vcc
	v_cmp_lt_f32_e32 vcc, s6, v28
	v_cndmask_b32_e64 v17, 0, v3, s[2:3]
	v_sub_f32_e32 v16, v16, v17
	v_cndmask_b32_e32 v15, v15, v28, vcc
	v_mul_f32_e32 v18, 0x4f800000, v15
	v_cmp_gt_f32_e32 vcc, s16, v15
	v_cmp_lt_f32_e64 s[2:3], s6, v29
	s_nop 0
	v_cndmask_b32_e32 v15, v15, v18, vcc
	v_sqrt_f32_e32 v18, v15
	v_cndmask_b32_e64 v16, v16, v29, s[2:3]
	v_add_u32_e32 v17, -1, v18
	v_fma_f32 v19, -v17, v18, v15
	v_cmp_ge_f32_e64 s[2:3], 0, v19
	v_add_u32_e32 v19, 1, v18
	s_nop 0
	v_cndmask_b32_e64 v17, v18, v17, s[2:3]
	v_fma_f32 v18, -v19, v18, v15
	v_cmp_lt_f32_e64 s[2:3], 0, v18
	s_nop 1
	v_cndmask_b32_e64 v17, v17, v19, s[2:3]
	v_mul_f32_e32 v19, 0x4f800000, v16
	v_cmp_gt_f32_e64 s[2:3], s16, v16
	v_mul_f32_e32 v18, 0x37800000, v17
	v_cndmask_b32_e32 v17, v17, v18, vcc
	v_cndmask_b32_e64 v16, v16, v19, s[2:3]
	v_sqrt_f32_e32 v19, v16
	v_cmp_class_f32_e32 vcc, v15, v8
	v_add_u32_e32 v20, 1, v19
	s_nop 0
	v_cndmask_b32_e32 v17, v17, v15, vcc
	v_add_u32_e32 v15, -1, v19
	v_fma_f32 v18, -v15, v19, v16
	v_cmp_ge_f32_e32 vcc, 0, v18
	v_fma_f32 v21, -v20, v19, v16
	v_mul_f32_e32 v18, 0x3fb8aa3b, v31
	v_cndmask_b32_e32 v15, v19, v15, vcc
	v_mul_f32_e32 v19, 0x3fb8aa3b, v30
	v_exp_f32_e32 v18, v18
	v_exp_f32_e32 v19, v19
	v_cmp_lt_f32_e32 vcc, 0, v21
	v_pk_add_f32 v[18:19], v[18:19], 1.0 op_sel_hi:[1,0]
	s_nop 0
	v_cndmask_b32_e32 v15, v15, v20, vcc
	v_cmp_gt_f32_e32 vcc, s15, v19
	v_mul_f32_e32 v20, 0x37800000, v15
	v_cndmask_b32_e64 v15, v15, v20, s[2:3]
	v_cndmask_b32_e32 v21, 1.0, v0, vcc
	v_mul_f32_e32 v19, v19, v21
	v_log_f32_e32 v19, v19
	v_cmp_class_f32_e64 s[2:3], v16, v8
	v_cmp_lt_f32_e64 s[4:5], |v19|, s14
	s_nop 0
	v_cndmask_b32_e64 v16, v15, v16, s[2:3]
	v_cmp_gt_f32_e64 s[2:3], s15, v18
	v_mul_f32_e32 v15, 0x3f317217, v19
	v_fma_f32 v15, v19, s11, -v15
	v_cndmask_b32_e64 v20, 1.0, v0, s[2:3]
	v_mul_f32_e32 v18, v18, v20
	v_log_f32_e32 v18, v18
	v_fmac_f32_e32 v15, 0x3377d1cf, v19
	v_fmac_f32_e32 v15, 0x3f317217, v19
	v_cndmask_b32_e64 v15, v19, v15, s[4:5]
	v_cndmask_b32_e32 v19, 0, v3, vcc
	v_sub_f32_e32 v15, v15, v19
	v_mul_f32_e32 v19, 0x3f317217, v18
	v_fma_f32 v19, v18, s11, -v19
	v_fmac_f32_e32 v19, 0x3377d1cf, v18
	v_fmac_f32_e32 v19, 0x3f317217, v18
	v_cmp_lt_f32_e64 vcc, |v18|, s14
	s_nop 1
	v_cndmask_b32_e32 v18, v18, v19, vcc
	v_cmp_lt_f32_e32 vcc, s6, v30
	v_cndmask_b32_e64 v19, 0, v3, s[2:3]
	v_sub_f32_e32 v18, v18, v19
	v_cndmask_b32_e32 v15, v15, v30, vcc
	v_mul_f32_e32 v20, 0x4f800000, v15
	v_cmp_gt_f32_e32 vcc, s16, v15
	v_cmp_lt_f32_e64 s[2:3], s6, v31
	s_nop 0
	v_cndmask_b32_e32 v15, v15, v20, vcc
	v_sqrt_f32_e32 v20, v15
	v_cndmask_b32_e64 v18, v18, v31, s[2:3]
	v_add_u32_e32 v19, -1, v20
	v_fma_f32 v21, -v19, v20, v15
	v_cmp_ge_f32_e64 s[2:3], 0, v21
	v_add_u32_e32 v21, 1, v20
	s_nop 0
	v_cndmask_b32_e64 v19, v20, v19, s[2:3]
	v_fma_f32 v20, -v21, v20, v15
	v_cmp_lt_f32_e64 s[2:3], 0, v20
	s_nop 1
	v_cndmask_b32_e64 v19, v19, v21, s[2:3]
	v_mul_f32_e32 v21, 0x4f800000, v18
	v_cmp_gt_f32_e64 s[2:3], s16, v18
	v_mul_f32_e32 v20, 0x37800000, v19
	v_cndmask_b32_e32 v19, v19, v20, vcc
	v_cndmask_b32_e64 v18, v18, v21, s[2:3]
	v_sqrt_f32_e32 v21, v18
	v_cmp_class_f32_e32 vcc, v15, v8
	v_add_u32_e32 v22, 1, v21
	s_nop 0
	v_cndmask_b32_e32 v19, v19, v15, vcc
	v_add_u32_e32 v15, -1, v21
	v_fma_f32 v20, -v15, v21, v18
	v_cmp_ge_f32_e32 vcc, 0, v20
	v_fma_f32 v23, -v22, v21, v18
	v_mul_f32_e32 v20, 0x3fb8aa3b, v13
	v_cndmask_b32_e32 v15, v21, v15, vcc
	v_mul_f32_e32 v21, 0x3fb8aa3b, v14
	v_exp_f32_e32 v20, v20
	v_exp_f32_e32 v21, v21
	v_cmp_lt_f32_e32 vcc, 0, v23
	v_pk_add_f32 v[20:21], v[20:21], 1.0 op_sel_hi:[1,0]
	s_nop 0
	v_cndmask_b32_e32 v15, v15, v22, vcc
	v_mul_f32_e32 v22, 0x37800000, v15
	v_cmp_gt_f32_e32 vcc, s15, v21
	v_cndmask_b32_e64 v15, v15, v22, s[2:3]
	v_cmp_class_f32_e64 s[2:3], v18, v8
	v_cndmask_b32_e32 v22, 1.0, v0, vcc
	v_mul_f32_e32 v21, v21, v22
	v_log_f32_e32 v21, v21
	v_cndmask_b32_e64 v18, v15, v18, s[2:3]
	v_cmp_gt_f32_e64 s[2:3], s15, v20
	scratch_store_dwordx4 off, v[16:19], off offset:28
	v_mul_f32_e32 v15, 0x3f317217, v21
	v_fma_f32 v15, v21, s11, -v15
	v_cndmask_b32_e64 v16, 1.0, v0, s[2:3]
	v_mul_f32_e32 v16, v20, v16
	v_log_f32_e32 v16, v16
	v_fmac_f32_e32 v15, 0x3377d1cf, v21
	v_fmac_f32_e32 v15, 0x3f317217, v21
	v_cmp_lt_f32_e64 s[4:5], |v21|, s14
	v_cndmask_b32_e32 v17, 0, v3, vcc
	v_cmp_lt_f32_e64 vcc, |v16|, s14
	v_cndmask_b32_e64 v15, v21, v15, s[4:5]
	v_sub_f32_e32 v15, v15, v17
	v_mul_f32_e32 v17, 0x3f317217, v16
	v_fma_f32 v17, v16, s11, -v17
	v_fmac_f32_e32 v17, 0x3377d1cf, v16
	v_fmac_f32_e32 v17, 0x3f317217, v16
	v_cndmask_b32_e32 v16, v16, v17, vcc
	v_cmp_lt_f32_e32 vcc, s6, v14
	v_cndmask_b32_e64 v17, 0, v3, s[2:3]
	v_sub_f32_e32 v16, v16, v17
	v_cndmask_b32_e32 v14, v15, v14, vcc
	v_mul_f32_e32 v15, 0x4f800000, v14
	v_cmp_gt_f32_e32 vcc, s16, v14
	v_cmp_lt_f32_e64 s[2:3], s6, v13
	s_nop 0
	v_cndmask_b32_e32 v14, v14, v15, vcc
	v_sqrt_f32_e32 v15, v14
	v_cndmask_b32_e64 v13, v16, v13, s[2:3]
	v_add_u32_e32 v16, -1, v15
	v_fma_f32 v17, -v16, v15, v14
	v_cmp_ge_f32_e64 s[2:3], 0, v17
	v_add_u32_e32 v17, 1, v15
	s_nop 0
	v_cndmask_b32_e64 v16, v15, v16, s[2:3]
	v_fma_f32 v15, -v17, v15, v14
	v_cmp_lt_f32_e64 s[2:3], 0, v15
	s_nop 1
	v_cndmask_b32_e64 v15, v16, v17, s[2:3]
	v_mul_f32_e32 v17, 0x4f800000, v13
	v_cmp_gt_f32_e64 s[2:3], s16, v13
	v_mul_f32_e32 v16, 0x37800000, v15
	v_cndmask_b32_e32 v15, v15, v16, vcc
	v_cndmask_b32_e64 v13, v13, v17, s[2:3]
	v_sqrt_f32_e32 v17, v13
	v_cmp_class_f32_e32 vcc, v14, v8
	v_add_u32_e32 v18, 1, v17
	s_nop 0
	v_cndmask_b32_e32 v15, v15, v14, vcc
	v_add_u32_e32 v14, -1, v17
	v_fma_f32 v16, -v14, v17, v13
	v_cmp_ge_f32_e32 vcc, 0, v16
	v_fma_f32 v19, -v18, v17, v13
	v_mul_f32_e32 v16, 0x3fb8aa3b, v10
	v_cndmask_b32_e32 v14, v17, v14, vcc
	v_mul_f32_e32 v17, 0x3fb8aa3b, v11
	v_exp_f32_e32 v16, v16
	v_exp_f32_e32 v17, v17
	v_cmp_lt_f32_e32 vcc, 0, v19
	v_pk_add_f32 v[16:17], v[16:17], 1.0 op_sel_hi:[1,0]
	s_nop 0
	v_cndmask_b32_e32 v14, v14, v18, vcc
	v_cmp_gt_f32_e32 vcc, s15, v17
	v_mul_f32_e32 v18, 0x37800000, v14
	v_cndmask_b32_e64 v14, v14, v18, s[2:3]
	v_cndmask_b32_e32 v19, 1.0, v0, vcc
	v_mul_f32_e32 v17, v17, v19
	v_log_f32_e32 v17, v17
	v_cmp_class_f32_e64 s[2:3], v13, v8
	v_cmp_lt_f32_e64 s[4:5], |v17|, s14
	s_nop 0
	v_cndmask_b32_e64 v14, v14, v13, s[2:3]
	v_cmp_gt_f32_e64 s[2:3], s15, v16
	v_mul_f32_e32 v13, 0x3f317217, v17
	v_fma_f32 v13, v17, s11, -v13
	v_cndmask_b32_e64 v18, 1.0, v0, s[2:3]
	v_mul_f32_e32 v16, v16, v18
	v_log_f32_e32 v16, v16
	v_fmac_f32_e32 v13, 0x3377d1cf, v17
	v_fmac_f32_e32 v13, 0x3f317217, v17
	v_cndmask_b32_e64 v13, v17, v13, s[4:5]
	v_cndmask_b32_e32 v17, 0, v3, vcc
	v_sub_f32_e32 v13, v13, v17
	v_mul_f32_e32 v17, 0x3f317217, v16
	v_fma_f32 v17, v16, s11, -v17
	v_fmac_f32_e32 v17, 0x3377d1cf, v16
	v_fmac_f32_e32 v17, 0x3f317217, v16
	v_cmp_lt_f32_e64 vcc, |v16|, s14
	s_nop 1
	v_cndmask_b32_e32 v16, v16, v17, vcc
	v_cmp_lt_f32_e32 vcc, s6, v11
	v_cndmask_b32_e64 v17, 0, v3, s[2:3]
	v_sub_f32_e32 v16, v16, v17
	v_cndmask_b32_e32 v11, v13, v11, vcc
	v_mul_f32_e32 v13, 0x4f800000, v11
	v_cmp_gt_f32_e32 vcc, s16, v11
	v_cmp_lt_f32_e64 s[2:3], s6, v10
	s_nop 0
	v_cndmask_b32_e32 v11, v11, v13, vcc
	v_sqrt_f32_e32 v13, v11
	v_cndmask_b32_e64 v10, v16, v10, s[2:3]
	v_add_u32_e32 v16, -1, v13
	v_fma_f32 v17, -v16, v13, v11
	v_cmp_ge_f32_e64 s[2:3], 0, v17
	v_add_u32_e32 v17, 1, v13
	s_nop 0
	v_cndmask_b32_e64 v16, v13, v16, s[2:3]
	v_fma_f32 v13, -v17, v13, v11
	v_cmp_lt_f32_e64 s[2:3], 0, v13
	s_nop 1
	v_cndmask_b32_e64 v13, v16, v17, s[2:3]
	v_mul_f32_e32 v17, 0x4f800000, v10
	v_cmp_gt_f32_e64 s[2:3], s16, v10
	v_mul_f32_e32 v16, 0x37800000, v13
	v_cndmask_b32_e32 v13, v13, v16, vcc
	v_cndmask_b32_e64 v10, v10, v17, s[2:3]
	v_sqrt_f32_e32 v18, v10
	v_mul_f32_e32 v16, 0x3fb8aa3b, v9
	v_exp_f32_e32 v16, v16
	v_cmp_class_f32_e32 vcc, v11, v8
	v_add_f32_e32 v16, 1.0, v16
	s_nop 0
	v_cndmask_b32_e32 v17, v13, v11, vcc
	v_add_u32_e32 v11, -1, v18
	v_fma_f32 v13, -v11, v18, v10
	v_cmp_ge_f32_e32 vcc, 0, v13
	v_add_u32_e32 v13, 1, v18
	s_nop 0
	v_cndmask_b32_e32 v11, v18, v11, vcc
	v_cmp_gt_f32_e32 vcc, s15, v16
	v_fma_f32 v18, -v13, v18, v10
	v_cmp_lt_f32_e64 s[4:5], 0, v18
	v_cndmask_b32_e32 v0, 1.0, v0, vcc
	v_mul_f32_e32 v0, v16, v0
	v_log_f32_e32 v0, v0
	v_cndmask_b32_e64 v11, v11, v13, s[4:5]
	v_mul_f32_e32 v13, 0x37800000, v11
	v_cndmask_b32_e64 v11, v11, v13, s[2:3]
	v_mul_f32_e32 v13, 0x3f317217, v0
	v_fma_f32 v13, v0, s11, -v13
	v_fmac_f32_e32 v13, 0x3377d1cf, v0
	v_fmac_f32_e32 v13, 0x3f317217, v0
	v_cmp_lt_f32_e64 s[2:3], |v0|, s14
	v_cndmask_b32_e32 v3, 0, v3, vcc
	v_cmp_lt_f32_e32 vcc, s6, v9
	v_cndmask_b32_e64 v0, v0, v13, s[2:3]
	v_sub_f32_e32 v0, v0, v3
	v_cndmask_b32_e32 v0, v0, v9, vcc
	v_mul_f32_e32 v3, 0x4f800000, v0
	v_cmp_gt_f32_e32 vcc, s16, v0
	v_cmp_class_f32_e64 s[2:3], v10, v8
	s_nop 0
	v_cndmask_b32_e32 v0, v0, v3, vcc
	v_sqrt_f32_e32 v3, v0
	v_cndmask_b32_e64 v16, v11, v10, s[2:3]
	scratch_store_dwordx4 off, v[14:17], off offset:44
	v_add_u32_e32 v9, -1, v3
	v_fma_f32 v10, -v9, v3, v0
	v_cmp_ge_f32_e64 s[2:3], 0, v10
	v_add_u32_e32 v10, 1, v3
	s_nop 0
	v_cndmask_b32_e64 v9, v3, v9, s[2:3]
	v_fma_f32 v3, -v10, v3, v0
	v_cmp_lt_f32_e64 s[2:3], 0, v3
	s_nop 1
	v_cndmask_b32_e64 v3, v9, v10, s[2:3]
	v_mul_f32_e32 v9, 0x37800000, v3
	v_cndmask_b32_e32 v3, v3, v9, vcc
	v_cmp_class_f32_e32 vcc, v0, v8
	s_nop 1
	v_cndmask_b32_e32 v0, v3, v0, vcc
	scratch_store_dword off, v0, off offset:60
	s_and_b64 vcc, exec, s[12:13]
	v_mul_lo_u32 v0, v2, s28
	s_cbranch_vccnz .LBB338_28
; %bb.2:
	s_load_dwordx2 s[4:5], s[0:1], 0x20
	s_cmp_lt_u32 s28, 4
	v_mul_lo_u32 v2, v2, s28
	s_cbranch_scc1 .LBB338_21
; %bb.3:
	s_mov_b32 s7, 0
	s_and_b32 s10, s28, 0x7ffffffc
	v_ashrrev_i32_e32 v3, 31, v2
	v_mov_b32_e32 v1, 0
	s_mov_b32 s6, s7
	s_branch .LBB338_5
.LBB338_4:                              ;   in Loop: Header=BB338_5 Depth=1
	s_or_b64 exec, exec, s[12:13]
	s_add_i32 s6, s6, 4
	s_cmp_eq_u32 s6, s10
	s_cbranch_scc1 .LBB338_21
.LBB338_5:                              ; =>This Loop Header: Depth=1
                                        ;     Child Loop BB338_7 Depth 2
                                        ;     Child Loop BB338_11 Depth 2
	;; [unrolled: 1-line block ×4, first 2 shown]
	v_lshl_add_u64 v[6:7], s[6:7], 3, v[4:5]
	global_load_dwordx2 v[8:9], v[6:7], off
	v_add_u32_e32 v10, s6, v2
	v_ashrrev_i32_e32 v11, 31, v10
	v_mov_b32_e32 v13, 0
	s_mov_b64 s[12:13], 0
	s_mov_b32 s11, 0
	s_waitcnt lgkmcnt(0)
	v_lshl_add_u64 v[10:11], v[10:11], 3, s[4:5]
	s_mov_b32 s16, 0
	s_waitcnt vmcnt(0)
	v_ashrrev_i32_e32 v9, 31, v8
	s_branch .LBB338_7
.LBB338_6:                              ;   in Loop: Header=BB338_7 Depth=2
	s_or_b64 exec, exec, s[14:15]
	s_add_i32 s17, s16, 1
	s_cmp_gt_u32 s16, 14
	s_cselect_b64 s[2:3], -1, 0
	s_xor_b64 s[14:15], vcc, -1
	s_or_b64 s[2:3], s[14:15], s[2:3]
	s_add_i32 s11, s11, 32
	s_and_b64 s[2:3], exec, s[2:3]
	v_add_u32_e32 v13, 4, v13
	s_or_b64 s[12:13], s[2:3], s[12:13]
	s_mov_b32 s16, s17
	s_andn2_b64 exec, exec, s[12:13]
	s_cbranch_execz .LBB338_9
.LBB338_7:                              ;   Parent Loop BB338_5 Depth=1
                                        ; =>  This Inner Loop Header: Depth=2
	s_and_b32 s2, s16, 7
	s_and_b32 s3, s11, 0x100
	s_or_b32 s2, s2, s3
	v_or_b32_e32 v14, s2, v12
	v_cmp_ne_u32_e32 vcc, v14, v8
	v_cmp_eq_u32_e64 s[2:3], v14, v8
	s_and_saveexec_b64 s[14:15], s[2:3]
	s_cbranch_execz .LBB338_6
; %bb.8:                                ;   in Loop: Header=BB338_7 Depth=2
	scratch_load_dword v14, v13, off
	s_waitcnt vmcnt(0)
	v_add_f32_e32 v1, v1, v14
	global_store_dwordx2 v[10:11], v[8:9], off
	s_branch .LBB338_6
.LBB338_9:                              ;   in Loop: Header=BB338_5 Depth=1
	s_or_b64 exec, exec, s[12:13]
	global_load_dwordx2 v[10:11], v[6:7], off offset:8
	s_ashr_i32 s3, s6, 31
	s_mov_b32 s2, s6
	v_lshl_add_u64 v[8:9], s[2:3], 0, v[2:3]
	v_mov_b32_e32 v13, 0
	s_mov_b32 s11, 0
	s_mov_b64 s[12:13], 0
	v_lshl_add_u64 v[8:9], v[8:9], 3, s[4:5]
	s_mov_b32 s16, 0
	s_waitcnt vmcnt(0)
	v_ashrrev_i32_e32 v11, 31, v10
	s_branch .LBB338_11
.LBB338_10:                             ;   in Loop: Header=BB338_11 Depth=2
	s_or_b64 exec, exec, s[14:15]
	s_add_i32 s17, s16, 1
	s_cmp_gt_u32 s16, 14
	s_cselect_b64 s[2:3], -1, 0
	s_xor_b64 s[14:15], vcc, -1
	s_or_b64 s[2:3], s[14:15], s[2:3]
	s_add_i32 s11, s11, 32
	s_and_b64 s[2:3], exec, s[2:3]
	v_add_u32_e32 v13, 4, v13
	s_or_b64 s[12:13], s[2:3], s[12:13]
	s_mov_b32 s16, s17
	s_andn2_b64 exec, exec, s[12:13]
	s_cbranch_execz .LBB338_13
.LBB338_11:                             ;   Parent Loop BB338_5 Depth=1
                                        ; =>  This Inner Loop Header: Depth=2
	s_and_b32 s2, s16, 7
	s_and_b32 s3, s11, 0x100
	s_or_b32 s2, s2, s3
	v_or_b32_e32 v14, s2, v12
	v_cmp_ne_u32_e32 vcc, v14, v10
	v_cmp_eq_u32_e64 s[2:3], v14, v10
	s_and_saveexec_b64 s[14:15], s[2:3]
	s_cbranch_execz .LBB338_10
; %bb.12:                               ;   in Loop: Header=BB338_11 Depth=2
	scratch_load_dword v14, v13, off
	s_waitcnt vmcnt(0)
	v_add_f32_e32 v1, v1, v14
	global_store_dwordx2 v[8:9], v[10:11], off offset:8
	s_branch .LBB338_10
.LBB338_13:                             ;   in Loop: Header=BB338_5 Depth=1
	s_or_b64 exec, exec, s[12:13]
	global_load_dwordx2 v[10:11], v[6:7], off offset:16
	v_mov_b32_e32 v13, 0
	s_mov_b32 s11, 0
	s_mov_b64 s[12:13], 0
	s_mov_b32 s16, 0
	s_waitcnt vmcnt(0)
	v_ashrrev_i32_e32 v11, 31, v10
	s_branch .LBB338_15
.LBB338_14:                             ;   in Loop: Header=BB338_15 Depth=2
	s_or_b64 exec, exec, s[14:15]
	s_add_i32 s17, s16, 1
	s_cmp_gt_u32 s16, 14
	s_cselect_b64 s[2:3], -1, 0
	s_xor_b64 s[14:15], vcc, -1
	s_or_b64 s[2:3], s[14:15], s[2:3]
	s_add_i32 s11, s11, 32
	s_and_b64 s[2:3], exec, s[2:3]
	v_add_u32_e32 v13, 4, v13
	s_or_b64 s[12:13], s[2:3], s[12:13]
	s_mov_b32 s16, s17
	s_andn2_b64 exec, exec, s[12:13]
	s_cbranch_execz .LBB338_17
.LBB338_15:                             ;   Parent Loop BB338_5 Depth=1
                                        ; =>  This Inner Loop Header: Depth=2
	s_and_b32 s2, s16, 7
	s_and_b32 s3, s11, 0x100
	s_or_b32 s2, s2, s3
	v_or_b32_e32 v14, s2, v12
	v_cmp_ne_u32_e32 vcc, v14, v10
	v_cmp_eq_u32_e64 s[2:3], v14, v10
	s_and_saveexec_b64 s[14:15], s[2:3]
	s_cbranch_execz .LBB338_14
; %bb.16:                               ;   in Loop: Header=BB338_15 Depth=2
	scratch_load_dword v14, v13, off
	s_waitcnt vmcnt(0)
	v_add_f32_e32 v1, v1, v14
	global_store_dwordx2 v[8:9], v[10:11], off offset:16
	s_branch .LBB338_14
.LBB338_17:                             ;   in Loop: Header=BB338_5 Depth=1
	s_or_b64 exec, exec, s[12:13]
	global_load_dwordx2 v[6:7], v[6:7], off offset:24
	v_mov_b32_e32 v10, 0
	s_mov_b32 s11, 0
	s_mov_b64 s[12:13], 0
	s_mov_b32 s16, 0
	s_waitcnt vmcnt(0)
	v_ashrrev_i32_e32 v7, 31, v6
	s_branch .LBB338_19
.LBB338_18:                             ;   in Loop: Header=BB338_19 Depth=2
	s_or_b64 exec, exec, s[14:15]
	s_add_i32 s17, s16, 1
	s_cmp_gt_u32 s16, 14
	s_cselect_b64 s[2:3], -1, 0
	s_xor_b64 s[14:15], vcc, -1
	s_or_b64 s[2:3], s[14:15], s[2:3]
	s_add_i32 s11, s11, 32
	s_and_b64 s[2:3], exec, s[2:3]
	v_add_u32_e32 v10, 4, v10
	s_or_b64 s[12:13], s[2:3], s[12:13]
	s_mov_b32 s16, s17
	s_andn2_b64 exec, exec, s[12:13]
	s_cbranch_execz .LBB338_4
.LBB338_19:                             ;   Parent Loop BB338_5 Depth=1
                                        ; =>  This Inner Loop Header: Depth=2
	s_and_b32 s2, s16, 7
	s_and_b32 s3, s11, 0x100
	s_or_b32 s2, s2, s3
	v_or_b32_e32 v11, s2, v12
	v_cmp_ne_u32_e32 vcc, v11, v6
	v_cmp_eq_u32_e64 s[2:3], v11, v6
	s_and_saveexec_b64 s[14:15], s[2:3]
	s_cbranch_execz .LBB338_18
; %bb.20:                               ;   in Loop: Header=BB338_19 Depth=2
	scratch_load_dword v11, v10, off
	s_waitcnt vmcnt(0)
	v_add_f32_e32 v1, v1, v11
	global_store_dwordx2 v[8:9], v[6:7], off offset:24
	s_branch .LBB338_18
.LBB338_21:
	s_and_b32 s14, s28, 3
	s_cmp_eq_u32 s14, 0
	s_mov_b32 s11, 0
	s_cbranch_scc1 .LBB338_28
; %bb.22:
	s_mov_b32 s15, s11
	s_branch .LBB338_24
.LBB338_23:                             ;   in Loop: Header=BB338_24 Depth=1
	s_or_b64 exec, exec, s[6:7]
	s_add_i32 s10, s10, 1
	s_add_i32 s15, s15, 1
	s_cmp_lg_u32 s15, s14
	s_cbranch_scc0 .LBB338_28
.LBB338_24:                             ; =>This Loop Header: Depth=1
                                        ;     Child Loop BB338_26 Depth 2
	v_lshl_add_u64 v[6:7], s[10:11], 3, v[4:5]
	global_load_dwordx2 v[6:7], v[6:7], off
	v_add_u32_e32 v8, s10, v2
	v_ashrrev_i32_e32 v9, 31, v8
	v_mov_b32_e32 v3, 0
	s_mov_b32 s16, 0
	s_mov_b64 s[6:7], 0
	s_waitcnt lgkmcnt(0)
	v_lshl_add_u64 v[8:9], v[8:9], 3, s[4:5]
	s_mov_b32 s17, 0
	s_waitcnt vmcnt(0)
	v_ashrrev_i32_e32 v7, 31, v6
	s_branch .LBB338_26
.LBB338_25:                             ;   in Loop: Header=BB338_26 Depth=2
	s_or_b64 exec, exec, s[12:13]
	s_add_i32 s18, s17, 1
	s_cmp_gt_u32 s17, 14
	s_cselect_b64 s[2:3], -1, 0
	s_xor_b64 s[12:13], vcc, -1
	s_or_b64 s[2:3], s[12:13], s[2:3]
	s_add_i32 s16, s16, 32
	s_and_b64 s[2:3], exec, s[2:3]
	v_add_u32_e32 v3, 4, v3
	s_or_b64 s[6:7], s[2:3], s[6:7]
	s_mov_b32 s17, s18
	s_andn2_b64 exec, exec, s[6:7]
	s_cbranch_execz .LBB338_23
.LBB338_26:                             ;   Parent Loop BB338_24 Depth=1
                                        ; =>  This Inner Loop Header: Depth=2
	s_and_b32 s2, s17, 7
	s_and_b32 s3, s16, 0x100
	s_or_b32 s2, s2, s3
	v_or_b32_e32 v10, s2, v12
	v_cmp_ne_u32_e32 vcc, v10, v6
	v_cmp_eq_u32_e64 s[2:3], v10, v6
	s_and_saveexec_b64 s[12:13], s[2:3]
	s_cbranch_execz .LBB338_25
; %bb.27:                               ;   in Loop: Header=BB338_26 Depth=2
	scratch_load_dword v10, v3, off
	s_waitcnt vmcnt(0)
	v_add_f32_e32 v1, v1, v10
	global_store_dwordx2 v[8:9], v[6:7], off
	s_branch .LBB338_25
.LBB338_28:
	s_waitcnt lgkmcnt(0)
	s_load_dword s4, s[0:1], 0x3c
	s_waitcnt lgkmcnt(0)
	s_bitcmp1_b32 s4, 0
	s_cselect_b64 s[2:3], -1, 0
	s_bitcmp0_b32 s4, 0
	s_cbranch_scc0 .LBB338_31
; %bb.29:
	s_load_dwordx2 s[4:5], s[0:1], 0x40
	s_andn2_b64 vcc, exec, s[2:3]
	s_waitcnt lgkmcnt(0)
	v_cvt_f32_f64_e32 v2, s[4:5]
	s_cbranch_vccz .LBB338_32
.LBB338_30:
	s_andn2_b64 vcc, exec, s[8:9]
	s_cbranch_vccz .LBB338_33
	s_branch .LBB338_67
.LBB338_31:
	v_mbcnt_lo_u32_b32 v2, -1, 0
	v_mbcnt_hi_u32_b32 v2, -1, v2
	v_and_b32_e32 v3, 0x60, v2
	v_add_u32_e32 v3, 32, v3
	v_xor_b32_e32 v6, 16, v2
	v_cmp_lt_i32_e32 vcc, v6, v3
	v_xor_b32_e32 v7, 8, v2
	s_nop 0
	v_cndmask_b32_e32 v6, v2, v6, vcc
	v_lshlrev_b32_e32 v6, 2, v6
	ds_bpermute_b32 v6, v6, v1
	v_cmp_lt_i32_e32 vcc, v7, v3
	s_waitcnt lgkmcnt(0)
	v_add_f32_e32 v1, v1, v6
	v_cndmask_b32_e32 v6, v2, v7, vcc
	v_lshlrev_b32_e32 v6, 2, v6
	ds_bpermute_b32 v6, v6, v1
	v_xor_b32_e32 v7, 4, v2
	v_cmp_lt_i32_e32 vcc, v7, v3
	s_waitcnt lgkmcnt(0)
	v_add_f32_e32 v1, v1, v6
	v_cndmask_b32_e32 v6, v2, v7, vcc
	v_lshlrev_b32_e32 v6, 2, v6
	ds_bpermute_b32 v6, v6, v1
	v_xor_b32_e32 v7, 2, v2
	;; [unrolled: 7-line block ×3, first 2 shown]
	v_cmp_lt_i32_e32 vcc, v7, v3
	s_waitcnt lgkmcnt(0)
	v_add_f32_e32 v1, v1, v6
	v_cndmask_b32_e32 v2, v2, v7, vcc
	v_lshlrev_b32_e32 v2, 2, v2
	ds_bpermute_b32 v2, v2, v1
	s_waitcnt lgkmcnt(0)
	v_add_f32_e32 v1, v1, v2
	s_load_dwordx2 s[4:5], s[0:1], 0x40
	s_andn2_b64 vcc, exec, s[2:3]
	s_waitcnt lgkmcnt(0)
	v_cvt_f32_f64_e32 v2, s[4:5]
	s_cbranch_vccnz .LBB338_30
.LBB338_32:
	v_cmp_lt_f32_e32 vcc, 0, v1
	s_nop 1
	v_cndmask_b32_e32 v1, 1.0, v1, vcc
	v_div_scale_f32 v3, s[2:3], v1, v1, v2
	v_rcp_f32_e32 v6, v3
	s_nop 0
	v_fma_f32 v7, -v3, v6, 1.0
	v_fmac_f32_e32 v6, v7, v6
	v_div_scale_f32 v7, vcc, v2, v1, v2
	v_mul_f32_e32 v8, v7, v6
	v_fma_f32 v9, -v3, v8, v7
	v_fmac_f32_e32 v8, v9, v6
	v_fma_f32 v3, -v3, v8, v7
	v_div_fmas_f32 v3, v3, v6, v8
	v_div_fixup_f32 v2, v3, v1, v2
	s_andn2_b64 vcc, exec, s[8:9]
	s_cbranch_vccnz .LBB338_67
.LBB338_33:
	s_load_dwordx2 s[30:31], s[0:1], 0x10
	v_mov_b32_e32 v1, 0
	v_or_b32_e32 v3, 4, v1
	v_or_b32_e32 v6, 8, v1
	;; [unrolled: 1-line block ×3, first 2 shown]
	v_add_u32_e32 v8, 16, v1
	v_add_u32_e32 v9, 20, v1
	;; [unrolled: 1-line block ×12, first 2 shown]
	v_or_b32_e32 v21, 1, v12
	v_or_b32_e32 v22, 2, v12
	;; [unrolled: 1-line block ×15, first 2 shown]
	s_branch .LBB338_35
.LBB338_34:                             ;   in Loop: Header=BB338_35 Depth=1
	s_or_b64 exec, exec, s[0:1]
	s_add_i32 s28, s28, -1
	v_add_u32_e32 v0, 1, v0
	s_cmp_eq_u32 s28, 0
	v_lshl_add_u64 v[4:5], v[4:5], 0, 8
	s_cbranch_scc1 .LBB338_67
.LBB338_35:                             ; =>This Inner Loop Header: Depth=1
	global_load_dword v36, v[4:5], off
	v_mov_b32_e32 v1, 0
	s_waitcnt vmcnt(0)
	v_cmp_eq_u32_e32 vcc, v12, v36
	v_cmp_ne_u32_e64 s[0:1], v12, v36
	s_and_saveexec_b64 s[34:35], s[0:1]
	s_cbranch_execz .LBB338_65
; %bb.36:                               ;   in Loop: Header=BB338_35 Depth=1
	v_cmp_eq_u32_e64 s[0:1], v21, v36
	v_cmp_ne_u32_e64 s[2:3], v21, v36
	v_mov_b32_e32 v1, v3
	s_and_saveexec_b64 s[36:37], s[2:3]
	s_cbranch_execz .LBB338_64
; %bb.37:                               ;   in Loop: Header=BB338_35 Depth=1
	v_cmp_eq_u32_e64 s[2:3], v22, v36
	v_cmp_ne_u32_e64 s[4:5], v22, v36
	v_mov_b32_e32 v1, v6
	;; [unrolled: 6-line block ×14, first 2 shown]
	s_and_saveexec_b64 s[64:65], s[26:27]
	s_xor_b64 s[64:65], exec, s[64:65]
; %bb.50:                               ;   in Loop: Header=BB338_35 Depth=1
	v_cmp_eq_u32_e64 s[26:27], v35, v36
	s_andn2_b64 s[62:63], s[62:63], exec
	s_and_b64 s[26:27], s[26:27], exec
	s_or_b64 s[62:63], s[62:63], s[26:27]
	v_mov_b32_e32 v1, v20
; %bb.51:                               ;   in Loop: Header=BB338_35 Depth=1
	s_or_b64 exec, exec, s[64:65]
	s_andn2_b64 s[24:25], s[24:25], exec
	s_and_b64 s[26:27], s[62:63], exec
	s_or_b64 s[24:25], s[24:25], s[26:27]
.LBB338_52:                             ;   in Loop: Header=BB338_35 Depth=1
	s_or_b64 exec, exec, s[60:61]
	s_andn2_b64 s[22:23], s[22:23], exec
	s_and_b64 s[24:25], s[24:25], exec
	s_or_b64 s[22:23], s[22:23], s[24:25]
.LBB338_53:                             ;   in Loop: Header=BB338_35 Depth=1
	s_or_b64 exec, exec, s[58:59]
	s_andn2_b64 s[20:21], s[20:21], exec
	s_and_b64 s[22:23], s[22:23], exec
	s_or_b64 s[20:21], s[20:21], s[22:23]
.LBB338_54:                             ;   in Loop: Header=BB338_35 Depth=1
	s_or_b64 exec, exec, s[56:57]
	s_andn2_b64 s[18:19], s[18:19], exec
	s_and_b64 s[20:21], s[20:21], exec
	s_or_b64 s[18:19], s[18:19], s[20:21]
.LBB338_55:                             ;   in Loop: Header=BB338_35 Depth=1
	s_or_b64 exec, exec, s[54:55]
	s_andn2_b64 s[16:17], s[16:17], exec
	s_and_b64 s[18:19], s[18:19], exec
	s_or_b64 s[16:17], s[16:17], s[18:19]
.LBB338_56:                             ;   in Loop: Header=BB338_35 Depth=1
	s_or_b64 exec, exec, s[52:53]
	s_andn2_b64 s[14:15], s[14:15], exec
	s_and_b64 s[16:17], s[16:17], exec
	s_or_b64 s[14:15], s[14:15], s[16:17]
.LBB338_57:                             ;   in Loop: Header=BB338_35 Depth=1
	s_or_b64 exec, exec, s[50:51]
	s_andn2_b64 s[12:13], s[12:13], exec
	s_and_b64 s[14:15], s[14:15], exec
	s_or_b64 s[12:13], s[12:13], s[14:15]
.LBB338_58:                             ;   in Loop: Header=BB338_35 Depth=1
	s_or_b64 exec, exec, s[48:49]
	s_andn2_b64 s[10:11], s[10:11], exec
	s_and_b64 s[12:13], s[12:13], exec
	s_or_b64 s[10:11], s[10:11], s[12:13]
.LBB338_59:                             ;   in Loop: Header=BB338_35 Depth=1
	s_or_b64 exec, exec, s[46:47]
	s_andn2_b64 s[8:9], s[8:9], exec
	s_and_b64 s[10:11], s[10:11], exec
	s_or_b64 s[8:9], s[8:9], s[10:11]
.LBB338_60:                             ;   in Loop: Header=BB338_35 Depth=1
	s_or_b64 exec, exec, s[44:45]
	s_andn2_b64 s[6:7], s[6:7], exec
	s_and_b64 s[8:9], s[8:9], exec
	s_or_b64 s[6:7], s[6:7], s[8:9]
.LBB338_61:                             ;   in Loop: Header=BB338_35 Depth=1
	s_or_b64 exec, exec, s[42:43]
	s_andn2_b64 s[4:5], s[4:5], exec
	s_and_b64 s[6:7], s[6:7], exec
	s_or_b64 s[4:5], s[4:5], s[6:7]
.LBB338_62:                             ;   in Loop: Header=BB338_35 Depth=1
	s_or_b64 exec, exec, s[40:41]
	s_andn2_b64 s[2:3], s[2:3], exec
	s_and_b64 s[4:5], s[4:5], exec
	s_or_b64 s[2:3], s[2:3], s[4:5]
.LBB338_63:                             ;   in Loop: Header=BB338_35 Depth=1
	s_or_b64 exec, exec, s[38:39]
	s_andn2_b64 s[0:1], s[0:1], exec
	s_and_b64 s[2:3], s[2:3], exec
	s_or_b64 s[0:1], s[0:1], s[2:3]
.LBB338_64:                             ;   in Loop: Header=BB338_35 Depth=1
	s_or_b64 exec, exec, s[36:37]
	s_andn2_b64 s[2:3], vcc, exec
	s_and_b64 s[0:1], s[0:1], exec
	s_or_b64 vcc, s[2:3], s[0:1]
.LBB338_65:                             ;   in Loop: Header=BB338_35 Depth=1
	s_or_b64 exec, exec, s[34:35]
	s_and_saveexec_b64 s[0:1], vcc
	s_cbranch_execz .LBB338_34
; %bb.66:                               ;   in Loop: Header=BB338_35 Depth=1
	scratch_load_dword v36, v1, off
	v_ashrrev_i32_e32 v1, 31, v0
	s_waitcnt vmcnt(0)
	v_mul_f32_e32 v38, v2, v36
	s_waitcnt lgkmcnt(0)
	v_lshl_add_u64 v[36:37], v[0:1], 2, s[30:31]
	global_store_dword v[36:37], v38, off
	s_branch .LBB338_34
.LBB338_67:
	s_endpgm
	.section	.rodata,"a",@progbits
	.p2align	6, 0x0
	.amdhsa_kernel _ZN4vllm3moe22topkGatingSoftplusSqrtILi16ELi512ELi4ELi16ELi32ELb1El6__halfEEvPKT6_PKbPfiPT5_PiiiibdPKfPKS9_SF_
		.amdhsa_group_segment_fixed_size 0
		.amdhsa_private_segment_fixed_size 80
		.amdhsa_kernarg_size 96
		.amdhsa_user_sgpr_count 2
		.amdhsa_user_sgpr_dispatch_ptr 0
		.amdhsa_user_sgpr_queue_ptr 0
		.amdhsa_user_sgpr_kernarg_segment_ptr 1
		.amdhsa_user_sgpr_dispatch_id 0
		.amdhsa_user_sgpr_kernarg_preload_length 0
		.amdhsa_user_sgpr_kernarg_preload_offset 0
		.amdhsa_user_sgpr_private_segment_size 0
		.amdhsa_uses_dynamic_stack 0
		.amdhsa_enable_private_segment 1
		.amdhsa_system_sgpr_workgroup_id_x 1
		.amdhsa_system_sgpr_workgroup_id_y 0
		.amdhsa_system_sgpr_workgroup_id_z 0
		.amdhsa_system_sgpr_workgroup_info 0
		.amdhsa_system_vgpr_workitem_id 1
		.amdhsa_next_free_vgpr 39
		.amdhsa_next_free_sgpr 66
		.amdhsa_accum_offset 40
		.amdhsa_reserve_vcc 1
		.amdhsa_float_round_mode_32 0
		.amdhsa_float_round_mode_16_64 0
		.amdhsa_float_denorm_mode_32 3
		.amdhsa_float_denorm_mode_16_64 3
		.amdhsa_dx10_clamp 1
		.amdhsa_ieee_mode 1
		.amdhsa_fp16_overflow 0
		.amdhsa_tg_split 0
		.amdhsa_exception_fp_ieee_invalid_op 0
		.amdhsa_exception_fp_denorm_src 0
		.amdhsa_exception_fp_ieee_div_zero 0
		.amdhsa_exception_fp_ieee_overflow 0
		.amdhsa_exception_fp_ieee_underflow 0
		.amdhsa_exception_fp_ieee_inexact 0
		.amdhsa_exception_int_div_zero 0
	.end_amdhsa_kernel
	.section	.text._ZN4vllm3moe22topkGatingSoftplusSqrtILi16ELi512ELi4ELi16ELi32ELb1El6__halfEEvPKT6_PKbPfiPT5_PiiiibdPKfPKS9_SF_,"axG",@progbits,_ZN4vllm3moe22topkGatingSoftplusSqrtILi16ELi512ELi4ELi16ELi32ELb1El6__halfEEvPKT6_PKbPfiPT5_PiiiibdPKfPKS9_SF_,comdat
.Lfunc_end338:
	.size	_ZN4vllm3moe22topkGatingSoftplusSqrtILi16ELi512ELi4ELi16ELi32ELb1El6__halfEEvPKT6_PKbPfiPT5_PiiiibdPKfPKS9_SF_, .Lfunc_end338-_ZN4vllm3moe22topkGatingSoftplusSqrtILi16ELi512ELi4ELi16ELi32ELb1El6__halfEEvPKT6_PKbPfiPT5_PiiiibdPKfPKS9_SF_
                                        ; -- End function
	.section	.AMDGPU.csdata,"",@progbits
; Kernel info:
; codeLenInByte = 6200
; NumSgprs: 72
; NumVgprs: 39
; NumAgprs: 0
; TotalNumVgprs: 39
; ScratchSize: 80
; MemoryBound: 0
; FloatMode: 240
; IeeeMode: 1
; LDSByteSize: 0 bytes/workgroup (compile time only)
; SGPRBlocks: 8
; VGPRBlocks: 4
; NumSGPRsForWavesPerEU: 72
; NumVGPRsForWavesPerEU: 39
; AccumOffset: 40
; Occupancy: 8
; WaveLimiterHint : 1
; COMPUTE_PGM_RSRC2:SCRATCH_EN: 1
; COMPUTE_PGM_RSRC2:USER_SGPR: 2
; COMPUTE_PGM_RSRC2:TRAP_HANDLER: 0
; COMPUTE_PGM_RSRC2:TGID_X_EN: 1
; COMPUTE_PGM_RSRC2:TGID_Y_EN: 0
; COMPUTE_PGM_RSRC2:TGID_Z_EN: 0
; COMPUTE_PGM_RSRC2:TIDIG_COMP_CNT: 1
; COMPUTE_PGM_RSRC3_GFX90A:ACCUM_OFFSET: 9
; COMPUTE_PGM_RSRC3_GFX90A:TG_SPLIT: 0
	.section	.text._ZN4vllm3moe22topkGatingSoftplusSqrtILi16ELi512ELi4ELi16ELi32ELb0El6__halfEEvPKT6_PKbPfiPT5_PiiiibdPKfPKS9_SF_,"axG",@progbits,_ZN4vllm3moe22topkGatingSoftplusSqrtILi16ELi512ELi4ELi16ELi32ELb0El6__halfEEvPKT6_PKbPfiPT5_PiiiibdPKfPKS9_SF_,comdat
	.protected	_ZN4vllm3moe22topkGatingSoftplusSqrtILi16ELi512ELi4ELi16ELi32ELb0El6__halfEEvPKT6_PKbPfiPT5_PiiiibdPKfPKS9_SF_ ; -- Begin function _ZN4vllm3moe22topkGatingSoftplusSqrtILi16ELi512ELi4ELi16ELi32ELb0El6__halfEEvPKT6_PKbPfiPT5_PiiiibdPKfPKS9_SF_
	.globl	_ZN4vllm3moe22topkGatingSoftplusSqrtILi16ELi512ELi4ELi16ELi32ELb0El6__halfEEvPKT6_PKbPfiPT5_PiiiibdPKfPKS9_SF_
	.p2align	8
	.type	_ZN4vllm3moe22topkGatingSoftplusSqrtILi16ELi512ELi4ELi16ELi32ELb0El6__halfEEvPKT6_PKbPfiPT5_PiiiibdPKfPKS9_SF_,@function
_ZN4vllm3moe22topkGatingSoftplusSqrtILi16ELi512ELi4ELi16ELi32ELb0El6__halfEEvPKT6_PKbPfiPT5_PiiiibdPKfPKS9_SF_: ; @_ZN4vllm3moe22topkGatingSoftplusSqrtILi16ELi512ELi4ELi16ELi32ELb0El6__halfEEvPKT6_PKbPfiPT5_PiiiibdPKfPKS9_SF_
; %bb.0:
	s_load_dword s33, s[0:1], 0x18
	v_and_b32_e32 v1, 0x3ff, v0
	s_lshl_b32 s2, s2, 2
	v_lshrrev_b32_e32 v2, 5, v1
	v_bfe_u32 v0, v0, 10, 10
	v_add3_u32 v16, s2, v0, v2
	s_waitcnt lgkmcnt(0)
	v_cmp_gt_i32_e32 vcc, s33, v16
	s_and_saveexec_b64 s[2:3], vcc
	s_cbranch_execz .LBB339_81
; %bb.1:
	s_load_dwordx4 s[4:7], s[0:1], 0x0
	s_load_dwordx2 s[38:39], s[0:1], 0x10
	s_waitcnt lgkmcnt(0)
	s_cmp_eq_u64 s[6:7], 0
	s_cbranch_scc1 .LBB339_3
; %bb.2:
	v_ashrrev_i32_e32 v17, 31, v16
	v_lshl_add_u64 v[2:3], s[6:7], 0, v[16:17]
	global_load_ubyte v0, v[2:3], off
	s_waitcnt vmcnt(0)
	v_and_b32_e32 v0, 1, v0
	v_cmp_eq_u32_e32 vcc, 1, v0
	s_xor_b64 s[2:3], vcc, -1
	s_orn2_b64 s[52:53], s[2:3], exec
	s_branch .LBB339_4
.LBB339_3:
	s_mov_b64 s[52:53], -1
.LBB339_4:
	v_lshlrev_b32_e32 v4, 9, v16
	v_mov_b32_e32 v2, s4
	v_mov_b32_e32 v3, s5
	v_ashrrev_i32_e32 v5, 31, v4
	v_and_b32_e32 v17, 31, v1
	v_lshl_add_u64 v[2:3], v[4:5], 1, v[2:3]
	v_mov_b32_e32 v1, 0
	v_lshlrev_b32_e32 v0, 4, v17
	v_lshl_add_u64 v[0:1], v[2:3], 0, v[0:1]
	global_load_dwordx4 v[4:7], v[0:1], off
	global_load_dwordx4 v[12:15], v[0:1], off offset:512
	s_mov_b32 s12, 0x800000
	v_mov_b32_e32 v2, 0x4f800000
	s_mov_b32 s9, 0x3f317217
	s_mov_b32 s10, 0x7f800000
	v_mov_b32_e32 v3, 0x41b17218
	s_movk_i32 s8, 0x4d00
	s_mov_b32 s11, 0xf800000
	s_load_dwordx4 s[40:43], s[0:1], 0x40
	v_lshlrev_b32_e32 v20, 3, v17
	v_lshlrev_b32_e32 v18, 2, v20
	s_waitcnt lgkmcnt(0)
	s_cmp_lg_u64 s[42:43], 0
	s_cselect_b64 s[6:7], -1, 0
	s_and_b64 s[2:3], exec, s[6:7]
	s_waitcnt vmcnt(1)
	v_cvt_f32_f16_e32 v0, v4
	v_mul_f32_e32 v1, 0x3fb8aa3b, v0
	v_exp_f32_e32 v8, v1
	v_mov_b32_e32 v1, 0x260
	v_add_f32_e32 v8, 1.0, v8
	v_cmp_gt_f32_e32 vcc, s12, v8
	s_nop 1
	v_cndmask_b32_e32 v9, 1.0, v2, vcc
	v_mul_f32_e32 v8, v8, v9
	v_log_f32_e32 v8, v8
	v_cndmask_b32_e32 v9, 0, v3, vcc
	v_mul_f32_e32 v10, 0x3f317217, v8
	v_fma_f32 v10, v8, s9, -v10
	v_fmac_f32_e32 v10, 0x3377d1cf, v8
	v_fmac_f32_e32 v10, 0x3f317217, v8
	v_cmp_lt_f32_e64 vcc, |v8|, s10
	s_nop 1
	v_cndmask_b32_e32 v8, v8, v10, vcc
	v_sub_f32_e32 v8, v8, v9
	v_cmp_lt_f16_e32 vcc, s8, v4
	s_nop 1
	v_cndmask_b32_e32 v0, v8, v0, vcc
	v_mul_f32_e32 v8, 0x4f800000, v0
	v_cmp_gt_f32_e32 vcc, s11, v0
	s_nop 1
	v_cndmask_b32_e32 v0, v0, v8, vcc
	v_sqrt_f32_e32 v8, v0
	s_nop 0
	v_add_u32_e32 v9, -1, v8
	v_add_u32_e32 v10, 1, v8
	v_fma_f32 v11, -v9, v8, v0
	v_fma_f32 v19, -v10, v8, v0
	v_cmp_ge_f32_e64 s[4:5], 0, v11
	s_nop 1
	v_cndmask_b32_e64 v8, v8, v9, s[4:5]
	v_cmp_lt_f32_e64 s[4:5], 0, v19
	s_nop 1
	v_cndmask_b32_e64 v8, v8, v10, s[4:5]
	v_mul_f32_e32 v9, 0x37800000, v8
	v_cndmask_b32_e32 v8, v8, v9, vcc
	v_cmp_class_f32_e32 vcc, v0, v1
	s_nop 1
	v_cndmask_b32_e32 v0, v8, v0, vcc
	s_mov_b64 vcc, s[2:3]
	s_cbranch_vccz .LBB339_6
; %bb.5:
	global_load_dword v8, v18, s[42:43]
	s_waitcnt vmcnt(0)
	v_add_f32_e32 v0, v0, v8
.LBB339_6:
	v_cvt_f32_f16_sdwa v8, v4 dst_sel:DWORD dst_unused:UNUSED_PAD src0_sel:WORD_1
	v_mul_f32_e32 v9, 0x3fb8aa3b, v8
	v_exp_f32_e32 v9, v9
	s_nop 0
	v_add_f32_e32 v9, 1.0, v9
	v_cmp_gt_f32_e32 vcc, s12, v9
	s_nop 1
	v_cndmask_b32_e32 v2, 1.0, v2, vcc
	v_mul_f32_e32 v2, v9, v2
	v_log_f32_e32 v2, v2
	v_cndmask_b32_e32 v3, 0, v3, vcc
	v_mul_f32_e32 v9, 0x3f317217, v2
	v_fma_f32 v9, v2, s9, -v9
	v_fmac_f32_e32 v9, 0x3377d1cf, v2
	v_fmac_f32_e32 v9, 0x3f317217, v2
	v_cmp_lt_f32_e64 vcc, |v2|, s10
	s_nop 1
	v_cndmask_b32_e32 v2, v2, v9, vcc
	v_sub_f32_e32 v2, v2, v3
	v_cmp_gt_f16_sdwa vcc, v4, s8 src0_sel:WORD_1 src1_sel:DWORD
	v_cndmask_b32_e64 v4, 0, 1, s[6:7]
	v_cmp_ne_u32_e64 s[2:3], 1, v4
	v_cndmask_b32_e32 v2, v2, v8, vcc
	v_mul_f32_e32 v3, 0x4f800000, v2
	v_cmp_gt_f32_e64 s[4:5], s11, v2
	s_andn2_b64 vcc, exec, s[6:7]
	s_nop 0
	v_cndmask_b32_e64 v2, v2, v3, s[4:5]
	v_sqrt_f32_e32 v3, v2
	s_nop 0
	v_add_u32_e32 v4, -1, v3
	v_add_u32_e32 v8, 1, v3
	v_fma_f32 v9, -v4, v3, v2
	v_fma_f32 v10, -v8, v3, v2
	v_cmp_ge_f32_e64 s[6:7], 0, v9
	s_nop 1
	v_cndmask_b32_e64 v3, v3, v4, s[6:7]
	v_cmp_lt_f32_e64 s[6:7], 0, v10
	s_nop 1
	v_cndmask_b32_e64 v3, v3, v8, s[6:7]
	v_mul_f32_e32 v4, 0x37800000, v3
	v_cndmask_b32_e64 v3, v3, v4, s[4:5]
	v_cmp_class_f32_e64 s[4:5], v2, v1
	s_nop 1
	v_cndmask_b32_e64 v1, v3, v2, s[4:5]
	s_cbranch_vccnz .LBB339_8
; %bb.7:
	global_load_dword v2, v18, s[42:43] offset:4
	s_waitcnt vmcnt(0)
	v_add_f32_e32 v1, v1, v2
.LBB339_8:
	v_cvt_f32_f16_e32 v2, v5
	s_mov_b32 s8, 0x800000
	v_mov_b32_e32 v4, 0x4f800000
	s_mov_b32 s7, 0x3f317217
	v_mul_f32_e32 v3, 0x3fb8aa3b, v2
	v_exp_f32_e32 v3, v3
	s_mov_b32 s9, 0x7f800000
	s_movk_i32 s6, 0x4d00
	s_mov_b32 s10, 0xf800000
	v_add_f32_e32 v3, 1.0, v3
	v_cmp_gt_f32_e32 vcc, s8, v3
	s_nop 1
	v_cndmask_b32_e32 v8, 1.0, v4, vcc
	v_mul_f32_e32 v3, v3, v8
	v_log_f32_e32 v3, v3
	v_mov_b32_e32 v8, 0x41b17218
	v_cndmask_b32_e32 v9, 0, v8, vcc
	v_mul_f32_e32 v10, 0x3f317217, v3
	v_fma_f32 v10, v3, s7, -v10
	v_fmac_f32_e32 v10, 0x3377d1cf, v3
	v_fmac_f32_e32 v10, 0x3f317217, v3
	v_cmp_lt_f32_e64 vcc, |v3|, s9
	s_nop 1
	v_cndmask_b32_e32 v3, v3, v10, vcc
	v_sub_f32_e32 v3, v3, v9
	v_cmp_lt_f16_e32 vcc, s6, v5
	s_nop 1
	v_cndmask_b32_e32 v2, v3, v2, vcc
	v_mul_f32_e32 v3, 0x4f800000, v2
	v_cmp_gt_f32_e32 vcc, s10, v2
	s_nop 1
	v_cndmask_b32_e32 v2, v2, v3, vcc
	v_sqrt_f32_e32 v3, v2
	s_nop 0
	v_add_u32_e32 v9, -1, v3
	v_fma_f32 v10, -v9, v3, v2
	v_cmp_ge_f32_e64 s[4:5], 0, v10
	v_add_u32_e32 v10, 1, v3
	s_nop 0
	v_cndmask_b32_e64 v9, v3, v9, s[4:5]
	v_fma_f32 v3, -v10, v3, v2
	v_cmp_lt_f32_e64 s[4:5], 0, v3
	s_nop 1
	v_cndmask_b32_e64 v3, v9, v10, s[4:5]
	v_mul_f32_e32 v9, 0x37800000, v3
	v_cndmask_b32_e32 v9, v3, v9, vcc
	v_mov_b32_e32 v3, 0x260
	v_cmp_class_f32_e64 s[4:5], v2, v3
	s_and_b64 vcc, exec, s[2:3]
	s_nop 0
	v_cndmask_b32_e64 v2, v9, v2, s[4:5]
	s_cbranch_vccnz .LBB339_10
; %bb.9:
	global_load_dword v9, v18, s[42:43] offset:8
	s_waitcnt vmcnt(0)
	v_add_f32_e32 v2, v2, v9
.LBB339_10:
	v_cvt_f32_f16_sdwa v9, v5 dst_sel:DWORD dst_unused:UNUSED_PAD src0_sel:WORD_1
	v_mul_f32_e32 v10, 0x3fb8aa3b, v9
	v_exp_f32_e32 v10, v10
	s_nop 0
	v_add_f32_e32 v10, 1.0, v10
	v_cmp_gt_f32_e32 vcc, s8, v10
	s_nop 1
	v_cndmask_b32_e32 v4, 1.0, v4, vcc
	v_mul_f32_e32 v4, v10, v4
	v_log_f32_e32 v4, v4
	v_cndmask_b32_e32 v8, 0, v8, vcc
	v_mul_f32_e32 v10, 0x3f317217, v4
	v_fma_f32 v10, v4, s7, -v10
	v_fmac_f32_e32 v10, 0x3377d1cf, v4
	v_fmac_f32_e32 v10, 0x3f317217, v4
	v_cmp_lt_f32_e64 vcc, |v4|, s9
	s_nop 1
	v_cndmask_b32_e32 v4, v4, v10, vcc
	v_sub_f32_e32 v4, v4, v8
	v_cmp_gt_f16_sdwa vcc, v5, s6 src0_sel:WORD_1 src1_sel:DWORD
	s_nop 1
	v_cndmask_b32_e32 v4, v4, v9, vcc
	v_mul_f32_e32 v5, 0x4f800000, v4
	v_cmp_gt_f32_e64 s[4:5], s10, v4
	s_and_b64 vcc, exec, s[2:3]
	s_nop 0
	v_cndmask_b32_e64 v4, v4, v5, s[4:5]
	v_sqrt_f32_e32 v5, v4
	s_nop 0
	v_add_u32_e32 v8, -1, v5
	v_add_u32_e32 v9, 1, v5
	v_fma_f32 v10, -v8, v5, v4
	v_fma_f32 v11, -v9, v5, v4
	v_cmp_ge_f32_e64 s[6:7], 0, v10
	s_nop 1
	v_cndmask_b32_e64 v5, v5, v8, s[6:7]
	v_cmp_lt_f32_e64 s[6:7], 0, v11
	s_nop 1
	v_cndmask_b32_e64 v5, v5, v9, s[6:7]
	v_mul_f32_e32 v8, 0x37800000, v5
	v_cndmask_b32_e64 v5, v5, v8, s[4:5]
	v_cmp_class_f32_e64 s[4:5], v4, v3
	s_nop 1
	v_cndmask_b32_e64 v3, v5, v4, s[4:5]
	s_cbranch_vccnz .LBB339_12
; %bb.11:
	global_load_dword v4, v18, s[42:43] offset:12
	s_waitcnt vmcnt(0)
	v_add_f32_e32 v3, v3, v4
.LBB339_12:
	v_cvt_f32_f16_e32 v4, v6
	v_mov_b32_e32 v8, 0x4f800000
	s_mov_b32 s7, 0x3f317217
	s_movk_i32 s6, 0x4d00
	v_mul_f32_e32 v5, 0x3fb8aa3b, v4
	v_exp_f32_e32 v5, v5
	s_nop 0
	v_add_f32_e32 v5, 1.0, v5
	v_cmp_gt_f32_e32 vcc, s8, v5
	s_nop 1
	v_cndmask_b32_e32 v9, 1.0, v8, vcc
	v_mul_f32_e32 v5, v5, v9
	v_log_f32_e32 v5, v5
	v_mov_b32_e32 v9, 0x41b17218
	v_cndmask_b32_e32 v10, 0, v9, vcc
	v_mul_f32_e32 v11, 0x3f317217, v5
	v_fma_f32 v11, v5, s7, -v11
	v_fmac_f32_e32 v11, 0x3377d1cf, v5
	v_fmac_f32_e32 v11, 0x3f317217, v5
	v_cmp_lt_f32_e64 vcc, |v5|, s9
	s_nop 1
	v_cndmask_b32_e32 v5, v5, v11, vcc
	v_sub_f32_e32 v5, v5, v10
	v_cmp_lt_f16_e32 vcc, s6, v6
	s_nop 1
	v_cndmask_b32_e32 v4, v5, v4, vcc
	v_mul_f32_e32 v5, 0x4f800000, v4
	v_cmp_gt_f32_e32 vcc, s10, v4
	s_nop 1
	v_cndmask_b32_e32 v4, v4, v5, vcc
	v_sqrt_f32_e32 v5, v4
	s_nop 0
	v_add_u32_e32 v10, -1, v5
	v_fma_f32 v11, -v10, v5, v4
	v_cmp_ge_f32_e64 s[4:5], 0, v11
	v_add_u32_e32 v11, 1, v5
	s_nop 0
	v_cndmask_b32_e64 v10, v5, v10, s[4:5]
	v_fma_f32 v5, -v11, v5, v4
	v_cmp_lt_f32_e64 s[4:5], 0, v5
	s_nop 1
	v_cndmask_b32_e64 v5, v10, v11, s[4:5]
	v_mul_f32_e32 v10, 0x37800000, v5
	v_cndmask_b32_e32 v10, v5, v10, vcc
	v_mov_b32_e32 v5, 0x260
	v_cmp_class_f32_e64 s[4:5], v4, v5
	s_and_b64 vcc, exec, s[2:3]
	s_nop 0
	v_cndmask_b32_e64 v4, v10, v4, s[4:5]
	s_cbranch_vccnz .LBB339_14
; %bb.13:
	global_load_dword v10, v18, s[42:43] offset:16
	s_waitcnt vmcnt(0)
	v_add_f32_e32 v4, v4, v10
.LBB339_14:
	v_cvt_f32_f16_sdwa v10, v6 dst_sel:DWORD dst_unused:UNUSED_PAD src0_sel:WORD_1
	v_mul_f32_e32 v11, 0x3fb8aa3b, v10
	v_exp_f32_e32 v11, v11
	s_nop 0
	v_add_f32_e32 v11, 1.0, v11
	v_cmp_gt_f32_e32 vcc, s8, v11
	s_nop 1
	v_cndmask_b32_e32 v8, 1.0, v8, vcc
	v_mul_f32_e32 v8, v11, v8
	v_log_f32_e32 v8, v8
	v_cndmask_b32_e32 v9, 0, v9, vcc
	v_mul_f32_e32 v11, 0x3f317217, v8
	v_fma_f32 v11, v8, s7, -v11
	v_fmac_f32_e32 v11, 0x3377d1cf, v8
	v_fmac_f32_e32 v11, 0x3f317217, v8
	v_cmp_lt_f32_e64 vcc, |v8|, s9
	s_nop 1
	v_cndmask_b32_e32 v8, v8, v11, vcc
	v_sub_f32_e32 v8, v8, v9
	v_cmp_gt_f16_sdwa vcc, v6, s6 src0_sel:WORD_1 src1_sel:DWORD
	s_nop 1
	v_cndmask_b32_e32 v6, v8, v10, vcc
	v_mul_f32_e32 v8, 0x4f800000, v6
	v_cmp_gt_f32_e64 s[4:5], s10, v6
	s_and_b64 vcc, exec, s[2:3]
	s_nop 0
	v_cndmask_b32_e64 v6, v6, v8, s[4:5]
	v_sqrt_f32_e32 v8, v6
	s_nop 0
	v_add_u32_e32 v9, -1, v8
	v_add_u32_e32 v10, 1, v8
	v_fma_f32 v11, -v9, v8, v6
	v_fma_f32 v19, -v10, v8, v6
	v_cmp_ge_f32_e64 s[6:7], 0, v11
	s_nop 1
	v_cndmask_b32_e64 v8, v8, v9, s[6:7]
	v_cmp_lt_f32_e64 s[6:7], 0, v19
	s_nop 1
	v_cndmask_b32_e64 v8, v8, v10, s[6:7]
	v_mul_f32_e32 v9, 0x37800000, v8
	v_cndmask_b32_e64 v8, v8, v9, s[4:5]
	v_cmp_class_f32_e64 s[4:5], v6, v5
	s_nop 1
	v_cndmask_b32_e64 v5, v8, v6, s[4:5]
	s_cbranch_vccnz .LBB339_16
; %bb.15:
	global_load_dword v6, v18, s[42:43] offset:20
	s_waitcnt vmcnt(0)
	v_add_f32_e32 v5, v5, v6
.LBB339_16:
	v_cvt_f32_f16_e32 v6, v7
	v_mov_b32_e32 v9, 0x4f800000
	s_mov_b32 s7, 0x3f317217
	s_movk_i32 s6, 0x4d00
	v_mul_f32_e32 v8, 0x3fb8aa3b, v6
	v_exp_f32_e32 v8, v8
	s_nop 0
	v_add_f32_e32 v8, 1.0, v8
	v_cmp_gt_f32_e32 vcc, s8, v8
	s_nop 1
	v_cndmask_b32_e32 v10, 1.0, v9, vcc
	v_mul_f32_e32 v8, v8, v10
	v_log_f32_e32 v8, v8
	v_mov_b32_e32 v10, 0x41b17218
	v_cndmask_b32_e32 v11, 0, v10, vcc
	v_mul_f32_e32 v19, 0x3f317217, v8
	v_fma_f32 v19, v8, s7, -v19
	v_fmac_f32_e32 v19, 0x3377d1cf, v8
	v_fmac_f32_e32 v19, 0x3f317217, v8
	v_cmp_lt_f32_e64 vcc, |v8|, s9
	s_nop 1
	v_cndmask_b32_e32 v8, v8, v19, vcc
	v_sub_f32_e32 v8, v8, v11
	v_cmp_lt_f16_e32 vcc, s6, v7
	s_nop 1
	v_cndmask_b32_e32 v6, v8, v6, vcc
	v_mul_f32_e32 v8, 0x4f800000, v6
	v_cmp_gt_f32_e32 vcc, s10, v6
	s_nop 1
	v_cndmask_b32_e32 v6, v6, v8, vcc
	v_sqrt_f32_e32 v8, v6
	s_nop 0
	v_add_u32_e32 v11, -1, v8
	v_fma_f32 v19, -v11, v8, v6
	v_cmp_ge_f32_e64 s[4:5], 0, v19
	v_add_u32_e32 v19, 1, v8
	s_nop 0
	v_cndmask_b32_e64 v11, v8, v11, s[4:5]
	v_fma_f32 v8, -v19, v8, v6
	v_cmp_lt_f32_e64 s[4:5], 0, v8
	s_nop 1
	v_cndmask_b32_e64 v8, v11, v19, s[4:5]
	v_mul_f32_e32 v11, 0x37800000, v8
	v_cndmask_b32_e32 v11, v8, v11, vcc
	v_mov_b32_e32 v8, 0x260
	v_cmp_class_f32_e64 s[4:5], v6, v8
	s_and_b64 vcc, exec, s[2:3]
	s_nop 0
	v_cndmask_b32_e64 v6, v11, v6, s[4:5]
	s_cbranch_vccnz .LBB339_18
; %bb.17:
	global_load_dword v11, v18, s[42:43] offset:24
	s_waitcnt vmcnt(0)
	v_add_f32_e32 v6, v6, v11
.LBB339_18:
	v_cvt_f32_f16_sdwa v11, v7 dst_sel:DWORD dst_unused:UNUSED_PAD src0_sel:WORD_1
	v_mul_f32_e32 v19, 0x3fb8aa3b, v11
	v_exp_f32_e32 v19, v19
	s_nop 0
	v_add_f32_e32 v19, 1.0, v19
	v_cmp_gt_f32_e32 vcc, s8, v19
	s_nop 1
	v_cndmask_b32_e32 v9, 1.0, v9, vcc
	v_mul_f32_e32 v9, v19, v9
	v_log_f32_e32 v9, v9
	v_cndmask_b32_e32 v10, 0, v10, vcc
	v_mul_f32_e32 v19, 0x3f317217, v9
	v_fma_f32 v19, v9, s7, -v19
	v_fmac_f32_e32 v19, 0x3377d1cf, v9
	v_fmac_f32_e32 v19, 0x3f317217, v9
	v_cmp_lt_f32_e64 vcc, |v9|, s9
	s_nop 1
	v_cndmask_b32_e32 v9, v9, v19, vcc
	v_sub_f32_e32 v9, v9, v10
	v_cmp_gt_f16_sdwa vcc, v7, s6 src0_sel:WORD_1 src1_sel:DWORD
	s_nop 1
	v_cndmask_b32_e32 v7, v9, v11, vcc
	v_mul_f32_e32 v9, 0x4f800000, v7
	v_cmp_gt_f32_e64 s[4:5], s10, v7
	s_and_b64 vcc, exec, s[2:3]
	s_nop 0
	v_cndmask_b32_e64 v7, v7, v9, s[4:5]
	v_sqrt_f32_e32 v9, v7
	s_nop 0
	v_add_u32_e32 v10, -1, v9
	v_add_u32_e32 v11, 1, v9
	v_fma_f32 v19, -v10, v9, v7
	v_fma_f32 v21, -v11, v9, v7
	v_cmp_ge_f32_e64 s[6:7], 0, v19
	s_nop 1
	v_cndmask_b32_e64 v9, v9, v10, s[6:7]
	v_cmp_lt_f32_e64 s[6:7], 0, v21
	s_nop 1
	v_cndmask_b32_e64 v9, v9, v11, s[6:7]
	v_mul_f32_e32 v10, 0x37800000, v9
	v_cndmask_b32_e64 v9, v9, v10, s[4:5]
	v_cmp_class_f32_e64 s[4:5], v7, v8
	s_nop 1
	v_cndmask_b32_e64 v7, v9, v7, s[4:5]
	s_cbranch_vccnz .LBB339_20
; %bb.19:
	global_load_dword v8, v18, s[42:43] offset:28
	s_waitcnt vmcnt(0)
	v_add_f32_e32 v7, v7, v8
.LBB339_20:
	s_waitcnt vmcnt(0)
	v_cvt_f32_f16_e32 v8, v12
	v_mov_b32_e32 v10, 0x4f800000
	s_mov_b32 s7, 0x3f317217
	s_movk_i32 s6, 0x4d00
	v_mul_f32_e32 v9, 0x3fb8aa3b, v8
	v_exp_f32_e32 v9, v9
	s_nop 0
	v_add_f32_e32 v9, 1.0, v9
	v_cmp_gt_f32_e32 vcc, s8, v9
	s_nop 1
	v_cndmask_b32_e32 v11, 1.0, v10, vcc
	v_mul_f32_e32 v9, v9, v11
	v_log_f32_e32 v9, v9
	v_mov_b32_e32 v11, 0x41b17218
	v_cndmask_b32_e32 v19, 0, v11, vcc
	v_mul_f32_e32 v21, 0x3f317217, v9
	v_fma_f32 v21, v9, s7, -v21
	v_fmac_f32_e32 v21, 0x3377d1cf, v9
	v_fmac_f32_e32 v21, 0x3f317217, v9
	v_cmp_lt_f32_e64 vcc, |v9|, s9
	s_nop 1
	v_cndmask_b32_e32 v9, v9, v21, vcc
	v_sub_f32_e32 v9, v9, v19
	v_cmp_lt_f16_e32 vcc, s6, v12
	s_nop 1
	v_cndmask_b32_e32 v8, v9, v8, vcc
	v_mul_f32_e32 v9, 0x4f800000, v8
	v_cmp_gt_f32_e32 vcc, s10, v8
	s_nop 1
	v_cndmask_b32_e32 v8, v8, v9, vcc
	v_sqrt_f32_e32 v9, v8
	s_nop 0
	v_add_u32_e32 v19, -1, v9
	v_fma_f32 v21, -v19, v9, v8
	v_cmp_ge_f32_e64 s[4:5], 0, v21
	v_add_u32_e32 v21, 1, v9
	s_nop 0
	v_cndmask_b32_e64 v19, v9, v19, s[4:5]
	v_fma_f32 v9, -v21, v9, v8
	v_cmp_lt_f32_e64 s[4:5], 0, v9
	s_nop 1
	v_cndmask_b32_e64 v9, v19, v21, s[4:5]
	v_mul_f32_e32 v19, 0x37800000, v9
	v_cndmask_b32_e32 v19, v9, v19, vcc
	v_mov_b32_e32 v9, 0x260
	v_cmp_class_f32_e64 s[4:5], v8, v9
	s_and_b64 vcc, exec, s[2:3]
	s_nop 0
	v_cndmask_b32_e64 v8, v19, v8, s[4:5]
	s_cbranch_vccnz .LBB339_22
; %bb.21:
	global_load_dword v19, v18, s[42:43] offset:1024
	s_waitcnt vmcnt(0)
	v_add_f32_e32 v8, v8, v19
.LBB339_22:
	v_cvt_f32_f16_sdwa v19, v12 dst_sel:DWORD dst_unused:UNUSED_PAD src0_sel:WORD_1
	v_mul_f32_e32 v21, 0x3fb8aa3b, v19
	v_exp_f32_e32 v21, v21
	s_nop 0
	v_add_f32_e32 v21, 1.0, v21
	v_cmp_gt_f32_e32 vcc, s8, v21
	s_nop 1
	v_cndmask_b32_e32 v10, 1.0, v10, vcc
	v_mul_f32_e32 v10, v21, v10
	v_log_f32_e32 v10, v10
	v_cndmask_b32_e32 v11, 0, v11, vcc
	v_mul_f32_e32 v21, 0x3f317217, v10
	v_fma_f32 v21, v10, s7, -v21
	v_fmac_f32_e32 v21, 0x3377d1cf, v10
	v_fmac_f32_e32 v21, 0x3f317217, v10
	v_cmp_lt_f32_e64 vcc, |v10|, s9
	s_nop 1
	v_cndmask_b32_e32 v10, v10, v21, vcc
	v_sub_f32_e32 v10, v10, v11
	v_cmp_gt_f16_sdwa vcc, v12, s6 src0_sel:WORD_1 src1_sel:DWORD
	s_nop 1
	v_cndmask_b32_e32 v10, v10, v19, vcc
	v_mul_f32_e32 v11, 0x4f800000, v10
	v_cmp_gt_f32_e64 s[4:5], s10, v10
	s_and_b64 vcc, exec, s[2:3]
	s_nop 0
	v_cndmask_b32_e64 v10, v10, v11, s[4:5]
	v_sqrt_f32_e32 v11, v10
	s_nop 0
	v_add_u32_e32 v12, -1, v11
	v_add_u32_e32 v19, 1, v11
	v_fma_f32 v21, -v12, v11, v10
	v_fma_f32 v22, -v19, v11, v10
	v_cmp_ge_f32_e64 s[6:7], 0, v21
	s_nop 1
	v_cndmask_b32_e64 v11, v11, v12, s[6:7]
	v_cmp_lt_f32_e64 s[6:7], 0, v22
	s_nop 1
	v_cndmask_b32_e64 v11, v11, v19, s[6:7]
	v_mul_f32_e32 v12, 0x37800000, v11
	v_cndmask_b32_e64 v11, v11, v12, s[4:5]
	v_cmp_class_f32_e64 s[4:5], v10, v9
	s_nop 1
	v_cndmask_b32_e64 v9, v11, v10, s[4:5]
	s_cbranch_vccnz .LBB339_24
; %bb.23:
	global_load_dword v10, v18, s[42:43] offset:1028
	s_waitcnt vmcnt(0)
	v_add_f32_e32 v9, v9, v10
.LBB339_24:
	v_cvt_f32_f16_e32 v10, v13
	v_mov_b32_e32 v12, 0x4f800000
	s_mov_b32 s7, 0x3f317217
	s_movk_i32 s6, 0x4d00
	v_mul_f32_e32 v11, 0x3fb8aa3b, v10
	v_exp_f32_e32 v11, v11
	s_nop 0
	v_add_f32_e32 v11, 1.0, v11
	v_cmp_gt_f32_e32 vcc, s8, v11
	s_nop 1
	v_cndmask_b32_e32 v19, 1.0, v12, vcc
	v_mul_f32_e32 v11, v11, v19
	v_log_f32_e32 v11, v11
	v_mov_b32_e32 v19, 0x41b17218
	v_cndmask_b32_e32 v21, 0, v19, vcc
	v_mul_f32_e32 v22, 0x3f317217, v11
	v_fma_f32 v22, v11, s7, -v22
	v_fmac_f32_e32 v22, 0x3377d1cf, v11
	v_fmac_f32_e32 v22, 0x3f317217, v11
	v_cmp_lt_f32_e64 vcc, |v11|, s9
	s_nop 1
	v_cndmask_b32_e32 v11, v11, v22, vcc
	v_sub_f32_e32 v11, v11, v21
	v_cmp_lt_f16_e32 vcc, s6, v13
	s_nop 1
	v_cndmask_b32_e32 v10, v11, v10, vcc
	v_mul_f32_e32 v11, 0x4f800000, v10
	v_cmp_gt_f32_e32 vcc, s10, v10
	s_nop 1
	v_cndmask_b32_e32 v10, v10, v11, vcc
	v_sqrt_f32_e32 v11, v10
	s_nop 0
	v_add_u32_e32 v21, -1, v11
	v_fma_f32 v22, -v21, v11, v10
	v_cmp_ge_f32_e64 s[4:5], 0, v22
	v_add_u32_e32 v22, 1, v11
	s_nop 0
	v_cndmask_b32_e64 v21, v11, v21, s[4:5]
	v_fma_f32 v11, -v22, v11, v10
	v_cmp_lt_f32_e64 s[4:5], 0, v11
	s_nop 1
	v_cndmask_b32_e64 v11, v21, v22, s[4:5]
	v_mul_f32_e32 v21, 0x37800000, v11
	v_cndmask_b32_e32 v21, v11, v21, vcc
	v_mov_b32_e32 v11, 0x260
	v_cmp_class_f32_e64 s[4:5], v10, v11
	s_and_b64 vcc, exec, s[2:3]
	s_nop 0
	v_cndmask_b32_e64 v10, v21, v10, s[4:5]
	s_cbranch_vccnz .LBB339_26
; %bb.25:
	global_load_dword v21, v18, s[42:43] offset:1032
	s_waitcnt vmcnt(0)
	v_add_f32_e32 v10, v10, v21
.LBB339_26:
	v_cvt_f32_f16_sdwa v21, v13 dst_sel:DWORD dst_unused:UNUSED_PAD src0_sel:WORD_1
	v_mul_f32_e32 v22, 0x3fb8aa3b, v21
	v_exp_f32_e32 v22, v22
	s_nop 0
	v_add_f32_e32 v22, 1.0, v22
	v_cmp_gt_f32_e32 vcc, s8, v22
	s_nop 1
	v_cndmask_b32_e32 v12, 1.0, v12, vcc
	v_mul_f32_e32 v12, v22, v12
	v_log_f32_e32 v12, v12
	v_cndmask_b32_e32 v19, 0, v19, vcc
	v_mul_f32_e32 v22, 0x3f317217, v12
	v_fma_f32 v22, v12, s7, -v22
	v_fmac_f32_e32 v22, 0x3377d1cf, v12
	v_fmac_f32_e32 v22, 0x3f317217, v12
	v_cmp_lt_f32_e64 vcc, |v12|, s9
	s_nop 1
	v_cndmask_b32_e32 v12, v12, v22, vcc
	v_sub_f32_e32 v12, v12, v19
	v_cmp_gt_f16_sdwa vcc, v13, s6 src0_sel:WORD_1 src1_sel:DWORD
	s_nop 1
	v_cndmask_b32_e32 v12, v12, v21, vcc
	v_mul_f32_e32 v13, 0x4f800000, v12
	v_cmp_gt_f32_e64 s[4:5], s10, v12
	s_and_b64 vcc, exec, s[2:3]
	s_nop 0
	v_cndmask_b32_e64 v12, v12, v13, s[4:5]
	v_sqrt_f32_e32 v13, v12
	s_nop 0
	v_add_u32_e32 v19, -1, v13
	v_add_u32_e32 v21, 1, v13
	v_fma_f32 v22, -v19, v13, v12
	v_fma_f32 v23, -v21, v13, v12
	v_cmp_ge_f32_e64 s[6:7], 0, v22
	s_nop 1
	v_cndmask_b32_e64 v13, v13, v19, s[6:7]
	v_cmp_lt_f32_e64 s[6:7], 0, v23
	s_nop 1
	v_cndmask_b32_e64 v13, v13, v21, s[6:7]
	v_mul_f32_e32 v19, 0x37800000, v13
	v_cndmask_b32_e64 v13, v13, v19, s[4:5]
	v_cmp_class_f32_e64 s[4:5], v12, v11
	s_nop 1
	v_cndmask_b32_e64 v11, v13, v12, s[4:5]
	s_cbranch_vccnz .LBB339_28
; %bb.27:
	global_load_dword v12, v18, s[42:43] offset:1036
	s_waitcnt vmcnt(0)
	v_add_f32_e32 v11, v11, v12
.LBB339_28:
	v_cvt_f32_f16_e32 v12, v14
	v_mov_b32_e32 v19, 0x4f800000
	s_mov_b32 s7, 0x3f317217
	s_movk_i32 s6, 0x4d00
	v_mul_f32_e32 v13, 0x3fb8aa3b, v12
	v_exp_f32_e32 v13, v13
	s_nop 0
	v_add_f32_e32 v13, 1.0, v13
	v_cmp_gt_f32_e32 vcc, s8, v13
	s_nop 1
	v_cndmask_b32_e32 v21, 1.0, v19, vcc
	v_mul_f32_e32 v13, v13, v21
	v_log_f32_e32 v13, v13
	v_mov_b32_e32 v21, 0x41b17218
	v_cndmask_b32_e32 v22, 0, v21, vcc
	v_mul_f32_e32 v23, 0x3f317217, v13
	v_fma_f32 v23, v13, s7, -v23
	v_fmac_f32_e32 v23, 0x3377d1cf, v13
	v_fmac_f32_e32 v23, 0x3f317217, v13
	v_cmp_lt_f32_e64 vcc, |v13|, s9
	s_nop 1
	v_cndmask_b32_e32 v13, v13, v23, vcc
	v_sub_f32_e32 v13, v13, v22
	v_cmp_lt_f16_e32 vcc, s6, v14
	s_nop 1
	v_cndmask_b32_e32 v12, v13, v12, vcc
	v_mul_f32_e32 v13, 0x4f800000, v12
	v_cmp_gt_f32_e32 vcc, s10, v12
	s_nop 1
	v_cndmask_b32_e32 v12, v12, v13, vcc
	v_sqrt_f32_e32 v13, v12
	s_nop 0
	v_add_u32_e32 v22, -1, v13
	v_fma_f32 v23, -v22, v13, v12
	v_cmp_ge_f32_e64 s[4:5], 0, v23
	v_add_u32_e32 v23, 1, v13
	s_nop 0
	v_cndmask_b32_e64 v22, v13, v22, s[4:5]
	v_fma_f32 v13, -v23, v13, v12
	v_cmp_lt_f32_e64 s[4:5], 0, v13
	s_nop 1
	v_cndmask_b32_e64 v13, v22, v23, s[4:5]
	v_mul_f32_e32 v22, 0x37800000, v13
	v_cndmask_b32_e32 v22, v13, v22, vcc
	v_mov_b32_e32 v13, 0x260
	v_cmp_class_f32_e64 s[4:5], v12, v13
	s_and_b64 vcc, exec, s[2:3]
	s_nop 0
	v_cndmask_b32_e64 v12, v22, v12, s[4:5]
	s_cbranch_vccnz .LBB339_30
; %bb.29:
	global_load_dword v22, v18, s[42:43] offset:1040
	s_waitcnt vmcnt(0)
	v_add_f32_e32 v12, v12, v22
.LBB339_30:
	v_cvt_f32_f16_sdwa v22, v14 dst_sel:DWORD dst_unused:UNUSED_PAD src0_sel:WORD_1
	v_mul_f32_e32 v23, 0x3fb8aa3b, v22
	v_exp_f32_e32 v23, v23
	s_nop 0
	v_add_f32_e32 v23, 1.0, v23
	v_cmp_gt_f32_e32 vcc, s8, v23
	s_nop 1
	v_cndmask_b32_e32 v19, 1.0, v19, vcc
	v_mul_f32_e32 v19, v23, v19
	v_log_f32_e32 v19, v19
	v_cndmask_b32_e32 v21, 0, v21, vcc
	v_mul_f32_e32 v23, 0x3f317217, v19
	v_fma_f32 v23, v19, s7, -v23
	v_fmac_f32_e32 v23, 0x3377d1cf, v19
	v_fmac_f32_e32 v23, 0x3f317217, v19
	v_cmp_lt_f32_e64 vcc, |v19|, s9
	s_nop 1
	v_cndmask_b32_e32 v19, v19, v23, vcc
	v_sub_f32_e32 v19, v19, v21
	v_cmp_gt_f16_sdwa vcc, v14, s6 src0_sel:WORD_1 src1_sel:DWORD
	s_nop 1
	v_cndmask_b32_e32 v14, v19, v22, vcc
	v_mul_f32_e32 v19, 0x4f800000, v14
	v_cmp_gt_f32_e64 s[4:5], s10, v14
	s_and_b64 vcc, exec, s[2:3]
	s_nop 0
	v_cndmask_b32_e64 v14, v14, v19, s[4:5]
	v_sqrt_f32_e32 v19, v14
	s_nop 0
	v_add_u32_e32 v21, -1, v19
	v_add_u32_e32 v22, 1, v19
	v_fma_f32 v23, -v21, v19, v14
	v_fma_f32 v24, -v22, v19, v14
	v_cmp_ge_f32_e64 s[6:7], 0, v23
	s_nop 1
	v_cndmask_b32_e64 v19, v19, v21, s[6:7]
	v_cmp_lt_f32_e64 s[6:7], 0, v24
	s_nop 1
	v_cndmask_b32_e64 v19, v19, v22, s[6:7]
	v_mul_f32_e32 v21, 0x37800000, v19
	v_cndmask_b32_e64 v19, v19, v21, s[4:5]
	v_cmp_class_f32_e64 s[4:5], v14, v13
	s_nop 1
	v_cndmask_b32_e64 v13, v19, v14, s[4:5]
	s_cbranch_vccnz .LBB339_32
; %bb.31:
	global_load_dword v14, v18, s[42:43] offset:1044
	s_waitcnt vmcnt(0)
	v_add_f32_e32 v13, v13, v14
.LBB339_32:
	v_cvt_f32_f16_e32 v14, v15
	v_mov_b32_e32 v21, 0x4f800000
	s_mov_b32 s7, 0x3f317217
	s_movk_i32 s6, 0x4d00
	v_mul_f32_e32 v19, 0x3fb8aa3b, v14
	v_exp_f32_e32 v19, v19
	s_nop 0
	v_add_f32_e32 v19, 1.0, v19
	v_cmp_gt_f32_e32 vcc, s8, v19
	s_nop 1
	v_cndmask_b32_e32 v22, 1.0, v21, vcc
	v_mul_f32_e32 v19, v19, v22
	v_log_f32_e32 v19, v19
	v_mov_b32_e32 v22, 0x41b17218
	v_cndmask_b32_e32 v23, 0, v22, vcc
	v_mul_f32_e32 v24, 0x3f317217, v19
	v_fma_f32 v24, v19, s7, -v24
	v_fmac_f32_e32 v24, 0x3377d1cf, v19
	v_fmac_f32_e32 v24, 0x3f317217, v19
	v_cmp_lt_f32_e64 vcc, |v19|, s9
	s_nop 1
	v_cndmask_b32_e32 v19, v19, v24, vcc
	v_sub_f32_e32 v19, v19, v23
	v_cmp_lt_f16_e32 vcc, s6, v15
	s_nop 1
	v_cndmask_b32_e32 v14, v19, v14, vcc
	v_mul_f32_e32 v19, 0x4f800000, v14
	v_cmp_gt_f32_e32 vcc, s10, v14
	s_nop 1
	v_cndmask_b32_e32 v14, v14, v19, vcc
	v_sqrt_f32_e32 v19, v14
	s_nop 0
	v_add_u32_e32 v23, -1, v19
	v_fma_f32 v24, -v23, v19, v14
	v_cmp_ge_f32_e64 s[4:5], 0, v24
	v_add_u32_e32 v24, 1, v19
	s_nop 0
	v_cndmask_b32_e64 v23, v19, v23, s[4:5]
	v_fma_f32 v19, -v24, v19, v14
	v_cmp_lt_f32_e64 s[4:5], 0, v19
	s_nop 1
	v_cndmask_b32_e64 v19, v23, v24, s[4:5]
	v_mul_f32_e32 v23, 0x37800000, v19
	v_cndmask_b32_e32 v23, v19, v23, vcc
	v_mov_b32_e32 v19, 0x260
	v_cmp_class_f32_e64 s[4:5], v14, v19
	s_and_b64 vcc, exec, s[2:3]
	s_nop 0
	v_cndmask_b32_e64 v14, v23, v14, s[4:5]
	s_cbranch_vccnz .LBB339_34
; %bb.33:
	global_load_dword v23, v18, s[42:43] offset:1048
	s_waitcnt vmcnt(0)
	v_add_f32_e32 v14, v14, v23
.LBB339_34:
	v_cvt_f32_f16_sdwa v23, v15 dst_sel:DWORD dst_unused:UNUSED_PAD src0_sel:WORD_1
	v_mul_f32_e32 v24, 0x3fb8aa3b, v23
	v_exp_f32_e32 v24, v24
	s_nop 0
	v_add_f32_e32 v24, 1.0, v24
	v_cmp_gt_f32_e32 vcc, s8, v24
	s_nop 1
	v_cndmask_b32_e32 v21, 1.0, v21, vcc
	v_mul_f32_e32 v21, v24, v21
	v_log_f32_e32 v21, v21
	v_cndmask_b32_e32 v22, 0, v22, vcc
	v_mul_f32_e32 v24, 0x3f317217, v21
	v_fma_f32 v24, v21, s7, -v24
	v_fmac_f32_e32 v24, 0x3377d1cf, v21
	v_fmac_f32_e32 v24, 0x3f317217, v21
	v_cmp_lt_f32_e64 vcc, |v21|, s9
	s_nop 1
	v_cndmask_b32_e32 v21, v21, v24, vcc
	v_sub_f32_e32 v21, v21, v22
	v_cmp_gt_f16_sdwa vcc, v15, s6 src0_sel:WORD_1 src1_sel:DWORD
	s_nop 1
	v_cndmask_b32_e32 v15, v21, v23, vcc
	v_mul_f32_e32 v21, 0x4f800000, v15
	v_cmp_gt_f32_e64 s[4:5], s10, v15
	s_and_b64 vcc, exec, s[2:3]
	s_nop 0
	v_cndmask_b32_e64 v15, v15, v21, s[4:5]
	v_sqrt_f32_e32 v21, v15
	s_nop 0
	v_add_u32_e32 v22, -1, v21
	v_add_u32_e32 v23, 1, v21
	v_fma_f32 v24, -v22, v21, v15
	v_fma_f32 v25, -v23, v21, v15
	v_cmp_ge_f32_e64 s[6:7], 0, v24
	s_nop 1
	v_cndmask_b32_e64 v21, v21, v22, s[6:7]
	v_cmp_lt_f32_e64 s[6:7], 0, v25
	s_nop 1
	v_cndmask_b32_e64 v21, v21, v23, s[6:7]
	v_mul_f32_e32 v22, 0x37800000, v21
	v_cndmask_b32_e64 v21, v21, v22, s[4:5]
	v_cmp_class_f32_e64 s[4:5], v15, v19
	s_nop 1
	v_cndmask_b32_e64 v15, v21, v15, s[4:5]
	s_cbranch_vccnz .LBB339_36
; %bb.35:
	global_load_dword v18, v18, s[42:43] offset:1052
	s_waitcnt vmcnt(0)
	v_add_f32_e32 v15, v15, v18
.LBB339_36:
	s_load_dwordx4 s[44:47], s[0:1], 0x30
	s_mov_b32 s58, 0
	v_cmp_eq_u32_e64 s[6:7], 0, v17
	s_waitcnt lgkmcnt(0)
	s_bitcmp1_b32 s47, 0
	s_cselect_b64 s[4:5], -1, 0
	s_cmp_gt_i32 s44, 0
	s_cselect_b64 s[54:55], -1, 0
	s_and_b64 vcc, exec, s[54:55]
	s_cbranch_vccz .LBB339_67
; %bb.37:
	v_mbcnt_lo_u32_b32 v18, -1, 0
	v_mbcnt_hi_u32_b32 v18, -1, v18
	v_and_b32_e32 v19, 0x60, v18
	v_add_u32_e32 v19, 32, v19
	v_xor_b32_e32 v21, 16, v18
	v_cmp_lt_i32_e32 vcc, v21, v19
	s_load_dwordx4 s[48:51], s[0:1], 0x20
	v_mul_lo_u32 v22, v16, s44
	v_cndmask_b32_e32 v21, v18, v21, vcc
	v_lshlrev_b32_e32 v23, 2, v21
	v_xor_b32_e32 v21, 8, v18
	v_cmp_lt_i32_e32 vcc, v21, v19
	v_mov_b32_e32 v28, 0x100
	v_mov_b32_e32 v29, 0x101
	v_cndmask_b32_e32 v21, v18, v21, vcc
	v_lshlrev_b32_e32 v24, 2, v21
	v_xor_b32_e32 v21, 4, v18
	v_cmp_lt_i32_e32 vcc, v21, v19
	v_bfrev_b32_e32 v30, 4.0
	v_bfrev_b32_e32 v31, -4.0
	v_cndmask_b32_e32 v21, v18, v21, vcc
	v_lshlrev_b32_e32 v25, 2, v21
	v_xor_b32_e32 v21, 2, v18
	v_cmp_lt_i32_e32 vcc, v21, v19
	v_mov_b32_e32 v32, 0x104
	v_mov_b32_e32 v33, 0x105
	v_cndmask_b32_e32 v21, v18, v21, vcc
	v_lshlrev_b32_e32 v26, 2, v21
	v_xor_b32_e32 v21, 1, v18
	v_cmp_lt_i32_e32 vcc, v21, v19
	v_mov_b32_e32 v34, 0x106
	v_mov_b32_e32 v35, 0x107
	v_cndmask_b32_e32 v18, v18, v21, vcc
	v_lshlrev_b32_e32 v27, 2, v18
	v_mov_b32_e32 v21, 0
	v_mov_b32_e32 v36, 0x200
	;; [unrolled: 1-line block ×4, first 2 shown]
	s_branch .LBB339_40
.LBB339_38:                             ;   in Loop: Header=BB339_40 Depth=1
	s_or_b64 exec, exec, s[56:57]
.LBB339_39:                             ;   in Loop: Header=BB339_40 Depth=1
	s_cmp_eq_u32 s44, s58
	v_add_u32_e32 v38, s33, v38
	s_cbranch_scc1 .LBB339_68
.LBB339_40:                             ; =>This Inner Loop Header: Depth=1
	v_cmp_gt_f32_e32 vcc, v1, v0
	s_nop 1
	v_cndmask_b32_e32 v19, v0, v1, vcc
	v_cndmask_b32_e64 v18, 0, 1, vcc
	v_cmp_gt_f32_e32 vcc, v2, v19
	s_nop 1
	v_cndmask_b32_e32 v19, v19, v2, vcc
	v_cndmask_b32_e64 v18, v18, 2, vcc
	;; [unrolled: 4-line block ×7, first 2 shown]
	v_cmp_gt_f32_e32 vcc, v8, v19
	s_nop 1
	v_cndmask_b32_e32 v19, v19, v8, vcc
	v_cndmask_b32_e32 v18, v18, v28, vcc
	v_cmp_gt_f32_e32 vcc, v9, v19
	s_nop 1
	v_cndmask_b32_e32 v19, v19, v9, vcc
	v_cndmask_b32_e32 v18, v18, v29, vcc
	;; [unrolled: 4-line block ×8, first 2 shown]
	ds_bpermute_b32 v19, v23, v39
	v_or_b32_e32 v18, v20, v18
	s_waitcnt lgkmcnt(0)
	ds_bpermute_b32 v40, v23, v18
	s_waitcnt lgkmcnt(0)
	v_cmp_lt_f32_e64 s[8:9], v39, v19
	v_cmp_nlt_f32_e32 vcc, v39, v19
	s_and_saveexec_b64 s[10:11], vcc
; %bb.41:                               ;   in Loop: Header=BB339_40 Depth=1
	v_cmp_eq_f32_e32 vcc, v39, v19
	v_cmp_lt_i32_e64 s[0:1], v40, v18
	s_and_b64 s[0:1], vcc, s[0:1]
	s_andn2_b64 s[8:9], s[8:9], exec
	s_and_b64 s[0:1], s[0:1], exec
	s_or_b64 s[8:9], s[8:9], s[0:1]
; %bb.42:                               ;   in Loop: Header=BB339_40 Depth=1
	s_or_b64 exec, exec, s[10:11]
	s_and_saveexec_b64 s[0:1], s[8:9]
; %bb.43:                               ;   in Loop: Header=BB339_40 Depth=1
	v_mov_b32_e32 v39, v19
	v_mov_b32_e32 v18, v40
; %bb.44:                               ;   in Loop: Header=BB339_40 Depth=1
	s_or_b64 exec, exec, s[0:1]
	ds_bpermute_b32 v19, v24, v39
	ds_bpermute_b32 v40, v24, v18
	s_waitcnt lgkmcnt(1)
	v_cmp_lt_f32_e64 s[8:9], v39, v19
	v_cmp_nlt_f32_e32 vcc, v39, v19
	s_and_saveexec_b64 s[10:11], vcc
	s_cbranch_execz .LBB339_46
; %bb.45:                               ;   in Loop: Header=BB339_40 Depth=1
	v_cmp_eq_f32_e32 vcc, v39, v19
	s_waitcnt lgkmcnt(0)
	v_cmp_lt_i32_e64 s[0:1], v40, v18
	s_and_b64 s[0:1], vcc, s[0:1]
	s_andn2_b64 s[8:9], s[8:9], exec
	s_and_b64 s[0:1], s[0:1], exec
	s_or_b64 s[8:9], s[8:9], s[0:1]
.LBB339_46:                             ;   in Loop: Header=BB339_40 Depth=1
	s_or_b64 exec, exec, s[10:11]
	s_and_saveexec_b64 s[0:1], s[8:9]
	s_cbranch_execz .LBB339_48
; %bb.47:                               ;   in Loop: Header=BB339_40 Depth=1
	v_mov_b32_e32 v39, v19
	s_waitcnt lgkmcnt(0)
	v_mov_b32_e32 v18, v40
.LBB339_48:                             ;   in Loop: Header=BB339_40 Depth=1
	s_or_b64 exec, exec, s[0:1]
	ds_bpermute_b32 v19, v25, v39
	s_waitcnt lgkmcnt(1)
	ds_bpermute_b32 v40, v25, v18
	s_waitcnt lgkmcnt(1)
	v_cmp_lt_f32_e64 s[8:9], v39, v19
	v_cmp_nlt_f32_e32 vcc, v39, v19
	s_and_saveexec_b64 s[10:11], vcc
	s_cbranch_execz .LBB339_50
; %bb.49:                               ;   in Loop: Header=BB339_40 Depth=1
	v_cmp_eq_f32_e32 vcc, v39, v19
	s_waitcnt lgkmcnt(0)
	v_cmp_lt_i32_e64 s[0:1], v40, v18
	s_and_b64 s[0:1], vcc, s[0:1]
	s_andn2_b64 s[8:9], s[8:9], exec
	s_and_b64 s[0:1], s[0:1], exec
	s_or_b64 s[8:9], s[8:9], s[0:1]
.LBB339_50:                             ;   in Loop: Header=BB339_40 Depth=1
	s_or_b64 exec, exec, s[10:11]
	s_and_saveexec_b64 s[0:1], s[8:9]
	s_cbranch_execz .LBB339_52
; %bb.51:                               ;   in Loop: Header=BB339_40 Depth=1
	v_mov_b32_e32 v39, v19
	s_waitcnt lgkmcnt(0)
	v_mov_b32_e32 v18, v40
.LBB339_52:                             ;   in Loop: Header=BB339_40 Depth=1
	s_or_b64 exec, exec, s[0:1]
	ds_bpermute_b32 v19, v26, v39
	s_waitcnt lgkmcnt(1)
	;; [unrolled: 26-line block ×3, first 2 shown]
	ds_bpermute_b32 v40, v27, v18
	s_waitcnt lgkmcnt(1)
	v_cmp_lt_f32_e64 s[8:9], v39, v19
	v_cmp_nlt_f32_e32 vcc, v39, v19
	s_and_saveexec_b64 s[10:11], vcc
	s_cbranch_execnz .LBB339_60
; %bb.57:                               ;   in Loop: Header=BB339_40 Depth=1
	s_or_b64 exec, exec, s[10:11]
	s_and_saveexec_b64 s[0:1], s[8:9]
	s_cbranch_execnz .LBB339_61
.LBB339_58:                             ;   in Loop: Header=BB339_40 Depth=1
	s_or_b64 exec, exec, s[0:1]
	s_and_saveexec_b64 s[8:9], s[6:7]
	s_cbranch_execnz .LBB339_62
.LBB339_59:                             ;   in Loop: Header=BB339_40 Depth=1
	s_or_b64 exec, exec, s[8:9]
	s_add_i32 s58, s58, 1
	s_cmp_ge_i32 s58, s44
	s_cbranch_scc1 .LBB339_39
	s_branch .LBB339_65
.LBB339_60:                             ;   in Loop: Header=BB339_40 Depth=1
	v_cmp_eq_f32_e32 vcc, v39, v19
	s_waitcnt lgkmcnt(0)
	v_cmp_lt_i32_e64 s[0:1], v40, v18
	s_and_b64 s[0:1], vcc, s[0:1]
	s_andn2_b64 s[8:9], s[8:9], exec
	s_and_b64 s[0:1], s[0:1], exec
	s_or_b64 s[8:9], s[8:9], s[0:1]
	s_or_b64 exec, exec, s[10:11]
	s_and_saveexec_b64 s[0:1], s[8:9]
	s_cbranch_execz .LBB339_58
.LBB339_61:                             ;   in Loop: Header=BB339_40 Depth=1
	s_waitcnt lgkmcnt(0)
	v_mov_b32_e32 v18, v40
	v_mov_b32_e32 v39, v19
	s_or_b64 exec, exec, s[0:1]
	s_and_saveexec_b64 s[8:9], s[6:7]
	s_cbranch_execz .LBB339_59
.LBB339_62:                             ;   in Loop: Header=BB339_40 Depth=1
	s_and_b64 vcc, exec, s[2:3]
	s_cbranch_vccnz .LBB339_64
; %bb.63:                               ;   in Loop: Header=BB339_40 Depth=1
	v_ashrrev_i32_e32 v19, 31, v18
	s_waitcnt lgkmcnt(0)
	v_lshl_add_u64 v[40:41], v[18:19], 2, s[42:43]
	global_load_dword v19, v[40:41], off
	s_waitcnt vmcnt(0)
	v_sub_f32_e32 v39, v39, v19
.LBB339_64:                             ;   in Loop: Header=BB339_40 Depth=1
	s_waitcnt lgkmcnt(0)
	v_add_u32_e32 v40, s58, v22
	v_ashrrev_i32_e32 v41, 31, v40
	v_cmp_le_i32_e32 vcc, s45, v18
	v_cmp_gt_i32_e64 s[0:1], s46, v18
	v_lshlrev_b64 v[42:43], 2, v[40:41]
	s_and_b64 s[0:1], vcc, s[0:1]
	v_lshl_add_u64 v[44:45], s[38:39], 0, v[42:43]
	v_subrev_u32_e32 v19, s45, v18
	global_store_dword v[44:45], v39, off
	v_ashrrev_i32_e32 v44, 31, v19
	s_and_b64 vcc, s[52:53], s[0:1]
	v_cndmask_b32_e32 v45, 0, v44, vcc
	v_cndmask_b32_e32 v44, v36, v19, vcc
	v_lshl_add_u64 v[40:41], v[40:41], 3, s[48:49]
	v_add_f32_e32 v19, v21, v39
	global_store_dwordx2 v[40:41], v[44:45], off
	v_lshl_add_u64 v[40:41], s[50:51], 0, v[42:43]
	v_cndmask_b32_e64 v21, v21, v19, s[4:5]
	global_store_dword v[40:41], v38, off
	s_or_b64 exec, exec, s[8:9]
	s_add_i32 s58, s58, 1
	s_cmp_ge_i32 s58, s44
	s_cbranch_scc1 .LBB339_39
.LBB339_65:                             ;   in Loop: Header=BB339_40 Depth=1
	v_ashrrev_i32_e32 v19, 31, v18
	v_lshrrev_b32_e32 v39, 29, v19
	s_waitcnt lgkmcnt(0)
	v_add_u32_e32 v40, v18, v39
	v_ashrrev_i32_e32 v39, 3, v40
	v_ashrrev_i32_e32 v40, 31, v40
	v_lshrrev_b32_e32 v40, 27, v40
	v_add_u32_e32 v40, v39, v40
	v_and_b32_e32 v40, 0xffffffe0, v40
	v_sub_u32_e32 v40, v39, v40
	v_cmp_eq_u32_e32 vcc, v17, v40
	s_and_saveexec_b64 s[56:57], vcc
	s_cbranch_execz .LBB339_38
; %bb.66:                               ;   in Loop: Header=BB339_40 Depth=1
	v_add_u32_sdwa v19, v18, v19 dst_sel:DWORD dst_unused:UNUSED_PAD src0_sel:DWORD src1_sel:BYTE_3
	v_lshlrev_b32_e32 v39, 3, v39
	v_sub_u32_e32 v18, v18, v39
	v_ashrrev_i32_e32 v19, 8, v19
	v_lshl_add_u32 v18, v19, 3, v18
	v_cmp_ne_u32_e32 vcc, 14, v18
	v_cmp_ne_u32_e64 s[0:1], 13, v18
	v_cmp_ne_u32_e64 s[8:9], 12, v18
	;; [unrolled: 1-line block ×15, first 2 shown]
	v_cndmask_b32_e32 v14, v37, v14, vcc
	v_cndmask_b32_e64 v13, v37, v13, s[0:1]
	v_cndmask_b32_e64 v15, v37, v15, s[36:37]
	;; [unrolled: 1-line block ×15, first 2 shown]
	s_branch .LBB339_38
.LBB339_67:
	v_mov_b32_e32 v21, 0
.LBB339_68:
	v_cmp_eq_u32_e32 vcc, 0, v17
	s_and_b64 exec, exec, vcc
	s_cbranch_execz .LBB339_81
; %bb.69:
	s_andn2_b64 vcc, exec, s[4:5]
	v_cvt_f32_f64_e32 v0, s[40:41]
	s_cbranch_vccnz .LBB339_71
; %bb.70:
	v_cmp_lt_f32_e32 vcc, 0, v21
	s_nop 1
	v_cndmask_b32_e32 v1, 1.0, v21, vcc
	v_div_scale_f32 v2, s[0:1], v1, v1, v0
	v_rcp_f32_e32 v3, v2
	s_nop 0
	v_fma_f32 v4, -v2, v3, 1.0
	v_fmac_f32_e32 v3, v4, v3
	v_div_scale_f32 v4, vcc, v0, v1, v0
	v_mul_f32_e32 v5, v4, v3
	v_fma_f32 v6, -v2, v5, v4
	v_fmac_f32_e32 v5, v6, v3
	v_fma_f32 v2, -v2, v5, v4
	v_div_fmas_f32 v2, v2, v3, v5
	v_div_fixup_f32 v0, v2, v1, v0
.LBB339_71:
	s_andn2_b64 vcc, exec, s[54:55]
	s_cbranch_vccnz .LBB339_81
; %bb.72:
	v_mul_lo_u32 v2, v16, s44
	s_cmp_gt_u32 s44, 3
	v_ashrrev_i32_e32 v3, 31, v2
	s_cbranch_scc0 .LBB339_76
; %bb.73:
	s_and_b32 s0, s44, 0x7ffffffc
	v_lshl_add_u64 v[4:5], v[2:3], 2, s[38:39]
	v_mov_b32_e32 v1, v0
	v_lshl_add_u64 v[4:5], v[4:5], 0, 8
	s_mov_b32 s1, s0
.LBB339_74:                             ; =>This Inner Loop Header: Depth=1
	global_load_dwordx4 v[6:9], v[4:5], off offset:-8
	s_add_i32 s1, s1, -4
	s_cmp_lg_u32 s1, 0
	s_waitcnt vmcnt(0)
	v_pk_mul_f32 v[6:7], v[0:1], v[6:7]
	v_pk_mul_f32 v[8:9], v[0:1], v[8:9]
	global_store_dwordx4 v[4:5], v[6:9], off offset:-8
	v_lshl_add_u64 v[4:5], v[4:5], 0, 16
	s_cbranch_scc1 .LBB339_74
; %bb.75:
	s_cmp_lg_u32 s0, s44
	s_cselect_b64 s[2:3], -1, 0
	s_branch .LBB339_78
.LBB339_76:
	s_mov_b64 s[2:3], 0
                                        ; implicit-def: $sgpr0
	s_cbranch_execz .LBB339_78
; %bb.77:
	s_mov_b64 s[2:3], -1
	s_mov_b32 s0, 0
.LBB339_78:
	s_andn2_b64 vcc, exec, s[2:3]
	s_cbranch_vccnz .LBB339_81
; %bb.79:
	s_mov_b32 s1, 0
	v_lshl_add_u64 v[2:3], v[2:3], 0, s[0:1]
	s_sub_i32 s2, s44, s0
	v_lshl_add_u64 v[2:3], v[2:3], 2, s[38:39]
.LBB339_80:                             ; =>This Inner Loop Header: Depth=1
	global_load_dword v1, v[2:3], off
	s_add_i32 s2, s2, -1
	s_cmp_lg_u32 s2, 0
	s_waitcnt vmcnt(0)
	v_mul_f32_e32 v1, v0, v1
	global_store_dword v[2:3], v1, off
	v_lshl_add_u64 v[2:3], v[2:3], 0, 4
	s_cbranch_scc1 .LBB339_80
.LBB339_81:
	s_endpgm
	.section	.rodata,"a",@progbits
	.p2align	6, 0x0
	.amdhsa_kernel _ZN4vllm3moe22topkGatingSoftplusSqrtILi16ELi512ELi4ELi16ELi32ELb0El6__halfEEvPKT6_PKbPfiPT5_PiiiibdPKfPKS9_SF_
		.amdhsa_group_segment_fixed_size 0
		.amdhsa_private_segment_fixed_size 0
		.amdhsa_kernarg_size 96
		.amdhsa_user_sgpr_count 2
		.amdhsa_user_sgpr_dispatch_ptr 0
		.amdhsa_user_sgpr_queue_ptr 0
		.amdhsa_user_sgpr_kernarg_segment_ptr 1
		.amdhsa_user_sgpr_dispatch_id 0
		.amdhsa_user_sgpr_kernarg_preload_length 0
		.amdhsa_user_sgpr_kernarg_preload_offset 0
		.amdhsa_user_sgpr_private_segment_size 0
		.amdhsa_uses_dynamic_stack 0
		.amdhsa_enable_private_segment 0
		.amdhsa_system_sgpr_workgroup_id_x 1
		.amdhsa_system_sgpr_workgroup_id_y 0
		.amdhsa_system_sgpr_workgroup_id_z 0
		.amdhsa_system_sgpr_workgroup_info 0
		.amdhsa_system_vgpr_workitem_id 1
		.amdhsa_next_free_vgpr 46
		.amdhsa_next_free_sgpr 59
		.amdhsa_accum_offset 48
		.amdhsa_reserve_vcc 1
		.amdhsa_float_round_mode_32 0
		.amdhsa_float_round_mode_16_64 0
		.amdhsa_float_denorm_mode_32 3
		.amdhsa_float_denorm_mode_16_64 3
		.amdhsa_dx10_clamp 1
		.amdhsa_ieee_mode 1
		.amdhsa_fp16_overflow 0
		.amdhsa_tg_split 0
		.amdhsa_exception_fp_ieee_invalid_op 0
		.amdhsa_exception_fp_denorm_src 0
		.amdhsa_exception_fp_ieee_div_zero 0
		.amdhsa_exception_fp_ieee_overflow 0
		.amdhsa_exception_fp_ieee_underflow 0
		.amdhsa_exception_fp_ieee_inexact 0
		.amdhsa_exception_int_div_zero 0
	.end_amdhsa_kernel
	.section	.text._ZN4vllm3moe22topkGatingSoftplusSqrtILi16ELi512ELi4ELi16ELi32ELb0El6__halfEEvPKT6_PKbPfiPT5_PiiiibdPKfPKS9_SF_,"axG",@progbits,_ZN4vllm3moe22topkGatingSoftplusSqrtILi16ELi512ELi4ELi16ELi32ELb0El6__halfEEvPKT6_PKbPfiPT5_PiiiibdPKfPKS9_SF_,comdat
.Lfunc_end339:
	.size	_ZN4vllm3moe22topkGatingSoftplusSqrtILi16ELi512ELi4ELi16ELi32ELb0El6__halfEEvPKT6_PKbPfiPT5_PiiiibdPKfPKS9_SF_, .Lfunc_end339-_ZN4vllm3moe22topkGatingSoftplusSqrtILi16ELi512ELi4ELi16ELi32ELb0El6__halfEEvPKT6_PKbPfiPT5_PiiiibdPKfPKS9_SF_
                                        ; -- End function
	.section	.AMDGPU.csdata,"",@progbits
; Kernel info:
; codeLenInByte = 6828
; NumSgprs: 65
; NumVgprs: 46
; NumAgprs: 0
; TotalNumVgprs: 46
; ScratchSize: 0
; MemoryBound: 0
; FloatMode: 240
; IeeeMode: 1
; LDSByteSize: 0 bytes/workgroup (compile time only)
; SGPRBlocks: 8
; VGPRBlocks: 5
; NumSGPRsForWavesPerEU: 65
; NumVGPRsForWavesPerEU: 46
; AccumOffset: 48
; Occupancy: 8
; WaveLimiterHint : 1
; COMPUTE_PGM_RSRC2:SCRATCH_EN: 0
; COMPUTE_PGM_RSRC2:USER_SGPR: 2
; COMPUTE_PGM_RSRC2:TRAP_HANDLER: 0
; COMPUTE_PGM_RSRC2:TGID_X_EN: 1
; COMPUTE_PGM_RSRC2:TGID_Y_EN: 0
; COMPUTE_PGM_RSRC2:TGID_Z_EN: 0
; COMPUTE_PGM_RSRC2:TIDIG_COMP_CNT: 1
; COMPUTE_PGM_RSRC3_GFX90A:ACCUM_OFFSET: 11
; COMPUTE_PGM_RSRC3_GFX90A:TG_SPLIT: 0
	.section	.text._ZN4vllm3moe22topkGatingSoftplusSqrtILi3ELi192ELi4ELi2ELi64ELb1El6__halfEEvPKT6_PKbPfiPT5_PiiiibdPKfPKS9_SF_,"axG",@progbits,_ZN4vllm3moe22topkGatingSoftplusSqrtILi3ELi192ELi4ELi2ELi64ELb1El6__halfEEvPKT6_PKbPfiPT5_PiiiibdPKfPKS9_SF_,comdat
	.protected	_ZN4vllm3moe22topkGatingSoftplusSqrtILi3ELi192ELi4ELi2ELi64ELb1El6__halfEEvPKT6_PKbPfiPT5_PiiiibdPKfPKS9_SF_ ; -- Begin function _ZN4vllm3moe22topkGatingSoftplusSqrtILi3ELi192ELi4ELi2ELi64ELb1El6__halfEEvPKT6_PKbPfiPT5_PiiiibdPKfPKS9_SF_
	.globl	_ZN4vllm3moe22topkGatingSoftplusSqrtILi3ELi192ELi4ELi2ELi64ELb1El6__halfEEvPKT6_PKbPfiPT5_PiiiibdPKfPKS9_SF_
	.p2align	8
	.type	_ZN4vllm3moe22topkGatingSoftplusSqrtILi3ELi192ELi4ELi2ELi64ELb1El6__halfEEvPKT6_PKbPfiPT5_PiiiibdPKfPKS9_SF_,@function
_ZN4vllm3moe22topkGatingSoftplusSqrtILi3ELi192ELi4ELi2ELi64ELb1El6__halfEEvPKT6_PKbPfiPT5_PiiiibdPKfPKS9_SF_: ; @_ZN4vllm3moe22topkGatingSoftplusSqrtILi3ELi192ELi4ELi2ELi64ELb1El6__halfEEvPKT6_PKbPfiPT5_PiiiibdPKfPKS9_SF_
; %bb.0:
	s_load_dword s3, s[0:1], 0x18
	v_and_b32_e32 v1, 0x3ff, v0
	s_lshl_b32 s2, s2, 2
	v_lshrrev_b32_e32 v2, 6, v1
	v_bfe_u32 v0, v0, 10, 10
	v_add3_u32 v2, s2, v0, v2
	s_waitcnt lgkmcnt(0)
	v_cmp_gt_i32_e32 vcc, s3, v2
	s_and_saveexec_b64 s[2:3], vcc
	s_cbranch_execz .LBB340_69
; %bb.1:
	s_load_dwordx4 s[8:11], s[0:1], 0x50
	s_load_dwordx2 s[2:3], s[0:1], 0x0
	s_load_dword s12, s[0:1], 0x30
	s_movk_i32 s4, 0xc0
	v_mul_lo_u32 v4, v2, s4
	v_ashrrev_i32_e32 v5, 31, v4
	v_and_b32_e32 v14, 63, v1
	s_waitcnt lgkmcnt(0)
	v_lshl_add_u64 v[8:9], v[4:5], 1, s[2:3]
	v_lshlrev_b32_e32 v4, 1, v14
	v_mov_b32_e32 v5, 0
	v_lshl_add_u64 v[0:1], v[8:9], 0, v[4:5]
	global_load_ushort v4, v[0:1], off
	global_load_ushort v8, v[0:1], off offset:128
	global_load_ushort v9, v[0:1], off offset:256
	v_mov_b32_e32 v6, s8
	v_mov_b32_e32 v7, s9
	v_ashrrev_i32_e32 v3, 31, v2
	v_lshl_add_u64 v[0:1], v[2:3], 3, v[6:7]
	global_load_dwordx2 v[0:1], v[0:1], off
	s_ashr_i32 s13, s12, 31
	s_mov_b32 s4, 0x800000
	v_mov_b32_e32 v3, 0x4f800000
	s_mov_b32 s7, 0x3f317217
	s_mov_b32 s15, 0x7f800000
	v_mov_b32_e32 v6, 0x41b17218
	s_movk_i32 s6, 0x4d00
	s_mov_b32 s18, 0xf800000
	v_mov_b32_e32 v7, 0x260
	v_cmp_lt_i64_e64 s[16:17], s[12:13], 1
	s_mov_b32 s14, 0
	v_cmp_gt_i64_e64 s[8:9], s[12:13], 0
	v_mul_lo_u32 v2, v2, s12
	s_waitcnt vmcnt(3)
	v_cvt_f32_f16_e32 v10, v4
	s_waitcnt vmcnt(2)
	v_cvt_f32_f16_e32 v11, v8
	;; [unrolled: 2-line block ×3, first 2 shown]
	v_mul_f32_e32 v16, 0x3fb8aa3b, v10
	v_mul_f32_e32 v17, 0x3fb8aa3b, v11
	v_exp_f32_e32 v16, v16
	v_mul_f32_e32 v18, 0x3fb8aa3b, v12
	v_exp_f32_e32 v17, v17
	v_exp_f32_e32 v18, v18
	s_waitcnt vmcnt(0)
	v_mul_lo_u32 v13, v1, s12
	v_mul_lo_u32 v15, v0, s13
	v_mad_u64_u32 v[0:1], s[2:3], v0, s12, 0
	v_add3_u32 v1, v1, v15, v13
	v_add_f32_e32 v13, 1.0, v16
	v_add_f32_e32 v15, 1.0, v17
	v_cmp_gt_f32_e32 vcc, s4, v13
	v_add_f32_e32 v16, 1.0, v18
	v_cmp_gt_f32_e64 s[2:3], s4, v15
	v_cndmask_b32_e32 v17, 1.0, v3, vcc
	v_cmp_gt_f32_e64 s[4:5], s4, v16
	v_cndmask_b32_e64 v18, 1.0, v3, s[2:3]
	v_mul_f32_e32 v13, v13, v17
	v_cndmask_b32_e64 v3, 1.0, v3, s[4:5]
	v_mul_f32_e32 v15, v15, v18
	v_log_f32_e32 v13, v13
	v_mul_f32_e32 v3, v16, v3
	v_log_f32_e32 v15, v15
	v_log_f32_e32 v3, v3
	v_mul_f32_e32 v16, 0x3f317217, v13
	v_fma_f32 v16, v13, s7, -v16
	v_mul_f32_e32 v19, 0x3f317217, v15
	v_mul_f32_e32 v20, 0x3f317217, v3
	v_fma_f32 v19, v15, s7, -v19
	v_fmac_f32_e32 v16, 0x3377d1cf, v13
	v_cndmask_b32_e32 v17, 0, v6, vcc
	v_fma_f32 v20, v3, s7, -v20
	v_fmac_f32_e32 v19, 0x3377d1cf, v15
	v_fmac_f32_e32 v16, 0x3f317217, v13
	v_cmp_lt_f32_e64 vcc, |v13|, s15
	v_fmac_f32_e32 v20, 0x3377d1cf, v3
	v_fmac_f32_e32 v19, 0x3f317217, v15
	v_cndmask_b32_e32 v13, v13, v16, vcc
	v_cmp_lt_f32_e64 vcc, |v15|, s15
	v_fmac_f32_e32 v20, 0x3f317217, v3
	v_cndmask_b32_e64 v18, 0, v6, s[2:3]
	v_cndmask_b32_e32 v15, v15, v19, vcc
	v_cmp_lt_f32_e64 vcc, |v3|, s15
	v_sub_f32_e32 v13, v13, v17
	v_cndmask_b32_e64 v6, 0, v6, s[4:5]
	v_cndmask_b32_e32 v3, v3, v20, vcc
	v_cmp_lt_f16_e32 vcc, s6, v4
	v_sub_f32_e32 v15, v15, v18
	v_sub_f32_e32 v3, v3, v6
	v_cndmask_b32_e32 v4, v13, v10, vcc
	v_cmp_lt_f16_e32 vcc, s6, v8
	v_mul_f32_e32 v8, 0x4f800000, v4
	s_nop 0
	v_cndmask_b32_e32 v6, v15, v11, vcc
	v_cmp_lt_f16_e32 vcc, s6, v9
	v_mul_f32_e32 v9, 0x4f800000, v6
	v_cmp_gt_f32_e64 s[2:3], s18, v6
	v_cndmask_b32_e32 v3, v3, v12, vcc
	v_cmp_gt_f32_e32 vcc, s18, v4
	v_cndmask_b32_e64 v6, v6, v9, s[2:3]
	v_sqrt_f32_e32 v9, v6
	v_cndmask_b32_e32 v4, v4, v8, vcc
	v_sqrt_f32_e32 v8, v4
	v_mul_f32_e32 v10, 0x4f800000, v3
	v_add_u32_e32 v13, -1, v9
	v_fma_f32 v18, -v13, v9, v6
	v_add_u32_e32 v11, -1, v8
	v_fma_f32 v16, -v11, v8, v4
	v_add_u32_e32 v12, 1, v8
	v_cmp_ge_f32_e64 s[6:7], 0, v16
	v_cmp_gt_f32_e64 s[4:5], s18, v3
	v_add_u32_e32 v15, 1, v9
	v_fma_f32 v17, -v12, v8, v4
	v_cndmask_b32_e64 v8, v8, v11, s[6:7]
	v_cmp_ge_f32_e64 s[6:7], 0, v18
	v_cndmask_b32_e64 v3, v3, v10, s[4:5]
	v_fma_f32 v19, -v15, v9, v6
	v_cndmask_b32_e64 v9, v9, v13, s[6:7]
	v_cmp_lt_f32_e64 s[6:7], 0, v17
	v_sqrt_f32_e32 v10, v3
	s_nop 0
	v_cndmask_b32_e64 v8, v8, v12, s[6:7]
	v_cmp_lt_f32_e64 s[6:7], 0, v19
	v_mul_f32_e32 v11, 0x37800000, v8
	v_cndmask_b32_e32 v8, v8, v11, vcc
	v_cndmask_b32_e64 v9, v9, v15, s[6:7]
	v_mul_f32_e32 v12, 0x37800000, v9
	v_cmp_class_f32_e32 vcc, v4, v7
	s_nop 1
	v_cndmask_b32_e32 v15, v8, v4, vcc
	v_cndmask_b32_e64 v4, v9, v12, s[2:3]
	v_cmp_class_f32_e32 vcc, v6, v7
	s_nop 1
	v_cndmask_b32_e32 v16, v4, v6, vcc
	v_add_u32_e32 v4, -1, v10
	v_fma_f32 v6, -v4, v10, v3
	v_cmp_ge_f32_e32 vcc, 0, v6
	v_add_u32_e32 v6, 1, v10
	v_fma_f32 v8, -v6, v10, v3
	v_cndmask_b32_e32 v4, v10, v4, vcc
	v_cmp_lt_f32_e32 vcc, 0, v8
	s_nop 1
	v_cndmask_b32_e32 v4, v4, v6, vcc
	v_mul_f32_e32 v6, 0x37800000, v4
	v_cndmask_b32_e64 v4, v4, v6, s[4:5]
	v_cmp_class_f32_e32 vcc, v3, v7
	s_nop 1
	v_cndmask_b32_e32 v17, v4, v3, vcc
	s_and_b64 vcc, exec, s[16:17]
	s_cbranch_vccnz .LBB340_28
; %bb.2:
	s_load_dwordx2 s[4:5], s[0:1], 0x20
	v_lshl_add_u64 v[6:7], v[0:1], 3, s[10:11]
	s_cmp_lt_u32 s12, 4
	v_sub_u32_e32 v4, 0, v14
	s_cbranch_scc1 .LBB340_21
; %bb.3:
	s_mov_b32 s7, 0
	s_and_b32 s14, s12, 0x7ffffffc
	v_ashrrev_i32_e32 v3, 31, v2
	v_mov_b32_e32 v5, 0
	s_mov_b32 s6, s7
	s_branch .LBB340_5
.LBB340_4:                              ;   in Loop: Header=BB340_5 Depth=1
	s_or_b64 exec, exec, s[16:17]
	s_add_i32 s6, s6, 4
	s_cmp_eq_u32 s6, s14
	s_cbranch_scc1 .LBB340_21
.LBB340_5:                              ; =>This Loop Header: Depth=1
                                        ;     Child Loop BB340_7 Depth 2
                                        ;     Child Loop BB340_11 Depth 2
	;; [unrolled: 1-line block ×4, first 2 shown]
	v_lshl_add_u64 v[8:9], s[6:7], 3, v[6:7]
	global_load_dwordx2 v[10:11], v[8:9], off
	v_add_u32_e32 v12, s6, v2
	v_ashrrev_i32_e32 v13, 31, v12
	s_mov_b64 s[16:17], 0
	s_waitcnt lgkmcnt(0)
	v_lshl_add_u64 v[12:13], v[12:13], 3, s[4:5]
	s_mov_b64 s[18:19], 0
	s_waitcnt vmcnt(0)
	v_ashrrev_i32_e32 v11, 31, v10
	v_add_u32_e32 v18, v4, v10
	s_branch .LBB340_7
.LBB340_6:                              ;   in Loop: Header=BB340_7 Depth=2
	s_or_b64 exec, exec, s[20:21]
	s_cmp_gt_u32 s18, 1
	s_cselect_b64 s[2:3], -1, 0
	s_xor_b64 s[20:21], vcc, -1
	s_or_b64 s[2:3], s[20:21], s[2:3]
	s_add_u32 s18, s18, 1
	s_addc_u32 s19, s19, 0
	s_and_b64 s[2:3], exec, s[2:3]
	s_or_b64 s[16:17], s[2:3], s[16:17]
	v_subrev_u32_e32 v18, 64, v18
	s_andn2_b64 exec, exec, s[16:17]
	s_cbranch_execz .LBB340_9
.LBB340_7:                              ;   Parent Loop BB340_5 Depth=1
                                        ; =>  This Inner Loop Header: Depth=2
	v_cmp_ne_u32_e32 vcc, 0, v18
	v_cmp_eq_u32_e64 s[2:3], 0, v18
	s_and_saveexec_b64 s[20:21], s[2:3]
	s_cbranch_execz .LBB340_6
; %bb.8:                                ;   in Loop: Header=BB340_7 Depth=2
	s_cmp_eq_u32 s18, 1
	s_cselect_b64 s[2:3], -1, 0
	s_cmp_eq_u32 s18, 2
	v_cndmask_b32_e64 v19, v15, v16, s[2:3]
	s_cselect_b64 s[2:3], -1, 0
	v_cndmask_b32_e64 v19, v19, v17, s[2:3]
	v_add_f32_e32 v5, v5, v19
	global_store_dwordx2 v[12:13], v[10:11], off
	s_branch .LBB340_6
.LBB340_9:                              ;   in Loop: Header=BB340_5 Depth=1
	s_or_b64 exec, exec, s[16:17]
	global_load_dwordx2 v[12:13], v[8:9], off offset:8
	s_ashr_i32 s3, s6, 31
	s_mov_b32 s2, s6
	v_lshl_add_u64 v[10:11], s[2:3], 0, v[2:3]
	s_mov_b64 s[16:17], 0
	v_lshl_add_u64 v[10:11], v[10:11], 3, s[4:5]
	s_mov_b64 s[18:19], 0
	s_waitcnt vmcnt(0)
	v_ashrrev_i32_e32 v13, 31, v12
	v_add_u32_e32 v18, v4, v12
	s_branch .LBB340_11
.LBB340_10:                             ;   in Loop: Header=BB340_11 Depth=2
	s_or_b64 exec, exec, s[20:21]
	s_cmp_gt_u32 s18, 1
	s_cselect_b64 s[2:3], -1, 0
	s_xor_b64 s[20:21], vcc, -1
	s_or_b64 s[2:3], s[20:21], s[2:3]
	s_add_u32 s18, s18, 1
	s_addc_u32 s19, s19, 0
	s_and_b64 s[2:3], exec, s[2:3]
	s_or_b64 s[16:17], s[2:3], s[16:17]
	v_subrev_u32_e32 v18, 64, v18
	s_andn2_b64 exec, exec, s[16:17]
	s_cbranch_execz .LBB340_13
.LBB340_11:                             ;   Parent Loop BB340_5 Depth=1
                                        ; =>  This Inner Loop Header: Depth=2
	v_cmp_ne_u32_e32 vcc, 0, v18
	v_cmp_eq_u32_e64 s[2:3], 0, v18
	s_and_saveexec_b64 s[20:21], s[2:3]
	s_cbranch_execz .LBB340_10
; %bb.12:                               ;   in Loop: Header=BB340_11 Depth=2
	s_cmp_eq_u32 s18, 1
	s_cselect_b64 s[2:3], -1, 0
	s_cmp_eq_u32 s18, 2
	v_cndmask_b32_e64 v19, v15, v16, s[2:3]
	s_cselect_b64 s[2:3], -1, 0
	v_cndmask_b32_e64 v19, v19, v17, s[2:3]
	v_add_f32_e32 v5, v5, v19
	global_store_dwordx2 v[10:11], v[12:13], off offset:8
	s_branch .LBB340_10
.LBB340_13:                             ;   in Loop: Header=BB340_5 Depth=1
	s_or_b64 exec, exec, s[16:17]
	global_load_dwordx2 v[12:13], v[8:9], off offset:16
	s_mov_b64 s[16:17], 0
	s_mov_b64 s[18:19], 0
	s_waitcnt vmcnt(0)
	v_ashrrev_i32_e32 v13, 31, v12
	v_add_u32_e32 v18, v4, v12
	s_branch .LBB340_15
.LBB340_14:                             ;   in Loop: Header=BB340_15 Depth=2
	s_or_b64 exec, exec, s[20:21]
	s_cmp_gt_u32 s18, 1
	s_cselect_b64 s[2:3], -1, 0
	s_xor_b64 s[20:21], vcc, -1
	s_or_b64 s[2:3], s[20:21], s[2:3]
	s_add_u32 s18, s18, 1
	s_addc_u32 s19, s19, 0
	s_and_b64 s[2:3], exec, s[2:3]
	s_or_b64 s[16:17], s[2:3], s[16:17]
	v_subrev_u32_e32 v18, 64, v18
	s_andn2_b64 exec, exec, s[16:17]
	s_cbranch_execz .LBB340_17
.LBB340_15:                             ;   Parent Loop BB340_5 Depth=1
                                        ; =>  This Inner Loop Header: Depth=2
	v_cmp_ne_u32_e32 vcc, 0, v18
	v_cmp_eq_u32_e64 s[2:3], 0, v18
	s_and_saveexec_b64 s[20:21], s[2:3]
	s_cbranch_execz .LBB340_14
; %bb.16:                               ;   in Loop: Header=BB340_15 Depth=2
	s_cmp_eq_u32 s18, 1
	s_cselect_b64 s[2:3], -1, 0
	s_cmp_eq_u32 s18, 2
	v_cndmask_b32_e64 v19, v15, v16, s[2:3]
	s_cselect_b64 s[2:3], -1, 0
	v_cndmask_b32_e64 v19, v19, v17, s[2:3]
	v_add_f32_e32 v5, v5, v19
	global_store_dwordx2 v[10:11], v[12:13], off offset:16
	s_branch .LBB340_14
.LBB340_17:                             ;   in Loop: Header=BB340_5 Depth=1
	s_or_b64 exec, exec, s[16:17]
	global_load_dwordx2 v[8:9], v[8:9], off offset:24
	s_mov_b64 s[16:17], 0
	s_mov_b64 s[18:19], 0
	s_waitcnt vmcnt(0)
	v_ashrrev_i32_e32 v9, 31, v8
	v_add_u32_e32 v12, v4, v8
	s_branch .LBB340_19
.LBB340_18:                             ;   in Loop: Header=BB340_19 Depth=2
	s_or_b64 exec, exec, s[20:21]
	s_cmp_gt_u32 s18, 1
	s_cselect_b64 s[2:3], -1, 0
	s_xor_b64 s[20:21], vcc, -1
	s_or_b64 s[2:3], s[20:21], s[2:3]
	s_add_u32 s18, s18, 1
	s_addc_u32 s19, s19, 0
	s_and_b64 s[2:3], exec, s[2:3]
	s_or_b64 s[16:17], s[2:3], s[16:17]
	v_subrev_u32_e32 v12, 64, v12
	s_andn2_b64 exec, exec, s[16:17]
	s_cbranch_execz .LBB340_4
.LBB340_19:                             ;   Parent Loop BB340_5 Depth=1
                                        ; =>  This Inner Loop Header: Depth=2
	v_cmp_ne_u32_e32 vcc, 0, v12
	v_cmp_eq_u32_e64 s[2:3], 0, v12
	s_and_saveexec_b64 s[20:21], s[2:3]
	s_cbranch_execz .LBB340_18
; %bb.20:                               ;   in Loop: Header=BB340_19 Depth=2
	s_cmp_eq_u32 s18, 1
	s_cselect_b64 s[2:3], -1, 0
	s_cmp_eq_u32 s18, 2
	v_cndmask_b32_e64 v13, v15, v16, s[2:3]
	s_cselect_b64 s[2:3], -1, 0
	v_cndmask_b32_e64 v13, v13, v17, s[2:3]
	v_add_f32_e32 v5, v5, v13
	global_store_dwordx2 v[10:11], v[8:9], off offset:24
	s_branch .LBB340_18
.LBB340_21:
	s_and_b32 s13, s12, 3
	s_cmp_eq_u32 s13, 0
	s_mov_b32 s15, 0
	s_cbranch_scc1 .LBB340_28
; %bb.22:
	s_mov_b32 s20, s15
	s_branch .LBB340_24
.LBB340_23:                             ;   in Loop: Header=BB340_24 Depth=1
	s_or_b64 exec, exec, s[6:7]
	s_add_i32 s14, s14, 1
	s_add_i32 s20, s20, 1
	s_cmp_lg_u32 s20, s13
	s_cbranch_scc0 .LBB340_28
.LBB340_24:                             ; =>This Loop Header: Depth=1
                                        ;     Child Loop BB340_26 Depth 2
	v_lshl_add_u64 v[8:9], s[14:15], 3, v[6:7]
	global_load_dwordx2 v[8:9], v[8:9], off
	v_add_u32_e32 v10, s14, v2
	v_ashrrev_i32_e32 v11, 31, v10
	s_mov_b64 s[6:7], 0
	s_waitcnt lgkmcnt(0)
	v_lshl_add_u64 v[10:11], v[10:11], 3, s[4:5]
	s_mov_b64 s[16:17], 0
	s_waitcnt vmcnt(0)
	v_ashrrev_i32_e32 v9, 31, v8
	v_add_u32_e32 v3, v4, v8
	s_branch .LBB340_26
.LBB340_25:                             ;   in Loop: Header=BB340_26 Depth=2
	s_or_b64 exec, exec, s[18:19]
	s_cmp_gt_u32 s16, 1
	s_cselect_b64 s[2:3], -1, 0
	s_xor_b64 s[18:19], vcc, -1
	s_or_b64 s[2:3], s[18:19], s[2:3]
	s_add_u32 s16, s16, 1
	s_addc_u32 s17, s17, 0
	s_and_b64 s[2:3], exec, s[2:3]
	s_or_b64 s[6:7], s[2:3], s[6:7]
	v_subrev_u32_e32 v3, 64, v3
	s_andn2_b64 exec, exec, s[6:7]
	s_cbranch_execz .LBB340_23
.LBB340_26:                             ;   Parent Loop BB340_24 Depth=1
                                        ; =>  This Inner Loop Header: Depth=2
	v_cmp_ne_u32_e32 vcc, 0, v3
	v_cmp_eq_u32_e64 s[2:3], 0, v3
	s_and_saveexec_b64 s[18:19], s[2:3]
	s_cbranch_execz .LBB340_25
; %bb.27:                               ;   in Loop: Header=BB340_26 Depth=2
	s_cmp_eq_u32 s16, 1
	s_cselect_b64 s[2:3], -1, 0
	s_cmp_eq_u32 s16, 2
	v_cndmask_b32_e64 v12, v15, v16, s[2:3]
	s_cselect_b64 s[2:3], -1, 0
	v_cndmask_b32_e64 v12, v12, v17, s[2:3]
	v_add_f32_e32 v5, v5, v12
	global_store_dwordx2 v[10:11], v[8:9], off
	s_branch .LBB340_25
.LBB340_28:
	s_waitcnt lgkmcnt(0)
	s_load_dword s4, s[0:1], 0x3c
	s_waitcnt lgkmcnt(0)
	s_bitcmp1_b32 s4, 0
	s_cselect_b64 s[2:3], -1, 0
	s_bitcmp0_b32 s4, 0
	s_cbranch_scc0 .LBB340_31
; %bb.29:
	s_load_dwordx2 s[4:5], s[0:1], 0x40
	s_andn2_b64 vcc, exec, s[2:3]
	s_waitcnt lgkmcnt(0)
	v_cvt_f32_f64_e32 v10, s[4:5]
	s_cbranch_vccz .LBB340_32
.LBB340_30:
	s_andn2_b64 vcc, exec, s[8:9]
	s_cbranch_vccz .LBB340_33
	s_branch .LBB340_69
.LBB340_31:
	v_mbcnt_lo_u32_b32 v3, -1, 0
	v_mbcnt_hi_u32_b32 v3, -1, v3
	v_and_b32_e32 v4, 64, v3
	v_add_u32_e32 v4, 64, v4
	v_xor_b32_e32 v6, 32, v3
	v_cmp_lt_i32_e32 vcc, v6, v4
	v_xor_b32_e32 v7, 16, v3
	s_nop 0
	v_cndmask_b32_e32 v6, v3, v6, vcc
	v_lshlrev_b32_e32 v6, 2, v6
	ds_bpermute_b32 v6, v6, v5
	v_cmp_lt_i32_e32 vcc, v7, v4
	s_waitcnt lgkmcnt(0)
	v_add_f32_e32 v5, v5, v6
	v_cndmask_b32_e32 v6, v3, v7, vcc
	v_lshlrev_b32_e32 v6, 2, v6
	ds_bpermute_b32 v6, v6, v5
	v_xor_b32_e32 v7, 8, v3
	v_cmp_lt_i32_e32 vcc, v7, v4
	s_waitcnt lgkmcnt(0)
	v_add_f32_e32 v5, v5, v6
	v_cndmask_b32_e32 v6, v3, v7, vcc
	v_lshlrev_b32_e32 v6, 2, v6
	ds_bpermute_b32 v6, v6, v5
	v_xor_b32_e32 v7, 4, v3
	;; [unrolled: 7-line block ×4, first 2 shown]
	v_cmp_lt_i32_e32 vcc, v7, v4
	s_waitcnt lgkmcnt(0)
	v_add_f32_e32 v5, v5, v6
	v_cndmask_b32_e32 v3, v3, v7, vcc
	v_lshlrev_b32_e32 v3, 2, v3
	ds_bpermute_b32 v3, v3, v5
	s_waitcnt lgkmcnt(0)
	v_add_f32_e32 v5, v5, v3
	s_load_dwordx2 s[4:5], s[0:1], 0x40
	s_andn2_b64 vcc, exec, s[2:3]
	s_waitcnt lgkmcnt(0)
	v_cvt_f32_f64_e32 v10, s[4:5]
	s_cbranch_vccnz .LBB340_30
.LBB340_32:
	v_cmp_lt_f32_e32 vcc, 0, v5
	s_nop 1
	v_cndmask_b32_e32 v3, 1.0, v5, vcc
	v_div_scale_f32 v4, s[2:3], v3, v3, v10
	v_rcp_f32_e32 v5, v4
	s_nop 0
	v_fma_f32 v6, -v4, v5, 1.0
	v_fmac_f32_e32 v5, v6, v5
	v_div_scale_f32 v6, vcc, v10, v3, v10
	v_mul_f32_e32 v7, v6, v5
	v_fma_f32 v8, -v4, v7, v6
	v_fmac_f32_e32 v7, v8, v5
	v_fma_f32 v4, -v4, v7, v6
	v_div_fmas_f32 v4, v4, v5, v7
	v_div_fixup_f32 v10, v4, v3, v10
	s_andn2_b64 vcc, exec, s[8:9]
	s_cbranch_vccnz .LBB340_69
.LBB340_33:
	s_load_dwordx2 s[0:1], s[0:1], 0x10
	v_or_b32_e32 v11, 64, v14
	v_or_b32_e32 v12, 0x80, v14
	s_cmp_lt_u32 s12, 4
	s_mov_b32 s2, 0
	s_cbranch_scc1 .LBB340_60
; %bb.34:
	v_ashrrev_i32_e32 v3, 31, v2
	s_waitcnt lgkmcnt(0)
	v_lshl_add_u64 v[4:5], v[2:3], 2, s[0:1]
	v_lshl_add_u64 v[6:7], v[0:1], 3, s[10:11]
	s_and_b32 s2, s12, 0x7ffffffc
	v_lshl_add_u64 v[4:5], v[4:5], 0, 12
	v_lshl_add_u64 v[6:7], v[6:7], 0, 16
	s_mov_b32 s3, 0
	s_branch .LBB340_36
.LBB340_35:                             ;   in Loop: Header=BB340_36 Depth=1
	s_or_b64 exec, exec, s[6:7]
	s_add_i32 s3, s3, 4
	v_lshl_add_u64 v[4:5], v[4:5], 0, 16
	s_cmp_lg_u32 s2, s3
	v_lshl_add_u64 v[6:7], v[6:7], 0, 32
	s_cbranch_scc0 .LBB340_60
.LBB340_36:                             ; =>This Inner Loop Header: Depth=1
	global_load_dword v3, v[6:7], off offset:-16
	v_mov_b64_e32 v[8:9], 0
	s_waitcnt vmcnt(0)
	v_cmp_eq_u32_e64 s[4:5], v14, v3
	v_cmp_ne_u32_e32 vcc, v14, v3
	s_and_saveexec_b64 s[6:7], vcc
	s_cbranch_execz .LBB340_40
; %bb.37:                               ;   in Loop: Header=BB340_36 Depth=1
	v_cmp_eq_u32_e64 s[8:9], v11, v3
	v_cmp_ne_u32_e32 vcc, v11, v3
	v_mov_b64_e32 v[8:9], 1
	s_and_saveexec_b64 s[14:15], vcc
	s_xor_b64 s[14:15], exec, s[14:15]
; %bb.38:                               ;   in Loop: Header=BB340_36 Depth=1
	v_cmp_eq_u32_e32 vcc, v12, v3
	s_andn2_b64 s[8:9], s[8:9], exec
	s_and_b64 s[16:17], vcc, exec
	v_mov_b64_e32 v[8:9], 2
	s_or_b64 s[8:9], s[8:9], s[16:17]
; %bb.39:                               ;   in Loop: Header=BB340_36 Depth=1
	s_or_b64 exec, exec, s[14:15]
	s_andn2_b64 s[4:5], s[4:5], exec
	s_and_b64 s[8:9], s[8:9], exec
	s_or_b64 s[4:5], s[4:5], s[8:9]
.LBB340_40:                             ;   in Loop: Header=BB340_36 Depth=1
	s_or_b64 exec, exec, s[6:7]
	s_and_saveexec_b64 s[6:7], s[4:5]
	s_cbranch_execz .LBB340_42
; %bb.41:                               ;   in Loop: Header=BB340_36 Depth=1
	v_cmp_eq_u32_e32 vcc, 1, v8
	v_add_u32_e32 v18, s3, v2
	v_ashrrev_i32_e32 v19, 31, v18
	v_cndmask_b32_e32 v3, v15, v16, vcc
	v_cmp_eq_u32_e32 vcc, 2, v8
	v_lshl_add_u64 v[8:9], v[18:19], 2, s[0:1]
	s_nop 0
	v_cndmask_b32_e32 v3, v3, v17, vcc
	v_mul_f32_e32 v3, v10, v3
	global_store_dword v[8:9], v3, off
.LBB340_42:                             ;   in Loop: Header=BB340_36 Depth=1
	s_or_b64 exec, exec, s[6:7]
	global_load_dword v3, v[6:7], off offset:-8
	v_mov_b64_e32 v[8:9], 0
	s_waitcnt vmcnt(0)
	v_cmp_eq_u32_e64 s[4:5], v14, v3
	v_cmp_ne_u32_e32 vcc, v14, v3
	s_and_saveexec_b64 s[6:7], vcc
	s_cbranch_execz .LBB340_46
; %bb.43:                               ;   in Loop: Header=BB340_36 Depth=1
	v_cmp_eq_u32_e64 s[8:9], v11, v3
	v_cmp_ne_u32_e32 vcc, v11, v3
	v_mov_b64_e32 v[8:9], 1
	s_and_saveexec_b64 s[14:15], vcc
; %bb.44:                               ;   in Loop: Header=BB340_36 Depth=1
	v_cmp_eq_u32_e32 vcc, v12, v3
	s_andn2_b64 s[8:9], s[8:9], exec
	s_and_b64 s[16:17], vcc, exec
	v_mov_b64_e32 v[8:9], 2
	s_or_b64 s[8:9], s[8:9], s[16:17]
; %bb.45:                               ;   in Loop: Header=BB340_36 Depth=1
	s_or_b64 exec, exec, s[14:15]
	s_andn2_b64 s[4:5], s[4:5], exec
	s_and_b64 s[8:9], s[8:9], exec
	s_or_b64 s[4:5], s[4:5], s[8:9]
.LBB340_46:                             ;   in Loop: Header=BB340_36 Depth=1
	s_or_b64 exec, exec, s[6:7]
	s_and_saveexec_b64 s[6:7], s[4:5]
	s_cbranch_execz .LBB340_48
; %bb.47:                               ;   in Loop: Header=BB340_36 Depth=1
	v_cmp_eq_u32_e32 vcc, 1, v8
	s_nop 1
	v_cndmask_b32_e32 v3, v15, v16, vcc
	v_cmp_eq_u32_e32 vcc, 2, v8
	s_nop 1
	v_cndmask_b32_e32 v3, v3, v17, vcc
	v_mul_f32_e32 v3, v10, v3
	global_store_dword v[4:5], v3, off offset:-8
.LBB340_48:                             ;   in Loop: Header=BB340_36 Depth=1
	s_or_b64 exec, exec, s[6:7]
	global_load_dword v3, v[6:7], off
	v_mov_b64_e32 v[8:9], 0
	s_waitcnt vmcnt(0)
	v_cmp_eq_u32_e64 s[4:5], v14, v3
	v_cmp_ne_u32_e32 vcc, v14, v3
	s_and_saveexec_b64 s[6:7], vcc
	s_cbranch_execz .LBB340_52
; %bb.49:                               ;   in Loop: Header=BB340_36 Depth=1
	v_cmp_eq_u32_e64 s[8:9], v11, v3
	v_cmp_ne_u32_e32 vcc, v11, v3
	v_mov_b64_e32 v[8:9], 1
	s_and_saveexec_b64 s[14:15], vcc
; %bb.50:                               ;   in Loop: Header=BB340_36 Depth=1
	v_cmp_eq_u32_e32 vcc, v12, v3
	s_andn2_b64 s[8:9], s[8:9], exec
	s_and_b64 s[16:17], vcc, exec
	v_mov_b64_e32 v[8:9], 2
	s_or_b64 s[8:9], s[8:9], s[16:17]
; %bb.51:                               ;   in Loop: Header=BB340_36 Depth=1
	s_or_b64 exec, exec, s[14:15]
	s_andn2_b64 s[4:5], s[4:5], exec
	s_and_b64 s[8:9], s[8:9], exec
	s_or_b64 s[4:5], s[4:5], s[8:9]
.LBB340_52:                             ;   in Loop: Header=BB340_36 Depth=1
	s_or_b64 exec, exec, s[6:7]
	s_and_saveexec_b64 s[6:7], s[4:5]
	s_cbranch_execz .LBB340_54
; %bb.53:                               ;   in Loop: Header=BB340_36 Depth=1
	v_cmp_eq_u32_e32 vcc, 1, v8
	s_nop 1
	v_cndmask_b32_e32 v3, v15, v16, vcc
	v_cmp_eq_u32_e32 vcc, 2, v8
	s_nop 1
	v_cndmask_b32_e32 v3, v3, v17, vcc
	v_mul_f32_e32 v3, v10, v3
	global_store_dword v[4:5], v3, off offset:-4
.LBB340_54:                             ;   in Loop: Header=BB340_36 Depth=1
	s_or_b64 exec, exec, s[6:7]
	global_load_dword v3, v[6:7], off offset:8
	v_mov_b64_e32 v[8:9], 0
	s_waitcnt vmcnt(0)
	v_cmp_eq_u32_e64 s[4:5], v14, v3
	v_cmp_ne_u32_e32 vcc, v14, v3
	s_and_saveexec_b64 s[6:7], vcc
	s_cbranch_execz .LBB340_58
; %bb.55:                               ;   in Loop: Header=BB340_36 Depth=1
	v_cmp_eq_u32_e64 s[8:9], v11, v3
	v_cmp_ne_u32_e32 vcc, v11, v3
	v_mov_b64_e32 v[8:9], 1
	s_and_saveexec_b64 s[14:15], vcc
; %bb.56:                               ;   in Loop: Header=BB340_36 Depth=1
	v_cmp_eq_u32_e32 vcc, v12, v3
	s_andn2_b64 s[8:9], s[8:9], exec
	s_and_b64 s[16:17], vcc, exec
	v_mov_b64_e32 v[8:9], 2
	s_or_b64 s[8:9], s[8:9], s[16:17]
; %bb.57:                               ;   in Loop: Header=BB340_36 Depth=1
	s_or_b64 exec, exec, s[14:15]
	s_andn2_b64 s[4:5], s[4:5], exec
	s_and_b64 s[8:9], s[8:9], exec
	s_or_b64 s[4:5], s[4:5], s[8:9]
.LBB340_58:                             ;   in Loop: Header=BB340_36 Depth=1
	s_or_b64 exec, exec, s[6:7]
	s_and_saveexec_b64 s[6:7], s[4:5]
	s_cbranch_execz .LBB340_35
; %bb.59:                               ;   in Loop: Header=BB340_36 Depth=1
	v_cmp_eq_u32_e32 vcc, 1, v8
	s_nop 1
	v_cndmask_b32_e32 v3, v15, v16, vcc
	v_cmp_eq_u32_e32 vcc, 2, v8
	s_nop 1
	v_cndmask_b32_e32 v3, v3, v17, vcc
	v_mul_f32_e32 v3, v10, v3
	global_store_dword v[4:5], v3, off
	s_branch .LBB340_35
.LBB340_60:
	s_and_b32 s12, s12, 3
	s_cmp_eq_u32 s12, 0
	s_mov_b32 s3, 0
	s_cbranch_scc1 .LBB340_69
; %bb.61:
	v_add_u32_e32 v2, s2, v2
	s_lshl_b64 s[2:3], s[2:3], 3
	s_add_u32 s2, s10, s2
	s_addc_u32 s3, s11, s3
	v_lshl_add_u64 v[0:1], v[0:1], 3, s[2:3]
	s_branch .LBB340_63
.LBB340_62:                             ;   in Loop: Header=BB340_63 Depth=1
	s_or_b64 exec, exec, s[4:5]
	s_add_i32 s12, s12, -1
	v_add_u32_e32 v2, 1, v2
	s_cmp_lg_u32 s12, 0
	v_lshl_add_u64 v[0:1], v[0:1], 0, 8
	s_cbranch_scc0 .LBB340_69
.LBB340_63:                             ; =>This Inner Loop Header: Depth=1
	global_load_dword v3, v[0:1], off
	v_mov_b64_e32 v[4:5], 0
	s_waitcnt vmcnt(0)
	v_cmp_eq_u32_e64 s[2:3], v14, v3
	v_cmp_ne_u32_e32 vcc, v14, v3
	s_and_saveexec_b64 s[4:5], vcc
	s_cbranch_execz .LBB340_67
; %bb.64:                               ;   in Loop: Header=BB340_63 Depth=1
	v_cmp_eq_u32_e64 s[6:7], v11, v3
	v_cmp_ne_u32_e32 vcc, v11, v3
	v_mov_b64_e32 v[4:5], 1
	s_and_saveexec_b64 s[8:9], vcc
; %bb.65:                               ;   in Loop: Header=BB340_63 Depth=1
	v_cmp_eq_u32_e32 vcc, v12, v3
	s_andn2_b64 s[6:7], s[6:7], exec
	s_and_b64 s[10:11], vcc, exec
	v_mov_b64_e32 v[4:5], 2
	s_or_b64 s[6:7], s[6:7], s[10:11]
; %bb.66:                               ;   in Loop: Header=BB340_63 Depth=1
	s_or_b64 exec, exec, s[8:9]
	s_andn2_b64 s[2:3], s[2:3], exec
	s_and_b64 s[6:7], s[6:7], exec
	s_or_b64 s[2:3], s[2:3], s[6:7]
.LBB340_67:                             ;   in Loop: Header=BB340_63 Depth=1
	s_or_b64 exec, exec, s[4:5]
	s_and_saveexec_b64 s[4:5], s[2:3]
	s_cbranch_execz .LBB340_62
; %bb.68:                               ;   in Loop: Header=BB340_63 Depth=1
	v_cmp_eq_u32_e32 vcc, 1, v4
	s_nop 1
	v_cndmask_b32_e32 v3, v15, v16, vcc
	v_cmp_eq_u32_e32 vcc, 2, v4
	s_nop 1
	v_cndmask_b32_e32 v3, v3, v17, vcc
	v_mul_f32_e32 v6, v10, v3
	v_ashrrev_i32_e32 v3, 31, v2
	s_waitcnt lgkmcnt(0)
	v_lshl_add_u64 v[4:5], v[2:3], 2, s[0:1]
	global_store_dword v[4:5], v6, off
	s_branch .LBB340_62
.LBB340_69:
	s_endpgm
	.section	.rodata,"a",@progbits
	.p2align	6, 0x0
	.amdhsa_kernel _ZN4vllm3moe22topkGatingSoftplusSqrtILi3ELi192ELi4ELi2ELi64ELb1El6__halfEEvPKT6_PKbPfiPT5_PiiiibdPKfPKS9_SF_
		.amdhsa_group_segment_fixed_size 0
		.amdhsa_private_segment_fixed_size 0
		.amdhsa_kernarg_size 96
		.amdhsa_user_sgpr_count 2
		.amdhsa_user_sgpr_dispatch_ptr 0
		.amdhsa_user_sgpr_queue_ptr 0
		.amdhsa_user_sgpr_kernarg_segment_ptr 1
		.amdhsa_user_sgpr_dispatch_id 0
		.amdhsa_user_sgpr_kernarg_preload_length 0
		.amdhsa_user_sgpr_kernarg_preload_offset 0
		.amdhsa_user_sgpr_private_segment_size 0
		.amdhsa_uses_dynamic_stack 0
		.amdhsa_enable_private_segment 0
		.amdhsa_system_sgpr_workgroup_id_x 1
		.amdhsa_system_sgpr_workgroup_id_y 0
		.amdhsa_system_sgpr_workgroup_id_z 0
		.amdhsa_system_sgpr_workgroup_info 0
		.amdhsa_system_vgpr_workitem_id 1
		.amdhsa_next_free_vgpr 21
		.amdhsa_next_free_sgpr 22
		.amdhsa_accum_offset 24
		.amdhsa_reserve_vcc 1
		.amdhsa_float_round_mode_32 0
		.amdhsa_float_round_mode_16_64 0
		.amdhsa_float_denorm_mode_32 3
		.amdhsa_float_denorm_mode_16_64 3
		.amdhsa_dx10_clamp 1
		.amdhsa_ieee_mode 1
		.amdhsa_fp16_overflow 0
		.amdhsa_tg_split 0
		.amdhsa_exception_fp_ieee_invalid_op 0
		.amdhsa_exception_fp_denorm_src 0
		.amdhsa_exception_fp_ieee_div_zero 0
		.amdhsa_exception_fp_ieee_overflow 0
		.amdhsa_exception_fp_ieee_underflow 0
		.amdhsa_exception_fp_ieee_inexact 0
		.amdhsa_exception_int_div_zero 0
	.end_amdhsa_kernel
	.section	.text._ZN4vllm3moe22topkGatingSoftplusSqrtILi3ELi192ELi4ELi2ELi64ELb1El6__halfEEvPKT6_PKbPfiPT5_PiiiibdPKfPKS9_SF_,"axG",@progbits,_ZN4vllm3moe22topkGatingSoftplusSqrtILi3ELi192ELi4ELi2ELi64ELb1El6__halfEEvPKT6_PKbPfiPT5_PiiiibdPKfPKS9_SF_,comdat
.Lfunc_end340:
	.size	_ZN4vllm3moe22topkGatingSoftplusSqrtILi3ELi192ELi4ELi2ELi64ELb1El6__halfEEvPKT6_PKbPfiPT5_PiiiibdPKfPKS9_SF_, .Lfunc_end340-_ZN4vllm3moe22topkGatingSoftplusSqrtILi3ELi192ELi4ELi2ELi64ELb1El6__halfEEvPKT6_PKbPfiPT5_PiiiibdPKfPKS9_SF_
                                        ; -- End function
	.section	.AMDGPU.csdata,"",@progbits
; Kernel info:
; codeLenInByte = 3264
; NumSgprs: 28
; NumVgprs: 21
; NumAgprs: 0
; TotalNumVgprs: 21
; ScratchSize: 0
; MemoryBound: 0
; FloatMode: 240
; IeeeMode: 1
; LDSByteSize: 0 bytes/workgroup (compile time only)
; SGPRBlocks: 3
; VGPRBlocks: 2
; NumSGPRsForWavesPerEU: 28
; NumVGPRsForWavesPerEU: 21
; AccumOffset: 24
; Occupancy: 8
; WaveLimiterHint : 1
; COMPUTE_PGM_RSRC2:SCRATCH_EN: 0
; COMPUTE_PGM_RSRC2:USER_SGPR: 2
; COMPUTE_PGM_RSRC2:TRAP_HANDLER: 0
; COMPUTE_PGM_RSRC2:TGID_X_EN: 1
; COMPUTE_PGM_RSRC2:TGID_Y_EN: 0
; COMPUTE_PGM_RSRC2:TGID_Z_EN: 0
; COMPUTE_PGM_RSRC2:TIDIG_COMP_CNT: 1
; COMPUTE_PGM_RSRC3_GFX90A:ACCUM_OFFSET: 5
; COMPUTE_PGM_RSRC3_GFX90A:TG_SPLIT: 0
	.section	.text._ZN4vllm3moe22topkGatingSoftplusSqrtILi3ELi192ELi4ELi2ELi64ELb0El6__halfEEvPKT6_PKbPfiPT5_PiiiibdPKfPKS9_SF_,"axG",@progbits,_ZN4vllm3moe22topkGatingSoftplusSqrtILi3ELi192ELi4ELi2ELi64ELb0El6__halfEEvPKT6_PKbPfiPT5_PiiiibdPKfPKS9_SF_,comdat
	.protected	_ZN4vllm3moe22topkGatingSoftplusSqrtILi3ELi192ELi4ELi2ELi64ELb0El6__halfEEvPKT6_PKbPfiPT5_PiiiibdPKfPKS9_SF_ ; -- Begin function _ZN4vllm3moe22topkGatingSoftplusSqrtILi3ELi192ELi4ELi2ELi64ELb0El6__halfEEvPKT6_PKbPfiPT5_PiiiibdPKfPKS9_SF_
	.globl	_ZN4vllm3moe22topkGatingSoftplusSqrtILi3ELi192ELi4ELi2ELi64ELb0El6__halfEEvPKT6_PKbPfiPT5_PiiiibdPKfPKS9_SF_
	.p2align	8
	.type	_ZN4vllm3moe22topkGatingSoftplusSqrtILi3ELi192ELi4ELi2ELi64ELb0El6__halfEEvPKT6_PKbPfiPT5_PiiiibdPKfPKS9_SF_,@function
_ZN4vllm3moe22topkGatingSoftplusSqrtILi3ELi192ELi4ELi2ELi64ELb0El6__halfEEvPKT6_PKbPfiPT5_PiiiibdPKfPKS9_SF_: ; @_ZN4vllm3moe22topkGatingSoftplusSqrtILi3ELi192ELi4ELi2ELi64ELb0El6__halfEEvPKT6_PKbPfiPT5_PiiiibdPKfPKS9_SF_
; %bb.0:
	s_load_dword s30, s[0:1], 0x18
	v_and_b32_e32 v1, 0x3ff, v0
	s_lshl_b32 s2, s2, 2
	v_lshrrev_b32_e32 v2, 6, v1
	v_bfe_u32 v0, v0, 10, 10
	v_add3_u32 v4, s2, v0, v2
	s_waitcnt lgkmcnt(0)
	v_cmp_gt_i32_e32 vcc, s30, v4
	s_and_saveexec_b64 s[2:3], vcc
	s_cbranch_execz .LBB341_55
; %bb.1:
	s_load_dwordx4 s[4:7], s[0:1], 0x0
	s_load_dwordx2 s[20:21], s[0:1], 0x10
	s_waitcnt lgkmcnt(0)
	s_cmp_eq_u64 s[6:7], 0
	s_cbranch_scc1 .LBB341_3
; %bb.2:
	v_ashrrev_i32_e32 v5, 31, v4
	v_lshl_add_u64 v[2:3], s[6:7], 0, v[4:5]
	global_load_ubyte v0, v[2:3], off
	s_waitcnt vmcnt(0)
	v_and_b32_e32 v0, 1, v0
	v_cmp_eq_u32_e32 vcc, 1, v0
	s_xor_b64 s[2:3], vcc, -1
	s_orn2_b64 s[22:23], s[2:3], exec
	s_branch .LBB341_4
.LBB341_3:
	s_mov_b64 s[22:23], -1
.LBB341_4:
	s_movk_i32 s2, 0xc0
	v_mul_lo_u32 v6, v4, s2
	v_mov_b32_e32 v2, s4
	v_mov_b32_e32 v3, s5
	v_ashrrev_i32_e32 v7, 31, v6
	v_lshl_add_u64 v[2:3], v[6:7], 1, v[2:3]
	v_and_b32_e32 v6, 63, v1
	v_mov_b32_e32 v1, 0
	v_lshlrev_b32_e32 v0, 1, v6
	v_lshl_add_u64 v[8:9], v[2:3], 0, v[0:1]
	global_load_ushort v0, v[8:9], off
	global_load_ushort v1, v[8:9], off offset:128
	global_load_ushort v2, v[8:9], off offset:256
	s_mov_b32 s16, 0x800000
	v_mov_b32_e32 v7, 0x4f800000
	s_mov_b32 s7, 0x3f317217
	s_mov_b32 s14, 0x7f800000
	v_mov_b32_e32 v8, 0x41b17218
	s_movk_i32 s6, 0x4d00
	s_mov_b32 s15, 0xf800000
	s_load_dwordx4 s[8:11], s[0:1], 0x40
	s_waitcnt lgkmcnt(0)
	s_cmp_lg_u64 s[10:11], 0
	s_cselect_b64 s[12:13], -1, 0
	s_and_b64 s[2:3], exec, s[12:13]
	s_waitcnt vmcnt(2)
	v_cvt_f32_f16_e32 v9, v0
	v_mul_f32_e32 v3, 0x3fb8aa3b, v9
	v_exp_f32_e32 v3, v3
	s_nop 0
	v_add_f32_e32 v3, 1.0, v3
	v_cmp_gt_f32_e32 vcc, s16, v3
	s_nop 1
	v_cndmask_b32_e32 v5, 1.0, v7, vcc
	v_mul_f32_e32 v3, v3, v5
	v_log_f32_e32 v10, v3
	v_cndmask_b32_e32 v11, 0, v8, vcc
	v_mov_b32_e32 v5, 0x260
	v_lshlrev_b32_e32 v3, 2, v6
	v_mul_f32_e32 v12, 0x3f317217, v10
	v_fma_f32 v12, v10, s7, -v12
	v_fmac_f32_e32 v12, 0x3377d1cf, v10
	v_fmac_f32_e32 v12, 0x3f317217, v10
	v_cmp_lt_f32_e64 vcc, |v10|, s14
	s_nop 1
	v_cndmask_b32_e32 v10, v10, v12, vcc
	v_sub_f32_e32 v10, v10, v11
	v_cmp_lt_f16_e32 vcc, s6, v0
	s_nop 1
	v_cndmask_b32_e32 v0, v10, v9, vcc
	v_mul_f32_e32 v9, 0x4f800000, v0
	v_cmp_gt_f32_e32 vcc, s15, v0
	s_nop 1
	v_cndmask_b32_e32 v0, v0, v9, vcc
	v_sqrt_f32_e32 v9, v0
	s_nop 0
	v_add_u32_e32 v10, -1, v9
	v_add_u32_e32 v11, 1, v9
	v_fma_f32 v12, -v10, v9, v0
	v_fma_f32 v13, -v11, v9, v0
	v_cmp_ge_f32_e64 s[4:5], 0, v12
	s_nop 1
	v_cndmask_b32_e64 v9, v9, v10, s[4:5]
	v_cmp_lt_f32_e64 s[4:5], 0, v13
	s_nop 1
	v_cndmask_b32_e64 v9, v9, v11, s[4:5]
	v_mul_f32_e32 v10, 0x37800000, v9
	v_cndmask_b32_e32 v9, v9, v10, vcc
	v_cmp_class_f32_e32 vcc, v0, v5
	s_nop 1
	v_cndmask_b32_e32 v0, v9, v0, vcc
	s_mov_b64 vcc, s[2:3]
	s_cbranch_vccz .LBB341_6
; %bb.5:
	global_load_dword v9, v3, s[10:11]
	s_waitcnt vmcnt(0)
	v_add_f32_e32 v0, v0, v9
.LBB341_6:
	s_waitcnt vmcnt(1)
	v_cvt_f32_f16_e32 v9, v1
	v_mul_f32_e32 v10, 0x3fb8aa3b, v9
	v_exp_f32_e32 v10, v10
	s_nop 0
	v_add_f32_e32 v10, 1.0, v10
	v_cmp_gt_f32_e32 vcc, s16, v10
	s_nop 1
	v_cndmask_b32_e32 v7, 1.0, v7, vcc
	v_mul_f32_e32 v7, v10, v7
	v_log_f32_e32 v7, v7
	v_cndmask_b32_e32 v8, 0, v8, vcc
	v_mul_f32_e32 v10, 0x3f317217, v7
	v_fma_f32 v10, v7, s7, -v10
	v_fmac_f32_e32 v10, 0x3377d1cf, v7
	v_fmac_f32_e32 v10, 0x3f317217, v7
	v_cmp_lt_f32_e64 vcc, |v7|, s14
	s_nop 1
	v_cndmask_b32_e32 v7, v7, v10, vcc
	v_sub_f32_e32 v7, v7, v8
	v_cmp_lt_f16_e32 vcc, s6, v1
	v_cndmask_b32_e64 v8, 0, 1, s[12:13]
	v_cmp_ne_u32_e64 s[6:7], 1, v8
	v_cndmask_b32_e32 v1, v7, v9, vcc
	v_mul_f32_e32 v7, 0x4f800000, v1
	v_cmp_gt_f32_e64 s[2:3], s15, v1
	s_andn2_b64 vcc, exec, s[12:13]
	s_nop 0
	v_cndmask_b32_e64 v1, v1, v7, s[2:3]
	v_sqrt_f32_e32 v7, v1
	s_nop 0
	v_add_u32_e32 v8, -1, v7
	v_add_u32_e32 v9, 1, v7
	v_fma_f32 v10, -v8, v7, v1
	v_fma_f32 v11, -v9, v7, v1
	v_cmp_ge_f32_e64 s[4:5], 0, v10
	s_nop 1
	v_cndmask_b32_e64 v7, v7, v8, s[4:5]
	v_cmp_lt_f32_e64 s[4:5], 0, v11
	s_nop 1
	v_cndmask_b32_e64 v7, v7, v9, s[4:5]
	v_mul_f32_e32 v8, 0x37800000, v7
	v_cndmask_b32_e64 v7, v7, v8, s[2:3]
	v_cmp_class_f32_e64 s[2:3], v1, v5
	s_nop 1
	v_cndmask_b32_e64 v1, v7, v1, s[2:3]
	s_cbranch_vccnz .LBB341_8
; %bb.7:
	global_load_dword v5, v3, s[10:11] offset:256
	s_waitcnt vmcnt(0)
	v_add_f32_e32 v1, v1, v5
.LBB341_8:
	s_waitcnt vmcnt(0)
	v_cvt_f32_f16_e32 v5, v2
	s_mov_b32 s3, 0x800000
	v_mov_b32_e32 v8, 0x4f800000
	s_mov_b32 s4, 0x3f317217
	v_mul_f32_e32 v7, 0x3fb8aa3b, v5
	v_exp_f32_e32 v7, v7
	s_movk_i32 s2, 0x4d00
	v_add_f32_e32 v7, 1.0, v7
	v_cmp_gt_f32_e32 vcc, s3, v7
	s_mov_b32 s3, 0x7f800000
	s_nop 0
	v_cndmask_b32_e32 v8, 1.0, v8, vcc
	v_mul_f32_e32 v7, v7, v8
	v_log_f32_e32 v7, v7
	v_mov_b32_e32 v8, 0x41b17218
	v_cndmask_b32_e32 v8, 0, v8, vcc
	v_mul_f32_e32 v9, 0x3f317217, v7
	v_fma_f32 v9, v7, s4, -v9
	v_fmamk_f32 v9, v7, 0x3377d1cf, v9
	v_fmac_f32_e32 v9, 0x3f317217, v7
	v_cmp_lt_f32_e64 vcc, |v7|, s3
	s_nop 1
	v_cndmask_b32_e32 v7, v7, v9, vcc
	v_sub_f32_e32 v7, v7, v8
	v_cmp_lt_f16_e32 vcc, s2, v2
	s_mov_b32 s2, 0xf800000
	s_nop 0
	v_cndmask_b32_e32 v2, v7, v5, vcc
	v_mul_f32_e32 v5, 0x4f800000, v2
	v_cmp_gt_f32_e32 vcc, s2, v2
	s_nop 1
	v_cndmask_b32_e32 v2, v2, v5, vcc
	v_sqrt_f32_e32 v5, v2
	s_nop 0
	v_add_u32_e32 v7, -1, v5
	v_fma_f32 v8, -v7, v5, v2
	v_cmp_ge_f32_e64 s[2:3], 0, v8
	v_add_u32_e32 v8, 1, v5
	s_nop 0
	v_cndmask_b32_e64 v7, v5, v7, s[2:3]
	v_fma_f32 v5, -v8, v5, v2
	v_cmp_lt_f32_e64 s[2:3], 0, v5
	s_nop 1
	v_cndmask_b32_e64 v5, v7, v8, s[2:3]
	v_mul_f32_e32 v7, 0x37800000, v5
	v_cndmask_b32_e32 v5, v5, v7, vcc
	v_mov_b32_e32 v7, 0x260
	v_cmp_class_f32_e64 s[2:3], v2, v7
	s_and_b64 vcc, exec, s[6:7]
	s_nop 0
	v_cndmask_b32_e64 v2, v5, v2, s[2:3]
	s_cbranch_vccnz .LBB341_10
; %bb.9:
	global_load_dword v3, v3, s[10:11] offset:512
	s_waitcnt vmcnt(0)
	v_add_f32_e32 v2, v2, v3
.LBB341_10:
	s_load_dwordx4 s[12:15], s[0:1], 0x30
	v_cmp_eq_u32_e64 s[4:5], 0, v6
	s_waitcnt lgkmcnt(0)
	s_bitcmp1_b32 s15, 0
	s_cselect_b64 s[2:3], -1, 0
	s_cmp_gt_i32 s12, 0
	s_cselect_b64 s[24:25], -1, 0
	s_and_b64 vcc, exec, s[24:25]
	s_cbranch_vccz .LBB341_41
; %bb.11:
	v_mbcnt_lo_u32_b32 v3, -1, 0
	v_mbcnt_hi_u32_b32 v3, -1, v3
	v_and_b32_e32 v5, 64, v3
	v_add_u32_e32 v8, 64, v5
	v_xor_b32_e32 v9, 32, v3
	v_cmp_lt_i32_e32 vcc, v9, v8
	s_load_dwordx4 s[16:19], s[0:1], 0x20
	s_mov_b32 s15, 0
	v_cndmask_b32_e32 v9, v3, v9, vcc
	v_lshlrev_b32_e32 v11, 2, v9
	v_xor_b32_e32 v9, 16, v3
	v_cmp_lt_i32_e32 vcc, v9, v8
	v_mul_lo_u32 v5, v4, s12
	v_or_b32_e32 v7, 64, v6
	v_cndmask_b32_e32 v9, v3, v9, vcc
	v_lshlrev_b32_e32 v12, 2, v9
	v_xor_b32_e32 v9, 8, v3
	v_cmp_lt_i32_e32 vcc, v9, v8
	v_or_b32_e32 v10, 0x80, v6
	v_mov_b32_e32 v17, 0xc0
	v_cndmask_b32_e32 v9, v3, v9, vcc
	v_lshlrev_b32_e32 v13, 2, v9
	v_xor_b32_e32 v9, 4, v3
	v_cmp_lt_i32_e32 vcc, v9, v8
	v_mov_b32_e32 v18, 0xc61c4000
	v_mov_b32_e32 v19, v4
	v_cndmask_b32_e32 v9, v3, v9, vcc
	v_lshlrev_b32_e32 v14, 2, v9
	v_xor_b32_e32 v9, 2, v3
	v_cmp_lt_i32_e32 vcc, v9, v8
	s_nop 1
	v_cndmask_b32_e32 v9, v3, v9, vcc
	v_lshlrev_b32_e32 v15, 2, v9
	v_xor_b32_e32 v9, 1, v3
	v_cmp_lt_i32_e32 vcc, v9, v8
	s_nop 1
	v_cndmask_b32_e32 v3, v3, v9, vcc
	v_lshlrev_b32_e32 v16, 2, v3
	v_mov_b32_e32 v3, 0
	s_branch .LBB341_14
.LBB341_12:                             ;   in Loop: Header=BB341_14 Depth=1
	v_add_u32_e32 v22, s15, v5
	v_cmp_le_i32_e32 vcc, s13, v8
	v_cmp_gt_i32_e64 s[0:1], s14, v8
	v_ashrrev_i32_e32 v23, 31, v22
	s_and_b64 s[0:1], vcc, s[0:1]
	v_lshlrev_b64 v[24:25], 2, v[22:23]
	v_subrev_u32_e32 v9, s13, v8
	v_lshl_add_u64 v[26:27], s[20:21], 0, v[24:25]
	s_waitcnt lgkmcnt(0)
	v_ashrrev_i32_e32 v21, 31, v9
	s_and_b64 vcc, s[22:23], s[0:1]
	global_store_dword v[26:27], v20, off
	v_cndmask_b32_e32 v27, 0, v21, vcc
	v_cndmask_b32_e32 v26, v17, v9, vcc
	v_lshl_add_u64 v[22:23], v[22:23], 3, s[16:17]
	v_add_f32_e32 v9, v3, v20
	global_store_dwordx2 v[22:23], v[26:27], off
	v_lshl_add_u64 v[22:23], s[18:19], 0, v[24:25]
	v_cndmask_b32_e64 v3, v3, v9, s[2:3]
	global_store_dword v[22:23], v19, off
.LBB341_13:                             ;   in Loop: Header=BB341_14 Depth=1
	s_or_b64 exec, exec, s[26:27]
	v_ashrrev_i32_e32 v9, 31, v8
	v_lshrrev_b32_e32 v9, 26, v9
	v_add_u32_e32 v9, v8, v9
	v_ashrrev_i32_e32 v20, 6, v9
	v_and_b32_e32 v9, 0xffffffc0, v9
	s_add_i32 s15, s15, 1
	v_sub_u32_e32 v8, v8, v9
	v_cmp_ne_u32_e64 s[0:1], 0, v20
	s_cmp_lt_i32 s15, s12
	v_cmp_eq_u32_e32 vcc, v6, v8
	v_cndmask_b32_e64 v8, v18, v0, s[0:1]
	v_cmp_ne_u32_e64 s[0:1], 1, v20
	s_cselect_b64 s[26:27], -1, 0
	s_and_b64 vcc, s[26:27], vcc
	v_cndmask_b32_e64 v9, v18, v1, s[0:1]
	v_cmp_ne_u32_e64 s[0:1], 2, v20
	v_cndmask_b32_e32 v1, v1, v9, vcc
	v_cndmask_b32_e32 v0, v0, v8, vcc
	v_cndmask_b32_e64 v20, v18, v2, s[0:1]
	v_cndmask_b32_e32 v2, v2, v20, vcc
	s_cmp_eq_u32 s12, s15
	v_add_u32_e32 v19, s30, v19
	s_cbranch_scc1 .LBB341_42
.LBB341_14:                             ; =>This Inner Loop Header: Depth=1
	v_cmp_gt_f32_e32 vcc, v1, v0
	s_nop 1
	v_cndmask_b32_e32 v9, v0, v1, vcc
	v_cndmask_b32_e32 v8, v6, v7, vcc
	v_cmp_gt_f32_e32 vcc, v2, v9
	s_nop 1
	v_cndmask_b32_e32 v20, v9, v2, vcc
	v_cndmask_b32_e32 v8, v8, v10, vcc
	ds_bpermute_b32 v9, v11, v20
	s_waitcnt lgkmcnt(0)
	ds_bpermute_b32 v21, v11, v8
	s_waitcnt lgkmcnt(0)
	v_cmp_lt_f32_e64 s[26:27], v20, v9
	v_cmp_nlt_f32_e32 vcc, v20, v9
	s_and_saveexec_b64 s[28:29], vcc
; %bb.15:                               ;   in Loop: Header=BB341_14 Depth=1
	v_cmp_eq_f32_e32 vcc, v20, v9
	v_cmp_lt_i32_e64 s[0:1], v21, v8
	s_and_b64 s[0:1], vcc, s[0:1]
	s_andn2_b64 s[26:27], s[26:27], exec
	s_and_b64 s[0:1], s[0:1], exec
	s_or_b64 s[26:27], s[26:27], s[0:1]
; %bb.16:                               ;   in Loop: Header=BB341_14 Depth=1
	s_or_b64 exec, exec, s[28:29]
	s_and_saveexec_b64 s[0:1], s[26:27]
; %bb.17:                               ;   in Loop: Header=BB341_14 Depth=1
	v_mov_b32_e32 v20, v9
	v_mov_b32_e32 v8, v21
; %bb.18:                               ;   in Loop: Header=BB341_14 Depth=1
	s_or_b64 exec, exec, s[0:1]
	ds_bpermute_b32 v9, v12, v20
	ds_bpermute_b32 v21, v12, v8
	s_waitcnt lgkmcnt(1)
	v_cmp_lt_f32_e64 s[26:27], v20, v9
	v_cmp_nlt_f32_e32 vcc, v20, v9
	s_and_saveexec_b64 s[28:29], vcc
	s_cbranch_execz .LBB341_20
; %bb.19:                               ;   in Loop: Header=BB341_14 Depth=1
	v_cmp_eq_f32_e32 vcc, v20, v9
	s_waitcnt lgkmcnt(0)
	v_cmp_lt_i32_e64 s[0:1], v21, v8
	s_and_b64 s[0:1], vcc, s[0:1]
	s_andn2_b64 s[26:27], s[26:27], exec
	s_and_b64 s[0:1], s[0:1], exec
	s_or_b64 s[26:27], s[26:27], s[0:1]
.LBB341_20:                             ;   in Loop: Header=BB341_14 Depth=1
	s_or_b64 exec, exec, s[28:29]
	s_and_saveexec_b64 s[0:1], s[26:27]
	s_cbranch_execz .LBB341_22
; %bb.21:                               ;   in Loop: Header=BB341_14 Depth=1
	v_mov_b32_e32 v20, v9
	s_waitcnt lgkmcnt(0)
	v_mov_b32_e32 v8, v21
.LBB341_22:                             ;   in Loop: Header=BB341_14 Depth=1
	s_or_b64 exec, exec, s[0:1]
	ds_bpermute_b32 v9, v13, v20
	s_waitcnt lgkmcnt(1)
	ds_bpermute_b32 v21, v13, v8
	s_waitcnt lgkmcnt(1)
	v_cmp_lt_f32_e64 s[26:27], v20, v9
	v_cmp_nlt_f32_e32 vcc, v20, v9
	s_and_saveexec_b64 s[28:29], vcc
	s_cbranch_execz .LBB341_24
; %bb.23:                               ;   in Loop: Header=BB341_14 Depth=1
	v_cmp_eq_f32_e32 vcc, v20, v9
	s_waitcnt lgkmcnt(0)
	v_cmp_lt_i32_e64 s[0:1], v21, v8
	s_and_b64 s[0:1], vcc, s[0:1]
	s_andn2_b64 s[26:27], s[26:27], exec
	s_and_b64 s[0:1], s[0:1], exec
	s_or_b64 s[26:27], s[26:27], s[0:1]
.LBB341_24:                             ;   in Loop: Header=BB341_14 Depth=1
	s_or_b64 exec, exec, s[28:29]
	s_and_saveexec_b64 s[0:1], s[26:27]
	s_cbranch_execz .LBB341_26
; %bb.25:                               ;   in Loop: Header=BB341_14 Depth=1
	v_mov_b32_e32 v20, v9
	s_waitcnt lgkmcnt(0)
	v_mov_b32_e32 v8, v21
.LBB341_26:                             ;   in Loop: Header=BB341_14 Depth=1
	s_or_b64 exec, exec, s[0:1]
	ds_bpermute_b32 v9, v14, v20
	s_waitcnt lgkmcnt(1)
	;; [unrolled: 26-line block ×4, first 2 shown]
	ds_bpermute_b32 v21, v16, v8
	s_waitcnt lgkmcnt(1)
	v_cmp_lt_f32_e64 s[26:27], v20, v9
	v_cmp_nlt_f32_e32 vcc, v20, v9
	s_and_saveexec_b64 s[28:29], vcc
	s_cbranch_execnz .LBB341_37
; %bb.35:                               ;   in Loop: Header=BB341_14 Depth=1
	s_or_b64 exec, exec, s[28:29]
	s_and_saveexec_b64 s[0:1], s[26:27]
	s_cbranch_execnz .LBB341_38
.LBB341_36:                             ;   in Loop: Header=BB341_14 Depth=1
	s_or_b64 exec, exec, s[0:1]
	s_and_saveexec_b64 s[26:27], s[4:5]
	s_cbranch_execz .LBB341_13
	s_branch .LBB341_39
.LBB341_37:                             ;   in Loop: Header=BB341_14 Depth=1
	v_cmp_eq_f32_e32 vcc, v20, v9
	s_waitcnt lgkmcnt(0)
	v_cmp_lt_i32_e64 s[0:1], v21, v8
	s_and_b64 s[0:1], vcc, s[0:1]
	s_andn2_b64 s[26:27], s[26:27], exec
	s_and_b64 s[0:1], s[0:1], exec
	s_or_b64 s[26:27], s[26:27], s[0:1]
	s_or_b64 exec, exec, s[28:29]
	s_and_saveexec_b64 s[0:1], s[26:27]
	s_cbranch_execz .LBB341_36
.LBB341_38:                             ;   in Loop: Header=BB341_14 Depth=1
	s_waitcnt lgkmcnt(0)
	v_mov_b32_e32 v8, v21
	v_mov_b32_e32 v20, v9
	s_or_b64 exec, exec, s[0:1]
	s_and_saveexec_b64 s[26:27], s[4:5]
	s_cbranch_execz .LBB341_13
.LBB341_39:                             ;   in Loop: Header=BB341_14 Depth=1
	s_and_b64 vcc, exec, s[6:7]
	s_cbranch_vccnz .LBB341_12
; %bb.40:                               ;   in Loop: Header=BB341_14 Depth=1
	v_ashrrev_i32_e32 v9, 31, v8
	v_lshl_add_u64 v[22:23], v[8:9], 2, s[10:11]
	global_load_dword v9, v[22:23], off
	s_waitcnt vmcnt(0)
	v_sub_f32_e32 v20, v20, v9
	s_branch .LBB341_12
.LBB341_41:
	v_mov_b32_e32 v3, 0
.LBB341_42:
	v_cmp_eq_u32_e32 vcc, 0, v6
	s_and_b64 exec, exec, vcc
	s_cbranch_execz .LBB341_55
; %bb.43:
	s_andn2_b64 vcc, exec, s[2:3]
	v_cvt_f32_f64_e32 v0, s[8:9]
	s_cbranch_vccnz .LBB341_45
; %bb.44:
	v_cmp_lt_f32_e32 vcc, 0, v3
	s_nop 1
	v_cndmask_b32_e32 v1, 1.0, v3, vcc
	v_div_scale_f32 v2, s[0:1], v1, v1, v0
	v_rcp_f32_e32 v3, v2
	s_nop 0
	v_fma_f32 v5, -v2, v3, 1.0
	v_fmac_f32_e32 v3, v5, v3
	v_div_scale_f32 v5, vcc, v0, v1, v0
	v_mul_f32_e32 v6, v5, v3
	v_fma_f32 v7, -v2, v6, v5
	v_fmac_f32_e32 v6, v7, v3
	v_fma_f32 v2, -v2, v6, v5
	v_div_fmas_f32 v2, v2, v3, v6
	v_div_fixup_f32 v0, v2, v1, v0
.LBB341_45:
	s_andn2_b64 vcc, exec, s[24:25]
	s_cbranch_vccnz .LBB341_55
; %bb.46:
	v_mul_lo_u32 v2, v4, s12
	s_cmp_gt_u32 s12, 3
	v_ashrrev_i32_e32 v3, 31, v2
	s_cbranch_scc0 .LBB341_50
; %bb.47:
	s_and_b32 s0, s12, 0x7ffffffc
	v_lshl_add_u64 v[4:5], v[2:3], 2, s[20:21]
	v_mov_b32_e32 v1, v0
	v_lshl_add_u64 v[4:5], v[4:5], 0, 8
	s_mov_b32 s1, s0
.LBB341_48:                             ; =>This Inner Loop Header: Depth=1
	global_load_dwordx4 v[6:9], v[4:5], off offset:-8
	s_add_i32 s1, s1, -4
	s_cmp_lg_u32 s1, 0
	s_waitcnt vmcnt(0)
	v_pk_mul_f32 v[6:7], v[0:1], v[6:7]
	v_pk_mul_f32 v[8:9], v[0:1], v[8:9]
	global_store_dwordx4 v[4:5], v[6:9], off offset:-8
	v_lshl_add_u64 v[4:5], v[4:5], 0, 16
	s_cbranch_scc1 .LBB341_48
; %bb.49:
	s_cmp_lg_u32 s0, s12
	s_cselect_b64 s[2:3], -1, 0
	s_branch .LBB341_52
.LBB341_50:
	s_mov_b64 s[2:3], 0
                                        ; implicit-def: $sgpr0
	s_cbranch_execz .LBB341_52
; %bb.51:
	s_mov_b64 s[2:3], -1
	s_mov_b32 s0, 0
.LBB341_52:
	s_andn2_b64 vcc, exec, s[2:3]
	s_cbranch_vccnz .LBB341_55
; %bb.53:
	s_mov_b32 s1, 0
	v_lshl_add_u64 v[2:3], v[2:3], 0, s[0:1]
	s_sub_i32 s2, s12, s0
	v_lshl_add_u64 v[2:3], v[2:3], 2, s[20:21]
.LBB341_54:                             ; =>This Inner Loop Header: Depth=1
	global_load_dword v1, v[2:3], off
	s_add_i32 s2, s2, -1
	s_cmp_lg_u32 s2, 0
	s_waitcnt vmcnt(0)
	v_mul_f32_e32 v1, v0, v1
	global_store_dword v[2:3], v1, off
	v_lshl_add_u64 v[2:3], v[2:3], 0, 4
	s_cbranch_scc1 .LBB341_54
.LBB341_55:
	s_endpgm
	.section	.rodata,"a",@progbits
	.p2align	6, 0x0
	.amdhsa_kernel _ZN4vllm3moe22topkGatingSoftplusSqrtILi3ELi192ELi4ELi2ELi64ELb0El6__halfEEvPKT6_PKbPfiPT5_PiiiibdPKfPKS9_SF_
		.amdhsa_group_segment_fixed_size 0
		.amdhsa_private_segment_fixed_size 0
		.amdhsa_kernarg_size 96
		.amdhsa_user_sgpr_count 2
		.amdhsa_user_sgpr_dispatch_ptr 0
		.amdhsa_user_sgpr_queue_ptr 0
		.amdhsa_user_sgpr_kernarg_segment_ptr 1
		.amdhsa_user_sgpr_dispatch_id 0
		.amdhsa_user_sgpr_kernarg_preload_length 0
		.amdhsa_user_sgpr_kernarg_preload_offset 0
		.amdhsa_user_sgpr_private_segment_size 0
		.amdhsa_uses_dynamic_stack 0
		.amdhsa_enable_private_segment 0
		.amdhsa_system_sgpr_workgroup_id_x 1
		.amdhsa_system_sgpr_workgroup_id_y 0
		.amdhsa_system_sgpr_workgroup_id_z 0
		.amdhsa_system_sgpr_workgroup_info 0
		.amdhsa_system_vgpr_workitem_id 1
		.amdhsa_next_free_vgpr 28
		.amdhsa_next_free_sgpr 31
		.amdhsa_accum_offset 28
		.amdhsa_reserve_vcc 1
		.amdhsa_float_round_mode_32 0
		.amdhsa_float_round_mode_16_64 0
		.amdhsa_float_denorm_mode_32 3
		.amdhsa_float_denorm_mode_16_64 3
		.amdhsa_dx10_clamp 1
		.amdhsa_ieee_mode 1
		.amdhsa_fp16_overflow 0
		.amdhsa_tg_split 0
		.amdhsa_exception_fp_ieee_invalid_op 0
		.amdhsa_exception_fp_denorm_src 0
		.amdhsa_exception_fp_ieee_div_zero 0
		.amdhsa_exception_fp_ieee_overflow 0
		.amdhsa_exception_fp_ieee_underflow 0
		.amdhsa_exception_fp_ieee_inexact 0
		.amdhsa_exception_int_div_zero 0
	.end_amdhsa_kernel
	.section	.text._ZN4vllm3moe22topkGatingSoftplusSqrtILi3ELi192ELi4ELi2ELi64ELb0El6__halfEEvPKT6_PKbPfiPT5_PiiiibdPKfPKS9_SF_,"axG",@progbits,_ZN4vllm3moe22topkGatingSoftplusSqrtILi3ELi192ELi4ELi2ELi64ELb0El6__halfEEvPKT6_PKbPfiPT5_PiiiibdPKfPKS9_SF_,comdat
.Lfunc_end341:
	.size	_ZN4vllm3moe22topkGatingSoftplusSqrtILi3ELi192ELi4ELi2ELi64ELb0El6__halfEEvPKT6_PKbPfiPT5_PiiiibdPKfPKS9_SF_, .Lfunc_end341-_ZN4vllm3moe22topkGatingSoftplusSqrtILi3ELi192ELi4ELi2ELi64ELb0El6__halfEEvPKT6_PKbPfiPT5_PiiiibdPKfPKS9_SF_
                                        ; -- End function
	.section	.AMDGPU.csdata,"",@progbits
; Kernel info:
; codeLenInByte = 2684
; NumSgprs: 37
; NumVgprs: 28
; NumAgprs: 0
; TotalNumVgprs: 28
; ScratchSize: 0
; MemoryBound: 0
; FloatMode: 240
; IeeeMode: 1
; LDSByteSize: 0 bytes/workgroup (compile time only)
; SGPRBlocks: 4
; VGPRBlocks: 3
; NumSGPRsForWavesPerEU: 37
; NumVGPRsForWavesPerEU: 28
; AccumOffset: 28
; Occupancy: 8
; WaveLimiterHint : 1
; COMPUTE_PGM_RSRC2:SCRATCH_EN: 0
; COMPUTE_PGM_RSRC2:USER_SGPR: 2
; COMPUTE_PGM_RSRC2:TRAP_HANDLER: 0
; COMPUTE_PGM_RSRC2:TGID_X_EN: 1
; COMPUTE_PGM_RSRC2:TGID_Y_EN: 0
; COMPUTE_PGM_RSRC2:TGID_Z_EN: 0
; COMPUTE_PGM_RSRC2:TIDIG_COMP_CNT: 1
; COMPUTE_PGM_RSRC3_GFX90A:ACCUM_OFFSET: 6
; COMPUTE_PGM_RSRC3_GFX90A:TG_SPLIT: 0
	.section	.text._ZN4vllm3moe22topkGatingSoftplusSqrtILi6ELi192ELi4ELi2ELi32ELb1El6__halfEEvPKT6_PKbPfiPT5_PiiiibdPKfPKS9_SF_,"axG",@progbits,_ZN4vllm3moe22topkGatingSoftplusSqrtILi6ELi192ELi4ELi2ELi32ELb1El6__halfEEvPKT6_PKbPfiPT5_PiiiibdPKfPKS9_SF_,comdat
	.protected	_ZN4vllm3moe22topkGatingSoftplusSqrtILi6ELi192ELi4ELi2ELi32ELb1El6__halfEEvPKT6_PKbPfiPT5_PiiiibdPKfPKS9_SF_ ; -- Begin function _ZN4vllm3moe22topkGatingSoftplusSqrtILi6ELi192ELi4ELi2ELi32ELb1El6__halfEEvPKT6_PKbPfiPT5_PiiiibdPKfPKS9_SF_
	.globl	_ZN4vllm3moe22topkGatingSoftplusSqrtILi6ELi192ELi4ELi2ELi32ELb1El6__halfEEvPKT6_PKbPfiPT5_PiiiibdPKfPKS9_SF_
	.p2align	8
	.type	_ZN4vllm3moe22topkGatingSoftplusSqrtILi6ELi192ELi4ELi2ELi32ELb1El6__halfEEvPKT6_PKbPfiPT5_PiiiibdPKfPKS9_SF_,@function
_ZN4vllm3moe22topkGatingSoftplusSqrtILi6ELi192ELi4ELi2ELi32ELb1El6__halfEEvPKT6_PKbPfiPT5_PiiiibdPKfPKS9_SF_: ; @_ZN4vllm3moe22topkGatingSoftplusSqrtILi6ELi192ELi4ELi2ELi32ELb1El6__halfEEvPKT6_PKbPfiPT5_PiiiibdPKfPKS9_SF_
; %bb.0:
	s_load_dword s3, s[0:1], 0x18
	v_and_b32_e32 v1, 0x3ff, v0
	s_lshl_b32 s2, s2, 2
	v_lshrrev_b32_e32 v2, 5, v1
	v_bfe_u32 v0, v0, 10, 10
	v_add3_u32 v0, s2, v0, v2
	s_waitcnt lgkmcnt(0)
	v_cmp_gt_i32_e32 vcc, s3, v0
	s_and_saveexec_b64 s[2:3], vcc
	s_cbranch_execz .LBB342_31
; %bb.1:
	s_load_dwordx4 s[4:7], s[0:1], 0x50
	s_load_dwordx2 s[2:3], s[0:1], 0x0
	s_load_dword s8, s[0:1], 0x30
	s_movk_i32 s9, 0xc0
	v_mul_lo_u32 v4, v0, s9
	v_ashrrev_i32_e32 v5, 31, v4
	v_and_b32_e32 v12, 31, v1
	s_waitcnt lgkmcnt(0)
	v_lshl_add_u64 v[6:7], v[4:5], 1, s[2:3]
	v_lshlrev_b32_e32 v4, 1, v12
	v_mov_b32_e32 v5, 0
	v_lshl_add_u64 v[6:7], v[6:7], 0, v[4:5]
	global_load_ushort v4, v[6:7], off
	global_load_ushort v8, v[6:7], off offset:64
	global_load_ushort v9, v[6:7], off offset:128
	;; [unrolled: 1-line block ×5, first 2 shown]
	v_mov_b32_e32 v2, s4
	v_mov_b32_e32 v3, s5
	v_ashrrev_i32_e32 v1, 31, v0
	v_lshl_add_u64 v[2:3], v[0:1], 3, v[2:3]
	global_load_dwordx2 v[2:3], v[2:3], off
	s_ashr_i32 s9, s8, 31
	s_mov_b32 s17, 0x800000
	v_mov_b32_e32 v1, 0x4f800000
	s_mov_b32 s16, 0x3f317217
	s_mov_b32 s18, 0x7f800000
	v_mov_b32_e32 v6, 0x41b17218
	s_movk_i32 s13, 0x4d00
	s_mov_b32 s19, 0xf800000
	v_mov_b32_e32 v7, 0x260
	v_cmp_lt_i64_e64 s[14:15], s[8:9], 1
	s_mov_b32 s12, 0
	v_cmp_gt_i64_e64 s[10:11], s[8:9], 0
	v_mul_lo_u32 v0, v0, s8
	s_waitcnt vmcnt(6)
	v_cvt_f32_f16_e32 v13, v4
	s_waitcnt vmcnt(5)
	v_cvt_f32_f16_e32 v14, v8
	;; [unrolled: 2-line block ×4, first 2 shown]
	v_mul_f32_e32 v22, 0x3fb8aa3b, v13
	v_mul_f32_e32 v23, 0x3fb8aa3b, v14
	v_exp_f32_e32 v22, v22
	v_mul_f32_e32 v24, 0x3fb8aa3b, v15
	v_exp_f32_e32 v23, v23
	v_exp_f32_e32 v24, v24
	s_waitcnt vmcnt(0)
	v_mul_lo_u32 v20, v3, s8
	v_mul_lo_u32 v21, v2, s9
	v_mad_u64_u32 v[2:3], s[2:3], v2, s8, 0
	v_add3_u32 v3, v3, v21, v20
	v_add_f32_e32 v20, 1.0, v22
	v_add_f32_e32 v21, 1.0, v23
	v_cmp_gt_f32_e32 vcc, s17, v20
	v_add_f32_e32 v22, 1.0, v24
	v_cmp_gt_f32_e64 s[2:3], s17, v21
	v_cndmask_b32_e32 v23, 1.0, v1, vcc
	v_cmp_gt_f32_e64 s[4:5], s17, v22
	v_cndmask_b32_e64 v24, 1.0, v1, s[2:3]
	v_mul_f32_e32 v20, v20, v23
	v_cndmask_b32_e64 v25, 1.0, v1, s[4:5]
	v_mul_f32_e32 v21, v21, v24
	v_log_f32_e32 v20, v20
	v_mul_f32_e32 v22, v22, v25
	v_log_f32_e32 v21, v21
	v_log_f32_e32 v22, v22
	v_mul_f32_e32 v26, 0x3f317217, v20
	v_fma_f32 v26, v20, s16, -v26
	v_mul_f32_e32 v27, 0x3f317217, v21
	v_mul_f32_e32 v28, 0x3f317217, v22
	v_fma_f32 v27, v21, s16, -v27
	v_fmac_f32_e32 v26, 0x3377d1cf, v20
	v_cndmask_b32_e32 v23, 0, v6, vcc
	v_fma_f32 v28, v22, s16, -v28
	v_fmac_f32_e32 v27, 0x3377d1cf, v21
	v_fmac_f32_e32 v26, 0x3f317217, v20
	v_cmp_lt_f32_e64 vcc, |v20|, s18
	v_fmac_f32_e32 v28, 0x3377d1cf, v22
	v_fmac_f32_e32 v27, 0x3f317217, v21
	v_cndmask_b32_e32 v20, v20, v26, vcc
	v_cmp_lt_f32_e64 vcc, |v21|, s18
	v_fmac_f32_e32 v28, 0x3f317217, v22
	v_cndmask_b32_e64 v24, 0, v6, s[2:3]
	v_cndmask_b32_e32 v21, v21, v27, vcc
	v_cmp_lt_f32_e64 vcc, |v22|, s18
	v_sub_f32_e32 v20, v20, v23
	v_sub_f32_e32 v21, v21, v24
	v_cndmask_b32_e32 v22, v22, v28, vcc
	v_cmp_lt_f16_e32 vcc, s13, v4
	v_cndmask_b32_e64 v25, 0, v6, s[4:5]
	v_cvt_f32_f16_e32 v18, v11
	v_cndmask_b32_e32 v4, v20, v13, vcc
	v_cmp_lt_f16_e32 vcc, s13, v8
	v_mul_f32_e32 v13, 0x4f800000, v4
	v_sub_f32_e32 v20, v22, v25
	v_cndmask_b32_e32 v8, v21, v14, vcc
	v_cmp_gt_f32_e32 vcc, s19, v4
	v_mul_f32_e32 v14, 0x4f800000, v8
	v_cmp_gt_f32_e64 s[2:3], s19, v8
	v_cndmask_b32_e32 v4, v4, v13, vcc
	v_sqrt_f32_e32 v13, v4
	v_cndmask_b32_e64 v8, v8, v14, s[2:3]
	v_sqrt_f32_e32 v14, v8
	v_cvt_f32_f16_e32 v19, v17
	v_add_u32_e32 v21, -1, v13
	v_fma_f32 v25, -v21, v13, v4
	v_add_u32_e32 v23, -1, v14
	v_add_u32_e32 v22, 1, v13
	v_fma_f32 v27, -v23, v14, v8
	v_cmp_ge_f32_e64 s[4:5], 0, v25
	v_add_u32_e32 v24, 1, v14
	v_fma_f32 v26, -v22, v13, v4
	v_cndmask_b32_e64 v13, v13, v21, s[4:5]
	v_cmp_ge_f32_e64 s[4:5], 0, v27
	v_fma_f32 v28, -v24, v14, v8
	v_lshl_add_u64 v[2:3], v[2:3], 3, s[6:7]
	v_cndmask_b32_e64 v14, v14, v23, s[4:5]
	v_cmp_lt_f32_e64 s[4:5], 0, v26
	s_nop 1
	v_cndmask_b32_e64 v13, v13, v22, s[4:5]
	v_mul_f32_e32 v21, 0x37800000, v13
	v_cndmask_b32_e32 v13, v13, v21, vcc
	v_cmp_class_f32_e32 vcc, v4, v7
	v_cmp_lt_f32_e64 s[4:5], 0, v28
	s_nop 0
	v_cndmask_b32_e32 v13, v13, v4, vcc
	v_cmp_lt_f16_e32 vcc, s13, v9
	v_cndmask_b32_e64 v14, v14, v24, s[4:5]
	v_mul_f32_e32 v22, 0x37800000, v14
	v_cndmask_b32_e32 v4, v20, v15, vcc
	v_mul_f32_e32 v9, 0x4f800000, v4
	v_cmp_gt_f32_e32 vcc, s19, v4
	v_mul_f32_e32 v20, 0x3fb8aa3b, v16
	v_exp_f32_e32 v20, v20
	v_cndmask_b32_e32 v4, v4, v9, vcc
	v_sqrt_f32_e32 v9, v4
	v_cndmask_b32_e64 v14, v14, v22, s[2:3]
	v_cmp_class_f32_e64 s[2:3], v8, v7
	v_add_f32_e32 v20, 1.0, v20
	s_nop 0
	v_cndmask_b32_e64 v14, v14, v8, s[2:3]
	v_add_u32_e32 v8, -1, v9
	v_fma_f32 v15, -v8, v9, v4
	v_cmp_ge_f32_e64 s[2:3], 0, v15
	v_add_u32_e32 v15, 1, v9
	s_nop 0
	v_cndmask_b32_e64 v8, v9, v8, s[2:3]
	v_cmp_gt_f32_e64 s[2:3], s17, v20
	v_fma_f32 v9, -v15, v9, v4
	v_cmp_lt_f32_e64 s[4:5], 0, v9
	v_cndmask_b32_e64 v21, 1.0, v1, s[2:3]
	v_mul_f32_e32 v20, v20, v21
	v_log_f32_e32 v20, v20
	v_cndmask_b32_e64 v8, v8, v15, s[4:5]
	v_mul_f32_e32 v9, 0x37800000, v8
	v_cndmask_b32_e32 v8, v8, v9, vcc
	v_mul_f32_e32 v15, 0x3f317217, v20
	v_fma_f32 v15, v20, s16, -v15
	v_fmac_f32_e32 v15, 0x3377d1cf, v20
	v_fmac_f32_e32 v15, 0x3f317217, v20
	v_cmp_lt_f32_e64 s[4:5], |v20|, s18
	v_mul_f32_e32 v9, 0x3fb8aa3b, v18
	v_exp_f32_e32 v9, v9
	v_cndmask_b32_e64 v15, v20, v15, s[4:5]
	v_cndmask_b32_e64 v20, 0, v6, s[2:3]
	v_sub_f32_e32 v15, v15, v20
	v_cmp_lt_f16_e64 s[2:3], s13, v10
	v_cmp_class_f32_e32 vcc, v4, v7
	v_add_f32_e32 v9, 1.0, v9
	v_cndmask_b32_e64 v10, v15, v16, s[2:3]
	v_mul_f32_e32 v15, 0x4f800000, v10
	v_cmp_gt_f32_e64 s[2:3], s19, v10
	s_nop 1
	v_cndmask_b32_e64 v10, v10, v15, s[2:3]
	v_sqrt_f32_e32 v16, v10
	v_cndmask_b32_e32 v15, v8, v4, vcc
	v_add_u32_e32 v4, -1, v16
	v_fma_f32 v8, -v4, v16, v10
	v_cmp_ge_f32_e32 vcc, 0, v8
	v_add_u32_e32 v8, 1, v16
	s_nop 0
	v_cndmask_b32_e32 v4, v16, v4, vcc
	v_cmp_gt_f32_e32 vcc, s17, v9
	v_fma_f32 v16, -v8, v16, v10
	v_cmp_lt_f32_e64 s[4:5], 0, v16
	v_cndmask_b32_e32 v20, 1.0, v1, vcc
	v_mul_f32_e32 v9, v9, v20
	v_log_f32_e32 v9, v9
	v_cndmask_b32_e64 v4, v4, v8, s[4:5]
	v_mul_f32_e32 v8, 0x37800000, v4
	v_cndmask_b32_e64 v4, v4, v8, s[2:3]
	v_mul_f32_e32 v16, 0x3f317217, v9
	v_fma_f32 v16, v9, s16, -v16
	v_fmac_f32_e32 v16, 0x3377d1cf, v9
	v_fmac_f32_e32 v16, 0x3f317217, v9
	v_cmp_lt_f32_e64 s[4:5], |v9|, s18
	v_cmp_class_f32_e64 s[2:3], v10, v7
	s_nop 0
	v_cndmask_b32_e64 v9, v9, v16, s[4:5]
	v_cndmask_b32_e32 v16, 0, v6, vcc
	v_sub_f32_e32 v9, v9, v16
	v_cmp_lt_f16_e32 vcc, s13, v11
	v_cndmask_b32_e64 v16, v4, v10, s[2:3]
	v_mul_f32_e32 v10, 0x3fb8aa3b, v19
	v_cndmask_b32_e32 v9, v9, v18, vcc
	v_mul_f32_e32 v11, 0x4f800000, v9
	v_cmp_gt_f32_e32 vcc, s19, v9
	v_exp_f32_e32 v10, v10
	s_nop 0
	v_cndmask_b32_e32 v9, v9, v11, vcc
	v_sqrt_f32_e32 v11, v9
	v_add_f32_e32 v10, 1.0, v10
	v_add_u32_e32 v4, -1, v11
	v_fma_f32 v8, -v4, v11, v9
	v_cmp_ge_f32_e64 s[2:3], 0, v8
	v_add_u32_e32 v8, 1, v11
	s_nop 0
	v_cndmask_b32_e64 v4, v11, v4, s[2:3]
	v_cmp_gt_f32_e64 s[2:3], s17, v10
	v_fma_f32 v11, -v8, v11, v9
	v_cmp_lt_f32_e64 s[4:5], 0, v11
	v_cndmask_b32_e64 v1, 1.0, v1, s[2:3]
	v_mul_f32_e32 v1, v10, v1
	v_log_f32_e32 v1, v1
	v_cndmask_b32_e64 v4, v4, v8, s[4:5]
	v_cndmask_b32_e64 v6, 0, v6, s[2:3]
	v_cmp_lt_f16_e64 s[2:3], s13, v17
	v_mul_f32_e32 v10, 0x3f317217, v1
	v_fma_f32 v10, v1, s16, -v10
	v_fmac_f32_e32 v10, 0x3377d1cf, v1
	v_fmac_f32_e32 v10, 0x3f317217, v1
	v_cmp_lt_f32_e64 s[4:5], |v1|, s18
	v_mul_f32_e32 v8, 0x37800000, v4
	v_cndmask_b32_e32 v4, v4, v8, vcc
	v_cndmask_b32_e64 v1, v1, v10, s[4:5]
	v_sub_f32_e32 v1, v1, v6
	v_cndmask_b32_e64 v1, v1, v19, s[2:3]
	v_mul_f32_e32 v6, 0x4f800000, v1
	v_cmp_gt_f32_e64 s[2:3], s19, v1
	v_cmp_class_f32_e32 vcc, v9, v7
	s_nop 0
	v_cndmask_b32_e64 v1, v1, v6, s[2:3]
	v_sqrt_f32_e32 v6, v1
	v_cndmask_b32_e32 v17, v4, v9, vcc
	v_add_u32_e32 v4, -1, v6
	v_fma_f32 v8, -v4, v6, v1
	v_cmp_ge_f32_e32 vcc, 0, v8
	v_add_u32_e32 v8, 1, v6
	s_nop 0
	v_cndmask_b32_e32 v4, v6, v4, vcc
	v_fma_f32 v6, -v8, v6, v1
	v_cmp_lt_f32_e32 vcc, 0, v6
	s_nop 1
	v_cndmask_b32_e32 v4, v4, v8, vcc
	v_mul_f32_e32 v6, 0x37800000, v4
	v_cndmask_b32_e64 v4, v4, v6, s[2:3]
	v_cmp_class_f32_e32 vcc, v1, v7
	s_nop 1
	v_cndmask_b32_e32 v18, v4, v1, vcc
	s_and_b64 vcc, exec, s[14:15]
	s_cbranch_vccnz .LBB342_28
; %bb.2:
	s_load_dwordx2 s[4:5], s[0:1], 0x20
	s_cmp_lt_u32 s8, 4
	v_sub_u32_e32 v4, 0, v12
	s_cbranch_scc1 .LBB342_21
; %bb.3:
	s_mov_b32 s7, 0
	s_and_b32 s12, s8, 0x7ffffffc
	v_ashrrev_i32_e32 v1, 31, v0
	v_mov_b32_e32 v5, 0
	s_mov_b32 s6, s7
	s_branch .LBB342_5
.LBB342_4:                              ;   in Loop: Header=BB342_5 Depth=1
	s_or_b64 exec, exec, s[14:15]
	s_add_i32 s6, s6, 4
	s_cmp_eq_u32 s6, s12
	s_cbranch_scc1 .LBB342_21
.LBB342_5:                              ; =>This Loop Header: Depth=1
                                        ;     Child Loop BB342_7 Depth 2
                                        ;     Child Loop BB342_11 Depth 2
	;; [unrolled: 1-line block ×4, first 2 shown]
	v_lshl_add_u64 v[6:7], s[6:7], 3, v[2:3]
	global_load_dwordx2 v[8:9], v[6:7], off
	v_add_u32_e32 v10, s6, v0
	v_ashrrev_i32_e32 v11, 31, v10
	s_mov_b64 s[14:15], 0
	s_waitcnt lgkmcnt(0)
	v_lshl_add_u64 v[10:11], v[10:11], 3, s[4:5]
	s_mov_b64 s[16:17], 0
	s_waitcnt vmcnt(0)
	v_ashrrev_i32_e32 v9, 31, v8
	v_add_u32_e32 v19, v4, v8
	s_branch .LBB342_7
.LBB342_6:                              ;   in Loop: Header=BB342_7 Depth=2
	s_or_b64 exec, exec, s[18:19]
	s_cmp_gt_u32 s16, 4
	s_cselect_b64 s[2:3], -1, 0
	s_xor_b64 s[18:19], vcc, -1
	s_or_b64 s[2:3], s[18:19], s[2:3]
	s_add_u32 s16, s16, 1
	s_addc_u32 s17, s17, 0
	s_and_b64 s[2:3], exec, s[2:3]
	s_or_b64 s[14:15], s[2:3], s[14:15]
	v_subrev_u32_e32 v19, 32, v19
	s_andn2_b64 exec, exec, s[14:15]
	s_cbranch_execz .LBB342_9
.LBB342_7:                              ;   Parent Loop BB342_5 Depth=1
                                        ; =>  This Inner Loop Header: Depth=2
	v_cmp_ne_u32_e32 vcc, 0, v19
	v_cmp_eq_u32_e64 s[2:3], 0, v19
	s_and_saveexec_b64 s[18:19], s[2:3]
	s_cbranch_execz .LBB342_6
; %bb.8:                                ;   in Loop: Header=BB342_7 Depth=2
	s_cmp_eq_u32 s16, 1
	s_cselect_b64 s[2:3], -1, 0
	s_cmp_eq_u32 s16, 2
	v_cndmask_b32_e64 v20, v13, v14, s[2:3]
	s_cselect_b64 s[2:3], -1, 0
	s_cmp_eq_u32 s16, 3
	v_cndmask_b32_e64 v20, v20, v15, s[2:3]
	;; [unrolled: 3-line block ×4, first 2 shown]
	s_cselect_b64 s[2:3], -1, 0
	v_cndmask_b32_e64 v20, v20, v18, s[2:3]
	v_add_f32_e32 v5, v5, v20
	global_store_dwordx2 v[10:11], v[8:9], off
	s_branch .LBB342_6
.LBB342_9:                              ;   in Loop: Header=BB342_5 Depth=1
	s_or_b64 exec, exec, s[14:15]
	global_load_dwordx2 v[10:11], v[6:7], off offset:8
	s_ashr_i32 s3, s6, 31
	s_mov_b32 s2, s6
	v_lshl_add_u64 v[8:9], s[2:3], 0, v[0:1]
	s_mov_b64 s[14:15], 0
	v_lshl_add_u64 v[8:9], v[8:9], 3, s[4:5]
	s_mov_b64 s[16:17], 0
	s_waitcnt vmcnt(0)
	v_ashrrev_i32_e32 v11, 31, v10
	v_add_u32_e32 v19, v4, v10
	s_branch .LBB342_11
.LBB342_10:                             ;   in Loop: Header=BB342_11 Depth=2
	s_or_b64 exec, exec, s[18:19]
	s_cmp_gt_u32 s16, 4
	s_cselect_b64 s[2:3], -1, 0
	s_xor_b64 s[18:19], vcc, -1
	s_or_b64 s[2:3], s[18:19], s[2:3]
	s_add_u32 s16, s16, 1
	s_addc_u32 s17, s17, 0
	s_and_b64 s[2:3], exec, s[2:3]
	s_or_b64 s[14:15], s[2:3], s[14:15]
	v_subrev_u32_e32 v19, 32, v19
	s_andn2_b64 exec, exec, s[14:15]
	s_cbranch_execz .LBB342_13
.LBB342_11:                             ;   Parent Loop BB342_5 Depth=1
                                        ; =>  This Inner Loop Header: Depth=2
	v_cmp_ne_u32_e32 vcc, 0, v19
	v_cmp_eq_u32_e64 s[2:3], 0, v19
	s_and_saveexec_b64 s[18:19], s[2:3]
	s_cbranch_execz .LBB342_10
; %bb.12:                               ;   in Loop: Header=BB342_11 Depth=2
	s_cmp_eq_u32 s16, 1
	s_cselect_b64 s[2:3], -1, 0
	s_cmp_eq_u32 s16, 2
	v_cndmask_b32_e64 v20, v13, v14, s[2:3]
	s_cselect_b64 s[2:3], -1, 0
	s_cmp_eq_u32 s16, 3
	v_cndmask_b32_e64 v20, v20, v15, s[2:3]
	;; [unrolled: 3-line block ×4, first 2 shown]
	s_cselect_b64 s[2:3], -1, 0
	v_cndmask_b32_e64 v20, v20, v18, s[2:3]
	v_add_f32_e32 v5, v5, v20
	global_store_dwordx2 v[8:9], v[10:11], off offset:8
	s_branch .LBB342_10
.LBB342_13:                             ;   in Loop: Header=BB342_5 Depth=1
	s_or_b64 exec, exec, s[14:15]
	global_load_dwordx2 v[10:11], v[6:7], off offset:16
	s_mov_b64 s[14:15], 0
	s_mov_b64 s[16:17], 0
	s_waitcnt vmcnt(0)
	v_ashrrev_i32_e32 v11, 31, v10
	v_add_u32_e32 v19, v4, v10
	s_branch .LBB342_15
.LBB342_14:                             ;   in Loop: Header=BB342_15 Depth=2
	s_or_b64 exec, exec, s[18:19]
	s_cmp_gt_u32 s16, 4
	s_cselect_b64 s[2:3], -1, 0
	s_xor_b64 s[18:19], vcc, -1
	s_or_b64 s[2:3], s[18:19], s[2:3]
	s_add_u32 s16, s16, 1
	s_addc_u32 s17, s17, 0
	s_and_b64 s[2:3], exec, s[2:3]
	s_or_b64 s[14:15], s[2:3], s[14:15]
	v_subrev_u32_e32 v19, 32, v19
	s_andn2_b64 exec, exec, s[14:15]
	s_cbranch_execz .LBB342_17
.LBB342_15:                             ;   Parent Loop BB342_5 Depth=1
                                        ; =>  This Inner Loop Header: Depth=2
	v_cmp_ne_u32_e32 vcc, 0, v19
	v_cmp_eq_u32_e64 s[2:3], 0, v19
	s_and_saveexec_b64 s[18:19], s[2:3]
	s_cbranch_execz .LBB342_14
; %bb.16:                               ;   in Loop: Header=BB342_15 Depth=2
	s_cmp_eq_u32 s16, 1
	s_cselect_b64 s[2:3], -1, 0
	s_cmp_eq_u32 s16, 2
	v_cndmask_b32_e64 v20, v13, v14, s[2:3]
	s_cselect_b64 s[2:3], -1, 0
	s_cmp_eq_u32 s16, 3
	v_cndmask_b32_e64 v20, v20, v15, s[2:3]
	;; [unrolled: 3-line block ×4, first 2 shown]
	s_cselect_b64 s[2:3], -1, 0
	v_cndmask_b32_e64 v20, v20, v18, s[2:3]
	v_add_f32_e32 v5, v5, v20
	global_store_dwordx2 v[8:9], v[10:11], off offset:16
	s_branch .LBB342_14
.LBB342_17:                             ;   in Loop: Header=BB342_5 Depth=1
	s_or_b64 exec, exec, s[14:15]
	global_load_dwordx2 v[6:7], v[6:7], off offset:24
	s_mov_b64 s[14:15], 0
	s_mov_b64 s[16:17], 0
	s_waitcnt vmcnt(0)
	v_ashrrev_i32_e32 v7, 31, v6
	v_add_u32_e32 v10, v4, v6
	s_branch .LBB342_19
.LBB342_18:                             ;   in Loop: Header=BB342_19 Depth=2
	s_or_b64 exec, exec, s[18:19]
	s_cmp_gt_u32 s16, 4
	s_cselect_b64 s[2:3], -1, 0
	s_xor_b64 s[18:19], vcc, -1
	s_or_b64 s[2:3], s[18:19], s[2:3]
	s_add_u32 s16, s16, 1
	s_addc_u32 s17, s17, 0
	s_and_b64 s[2:3], exec, s[2:3]
	s_or_b64 s[14:15], s[2:3], s[14:15]
	v_subrev_u32_e32 v10, 32, v10
	s_andn2_b64 exec, exec, s[14:15]
	s_cbranch_execz .LBB342_4
.LBB342_19:                             ;   Parent Loop BB342_5 Depth=1
                                        ; =>  This Inner Loop Header: Depth=2
	v_cmp_ne_u32_e32 vcc, 0, v10
	v_cmp_eq_u32_e64 s[2:3], 0, v10
	s_and_saveexec_b64 s[18:19], s[2:3]
	s_cbranch_execz .LBB342_18
; %bb.20:                               ;   in Loop: Header=BB342_19 Depth=2
	s_cmp_eq_u32 s16, 1
	s_cselect_b64 s[2:3], -1, 0
	s_cmp_eq_u32 s16, 2
	v_cndmask_b32_e64 v11, v13, v14, s[2:3]
	s_cselect_b64 s[2:3], -1, 0
	s_cmp_eq_u32 s16, 3
	v_cndmask_b32_e64 v11, v11, v15, s[2:3]
	;; [unrolled: 3-line block ×4, first 2 shown]
	s_cselect_b64 s[2:3], -1, 0
	v_cndmask_b32_e64 v11, v11, v18, s[2:3]
	v_add_f32_e32 v5, v5, v11
	global_store_dwordx2 v[8:9], v[6:7], off offset:24
	s_branch .LBB342_18
.LBB342_21:
	s_and_b32 s9, s8, 3
	s_cmp_eq_u32 s9, 0
	s_mov_b32 s13, 0
	s_cbranch_scc1 .LBB342_28
; %bb.22:
	s_mov_b32 s18, s13
	s_branch .LBB342_24
.LBB342_23:                             ;   in Loop: Header=BB342_24 Depth=1
	s_or_b64 exec, exec, s[6:7]
	s_add_i32 s12, s12, 1
	s_add_i32 s18, s18, 1
	s_cmp_lg_u32 s18, s9
	s_cbranch_scc0 .LBB342_28
.LBB342_24:                             ; =>This Loop Header: Depth=1
                                        ;     Child Loop BB342_26 Depth 2
	v_lshl_add_u64 v[6:7], s[12:13], 3, v[2:3]
	global_load_dwordx2 v[6:7], v[6:7], off
	v_add_u32_e32 v8, s12, v0
	v_ashrrev_i32_e32 v9, 31, v8
	s_mov_b64 s[6:7], 0
	s_waitcnt lgkmcnt(0)
	v_lshl_add_u64 v[8:9], v[8:9], 3, s[4:5]
	s_mov_b64 s[14:15], 0
	s_waitcnt vmcnt(0)
	v_ashrrev_i32_e32 v7, 31, v6
	v_add_u32_e32 v1, v4, v6
	s_branch .LBB342_26
.LBB342_25:                             ;   in Loop: Header=BB342_26 Depth=2
	s_or_b64 exec, exec, s[16:17]
	s_cmp_gt_u32 s14, 4
	s_cselect_b64 s[2:3], -1, 0
	s_xor_b64 s[16:17], vcc, -1
	s_or_b64 s[2:3], s[16:17], s[2:3]
	s_add_u32 s14, s14, 1
	s_addc_u32 s15, s15, 0
	s_and_b64 s[2:3], exec, s[2:3]
	s_or_b64 s[6:7], s[2:3], s[6:7]
	v_subrev_u32_e32 v1, 32, v1
	s_andn2_b64 exec, exec, s[6:7]
	s_cbranch_execz .LBB342_23
.LBB342_26:                             ;   Parent Loop BB342_24 Depth=1
                                        ; =>  This Inner Loop Header: Depth=2
	v_cmp_ne_u32_e32 vcc, 0, v1
	v_cmp_eq_u32_e64 s[2:3], 0, v1
	s_and_saveexec_b64 s[16:17], s[2:3]
	s_cbranch_execz .LBB342_25
; %bb.27:                               ;   in Loop: Header=BB342_26 Depth=2
	s_cmp_eq_u32 s14, 1
	s_cselect_b64 s[2:3], -1, 0
	s_cmp_eq_u32 s14, 2
	v_cndmask_b32_e64 v10, v13, v14, s[2:3]
	s_cselect_b64 s[2:3], -1, 0
	s_cmp_eq_u32 s14, 3
	v_cndmask_b32_e64 v10, v10, v15, s[2:3]
	;; [unrolled: 3-line block ×4, first 2 shown]
	s_cselect_b64 s[2:3], -1, 0
	v_cndmask_b32_e64 v10, v10, v18, s[2:3]
	v_add_f32_e32 v5, v5, v10
	global_store_dwordx2 v[8:9], v[6:7], off
	s_branch .LBB342_25
.LBB342_28:
	s_waitcnt lgkmcnt(0)
	s_load_dword s4, s[0:1], 0x3c
	s_waitcnt lgkmcnt(0)
	s_bitcmp1_b32 s4, 0
	s_cselect_b64 s[2:3], -1, 0
	s_bitcmp0_b32 s4, 0
	s_cbranch_scc0 .LBB342_32
; %bb.29:
	s_load_dwordx2 s[4:5], s[0:1], 0x40
	s_andn2_b64 vcc, exec, s[2:3]
	s_waitcnt lgkmcnt(0)
	v_cvt_f32_f64_e32 v10, s[4:5]
	s_cbranch_vccz .LBB342_33
.LBB342_30:
	s_andn2_b64 vcc, exec, s[10:11]
	s_cbranch_vccz .LBB342_34
.LBB342_31:
	s_endpgm
.LBB342_32:
	v_mbcnt_lo_u32_b32 v1, -1, 0
	v_mbcnt_hi_u32_b32 v1, -1, v1
	v_and_b32_e32 v4, 0x60, v1
	v_add_u32_e32 v4, 32, v4
	v_xor_b32_e32 v6, 16, v1
	v_cmp_lt_i32_e32 vcc, v6, v4
	v_xor_b32_e32 v7, 8, v1
	s_nop 0
	v_cndmask_b32_e32 v6, v1, v6, vcc
	v_lshlrev_b32_e32 v6, 2, v6
	ds_bpermute_b32 v6, v6, v5
	v_cmp_lt_i32_e32 vcc, v7, v4
	s_waitcnt lgkmcnt(0)
	v_add_f32_e32 v5, v5, v6
	v_cndmask_b32_e32 v6, v1, v7, vcc
	v_lshlrev_b32_e32 v6, 2, v6
	ds_bpermute_b32 v6, v6, v5
	v_xor_b32_e32 v7, 4, v1
	v_cmp_lt_i32_e32 vcc, v7, v4
	s_waitcnt lgkmcnt(0)
	v_add_f32_e32 v5, v5, v6
	v_cndmask_b32_e32 v6, v1, v7, vcc
	v_lshlrev_b32_e32 v6, 2, v6
	ds_bpermute_b32 v6, v6, v5
	v_xor_b32_e32 v7, 2, v1
	;; [unrolled: 7-line block ×3, first 2 shown]
	v_cmp_lt_i32_e32 vcc, v7, v4
	s_waitcnt lgkmcnt(0)
	v_add_f32_e32 v5, v5, v6
	v_cndmask_b32_e32 v1, v1, v7, vcc
	v_lshlrev_b32_e32 v1, 2, v1
	ds_bpermute_b32 v1, v1, v5
	s_waitcnt lgkmcnt(0)
	v_add_f32_e32 v5, v5, v1
	s_load_dwordx2 s[4:5], s[0:1], 0x40
	s_andn2_b64 vcc, exec, s[2:3]
	s_waitcnt lgkmcnt(0)
	v_cvt_f32_f64_e32 v10, s[4:5]
	s_cbranch_vccnz .LBB342_30
.LBB342_33:
	v_cmp_lt_f32_e32 vcc, 0, v5
	s_nop 1
	v_cndmask_b32_e32 v1, 1.0, v5, vcc
	v_div_scale_f32 v4, s[2:3], v1, v1, v10
	v_rcp_f32_e32 v5, v4
	s_nop 0
	v_fma_f32 v6, -v4, v5, 1.0
	v_fmac_f32_e32 v5, v6, v5
	v_div_scale_f32 v6, vcc, v10, v1, v10
	v_mul_f32_e32 v7, v6, v5
	v_fma_f32 v8, -v4, v7, v6
	v_fmac_f32_e32 v7, v8, v5
	v_fma_f32 v4, -v4, v7, v6
	v_div_fmas_f32 v4, v4, v5, v7
	v_div_fixup_f32 v10, v4, v1, v10
	s_andn2_b64 vcc, exec, s[10:11]
	s_cbranch_vccnz .LBB342_31
.LBB342_34:
	s_load_dwordx2 s[10:11], s[0:1], 0x10
	v_or_b32_e32 v22, 32, v12
	v_or_b32_e32 v21, 64, v12
	;; [unrolled: 1-line block ×5, first 2 shown]
	s_cmp_eq_u32 s8, 1
	s_mov_b32 s12, 0
	s_cbranch_scc1 .LBB342_61
; %bb.35:
	v_ashrrev_i32_e32 v1, 31, v0
	s_waitcnt lgkmcnt(0)
	v_lshl_add_u64 v[4:5], v[0:1], 2, s[10:11]
	s_and_b32 s12, s8, 0x7ffffffe
	v_lshl_add_u64 v[4:5], v[4:5], 0, 4
	v_lshl_add_u64 v[6:7], v[2:3], 0, 8
	s_mov_b32 s9, 0
	s_branch .LBB342_37
.LBB342_36:                             ;   in Loop: Header=BB342_37 Depth=1
	s_or_b64 exec, exec, s[0:1]
	s_add_i32 s9, s9, 2
	v_lshl_add_u64 v[4:5], v[4:5], 0, 8
	s_cmp_lg_u32 s12, s9
	v_lshl_add_u64 v[6:7], v[6:7], 0, 16
	s_cbranch_scc0 .LBB342_61
.LBB342_37:                             ; =>This Inner Loop Header: Depth=1
	global_load_dword v1, v[6:7], off offset:-8
	v_mov_b64_e32 v[8:9], 0
	s_waitcnt vmcnt(0)
	v_cmp_eq_u32_e32 vcc, v12, v1
	v_cmp_ne_u32_e64 s[0:1], v12, v1
	s_and_saveexec_b64 s[14:15], s[0:1]
	s_cbranch_execz .LBB342_47
; %bb.38:                               ;   in Loop: Header=BB342_37 Depth=1
	v_cmp_eq_u32_e64 s[0:1], v22, v1
	v_cmp_ne_u32_e64 s[2:3], v22, v1
	v_mov_b64_e32 v[8:9], 1
	s_and_saveexec_b64 s[16:17], s[2:3]
	s_cbranch_execz .LBB342_46
; %bb.39:                               ;   in Loop: Header=BB342_37 Depth=1
	v_cmp_eq_u32_e64 s[2:3], v21, v1
	v_cmp_ne_u32_e64 s[4:5], v21, v1
	v_mov_b64_e32 v[8:9], 2
	;; [unrolled: 6-line block ×4, first 2 shown]
	s_and_saveexec_b64 s[24:25], s[6:7]
	s_xor_b64 s[24:25], exec, s[24:25]
; %bb.42:                               ;   in Loop: Header=BB342_37 Depth=1
	v_cmp_eq_u32_e64 s[6:7], v11, v1
	s_andn2_b64 s[22:23], s[22:23], exec
	s_and_b64 s[6:7], s[6:7], exec
	v_mov_b64_e32 v[8:9], 5
	s_or_b64 s[22:23], s[22:23], s[6:7]
; %bb.43:                               ;   in Loop: Header=BB342_37 Depth=1
	s_or_b64 exec, exec, s[24:25]
	s_andn2_b64 s[4:5], s[4:5], exec
	s_and_b64 s[6:7], s[22:23], exec
	s_or_b64 s[4:5], s[4:5], s[6:7]
.LBB342_44:                             ;   in Loop: Header=BB342_37 Depth=1
	s_or_b64 exec, exec, s[20:21]
	s_andn2_b64 s[2:3], s[2:3], exec
	s_and_b64 s[4:5], s[4:5], exec
	s_or_b64 s[2:3], s[2:3], s[4:5]
.LBB342_45:                             ;   in Loop: Header=BB342_37 Depth=1
	s_or_b64 exec, exec, s[18:19]
	s_andn2_b64 s[0:1], s[0:1], exec
	s_and_b64 s[2:3], s[2:3], exec
	s_or_b64 s[0:1], s[0:1], s[2:3]
.LBB342_46:                             ;   in Loop: Header=BB342_37 Depth=1
	s_or_b64 exec, exec, s[16:17]
	s_andn2_b64 s[2:3], vcc, exec
	s_and_b64 s[0:1], s[0:1], exec
	s_or_b64 vcc, s[2:3], s[0:1]
.LBB342_47:                             ;   in Loop: Header=BB342_37 Depth=1
	s_or_b64 exec, exec, s[14:15]
	s_and_saveexec_b64 s[0:1], vcc
	s_cbranch_execz .LBB342_49
; %bb.48:                               ;   in Loop: Header=BB342_37 Depth=1
	v_cmp_eq_u32_e32 vcc, 1, v8
	v_add_u32_e32 v24, s9, v0
	v_ashrrev_i32_e32 v25, 31, v24
	v_cndmask_b32_e32 v1, v13, v14, vcc
	v_cmp_eq_u32_e32 vcc, 2, v8
	s_nop 1
	v_cndmask_b32_e32 v1, v1, v15, vcc
	v_cmp_eq_u32_e32 vcc, 3, v8
	s_nop 1
	v_cndmask_b32_e32 v1, v1, v16, vcc
	v_cmp_eq_u32_e32 vcc, 4, v8
	s_nop 1
	v_cndmask_b32_e32 v1, v1, v17, vcc
	v_cmp_eq_u32_e32 vcc, 5, v8
	v_lshl_add_u64 v[8:9], v[24:25], 2, s[10:11]
	s_nop 0
	v_cndmask_b32_e32 v1, v1, v18, vcc
	v_mul_f32_e32 v1, v10, v1
	global_store_dword v[8:9], v1, off
.LBB342_49:                             ;   in Loop: Header=BB342_37 Depth=1
	s_or_b64 exec, exec, s[0:1]
	global_load_dword v1, v[6:7], off
	v_mov_b64_e32 v[8:9], 0
	s_waitcnt vmcnt(0)
	v_cmp_eq_u32_e64 s[4:5], v12, v1
	v_cmp_ne_u32_e32 vcc, v12, v1
	s_and_saveexec_b64 s[6:7], vcc
	s_cbranch_execz .LBB342_59
; %bb.50:                               ;   in Loop: Header=BB342_37 Depth=1
	v_cmp_eq_u32_e32 vcc, v22, v1
	v_cmp_ne_u32_e64 s[0:1], v22, v1
	v_mov_b64_e32 v[8:9], 1
	s_and_saveexec_b64 s[14:15], s[0:1]
	s_cbranch_execz .LBB342_58
; %bb.51:                               ;   in Loop: Header=BB342_37 Depth=1
	v_cmp_eq_u32_e64 s[0:1], v21, v1
	v_cmp_ne_u32_e64 s[2:3], v21, v1
	v_mov_b64_e32 v[8:9], 2
	s_and_saveexec_b64 s[16:17], s[2:3]
	s_cbranch_execz .LBB342_57
; %bb.52:                               ;   in Loop: Header=BB342_37 Depth=1
	v_cmp_eq_u32_e64 s[18:19], v20, v1
	;; [unrolled: 6-line block ×3, first 2 shown]
	v_cmp_ne_u32_e64 s[2:3], v19, v1
	v_mov_b64_e32 v[8:9], 4
	s_and_saveexec_b64 s[24:25], s[2:3]
; %bb.54:                               ;   in Loop: Header=BB342_37 Depth=1
	v_cmp_eq_u32_e64 s[2:3], v11, v1
	s_andn2_b64 s[22:23], s[22:23], exec
	s_and_b64 s[2:3], s[2:3], exec
	v_mov_b64_e32 v[8:9], 5
	s_or_b64 s[22:23], s[22:23], s[2:3]
; %bb.55:                               ;   in Loop: Header=BB342_37 Depth=1
	s_or_b64 exec, exec, s[24:25]
	s_andn2_b64 s[2:3], s[18:19], exec
	s_and_b64 s[18:19], s[22:23], exec
	s_or_b64 s[18:19], s[2:3], s[18:19]
.LBB342_56:                             ;   in Loop: Header=BB342_37 Depth=1
	s_or_b64 exec, exec, s[20:21]
	s_andn2_b64 s[0:1], s[0:1], exec
	s_and_b64 s[2:3], s[18:19], exec
	s_or_b64 s[0:1], s[0:1], s[2:3]
.LBB342_57:                             ;   in Loop: Header=BB342_37 Depth=1
	s_or_b64 exec, exec, s[16:17]
	s_andn2_b64 s[2:3], vcc, exec
	s_and_b64 s[0:1], s[0:1], exec
	s_or_b64 vcc, s[2:3], s[0:1]
.LBB342_58:                             ;   in Loop: Header=BB342_37 Depth=1
	s_or_b64 exec, exec, s[14:15]
	s_andn2_b64 s[0:1], s[4:5], exec
	s_and_b64 s[2:3], vcc, exec
	s_or_b64 s[4:5], s[0:1], s[2:3]
.LBB342_59:                             ;   in Loop: Header=BB342_37 Depth=1
	s_or_b64 exec, exec, s[6:7]
	s_and_saveexec_b64 s[0:1], s[4:5]
	s_cbranch_execz .LBB342_36
; %bb.60:                               ;   in Loop: Header=BB342_37 Depth=1
	v_cmp_eq_u32_e32 vcc, 1, v8
	s_nop 1
	v_cndmask_b32_e32 v1, v13, v14, vcc
	v_cmp_eq_u32_e32 vcc, 2, v8
	s_nop 1
	v_cndmask_b32_e32 v1, v1, v15, vcc
	;; [unrolled: 3-line block ×5, first 2 shown]
	v_mul_f32_e32 v1, v10, v1
	global_store_dword v[4:5], v1, off
	s_branch .LBB342_36
.LBB342_61:
	s_bitcmp0_b32 s8, 0
	s_mov_b32 s13, 0
	s_cbranch_scc1 .LBB342_31
; %bb.62:
	v_lshl_add_u64 v[2:3], s[12:13], 3, v[2:3]
	global_load_dword v1, v[2:3], off
	v_mov_b64_e32 v[2:3], 0
	s_waitcnt vmcnt(0)
	v_cmp_eq_u32_e64 s[4:5], v12, v1
	v_cmp_ne_u32_e32 vcc, v12, v1
	s_and_saveexec_b64 s[6:7], vcc
	s_cbranch_execz .LBB342_72
; %bb.63:
	v_cmp_eq_u32_e32 vcc, v22, v1
	v_cmp_ne_u32_e64 s[0:1], v22, v1
	v_mov_b64_e32 v[2:3], 1
	s_and_saveexec_b64 s[8:9], s[0:1]
	s_cbranch_execz .LBB342_71
; %bb.64:
	v_cmp_eq_u32_e64 s[0:1], v21, v1
	v_cmp_ne_u32_e64 s[2:3], v21, v1
	v_mov_b64_e32 v[2:3], 2
	s_and_saveexec_b64 s[14:15], s[2:3]
	s_cbranch_execz .LBB342_70
; %bb.65:
	v_cmp_eq_u32_e64 s[16:17], v20, v1
	;; [unrolled: 6-line block ×3, first 2 shown]
	v_cmp_ne_u32_e64 s[2:3], v19, v1
	v_mov_b64_e32 v[2:3], 4
	s_and_saveexec_b64 s[22:23], s[2:3]
; %bb.67:
	v_cmp_eq_u32_e64 s[2:3], v11, v1
	s_andn2_b64 s[20:21], s[20:21], exec
	s_and_b64 s[2:3], s[2:3], exec
	v_mov_b64_e32 v[2:3], 5
	s_or_b64 s[20:21], s[20:21], s[2:3]
; %bb.68:
	s_or_b64 exec, exec, s[22:23]
	s_andn2_b64 s[2:3], s[16:17], exec
	s_and_b64 s[16:17], s[20:21], exec
	s_or_b64 s[16:17], s[2:3], s[16:17]
.LBB342_69:
	s_or_b64 exec, exec, s[18:19]
	s_andn2_b64 s[0:1], s[0:1], exec
	s_and_b64 s[2:3], s[16:17], exec
	s_or_b64 s[0:1], s[0:1], s[2:3]
.LBB342_70:
	s_or_b64 exec, exec, s[14:15]
	s_andn2_b64 s[2:3], vcc, exec
	s_and_b64 s[0:1], s[0:1], exec
	s_or_b64 vcc, s[2:3], s[0:1]
.LBB342_71:
	s_or_b64 exec, exec, s[8:9]
	s_andn2_b64 s[0:1], s[4:5], exec
	s_and_b64 s[2:3], vcc, exec
	s_or_b64 s[4:5], s[0:1], s[2:3]
.LBB342_72:
	s_or_b64 exec, exec, s[6:7]
	s_and_b64 exec, exec, s[4:5]
	s_cbranch_execz .LBB342_31
; %bb.73:
	v_cmp_eq_u32_e32 vcc, 1, v2
	v_add_u32_e32 v0, s12, v0
	s_nop 0
	v_cndmask_b32_e32 v1, v13, v14, vcc
	v_cmp_eq_u32_e32 vcc, 2, v2
	s_nop 1
	v_cndmask_b32_e32 v1, v1, v15, vcc
	v_cmp_eq_u32_e32 vcc, 3, v2
	;; [unrolled: 3-line block ×4, first 2 shown]
	s_nop 1
	v_cndmask_b32_e32 v1, v1, v18, vcc
	v_mul_f32_e32 v2, v10, v1
	v_ashrrev_i32_e32 v1, 31, v0
	s_waitcnt lgkmcnt(0)
	v_lshl_add_u64 v[0:1], v[0:1], 2, s[10:11]
	global_store_dword v[0:1], v2, off
	s_endpgm
	.section	.rodata,"a",@progbits
	.p2align	6, 0x0
	.amdhsa_kernel _ZN4vllm3moe22topkGatingSoftplusSqrtILi6ELi192ELi4ELi2ELi32ELb1El6__halfEEvPKT6_PKbPfiPT5_PiiiibdPKfPKS9_SF_
		.amdhsa_group_segment_fixed_size 0
		.amdhsa_private_segment_fixed_size 0
		.amdhsa_kernarg_size 96
		.amdhsa_user_sgpr_count 2
		.amdhsa_user_sgpr_dispatch_ptr 0
		.amdhsa_user_sgpr_queue_ptr 0
		.amdhsa_user_sgpr_kernarg_segment_ptr 1
		.amdhsa_user_sgpr_dispatch_id 0
		.amdhsa_user_sgpr_kernarg_preload_length 0
		.amdhsa_user_sgpr_kernarg_preload_offset 0
		.amdhsa_user_sgpr_private_segment_size 0
		.amdhsa_uses_dynamic_stack 0
		.amdhsa_enable_private_segment 0
		.amdhsa_system_sgpr_workgroup_id_x 1
		.amdhsa_system_sgpr_workgroup_id_y 0
		.amdhsa_system_sgpr_workgroup_id_z 0
		.amdhsa_system_sgpr_workgroup_info 0
		.amdhsa_system_vgpr_workitem_id 1
		.amdhsa_next_free_vgpr 29
		.amdhsa_next_free_sgpr 26
		.amdhsa_accum_offset 32
		.amdhsa_reserve_vcc 1
		.amdhsa_float_round_mode_32 0
		.amdhsa_float_round_mode_16_64 0
		.amdhsa_float_denorm_mode_32 3
		.amdhsa_float_denorm_mode_16_64 3
		.amdhsa_dx10_clamp 1
		.amdhsa_ieee_mode 1
		.amdhsa_fp16_overflow 0
		.amdhsa_tg_split 0
		.amdhsa_exception_fp_ieee_invalid_op 0
		.amdhsa_exception_fp_denorm_src 0
		.amdhsa_exception_fp_ieee_div_zero 0
		.amdhsa_exception_fp_ieee_overflow 0
		.amdhsa_exception_fp_ieee_underflow 0
		.amdhsa_exception_fp_ieee_inexact 0
		.amdhsa_exception_int_div_zero 0
	.end_amdhsa_kernel
	.section	.text._ZN4vllm3moe22topkGatingSoftplusSqrtILi6ELi192ELi4ELi2ELi32ELb1El6__halfEEvPKT6_PKbPfiPT5_PiiiibdPKfPKS9_SF_,"axG",@progbits,_ZN4vllm3moe22topkGatingSoftplusSqrtILi6ELi192ELi4ELi2ELi32ELb1El6__halfEEvPKT6_PKbPfiPT5_PiiiibdPKfPKS9_SF_,comdat
.Lfunc_end342:
	.size	_ZN4vllm3moe22topkGatingSoftplusSqrtILi6ELi192ELi4ELi2ELi32ELb1El6__halfEEvPKT6_PKbPfiPT5_PiiiibdPKfPKS9_SF_, .Lfunc_end342-_ZN4vllm3moe22topkGatingSoftplusSqrtILi6ELi192ELi4ELi2ELi32ELb1El6__halfEEvPKT6_PKbPfiPT5_PiiiibdPKfPKS9_SF_
                                        ; -- End function
	.section	.AMDGPU.csdata,"",@progbits
; Kernel info:
; codeLenInByte = 4372
; NumSgprs: 32
; NumVgprs: 29
; NumAgprs: 0
; TotalNumVgprs: 29
; ScratchSize: 0
; MemoryBound: 0
; FloatMode: 240
; IeeeMode: 1
; LDSByteSize: 0 bytes/workgroup (compile time only)
; SGPRBlocks: 3
; VGPRBlocks: 3
; NumSGPRsForWavesPerEU: 32
; NumVGPRsForWavesPerEU: 29
; AccumOffset: 32
; Occupancy: 8
; WaveLimiterHint : 1
; COMPUTE_PGM_RSRC2:SCRATCH_EN: 0
; COMPUTE_PGM_RSRC2:USER_SGPR: 2
; COMPUTE_PGM_RSRC2:TRAP_HANDLER: 0
; COMPUTE_PGM_RSRC2:TGID_X_EN: 1
; COMPUTE_PGM_RSRC2:TGID_Y_EN: 0
; COMPUTE_PGM_RSRC2:TGID_Z_EN: 0
; COMPUTE_PGM_RSRC2:TIDIG_COMP_CNT: 1
; COMPUTE_PGM_RSRC3_GFX90A:ACCUM_OFFSET: 7
; COMPUTE_PGM_RSRC3_GFX90A:TG_SPLIT: 0
	.section	.text._ZN4vllm3moe22topkGatingSoftplusSqrtILi6ELi192ELi4ELi2ELi32ELb0El6__halfEEvPKT6_PKbPfiPT5_PiiiibdPKfPKS9_SF_,"axG",@progbits,_ZN4vllm3moe22topkGatingSoftplusSqrtILi6ELi192ELi4ELi2ELi32ELb0El6__halfEEvPKT6_PKbPfiPT5_PiiiibdPKfPKS9_SF_,comdat
	.protected	_ZN4vllm3moe22topkGatingSoftplusSqrtILi6ELi192ELi4ELi2ELi32ELb0El6__halfEEvPKT6_PKbPfiPT5_PiiiibdPKfPKS9_SF_ ; -- Begin function _ZN4vllm3moe22topkGatingSoftplusSqrtILi6ELi192ELi4ELi2ELi32ELb0El6__halfEEvPKT6_PKbPfiPT5_PiiiibdPKfPKS9_SF_
	.globl	_ZN4vllm3moe22topkGatingSoftplusSqrtILi6ELi192ELi4ELi2ELi32ELb0El6__halfEEvPKT6_PKbPfiPT5_PiiiibdPKfPKS9_SF_
	.p2align	8
	.type	_ZN4vllm3moe22topkGatingSoftplusSqrtILi6ELi192ELi4ELi2ELi32ELb0El6__halfEEvPKT6_PKbPfiPT5_PiiiibdPKfPKS9_SF_,@function
_ZN4vllm3moe22topkGatingSoftplusSqrtILi6ELi192ELi4ELi2ELi32ELb0El6__halfEEvPKT6_PKbPfiPT5_PiiiibdPKfPKS9_SF_: ; @_ZN4vllm3moe22topkGatingSoftplusSqrtILi6ELi192ELi4ELi2ELi32ELb0El6__halfEEvPKT6_PKbPfiPT5_PiiiibdPKfPKS9_SF_
; %bb.0:
	s_load_dword s30, s[0:1], 0x18
	v_and_b32_e32 v1, 0x3ff, v0
	s_lshl_b32 s2, s2, 2
	v_lshrrev_b32_e32 v2, 5, v1
	v_bfe_u32 v0, v0, 10, 10
	v_add3_u32 v6, s2, v0, v2
	s_waitcnt lgkmcnt(0)
	v_cmp_gt_i32_e32 vcc, s30, v6
	s_and_saveexec_b64 s[2:3], vcc
	s_cbranch_execz .LBB343_57
; %bb.1:
	s_load_dwordx4 s[4:7], s[0:1], 0x0
	s_load_dwordx2 s[20:21], s[0:1], 0x10
	s_waitcnt lgkmcnt(0)
	s_cmp_eq_u64 s[6:7], 0
	s_cbranch_scc1 .LBB343_3
; %bb.2:
	v_ashrrev_i32_e32 v7, 31, v6
	v_lshl_add_u64 v[2:3], s[6:7], 0, v[6:7]
	global_load_ubyte v0, v[2:3], off
	s_waitcnt vmcnt(0)
	v_and_b32_e32 v0, 1, v0
	v_cmp_eq_u32_e32 vcc, 1, v0
	s_xor_b64 s[2:3], vcc, -1
	s_orn2_b64 s[22:23], s[2:3], exec
	s_branch .LBB343_4
.LBB343_3:
	s_mov_b64 s[22:23], -1
.LBB343_4:
	s_movk_i32 s2, 0xc0
	v_mul_lo_u32 v4, v6, s2
	v_mov_b32_e32 v2, s4
	v_mov_b32_e32 v3, s5
	v_ashrrev_i32_e32 v5, 31, v4
	v_and_b32_e32 v8, 31, v1
	v_lshl_add_u64 v[2:3], v[4:5], 1, v[2:3]
	v_mov_b32_e32 v1, 0
	v_lshlrev_b32_e32 v0, 1, v8
	v_lshl_add_u64 v[10:11], v[2:3], 0, v[0:1]
	global_load_ushort v0, v[10:11], off
	global_load_ushort v1, v[10:11], off offset:64
	global_load_ushort v2, v[10:11], off offset:128
	;; [unrolled: 1-line block ×5, first 2 shown]
	s_mov_b32 s16, 0x800000
	v_mov_b32_e32 v10, 0x4f800000
	s_mov_b32 s13, 0x3f317217
	s_mov_b32 s14, 0x7f800000
	v_mov_b32_e32 v11, 0x41b17218
	s_movk_i32 s12, 0x4d00
	s_mov_b32 s15, 0xf800000
	s_load_dwordx4 s[8:11], s[0:1], 0x40
	s_waitcnt lgkmcnt(0)
	s_cmp_lg_u64 s[10:11], 0
	s_cselect_b64 s[6:7], -1, 0
	s_and_b64 s[2:3], exec, s[6:7]
	s_waitcnt vmcnt(5)
	v_cvt_f32_f16_e32 v12, v0
	v_mul_f32_e32 v7, 0x3fb8aa3b, v12
	v_exp_f32_e32 v7, v7
	s_nop 0
	v_add_f32_e32 v7, 1.0, v7
	v_cmp_gt_f32_e32 vcc, s16, v7
	s_nop 1
	v_cndmask_b32_e32 v9, 1.0, v10, vcc
	v_mul_f32_e32 v7, v7, v9
	v_log_f32_e32 v13, v7
	v_cndmask_b32_e32 v14, 0, v11, vcc
	v_mov_b32_e32 v9, 0x260
	v_lshlrev_b32_e32 v7, 2, v8
	v_mul_f32_e32 v15, 0x3f317217, v13
	v_fma_f32 v15, v13, s13, -v15
	v_fmac_f32_e32 v15, 0x3377d1cf, v13
	v_fmac_f32_e32 v15, 0x3f317217, v13
	v_cmp_lt_f32_e64 vcc, |v13|, s14
	s_nop 1
	v_cndmask_b32_e32 v13, v13, v15, vcc
	v_sub_f32_e32 v13, v13, v14
	v_cmp_lt_f16_e32 vcc, s12, v0
	s_nop 1
	v_cndmask_b32_e32 v0, v13, v12, vcc
	v_mul_f32_e32 v12, 0x4f800000, v0
	v_cmp_gt_f32_e32 vcc, s15, v0
	s_nop 1
	v_cndmask_b32_e32 v0, v0, v12, vcc
	v_sqrt_f32_e32 v12, v0
	s_nop 0
	v_add_u32_e32 v13, -1, v12
	v_add_u32_e32 v14, 1, v12
	v_fma_f32 v15, -v13, v12, v0
	v_fma_f32 v16, -v14, v12, v0
	v_cmp_ge_f32_e64 s[4:5], 0, v15
	s_nop 1
	v_cndmask_b32_e64 v12, v12, v13, s[4:5]
	v_cmp_lt_f32_e64 s[4:5], 0, v16
	s_nop 1
	v_cndmask_b32_e64 v12, v12, v14, s[4:5]
	v_mul_f32_e32 v13, 0x37800000, v12
	v_cndmask_b32_e32 v12, v12, v13, vcc
	v_cmp_class_f32_e32 vcc, v0, v9
	s_nop 1
	v_cndmask_b32_e32 v0, v12, v0, vcc
	s_mov_b64 vcc, s[2:3]
	s_cbranch_vccz .LBB343_6
; %bb.5:
	global_load_dword v12, v7, s[10:11]
	s_waitcnt vmcnt(0)
	v_add_f32_e32 v0, v0, v12
.LBB343_6:
	s_waitcnt vmcnt(4)
	v_cvt_f32_f16_e32 v12, v1
	v_mul_f32_e32 v13, 0x3fb8aa3b, v12
	v_exp_f32_e32 v13, v13
	s_nop 0
	v_add_f32_e32 v13, 1.0, v13
	v_cmp_gt_f32_e32 vcc, s16, v13
	s_nop 1
	v_cndmask_b32_e32 v10, 1.0, v10, vcc
	v_mul_f32_e32 v10, v13, v10
	v_log_f32_e32 v10, v10
	v_cndmask_b32_e32 v11, 0, v11, vcc
	v_mul_f32_e32 v13, 0x3f317217, v10
	v_fma_f32 v13, v10, s13, -v13
	v_fmac_f32_e32 v13, 0x3377d1cf, v10
	v_fmac_f32_e32 v13, 0x3f317217, v10
	v_cmp_lt_f32_e64 vcc, |v10|, s14
	s_nop 1
	v_cndmask_b32_e32 v10, v10, v13, vcc
	v_sub_f32_e32 v10, v10, v11
	v_cmp_lt_f16_e32 vcc, s12, v1
	v_cndmask_b32_e64 v11, 0, 1, s[6:7]
	v_cmp_ne_u32_e64 s[2:3], 1, v11
	v_cndmask_b32_e32 v1, v10, v12, vcc
	v_mul_f32_e32 v10, 0x4f800000, v1
	v_cmp_gt_f32_e64 s[4:5], s15, v1
	s_andn2_b64 vcc, exec, s[6:7]
	s_nop 0
	v_cndmask_b32_e64 v1, v1, v10, s[4:5]
	v_sqrt_f32_e32 v10, v1
	s_nop 0
	v_add_u32_e32 v11, -1, v10
	v_add_u32_e32 v12, 1, v10
	v_fma_f32 v13, -v11, v10, v1
	v_fma_f32 v14, -v12, v10, v1
	v_cmp_ge_f32_e64 s[6:7], 0, v13
	s_nop 1
	v_cndmask_b32_e64 v10, v10, v11, s[6:7]
	v_cmp_lt_f32_e64 s[6:7], 0, v14
	s_nop 1
	v_cndmask_b32_e64 v10, v10, v12, s[6:7]
	v_mul_f32_e32 v11, 0x37800000, v10
	v_cndmask_b32_e64 v10, v10, v11, s[4:5]
	v_cmp_class_f32_e64 s[4:5], v1, v9
	s_nop 1
	v_cndmask_b32_e64 v1, v10, v1, s[4:5]
	s_cbranch_vccnz .LBB343_8
; %bb.7:
	global_load_dword v9, v7, s[10:11] offset:128
	s_waitcnt vmcnt(0)
	v_add_f32_e32 v1, v1, v9
.LBB343_8:
	s_waitcnt vmcnt(3)
	v_cvt_f32_f16_e32 v9, v2
	s_mov_b32 s12, 0x800000
	s_mov_b32 s7, 0x3f317217
	;; [unrolled: 1-line block ×3, first 2 shown]
	v_mul_f32_e32 v10, 0x3fb8aa3b, v9
	v_exp_f32_e32 v11, v10
	v_mov_b32_e32 v10, 0x4f800000
	s_movk_i32 s6, 0x4d00
	s_mov_b32 s14, 0xf800000
	v_add_f32_e32 v11, 1.0, v11
	v_cmp_gt_f32_e32 vcc, s12, v11
	s_nop 1
	v_cndmask_b32_e32 v12, 1.0, v10, vcc
	v_mul_f32_e32 v11, v11, v12
	v_log_f32_e32 v12, v11
	v_mov_b32_e32 v11, 0x41b17218
	v_cndmask_b32_e32 v13, 0, v11, vcc
	v_mul_f32_e32 v14, 0x3f317217, v12
	v_fma_f32 v14, v12, s7, -v14
	v_fmac_f32_e32 v14, 0x3377d1cf, v12
	v_fmac_f32_e32 v14, 0x3f317217, v12
	v_cmp_lt_f32_e64 vcc, |v12|, s13
	s_nop 1
	v_cndmask_b32_e32 v12, v12, v14, vcc
	v_sub_f32_e32 v12, v12, v13
	v_cmp_lt_f16_e32 vcc, s6, v2
	s_nop 1
	v_cndmask_b32_e32 v2, v12, v9, vcc
	v_mul_f32_e32 v9, 0x4f800000, v2
	v_cmp_gt_f32_e32 vcc, s14, v2
	s_nop 1
	v_cndmask_b32_e32 v2, v2, v9, vcc
	v_sqrt_f32_e32 v9, v2
	s_nop 0
	v_add_u32_e32 v12, -1, v9
	v_fma_f32 v13, -v12, v9, v2
	v_cmp_ge_f32_e64 s[4:5], 0, v13
	v_add_u32_e32 v13, 1, v9
	s_nop 0
	v_cndmask_b32_e64 v12, v9, v12, s[4:5]
	v_fma_f32 v9, -v13, v9, v2
	v_cmp_lt_f32_e64 s[4:5], 0, v9
	s_nop 1
	v_cndmask_b32_e64 v9, v12, v13, s[4:5]
	v_mul_f32_e32 v12, 0x37800000, v9
	v_cndmask_b32_e32 v12, v9, v12, vcc
	v_mov_b32_e32 v9, 0x260
	v_cmp_class_f32_e64 s[4:5], v2, v9
	s_and_b64 vcc, exec, s[2:3]
	s_nop 0
	v_cndmask_b32_e64 v2, v12, v2, s[4:5]
	s_cbranch_vccnz .LBB343_10
; %bb.9:
	global_load_dword v12, v7, s[10:11] offset:256
	s_waitcnt vmcnt(0)
	v_add_f32_e32 v2, v2, v12
.LBB343_10:
	s_waitcnt vmcnt(2)
	v_cvt_f32_f16_e32 v12, v3
	v_mul_f32_e32 v13, 0x3fb8aa3b, v12
	v_exp_f32_e32 v13, v13
	s_nop 0
	v_add_f32_e32 v13, 1.0, v13
	v_cmp_gt_f32_e32 vcc, s12, v13
	s_nop 1
	v_cndmask_b32_e32 v10, 1.0, v10, vcc
	v_mul_f32_e32 v10, v13, v10
	v_log_f32_e32 v10, v10
	v_cndmask_b32_e32 v11, 0, v11, vcc
	v_mul_f32_e32 v13, 0x3f317217, v10
	v_fma_f32 v13, v10, s7, -v13
	v_fmac_f32_e32 v13, 0x3377d1cf, v10
	v_fmac_f32_e32 v13, 0x3f317217, v10
	v_cmp_lt_f32_e64 vcc, |v10|, s13
	s_nop 1
	v_cndmask_b32_e32 v10, v10, v13, vcc
	v_sub_f32_e32 v10, v10, v11
	v_cmp_lt_f16_e32 vcc, s6, v3
	s_nop 1
	v_cndmask_b32_e32 v3, v10, v12, vcc
	v_mul_f32_e32 v10, 0x4f800000, v3
	v_cmp_gt_f32_e64 s[4:5], s14, v3
	s_and_b64 vcc, exec, s[2:3]
	s_nop 0
	v_cndmask_b32_e64 v3, v3, v10, s[4:5]
	v_sqrt_f32_e32 v10, v3
	s_nop 0
	v_add_u32_e32 v11, -1, v10
	v_add_u32_e32 v12, 1, v10
	v_fma_f32 v13, -v11, v10, v3
	v_fma_f32 v14, -v12, v10, v3
	v_cmp_ge_f32_e64 s[6:7], 0, v13
	s_nop 1
	v_cndmask_b32_e64 v10, v10, v11, s[6:7]
	v_cmp_lt_f32_e64 s[6:7], 0, v14
	s_nop 1
	v_cndmask_b32_e64 v10, v10, v12, s[6:7]
	v_mul_f32_e32 v11, 0x37800000, v10
	v_cndmask_b32_e64 v10, v10, v11, s[4:5]
	v_cmp_class_f32_e64 s[4:5], v3, v9
	s_nop 1
	v_cndmask_b32_e64 v3, v10, v3, s[4:5]
	s_cbranch_vccnz .LBB343_12
; %bb.11:
	global_load_dword v9, v7, s[10:11] offset:384
	s_waitcnt vmcnt(0)
	v_add_f32_e32 v3, v3, v9
.LBB343_12:
	s_waitcnt vmcnt(1)
	v_cvt_f32_f16_e32 v9, v4
	s_mov_b32 s7, 0x3f317217
	s_movk_i32 s6, 0x4d00
	v_mul_f32_e32 v10, 0x3fb8aa3b, v9
	v_exp_f32_e32 v11, v10
	v_mov_b32_e32 v10, 0x4f800000
	v_add_f32_e32 v11, 1.0, v11
	v_cmp_gt_f32_e32 vcc, s12, v11
	s_nop 1
	v_cndmask_b32_e32 v12, 1.0, v10, vcc
	v_mul_f32_e32 v11, v11, v12
	v_log_f32_e32 v12, v11
	v_mov_b32_e32 v11, 0x41b17218
	v_cndmask_b32_e32 v13, 0, v11, vcc
	v_mul_f32_e32 v14, 0x3f317217, v12
	v_fma_f32 v14, v12, s7, -v14
	v_fmac_f32_e32 v14, 0x3377d1cf, v12
	v_fmac_f32_e32 v14, 0x3f317217, v12
	v_cmp_lt_f32_e64 vcc, |v12|, s13
	s_nop 1
	v_cndmask_b32_e32 v12, v12, v14, vcc
	v_sub_f32_e32 v12, v12, v13
	v_cmp_lt_f16_e32 vcc, s6, v4
	s_nop 1
	v_cndmask_b32_e32 v4, v12, v9, vcc
	v_mul_f32_e32 v9, 0x4f800000, v4
	v_cmp_gt_f32_e32 vcc, s14, v4
	s_nop 1
	v_cndmask_b32_e32 v4, v4, v9, vcc
	v_sqrt_f32_e32 v9, v4
	s_nop 0
	v_add_u32_e32 v12, -1, v9
	v_fma_f32 v13, -v12, v9, v4
	v_cmp_ge_f32_e64 s[4:5], 0, v13
	v_add_u32_e32 v13, 1, v9
	s_nop 0
	v_cndmask_b32_e64 v12, v9, v12, s[4:5]
	v_fma_f32 v9, -v13, v9, v4
	v_cmp_lt_f32_e64 s[4:5], 0, v9
	s_nop 1
	v_cndmask_b32_e64 v9, v12, v13, s[4:5]
	v_mul_f32_e32 v12, 0x37800000, v9
	v_cndmask_b32_e32 v12, v9, v12, vcc
	v_mov_b32_e32 v9, 0x260
	v_cmp_class_f32_e64 s[4:5], v4, v9
	s_and_b64 vcc, exec, s[2:3]
	s_nop 0
	v_cndmask_b32_e64 v4, v12, v4, s[4:5]
	s_cbranch_vccnz .LBB343_14
; %bb.13:
	global_load_dword v12, v7, s[10:11] offset:512
	s_waitcnt vmcnt(0)
	v_add_f32_e32 v4, v4, v12
.LBB343_14:
	s_waitcnt vmcnt(0)
	v_cvt_f32_f16_e32 v12, v5
	v_mul_f32_e32 v13, 0x3fb8aa3b, v12
	v_exp_f32_e32 v13, v13
	s_nop 0
	v_add_f32_e32 v13, 1.0, v13
	v_cmp_gt_f32_e32 vcc, s12, v13
	s_nop 1
	v_cndmask_b32_e32 v10, 1.0, v10, vcc
	v_mul_f32_e32 v10, v13, v10
	v_log_f32_e32 v10, v10
	v_cndmask_b32_e32 v11, 0, v11, vcc
	v_mul_f32_e32 v13, 0x3f317217, v10
	v_fma_f32 v13, v10, s7, -v13
	v_fmac_f32_e32 v13, 0x3377d1cf, v10
	v_fmac_f32_e32 v13, 0x3f317217, v10
	v_cmp_lt_f32_e64 vcc, |v10|, s13
	s_nop 1
	v_cndmask_b32_e32 v10, v10, v13, vcc
	v_sub_f32_e32 v10, v10, v11
	v_cmp_lt_f16_e32 vcc, s6, v5
	s_nop 1
	v_cndmask_b32_e32 v5, v10, v12, vcc
	v_mul_f32_e32 v10, 0x4f800000, v5
	v_cmp_gt_f32_e64 s[4:5], s14, v5
	s_and_b64 vcc, exec, s[2:3]
	s_nop 0
	v_cndmask_b32_e64 v5, v5, v10, s[4:5]
	v_sqrt_f32_e32 v10, v5
	s_nop 0
	v_add_u32_e32 v11, -1, v10
	v_add_u32_e32 v12, 1, v10
	v_fma_f32 v13, -v11, v10, v5
	v_fma_f32 v14, -v12, v10, v5
	v_cmp_ge_f32_e64 s[6:7], 0, v13
	s_nop 1
	v_cndmask_b32_e64 v10, v10, v11, s[6:7]
	v_cmp_lt_f32_e64 s[6:7], 0, v14
	s_nop 1
	v_cndmask_b32_e64 v10, v10, v12, s[6:7]
	v_mul_f32_e32 v11, 0x37800000, v10
	v_cndmask_b32_e64 v10, v10, v11, s[4:5]
	v_cmp_class_f32_e64 s[4:5], v5, v9
	s_nop 1
	v_cndmask_b32_e64 v5, v10, v5, s[4:5]
	s_cbranch_vccnz .LBB343_16
; %bb.15:
	global_load_dword v7, v7, s[10:11] offset:640
	s_waitcnt vmcnt(0)
	v_add_f32_e32 v5, v5, v7
.LBB343_16:
	s_load_dwordx4 s[12:15], s[0:1], 0x30
	s_mov_b32 s31, 0
	v_cmp_eq_u32_e64 s[6:7], 0, v8
	s_waitcnt lgkmcnt(0)
	s_bitcmp1_b32 s15, 0
	s_cselect_b64 s[4:5], -1, 0
	s_cmp_gt_i32 s12, 0
	s_cselect_b64 s[24:25], -1, 0
	s_and_b64 vcc, exec, s[24:25]
	s_cbranch_vccz .LBB343_43
; %bb.17:
	v_mbcnt_lo_u32_b32 v7, -1, 0
	v_mbcnt_hi_u32_b32 v7, -1, v7
	v_and_b32_e32 v9, 0x60, v7
	v_add_u32_e32 v10, 32, v9
	v_xor_b32_e32 v11, 16, v7
	v_cmp_lt_i32_e32 vcc, v11, v10
	s_load_dwordx4 s[16:19], s[0:1], 0x20
	v_mul_lo_u32 v9, v6, s12
	v_cndmask_b32_e32 v11, v7, v11, vcc
	v_lshlrev_b32_e32 v17, 2, v11
	v_xor_b32_e32 v11, 8, v7
	v_cmp_lt_i32_e32 vcc, v11, v10
	v_or_b32_e32 v12, 32, v8
	v_or_b32_e32 v13, 64, v8
	v_cndmask_b32_e32 v11, v7, v11, vcc
	v_lshlrev_b32_e32 v18, 2, v11
	v_xor_b32_e32 v11, 4, v7
	v_cmp_lt_i32_e32 vcc, v11, v10
	v_or_b32_e32 v14, 0x60, v8
	v_or_b32_e32 v15, 0x80, v8
	v_cndmask_b32_e32 v11, v7, v11, vcc
	v_lshlrev_b32_e32 v19, 2, v11
	v_xor_b32_e32 v11, 2, v7
	v_cmp_lt_i32_e32 vcc, v11, v10
	v_or_b32_e32 v16, 0xa0, v8
	v_mov_b32_e32 v22, 0xc0
	v_cndmask_b32_e32 v11, v7, v11, vcc
	v_lshlrev_b32_e32 v20, 2, v11
	v_xor_b32_e32 v11, 1, v7
	v_cmp_lt_i32_e32 vcc, v11, v10
	v_mov_b32_e32 v23, 0xc61c4000
	v_mov_b32_e32 v24, v6
	v_cndmask_b32_e32 v7, v7, v11, vcc
	v_lshlrev_b32_e32 v21, 2, v7
	v_mov_b32_e32 v7, 0
	s_branch .LBB343_20
.LBB343_18:                             ;   in Loop: Header=BB343_20 Depth=1
	s_waitcnt lgkmcnt(0)
	v_add_u32_e32 v26, s31, v9
	v_ashrrev_i32_e32 v27, 31, v26
	v_cmp_le_i32_e32 vcc, s13, v10
	v_cmp_gt_i32_e64 s[0:1], s14, v10
	v_lshlrev_b64 v[28:29], 2, v[26:27]
	s_and_b64 s[0:1], vcc, s[0:1]
	v_lshl_add_u64 v[30:31], s[20:21], 0, v[28:29]
	v_subrev_u32_e32 v11, s13, v10
	global_store_dword v[30:31], v25, off
	v_ashrrev_i32_e32 v30, 31, v11
	s_and_b64 vcc, s[22:23], s[0:1]
	v_cndmask_b32_e32 v31, 0, v30, vcc
	v_cndmask_b32_e32 v30, v22, v11, vcc
	v_lshl_add_u64 v[26:27], v[26:27], 3, s[16:17]
	v_add_f32_e32 v11, v7, v25
	global_store_dwordx2 v[26:27], v[30:31], off
	v_lshl_add_u64 v[26:27], s[18:19], 0, v[28:29]
	v_cndmask_b32_e64 v7, v7, v11, s[4:5]
	global_store_dword v[26:27], v24, off
.LBB343_19:                             ;   in Loop: Header=BB343_20 Depth=1
	s_or_b64 exec, exec, s[26:27]
	v_ashrrev_i32_e32 v11, 31, v10
	v_lshrrev_b32_e32 v11, 27, v11
	v_add_u32_e32 v11, v10, v11
	v_ashrrev_i32_e32 v25, 5, v11
	v_and_b32_e32 v11, 0xffffffe0, v11
	v_sub_u32_e32 v10, v10, v11
	v_cmp_ne_u32_e64 s[0:1], 0, v25
	v_cmp_eq_u32_e32 vcc, v8, v10
	s_add_i32 s31, s31, 1
	v_cndmask_b32_e64 v10, v23, v0, s[0:1]
	v_cmp_ne_u32_e64 s[0:1], 1, v25
	s_cmp_lt_i32 s31, s12
	s_cselect_b64 s[26:27], -1, 0
	v_cndmask_b32_e64 v11, v23, v1, s[0:1]
	v_cmp_ne_u32_e64 s[0:1], 2, v25
	s_and_b64 vcc, s[26:27], vcc
	v_cndmask_b32_e32 v1, v1, v11, vcc
	s_waitcnt lgkmcnt(0)
	v_cndmask_b32_e64 v26, v23, v2, s[0:1]
	v_cmp_ne_u32_e64 s[0:1], 3, v25
	v_cndmask_b32_e32 v2, v2, v26, vcc
	v_cndmask_b32_e32 v0, v0, v10, vcc
	v_cndmask_b32_e64 v27, v23, v3, s[0:1]
	v_cmp_ne_u32_e64 s[0:1], 4, v25
	v_cndmask_b32_e32 v3, v3, v27, vcc
	s_cmp_eq_u32 s12, s31
	v_cndmask_b32_e64 v28, v23, v4, s[0:1]
	v_cmp_ne_u32_e64 s[0:1], 5, v25
	v_cndmask_b32_e32 v4, v4, v28, vcc
	v_add_u32_e32 v24, s30, v24
	v_cndmask_b32_e64 v25, v23, v5, s[0:1]
	v_cndmask_b32_e32 v5, v5, v25, vcc
	s_cbranch_scc1 .LBB343_44
.LBB343_20:                             ; =>This Inner Loop Header: Depth=1
	v_cmp_gt_f32_e32 vcc, v1, v0
	s_nop 1
	v_cndmask_b32_e32 v11, v0, v1, vcc
	v_cndmask_b32_e32 v10, v8, v12, vcc
	v_cmp_gt_f32_e32 vcc, v2, v11
	s_nop 1
	v_cndmask_b32_e32 v11, v11, v2, vcc
	v_cndmask_b32_e32 v10, v10, v13, vcc
	;; [unrolled: 4-line block ×5, first 2 shown]
	ds_bpermute_b32 v11, v17, v25
	ds_bpermute_b32 v26, v17, v10
	s_waitcnt lgkmcnt(0)
	v_cmp_lt_f32_e64 s[26:27], v25, v11
	v_cmp_nlt_f32_e32 vcc, v25, v11
	s_and_saveexec_b64 s[28:29], vcc
; %bb.21:                               ;   in Loop: Header=BB343_20 Depth=1
	v_cmp_eq_f32_e32 vcc, v25, v11
	v_cmp_lt_i32_e64 s[0:1], v26, v10
	s_and_b64 s[0:1], vcc, s[0:1]
	s_andn2_b64 s[26:27], s[26:27], exec
	s_and_b64 s[0:1], s[0:1], exec
	s_or_b64 s[26:27], s[26:27], s[0:1]
; %bb.22:                               ;   in Loop: Header=BB343_20 Depth=1
	s_or_b64 exec, exec, s[28:29]
	s_and_saveexec_b64 s[0:1], s[26:27]
; %bb.23:                               ;   in Loop: Header=BB343_20 Depth=1
	v_mov_b32_e32 v25, v11
	v_mov_b32_e32 v10, v26
; %bb.24:                               ;   in Loop: Header=BB343_20 Depth=1
	s_or_b64 exec, exec, s[0:1]
	ds_bpermute_b32 v11, v18, v25
	ds_bpermute_b32 v26, v18, v10
	s_waitcnt lgkmcnt(1)
	v_cmp_lt_f32_e64 s[26:27], v25, v11
	v_cmp_nlt_f32_e32 vcc, v25, v11
	s_and_saveexec_b64 s[28:29], vcc
	s_cbranch_execz .LBB343_26
; %bb.25:                               ;   in Loop: Header=BB343_20 Depth=1
	v_cmp_eq_f32_e32 vcc, v25, v11
	s_waitcnt lgkmcnt(0)
	v_cmp_lt_i32_e64 s[0:1], v26, v10
	s_and_b64 s[0:1], vcc, s[0:1]
	s_andn2_b64 s[26:27], s[26:27], exec
	s_and_b64 s[0:1], s[0:1], exec
	s_or_b64 s[26:27], s[26:27], s[0:1]
.LBB343_26:                             ;   in Loop: Header=BB343_20 Depth=1
	s_or_b64 exec, exec, s[28:29]
	s_and_saveexec_b64 s[0:1], s[26:27]
	s_cbranch_execz .LBB343_28
; %bb.27:                               ;   in Loop: Header=BB343_20 Depth=1
	v_mov_b32_e32 v25, v11
	s_waitcnt lgkmcnt(0)
	v_mov_b32_e32 v10, v26
.LBB343_28:                             ;   in Loop: Header=BB343_20 Depth=1
	s_or_b64 exec, exec, s[0:1]
	ds_bpermute_b32 v11, v19, v25
	s_waitcnt lgkmcnt(1)
	ds_bpermute_b32 v26, v19, v10
	s_waitcnt lgkmcnt(1)
	v_cmp_lt_f32_e64 s[26:27], v25, v11
	v_cmp_nlt_f32_e32 vcc, v25, v11
	s_and_saveexec_b64 s[28:29], vcc
	s_cbranch_execz .LBB343_30
; %bb.29:                               ;   in Loop: Header=BB343_20 Depth=1
	v_cmp_eq_f32_e32 vcc, v25, v11
	s_waitcnt lgkmcnt(0)
	v_cmp_lt_i32_e64 s[0:1], v26, v10
	s_and_b64 s[0:1], vcc, s[0:1]
	s_andn2_b64 s[26:27], s[26:27], exec
	s_and_b64 s[0:1], s[0:1], exec
	s_or_b64 s[26:27], s[26:27], s[0:1]
.LBB343_30:                             ;   in Loop: Header=BB343_20 Depth=1
	s_or_b64 exec, exec, s[28:29]
	s_and_saveexec_b64 s[0:1], s[26:27]
	s_cbranch_execz .LBB343_32
; %bb.31:                               ;   in Loop: Header=BB343_20 Depth=1
	v_mov_b32_e32 v25, v11
	s_waitcnt lgkmcnt(0)
	v_mov_b32_e32 v10, v26
.LBB343_32:                             ;   in Loop: Header=BB343_20 Depth=1
	s_or_b64 exec, exec, s[0:1]
	ds_bpermute_b32 v11, v20, v25
	s_waitcnt lgkmcnt(1)
	;; [unrolled: 26-line block ×3, first 2 shown]
	ds_bpermute_b32 v26, v21, v10
	s_waitcnt lgkmcnt(1)
	v_cmp_lt_f32_e64 s[26:27], v25, v11
	v_cmp_nlt_f32_e32 vcc, v25, v11
	s_and_saveexec_b64 s[28:29], vcc
	s_cbranch_execnz .LBB343_39
; %bb.37:                               ;   in Loop: Header=BB343_20 Depth=1
	s_or_b64 exec, exec, s[28:29]
	s_and_saveexec_b64 s[0:1], s[26:27]
	s_cbranch_execnz .LBB343_40
.LBB343_38:                             ;   in Loop: Header=BB343_20 Depth=1
	s_or_b64 exec, exec, s[0:1]
	s_and_saveexec_b64 s[26:27], s[6:7]
	s_cbranch_execz .LBB343_19
	s_branch .LBB343_41
.LBB343_39:                             ;   in Loop: Header=BB343_20 Depth=1
	v_cmp_eq_f32_e32 vcc, v25, v11
	s_waitcnt lgkmcnt(0)
	v_cmp_lt_i32_e64 s[0:1], v26, v10
	s_and_b64 s[0:1], vcc, s[0:1]
	s_andn2_b64 s[26:27], s[26:27], exec
	s_and_b64 s[0:1], s[0:1], exec
	s_or_b64 s[26:27], s[26:27], s[0:1]
	s_or_b64 exec, exec, s[28:29]
	s_and_saveexec_b64 s[0:1], s[26:27]
	s_cbranch_execz .LBB343_38
.LBB343_40:                             ;   in Loop: Header=BB343_20 Depth=1
	s_waitcnt lgkmcnt(0)
	v_mov_b32_e32 v10, v26
	v_mov_b32_e32 v25, v11
	s_or_b64 exec, exec, s[0:1]
	s_and_saveexec_b64 s[26:27], s[6:7]
	s_cbranch_execz .LBB343_19
.LBB343_41:                             ;   in Loop: Header=BB343_20 Depth=1
	s_and_b64 vcc, exec, s[2:3]
	s_cbranch_vccnz .LBB343_18
; %bb.42:                               ;   in Loop: Header=BB343_20 Depth=1
	v_ashrrev_i32_e32 v11, 31, v10
	s_waitcnt lgkmcnt(0)
	v_lshl_add_u64 v[26:27], v[10:11], 2, s[10:11]
	global_load_dword v11, v[26:27], off
	s_waitcnt vmcnt(0)
	v_sub_f32_e32 v25, v25, v11
	s_branch .LBB343_18
.LBB343_43:
	v_mov_b32_e32 v7, 0
.LBB343_44:
	v_cmp_eq_u32_e32 vcc, 0, v8
	s_and_b64 exec, exec, vcc
	s_cbranch_execz .LBB343_57
; %bb.45:
	s_andn2_b64 vcc, exec, s[4:5]
	v_cvt_f32_f64_e32 v0, s[8:9]
	s_cbranch_vccnz .LBB343_47
; %bb.46:
	v_cmp_lt_f32_e32 vcc, 0, v7
	s_nop 1
	v_cndmask_b32_e32 v1, 1.0, v7, vcc
	v_div_scale_f32 v2, s[0:1], v1, v1, v0
	v_rcp_f32_e32 v3, v2
	s_nop 0
	v_fma_f32 v4, -v2, v3, 1.0
	v_fmac_f32_e32 v3, v4, v3
	v_div_scale_f32 v4, vcc, v0, v1, v0
	v_mul_f32_e32 v5, v4, v3
	v_fma_f32 v7, -v2, v5, v4
	v_fmac_f32_e32 v5, v7, v3
	v_fma_f32 v2, -v2, v5, v4
	v_div_fmas_f32 v2, v2, v3, v5
	v_div_fixup_f32 v0, v2, v1, v0
.LBB343_47:
	s_andn2_b64 vcc, exec, s[24:25]
	s_cbranch_vccnz .LBB343_57
; %bb.48:
	v_mul_lo_u32 v2, v6, s12
	s_cmp_gt_u32 s12, 3
	v_ashrrev_i32_e32 v3, 31, v2
	s_cbranch_scc0 .LBB343_52
; %bb.49:
	s_and_b32 s0, s12, 0x7ffffffc
	v_lshl_add_u64 v[4:5], v[2:3], 2, s[20:21]
	v_mov_b32_e32 v1, v0
	v_lshl_add_u64 v[4:5], v[4:5], 0, 8
	s_mov_b32 s1, s0
.LBB343_50:                             ; =>This Inner Loop Header: Depth=1
	global_load_dwordx4 v[6:9], v[4:5], off offset:-8
	s_add_i32 s1, s1, -4
	s_cmp_lg_u32 s1, 0
	s_waitcnt vmcnt(0)
	v_pk_mul_f32 v[6:7], v[0:1], v[6:7]
	v_pk_mul_f32 v[8:9], v[0:1], v[8:9]
	global_store_dwordx4 v[4:5], v[6:9], off offset:-8
	v_lshl_add_u64 v[4:5], v[4:5], 0, 16
	s_cbranch_scc1 .LBB343_50
; %bb.51:
	s_cmp_lg_u32 s0, s12
	s_cselect_b64 s[2:3], -1, 0
	s_branch .LBB343_54
.LBB343_52:
	s_mov_b64 s[2:3], 0
                                        ; implicit-def: $sgpr0
	s_cbranch_execz .LBB343_54
; %bb.53:
	s_mov_b64 s[2:3], -1
	s_mov_b32 s0, 0
.LBB343_54:
	s_andn2_b64 vcc, exec, s[2:3]
	s_cbranch_vccnz .LBB343_57
; %bb.55:
	s_mov_b32 s1, 0
	v_lshl_add_u64 v[2:3], v[2:3], 0, s[0:1]
	s_sub_i32 s2, s12, s0
	v_lshl_add_u64 v[2:3], v[2:3], 2, s[20:21]
.LBB343_56:                             ; =>This Inner Loop Header: Depth=1
	global_load_dword v1, v[2:3], off
	s_add_i32 s2, s2, -1
	s_cmp_lg_u32 s2, 0
	s_waitcnt vmcnt(0)
	v_mul_f32_e32 v1, v0, v1
	global_store_dword v[2:3], v1, off
	v_lshl_add_u64 v[2:3], v[2:3], 0, 4
	s_cbranch_scc1 .LBB343_56
.LBB343_57:
	s_endpgm
	.section	.rodata,"a",@progbits
	.p2align	6, 0x0
	.amdhsa_kernel _ZN4vllm3moe22topkGatingSoftplusSqrtILi6ELi192ELi4ELi2ELi32ELb0El6__halfEEvPKT6_PKbPfiPT5_PiiiibdPKfPKS9_SF_
		.amdhsa_group_segment_fixed_size 0
		.amdhsa_private_segment_fixed_size 0
		.amdhsa_kernarg_size 96
		.amdhsa_user_sgpr_count 2
		.amdhsa_user_sgpr_dispatch_ptr 0
		.amdhsa_user_sgpr_queue_ptr 0
		.amdhsa_user_sgpr_kernarg_segment_ptr 1
		.amdhsa_user_sgpr_dispatch_id 0
		.amdhsa_user_sgpr_kernarg_preload_length 0
		.amdhsa_user_sgpr_kernarg_preload_offset 0
		.amdhsa_user_sgpr_private_segment_size 0
		.amdhsa_uses_dynamic_stack 0
		.amdhsa_enable_private_segment 0
		.amdhsa_system_sgpr_workgroup_id_x 1
		.amdhsa_system_sgpr_workgroup_id_y 0
		.amdhsa_system_sgpr_workgroup_id_z 0
		.amdhsa_system_sgpr_workgroup_info 0
		.amdhsa_system_vgpr_workitem_id 1
		.amdhsa_next_free_vgpr 32
		.amdhsa_next_free_sgpr 32
		.amdhsa_accum_offset 32
		.amdhsa_reserve_vcc 1
		.amdhsa_float_round_mode_32 0
		.amdhsa_float_round_mode_16_64 0
		.amdhsa_float_denorm_mode_32 3
		.amdhsa_float_denorm_mode_16_64 3
		.amdhsa_dx10_clamp 1
		.amdhsa_ieee_mode 1
		.amdhsa_fp16_overflow 0
		.amdhsa_tg_split 0
		.amdhsa_exception_fp_ieee_invalid_op 0
		.amdhsa_exception_fp_denorm_src 0
		.amdhsa_exception_fp_ieee_div_zero 0
		.amdhsa_exception_fp_ieee_overflow 0
		.amdhsa_exception_fp_ieee_underflow 0
		.amdhsa_exception_fp_ieee_inexact 0
		.amdhsa_exception_int_div_zero 0
	.end_amdhsa_kernel
	.section	.text._ZN4vllm3moe22topkGatingSoftplusSqrtILi6ELi192ELi4ELi2ELi32ELb0El6__halfEEvPKT6_PKbPfiPT5_PiiiibdPKfPKS9_SF_,"axG",@progbits,_ZN4vllm3moe22topkGatingSoftplusSqrtILi6ELi192ELi4ELi2ELi32ELb0El6__halfEEvPKT6_PKbPfiPT5_PiiiibdPKfPKS9_SF_,comdat
.Lfunc_end343:
	.size	_ZN4vllm3moe22topkGatingSoftplusSqrtILi6ELi192ELi4ELi2ELi32ELb0El6__halfEEvPKT6_PKbPfiPT5_PiiiibdPKfPKS9_SF_, .Lfunc_end343-_ZN4vllm3moe22topkGatingSoftplusSqrtILi6ELi192ELi4ELi2ELi32ELb0El6__halfEEvPKT6_PKbPfiPT5_PiiiibdPKfPKS9_SF_
                                        ; -- End function
	.section	.AMDGPU.csdata,"",@progbits
; Kernel info:
; codeLenInByte = 3564
; NumSgprs: 38
; NumVgprs: 32
; NumAgprs: 0
; TotalNumVgprs: 32
; ScratchSize: 0
; MemoryBound: 0
; FloatMode: 240
; IeeeMode: 1
; LDSByteSize: 0 bytes/workgroup (compile time only)
; SGPRBlocks: 4
; VGPRBlocks: 3
; NumSGPRsForWavesPerEU: 38
; NumVGPRsForWavesPerEU: 32
; AccumOffset: 32
; Occupancy: 8
; WaveLimiterHint : 0
; COMPUTE_PGM_RSRC2:SCRATCH_EN: 0
; COMPUTE_PGM_RSRC2:USER_SGPR: 2
; COMPUTE_PGM_RSRC2:TRAP_HANDLER: 0
; COMPUTE_PGM_RSRC2:TGID_X_EN: 1
; COMPUTE_PGM_RSRC2:TGID_Y_EN: 0
; COMPUTE_PGM_RSRC2:TGID_Z_EN: 0
; COMPUTE_PGM_RSRC2:TIDIG_COMP_CNT: 1
; COMPUTE_PGM_RSRC3_GFX90A:ACCUM_OFFSET: 7
; COMPUTE_PGM_RSRC3_GFX90A:TG_SPLIT: 0
	.section	.text._ZN4vllm3moe22topkGatingSoftplusSqrtILi5ELi320ELi4ELi2ELi64ELb1El6__halfEEvPKT6_PKbPfiPT5_PiiiibdPKfPKS9_SF_,"axG",@progbits,_ZN4vllm3moe22topkGatingSoftplusSqrtILi5ELi320ELi4ELi2ELi64ELb1El6__halfEEvPKT6_PKbPfiPT5_PiiiibdPKfPKS9_SF_,comdat
	.protected	_ZN4vllm3moe22topkGatingSoftplusSqrtILi5ELi320ELi4ELi2ELi64ELb1El6__halfEEvPKT6_PKbPfiPT5_PiiiibdPKfPKS9_SF_ ; -- Begin function _ZN4vllm3moe22topkGatingSoftplusSqrtILi5ELi320ELi4ELi2ELi64ELb1El6__halfEEvPKT6_PKbPfiPT5_PiiiibdPKfPKS9_SF_
	.globl	_ZN4vllm3moe22topkGatingSoftplusSqrtILi5ELi320ELi4ELi2ELi64ELb1El6__halfEEvPKT6_PKbPfiPT5_PiiiibdPKfPKS9_SF_
	.p2align	8
	.type	_ZN4vllm3moe22topkGatingSoftplusSqrtILi5ELi320ELi4ELi2ELi64ELb1El6__halfEEvPKT6_PKbPfiPT5_PiiiibdPKfPKS9_SF_,@function
_ZN4vllm3moe22topkGatingSoftplusSqrtILi5ELi320ELi4ELi2ELi64ELb1El6__halfEEvPKT6_PKbPfiPT5_PiiiibdPKfPKS9_SF_: ; @_ZN4vllm3moe22topkGatingSoftplusSqrtILi5ELi320ELi4ELi2ELi64ELb1El6__halfEEvPKT6_PKbPfiPT5_PiiiibdPKfPKS9_SF_
; %bb.0:
	s_load_dword s3, s[0:1], 0x18
	v_and_b32_e32 v1, 0x3ff, v0
	s_lshl_b32 s2, s2, 2
	v_lshrrev_b32_e32 v2, 6, v1
	v_bfe_u32 v0, v0, 10, 10
	v_add3_u32 v0, s2, v0, v2
	s_waitcnt lgkmcnt(0)
	v_cmp_gt_i32_e32 vcc, s3, v0
	s_and_saveexec_b64 s[2:3], vcc
	s_cbranch_execz .LBB344_31
; %bb.1:
	s_load_dwordx4 s[4:7], s[0:1], 0x50
	s_load_dwordx2 s[2:3], s[0:1], 0x0
	s_load_dword s8, s[0:1], 0x30
	s_movk_i32 s9, 0x140
	v_mul_lo_u32 v4, v0, s9
	v_ashrrev_i32_e32 v5, 31, v4
	v_and_b32_e32 v12, 63, v1
	s_waitcnt lgkmcnt(0)
	v_lshl_add_u64 v[6:7], v[4:5], 1, s[2:3]
	v_lshlrev_b32_e32 v4, 1, v12
	v_mov_b32_e32 v5, 0
	v_lshl_add_u64 v[6:7], v[6:7], 0, v[4:5]
	global_load_ushort v4, v[6:7], off
	global_load_ushort v8, v[6:7], off offset:128
	global_load_ushort v9, v[6:7], off offset:256
	;; [unrolled: 1-line block ×4, first 2 shown]
	v_mov_b32_e32 v2, s4
	v_mov_b32_e32 v3, s5
	v_ashrrev_i32_e32 v1, 31, v0
	v_lshl_add_u64 v[2:3], v[0:1], 3, v[2:3]
	global_load_dwordx2 v[2:3], v[2:3], off
	s_ashr_i32 s9, s8, 31
	s_mov_b32 s17, 0x800000
	v_mov_b32_e32 v1, 0x4f800000
	s_mov_b32 s16, 0x3f317217
	s_mov_b32 s18, 0x7f800000
	v_mov_b32_e32 v6, 0x41b17218
	s_movk_i32 s13, 0x4d00
	s_mov_b32 s19, 0xf800000
	v_mov_b32_e32 v7, 0x260
	v_cmp_lt_i64_e64 s[14:15], s[8:9], 1
	s_mov_b32 s12, 0
	v_cmp_gt_i64_e64 s[10:11], s[8:9], 0
	v_mul_lo_u32 v0, v0, s8
	s_waitcnt vmcnt(5)
	v_cvt_f32_f16_e32 v13, v4
	s_waitcnt vmcnt(4)
	v_cvt_f32_f16_e32 v14, v8
	;; [unrolled: 2-line block ×4, first 2 shown]
	v_mul_f32_e32 v20, 0x3fb8aa3b, v13
	v_mul_f32_e32 v21, 0x3fb8aa3b, v14
	v_exp_f32_e32 v20, v20
	v_mul_f32_e32 v22, 0x3fb8aa3b, v15
	v_exp_f32_e32 v21, v21
	v_exp_f32_e32 v22, v22
	s_waitcnt vmcnt(0)
	v_mul_lo_u32 v18, v3, s8
	v_mul_lo_u32 v19, v2, s9
	v_mad_u64_u32 v[2:3], s[2:3], v2, s8, 0
	v_add3_u32 v3, v3, v19, v18
	v_add_f32_e32 v18, 1.0, v20
	v_add_f32_e32 v19, 1.0, v21
	v_cmp_gt_f32_e32 vcc, s17, v18
	v_add_f32_e32 v20, 1.0, v22
	v_cmp_gt_f32_e64 s[2:3], s17, v19
	v_cndmask_b32_e32 v21, 1.0, v1, vcc
	v_cmp_gt_f32_e64 s[4:5], s17, v20
	v_cndmask_b32_e64 v22, 1.0, v1, s[2:3]
	v_mul_f32_e32 v18, v18, v21
	v_cndmask_b32_e64 v23, 1.0, v1, s[4:5]
	v_mul_f32_e32 v19, v19, v22
	v_log_f32_e32 v18, v18
	v_mul_f32_e32 v20, v20, v23
	v_log_f32_e32 v19, v19
	v_log_f32_e32 v20, v20
	v_mul_f32_e32 v24, 0x3f317217, v18
	v_fma_f32 v24, v18, s16, -v24
	v_mul_f32_e32 v25, 0x3f317217, v19
	v_mul_f32_e32 v26, 0x3f317217, v20
	v_fma_f32 v25, v19, s16, -v25
	v_fmac_f32_e32 v24, 0x3377d1cf, v18
	v_cndmask_b32_e32 v21, 0, v6, vcc
	v_fma_f32 v26, v20, s16, -v26
	v_fmac_f32_e32 v25, 0x3377d1cf, v19
	v_fmac_f32_e32 v24, 0x3f317217, v18
	v_cmp_lt_f32_e64 vcc, |v18|, s18
	v_fmac_f32_e32 v26, 0x3377d1cf, v20
	v_fmac_f32_e32 v25, 0x3f317217, v19
	v_cndmask_b32_e32 v18, v18, v24, vcc
	v_cmp_lt_f32_e64 vcc, |v19|, s18
	v_fmac_f32_e32 v26, 0x3f317217, v20
	v_cndmask_b32_e64 v22, 0, v6, s[2:3]
	v_cndmask_b32_e32 v19, v19, v25, vcc
	v_cmp_lt_f32_e64 vcc, |v20|, s18
	v_sub_f32_e32 v18, v18, v21
	v_sub_f32_e32 v19, v19, v22
	v_cndmask_b32_e32 v20, v20, v26, vcc
	v_cmp_lt_f16_e32 vcc, s13, v4
	v_cndmask_b32_e64 v23, 0, v6, s[4:5]
	v_sub_f32_e32 v20, v20, v23
	v_cndmask_b32_e32 v4, v18, v13, vcc
	v_cmp_lt_f16_e32 vcc, s13, v8
	v_mul_f32_e32 v13, 0x4f800000, v4
	v_cmp_lt_f16_e64 s[4:5], s13, v9
	v_cndmask_b32_e32 v8, v19, v14, vcc
	v_cmp_gt_f32_e32 vcc, s19, v4
	v_mul_f32_e32 v14, 0x4f800000, v8
	v_cmp_gt_f32_e64 s[2:3], s19, v8
	v_cndmask_b32_e32 v4, v4, v13, vcc
	v_sqrt_f32_e32 v13, v4
	v_cndmask_b32_e64 v8, v8, v14, s[2:3]
	v_sqrt_f32_e32 v14, v8
	v_cndmask_b32_e64 v9, v20, v15, s[4:5]
	v_add_u32_e32 v15, -1, v13
	v_fma_f32 v21, -v15, v13, v4
	v_add_u32_e32 v19, -1, v14
	v_add_u32_e32 v18, 1, v13
	v_fma_f32 v23, -v19, v14, v8
	v_cmp_ge_f32_e64 s[4:5], 0, v21
	v_add_u32_e32 v20, 1, v14
	v_fma_f32 v22, -v18, v13, v4
	v_cndmask_b32_e64 v13, v13, v15, s[4:5]
	v_cmp_ge_f32_e64 s[4:5], 0, v23
	v_fma_f32 v24, -v20, v14, v8
	v_cvt_f32_f16_e32 v17, v11
	v_cndmask_b32_e64 v14, v14, v19, s[4:5]
	v_cmp_lt_f32_e64 s[4:5], 0, v22
	v_lshl_add_u64 v[2:3], v[2:3], 3, s[6:7]
	s_nop 0
	v_cndmask_b32_e64 v13, v13, v18, s[4:5]
	v_mul_f32_e32 v15, 0x37800000, v13
	v_cndmask_b32_e32 v13, v13, v15, vcc
	v_cmp_class_f32_e32 vcc, v4, v7
	v_cmp_lt_f32_e64 s[4:5], 0, v24
	s_nop 0
	v_cndmask_b32_e32 v13, v13, v4, vcc
	v_mul_f32_e32 v4, 0x4f800000, v9
	v_cmp_gt_f32_e32 vcc, s19, v9
	v_cndmask_b32_e64 v14, v14, v20, s[4:5]
	v_mul_f32_e32 v18, 0x37800000, v14
	v_cndmask_b32_e32 v4, v9, v4, vcc
	v_sqrt_f32_e32 v9, v4
	v_cndmask_b32_e64 v14, v14, v18, s[2:3]
	v_mul_f32_e32 v18, 0x3fb8aa3b, v16
	v_exp_f32_e32 v18, v18
	v_cmp_class_f32_e64 s[2:3], v8, v7
	v_add_f32_e32 v18, 1.0, v18
	s_nop 0
	v_cndmask_b32_e64 v14, v14, v8, s[2:3]
	v_add_u32_e32 v8, -1, v9
	v_fma_f32 v15, -v8, v9, v4
	v_cmp_ge_f32_e64 s[2:3], 0, v15
	v_add_u32_e32 v15, 1, v9
	s_nop 0
	v_cndmask_b32_e64 v8, v9, v8, s[2:3]
	v_cmp_gt_f32_e64 s[2:3], s17, v18
	v_fma_f32 v9, -v15, v9, v4
	v_cmp_lt_f32_e64 s[4:5], 0, v9
	v_cndmask_b32_e64 v19, 1.0, v1, s[2:3]
	v_mul_f32_e32 v18, v18, v19
	v_log_f32_e32 v18, v18
	v_cndmask_b32_e64 v8, v8, v15, s[4:5]
	v_mul_f32_e32 v9, 0x37800000, v8
	v_cndmask_b32_e32 v8, v8, v9, vcc
	v_mul_f32_e32 v15, 0x3f317217, v18
	v_fma_f32 v15, v18, s16, -v15
	v_fmac_f32_e32 v15, 0x3377d1cf, v18
	v_fmac_f32_e32 v15, 0x3f317217, v18
	v_cmp_lt_f32_e64 s[4:5], |v18|, s18
	v_mul_f32_e32 v9, 0x3fb8aa3b, v17
	v_exp_f32_e32 v9, v9
	v_cndmask_b32_e64 v15, v18, v15, s[4:5]
	v_cndmask_b32_e64 v18, 0, v6, s[2:3]
	v_sub_f32_e32 v15, v15, v18
	v_cmp_lt_f16_e64 s[2:3], s13, v10
	v_cmp_class_f32_e32 vcc, v4, v7
	v_add_f32_e32 v9, 1.0, v9
	v_cndmask_b32_e64 v10, v15, v16, s[2:3]
	v_mul_f32_e32 v15, 0x4f800000, v10
	v_cmp_gt_f32_e64 s[2:3], s19, v10
	s_nop 1
	v_cndmask_b32_e64 v10, v10, v15, s[2:3]
	v_sqrt_f32_e32 v16, v10
	v_cndmask_b32_e32 v15, v8, v4, vcc
	v_add_u32_e32 v4, -1, v16
	v_fma_f32 v8, -v4, v16, v10
	v_cmp_ge_f32_e32 vcc, 0, v8
	v_add_u32_e32 v8, 1, v16
	s_nop 0
	v_cndmask_b32_e32 v4, v16, v4, vcc
	v_cmp_gt_f32_e32 vcc, s17, v9
	v_fma_f32 v16, -v8, v16, v10
	v_cmp_lt_f32_e64 s[4:5], 0, v16
	v_cndmask_b32_e32 v1, 1.0, v1, vcc
	v_mul_f32_e32 v1, v9, v1
	v_log_f32_e32 v1, v1
	v_cndmask_b32_e64 v4, v4, v8, s[4:5]
	v_cndmask_b32_e32 v6, 0, v6, vcc
	v_cmp_lt_f16_e32 vcc, s13, v11
	v_mul_f32_e32 v9, 0x3f317217, v1
	v_fma_f32 v9, v1, s16, -v9
	v_fmac_f32_e32 v9, 0x3377d1cf, v1
	v_fmac_f32_e32 v9, 0x3f317217, v1
	v_cmp_lt_f32_e64 s[4:5], |v1|, s18
	v_mul_f32_e32 v8, 0x37800000, v4
	v_cndmask_b32_e64 v4, v4, v8, s[2:3]
	v_cndmask_b32_e64 v1, v1, v9, s[4:5]
	v_sub_f32_e32 v1, v1, v6
	v_cndmask_b32_e32 v1, v1, v17, vcc
	v_mul_f32_e32 v6, 0x4f800000, v1
	v_cmp_gt_f32_e32 vcc, s19, v1
	v_cmp_class_f32_e64 s[2:3], v10, v7
	s_nop 0
	v_cndmask_b32_e32 v1, v1, v6, vcc
	v_sqrt_f32_e32 v6, v1
	v_cndmask_b32_e64 v16, v4, v10, s[2:3]
	v_add_u32_e32 v4, -1, v6
	v_fma_f32 v8, -v4, v6, v1
	v_cmp_ge_f32_e64 s[2:3], 0, v8
	v_add_u32_e32 v8, 1, v6
	s_nop 0
	v_cndmask_b32_e64 v4, v6, v4, s[2:3]
	v_fma_f32 v6, -v8, v6, v1
	v_cmp_lt_f32_e64 s[2:3], 0, v6
	s_nop 1
	v_cndmask_b32_e64 v4, v4, v8, s[2:3]
	v_mul_f32_e32 v6, 0x37800000, v4
	v_cndmask_b32_e32 v4, v4, v6, vcc
	v_cmp_class_f32_e32 vcc, v1, v7
	s_nop 1
	v_cndmask_b32_e32 v17, v4, v1, vcc
	s_and_b64 vcc, exec, s[14:15]
	s_cbranch_vccnz .LBB344_28
; %bb.2:
	s_load_dwordx2 s[4:5], s[0:1], 0x20
	s_cmp_lt_u32 s8, 4
	v_sub_u32_e32 v4, 0, v12
	s_cbranch_scc1 .LBB344_21
; %bb.3:
	s_mov_b32 s7, 0
	s_and_b32 s12, s8, 0x7ffffffc
	v_ashrrev_i32_e32 v1, 31, v0
	v_mov_b32_e32 v5, 0
	s_mov_b32 s6, s7
	s_branch .LBB344_5
.LBB344_4:                              ;   in Loop: Header=BB344_5 Depth=1
	s_or_b64 exec, exec, s[14:15]
	s_add_i32 s6, s6, 4
	s_cmp_eq_u32 s6, s12
	s_cbranch_scc1 .LBB344_21
.LBB344_5:                              ; =>This Loop Header: Depth=1
                                        ;     Child Loop BB344_7 Depth 2
                                        ;     Child Loop BB344_11 Depth 2
	;; [unrolled: 1-line block ×4, first 2 shown]
	v_lshl_add_u64 v[6:7], s[6:7], 3, v[2:3]
	global_load_dwordx2 v[8:9], v[6:7], off
	v_add_u32_e32 v10, s6, v0
	v_ashrrev_i32_e32 v11, 31, v10
	s_mov_b64 s[14:15], 0
	s_waitcnt lgkmcnt(0)
	v_lshl_add_u64 v[10:11], v[10:11], 3, s[4:5]
	s_mov_b64 s[16:17], 0
	s_waitcnt vmcnt(0)
	v_ashrrev_i32_e32 v9, 31, v8
	v_add_u32_e32 v18, v4, v8
	s_branch .LBB344_7
.LBB344_6:                              ;   in Loop: Header=BB344_7 Depth=2
	s_or_b64 exec, exec, s[18:19]
	s_cmp_gt_u32 s16, 3
	s_cselect_b64 s[2:3], -1, 0
	s_xor_b64 s[18:19], vcc, -1
	s_or_b64 s[2:3], s[18:19], s[2:3]
	s_add_u32 s16, s16, 1
	s_addc_u32 s17, s17, 0
	s_and_b64 s[2:3], exec, s[2:3]
	s_or_b64 s[14:15], s[2:3], s[14:15]
	v_subrev_u32_e32 v18, 64, v18
	s_andn2_b64 exec, exec, s[14:15]
	s_cbranch_execz .LBB344_9
.LBB344_7:                              ;   Parent Loop BB344_5 Depth=1
                                        ; =>  This Inner Loop Header: Depth=2
	v_cmp_ne_u32_e32 vcc, 0, v18
	v_cmp_eq_u32_e64 s[2:3], 0, v18
	s_and_saveexec_b64 s[18:19], s[2:3]
	s_cbranch_execz .LBB344_6
; %bb.8:                                ;   in Loop: Header=BB344_7 Depth=2
	s_cmp_eq_u32 s16, 1
	s_cselect_b64 s[2:3], -1, 0
	s_cmp_eq_u32 s16, 2
	v_cndmask_b32_e64 v19, v13, v14, s[2:3]
	s_cselect_b64 s[2:3], -1, 0
	s_cmp_eq_u32 s16, 3
	v_cndmask_b32_e64 v19, v19, v15, s[2:3]
	;; [unrolled: 3-line block ×3, first 2 shown]
	s_cselect_b64 s[2:3], -1, 0
	v_cndmask_b32_e64 v19, v19, v17, s[2:3]
	v_add_f32_e32 v5, v5, v19
	global_store_dwordx2 v[10:11], v[8:9], off
	s_branch .LBB344_6
.LBB344_9:                              ;   in Loop: Header=BB344_5 Depth=1
	s_or_b64 exec, exec, s[14:15]
	global_load_dwordx2 v[10:11], v[6:7], off offset:8
	s_ashr_i32 s3, s6, 31
	s_mov_b32 s2, s6
	v_lshl_add_u64 v[8:9], s[2:3], 0, v[0:1]
	s_mov_b64 s[14:15], 0
	v_lshl_add_u64 v[8:9], v[8:9], 3, s[4:5]
	s_mov_b64 s[16:17], 0
	s_waitcnt vmcnt(0)
	v_ashrrev_i32_e32 v11, 31, v10
	v_add_u32_e32 v18, v4, v10
	s_branch .LBB344_11
.LBB344_10:                             ;   in Loop: Header=BB344_11 Depth=2
	s_or_b64 exec, exec, s[18:19]
	s_cmp_gt_u32 s16, 3
	s_cselect_b64 s[2:3], -1, 0
	s_xor_b64 s[18:19], vcc, -1
	s_or_b64 s[2:3], s[18:19], s[2:3]
	s_add_u32 s16, s16, 1
	s_addc_u32 s17, s17, 0
	s_and_b64 s[2:3], exec, s[2:3]
	s_or_b64 s[14:15], s[2:3], s[14:15]
	v_subrev_u32_e32 v18, 64, v18
	s_andn2_b64 exec, exec, s[14:15]
	s_cbranch_execz .LBB344_13
.LBB344_11:                             ;   Parent Loop BB344_5 Depth=1
                                        ; =>  This Inner Loop Header: Depth=2
	v_cmp_ne_u32_e32 vcc, 0, v18
	v_cmp_eq_u32_e64 s[2:3], 0, v18
	s_and_saveexec_b64 s[18:19], s[2:3]
	s_cbranch_execz .LBB344_10
; %bb.12:                               ;   in Loop: Header=BB344_11 Depth=2
	s_cmp_eq_u32 s16, 1
	s_cselect_b64 s[2:3], -1, 0
	s_cmp_eq_u32 s16, 2
	v_cndmask_b32_e64 v19, v13, v14, s[2:3]
	s_cselect_b64 s[2:3], -1, 0
	s_cmp_eq_u32 s16, 3
	v_cndmask_b32_e64 v19, v19, v15, s[2:3]
	;; [unrolled: 3-line block ×3, first 2 shown]
	s_cselect_b64 s[2:3], -1, 0
	v_cndmask_b32_e64 v19, v19, v17, s[2:3]
	v_add_f32_e32 v5, v5, v19
	global_store_dwordx2 v[8:9], v[10:11], off offset:8
	s_branch .LBB344_10
.LBB344_13:                             ;   in Loop: Header=BB344_5 Depth=1
	s_or_b64 exec, exec, s[14:15]
	global_load_dwordx2 v[10:11], v[6:7], off offset:16
	s_mov_b64 s[14:15], 0
	s_mov_b64 s[16:17], 0
	s_waitcnt vmcnt(0)
	v_ashrrev_i32_e32 v11, 31, v10
	v_add_u32_e32 v18, v4, v10
	s_branch .LBB344_15
.LBB344_14:                             ;   in Loop: Header=BB344_15 Depth=2
	s_or_b64 exec, exec, s[18:19]
	s_cmp_gt_u32 s16, 3
	s_cselect_b64 s[2:3], -1, 0
	s_xor_b64 s[18:19], vcc, -1
	s_or_b64 s[2:3], s[18:19], s[2:3]
	s_add_u32 s16, s16, 1
	s_addc_u32 s17, s17, 0
	s_and_b64 s[2:3], exec, s[2:3]
	s_or_b64 s[14:15], s[2:3], s[14:15]
	v_subrev_u32_e32 v18, 64, v18
	s_andn2_b64 exec, exec, s[14:15]
	s_cbranch_execz .LBB344_17
.LBB344_15:                             ;   Parent Loop BB344_5 Depth=1
                                        ; =>  This Inner Loop Header: Depth=2
	v_cmp_ne_u32_e32 vcc, 0, v18
	v_cmp_eq_u32_e64 s[2:3], 0, v18
	s_and_saveexec_b64 s[18:19], s[2:3]
	s_cbranch_execz .LBB344_14
; %bb.16:                               ;   in Loop: Header=BB344_15 Depth=2
	s_cmp_eq_u32 s16, 1
	s_cselect_b64 s[2:3], -1, 0
	s_cmp_eq_u32 s16, 2
	v_cndmask_b32_e64 v19, v13, v14, s[2:3]
	s_cselect_b64 s[2:3], -1, 0
	s_cmp_eq_u32 s16, 3
	v_cndmask_b32_e64 v19, v19, v15, s[2:3]
	;; [unrolled: 3-line block ×3, first 2 shown]
	s_cselect_b64 s[2:3], -1, 0
	v_cndmask_b32_e64 v19, v19, v17, s[2:3]
	v_add_f32_e32 v5, v5, v19
	global_store_dwordx2 v[8:9], v[10:11], off offset:16
	s_branch .LBB344_14
.LBB344_17:                             ;   in Loop: Header=BB344_5 Depth=1
	s_or_b64 exec, exec, s[14:15]
	global_load_dwordx2 v[6:7], v[6:7], off offset:24
	s_mov_b64 s[14:15], 0
	s_mov_b64 s[16:17], 0
	s_waitcnt vmcnt(0)
	v_ashrrev_i32_e32 v7, 31, v6
	v_add_u32_e32 v10, v4, v6
	s_branch .LBB344_19
.LBB344_18:                             ;   in Loop: Header=BB344_19 Depth=2
	s_or_b64 exec, exec, s[18:19]
	s_cmp_gt_u32 s16, 3
	s_cselect_b64 s[2:3], -1, 0
	s_xor_b64 s[18:19], vcc, -1
	s_or_b64 s[2:3], s[18:19], s[2:3]
	s_add_u32 s16, s16, 1
	s_addc_u32 s17, s17, 0
	s_and_b64 s[2:3], exec, s[2:3]
	s_or_b64 s[14:15], s[2:3], s[14:15]
	v_subrev_u32_e32 v10, 64, v10
	s_andn2_b64 exec, exec, s[14:15]
	s_cbranch_execz .LBB344_4
.LBB344_19:                             ;   Parent Loop BB344_5 Depth=1
                                        ; =>  This Inner Loop Header: Depth=2
	v_cmp_ne_u32_e32 vcc, 0, v10
	v_cmp_eq_u32_e64 s[2:3], 0, v10
	s_and_saveexec_b64 s[18:19], s[2:3]
	s_cbranch_execz .LBB344_18
; %bb.20:                               ;   in Loop: Header=BB344_19 Depth=2
	s_cmp_eq_u32 s16, 1
	s_cselect_b64 s[2:3], -1, 0
	s_cmp_eq_u32 s16, 2
	v_cndmask_b32_e64 v11, v13, v14, s[2:3]
	s_cselect_b64 s[2:3], -1, 0
	s_cmp_eq_u32 s16, 3
	v_cndmask_b32_e64 v11, v11, v15, s[2:3]
	;; [unrolled: 3-line block ×3, first 2 shown]
	s_cselect_b64 s[2:3], -1, 0
	v_cndmask_b32_e64 v11, v11, v17, s[2:3]
	v_add_f32_e32 v5, v5, v11
	global_store_dwordx2 v[8:9], v[6:7], off offset:24
	s_branch .LBB344_18
.LBB344_21:
	s_and_b32 s9, s8, 3
	s_cmp_eq_u32 s9, 0
	s_mov_b32 s13, 0
	s_cbranch_scc1 .LBB344_28
; %bb.22:
	s_mov_b32 s18, s13
	s_branch .LBB344_24
.LBB344_23:                             ;   in Loop: Header=BB344_24 Depth=1
	s_or_b64 exec, exec, s[6:7]
	s_add_i32 s12, s12, 1
	s_add_i32 s18, s18, 1
	s_cmp_lg_u32 s18, s9
	s_cbranch_scc0 .LBB344_28
.LBB344_24:                             ; =>This Loop Header: Depth=1
                                        ;     Child Loop BB344_26 Depth 2
	v_lshl_add_u64 v[6:7], s[12:13], 3, v[2:3]
	global_load_dwordx2 v[6:7], v[6:7], off
	v_add_u32_e32 v8, s12, v0
	v_ashrrev_i32_e32 v9, 31, v8
	s_mov_b64 s[6:7], 0
	s_waitcnt lgkmcnt(0)
	v_lshl_add_u64 v[8:9], v[8:9], 3, s[4:5]
	s_mov_b64 s[14:15], 0
	s_waitcnt vmcnt(0)
	v_ashrrev_i32_e32 v7, 31, v6
	v_add_u32_e32 v1, v4, v6
	s_branch .LBB344_26
.LBB344_25:                             ;   in Loop: Header=BB344_26 Depth=2
	s_or_b64 exec, exec, s[16:17]
	s_cmp_gt_u32 s14, 3
	s_cselect_b64 s[2:3], -1, 0
	s_xor_b64 s[16:17], vcc, -1
	s_or_b64 s[2:3], s[16:17], s[2:3]
	s_add_u32 s14, s14, 1
	s_addc_u32 s15, s15, 0
	s_and_b64 s[2:3], exec, s[2:3]
	s_or_b64 s[6:7], s[2:3], s[6:7]
	v_subrev_u32_e32 v1, 64, v1
	s_andn2_b64 exec, exec, s[6:7]
	s_cbranch_execz .LBB344_23
.LBB344_26:                             ;   Parent Loop BB344_24 Depth=1
                                        ; =>  This Inner Loop Header: Depth=2
	v_cmp_ne_u32_e32 vcc, 0, v1
	v_cmp_eq_u32_e64 s[2:3], 0, v1
	s_and_saveexec_b64 s[16:17], s[2:3]
	s_cbranch_execz .LBB344_25
; %bb.27:                               ;   in Loop: Header=BB344_26 Depth=2
	s_cmp_eq_u32 s14, 1
	s_cselect_b64 s[2:3], -1, 0
	s_cmp_eq_u32 s14, 2
	v_cndmask_b32_e64 v10, v13, v14, s[2:3]
	s_cselect_b64 s[2:3], -1, 0
	s_cmp_eq_u32 s14, 3
	v_cndmask_b32_e64 v10, v10, v15, s[2:3]
	;; [unrolled: 3-line block ×3, first 2 shown]
	s_cselect_b64 s[2:3], -1, 0
	v_cndmask_b32_e64 v10, v10, v17, s[2:3]
	v_add_f32_e32 v5, v5, v10
	global_store_dwordx2 v[8:9], v[6:7], off
	s_branch .LBB344_25
.LBB344_28:
	s_waitcnt lgkmcnt(0)
	s_load_dword s4, s[0:1], 0x3c
	s_waitcnt lgkmcnt(0)
	s_bitcmp1_b32 s4, 0
	s_cselect_b64 s[2:3], -1, 0
	s_bitcmp0_b32 s4, 0
	s_cbranch_scc0 .LBB344_32
; %bb.29:
	s_load_dwordx2 s[4:5], s[0:1], 0x40
	s_andn2_b64 vcc, exec, s[2:3]
	s_waitcnt lgkmcnt(0)
	v_cvt_f32_f64_e32 v10, s[4:5]
	s_cbranch_vccz .LBB344_33
.LBB344_30:
	s_andn2_b64 vcc, exec, s[10:11]
	s_cbranch_vccz .LBB344_34
.LBB344_31:
	s_endpgm
.LBB344_32:
	v_mbcnt_lo_u32_b32 v1, -1, 0
	v_mbcnt_hi_u32_b32 v1, -1, v1
	v_and_b32_e32 v4, 64, v1
	v_add_u32_e32 v4, 64, v4
	v_xor_b32_e32 v6, 32, v1
	v_cmp_lt_i32_e32 vcc, v6, v4
	v_xor_b32_e32 v7, 16, v1
	s_nop 0
	v_cndmask_b32_e32 v6, v1, v6, vcc
	v_lshlrev_b32_e32 v6, 2, v6
	ds_bpermute_b32 v6, v6, v5
	v_cmp_lt_i32_e32 vcc, v7, v4
	s_waitcnt lgkmcnt(0)
	v_add_f32_e32 v5, v5, v6
	v_cndmask_b32_e32 v6, v1, v7, vcc
	v_lshlrev_b32_e32 v6, 2, v6
	ds_bpermute_b32 v6, v6, v5
	v_xor_b32_e32 v7, 8, v1
	v_cmp_lt_i32_e32 vcc, v7, v4
	s_waitcnt lgkmcnt(0)
	v_add_f32_e32 v5, v5, v6
	v_cndmask_b32_e32 v6, v1, v7, vcc
	v_lshlrev_b32_e32 v6, 2, v6
	ds_bpermute_b32 v6, v6, v5
	v_xor_b32_e32 v7, 4, v1
	;; [unrolled: 7-line block ×4, first 2 shown]
	v_cmp_lt_i32_e32 vcc, v7, v4
	s_waitcnt lgkmcnt(0)
	v_add_f32_e32 v5, v5, v6
	v_cndmask_b32_e32 v1, v1, v7, vcc
	v_lshlrev_b32_e32 v1, 2, v1
	ds_bpermute_b32 v1, v1, v5
	s_waitcnt lgkmcnt(0)
	v_add_f32_e32 v5, v5, v1
	s_load_dwordx2 s[4:5], s[0:1], 0x40
	s_andn2_b64 vcc, exec, s[2:3]
	s_waitcnt lgkmcnt(0)
	v_cvt_f32_f64_e32 v10, s[4:5]
	s_cbranch_vccnz .LBB344_30
.LBB344_33:
	v_cmp_lt_f32_e32 vcc, 0, v5
	s_nop 1
	v_cndmask_b32_e32 v1, 1.0, v5, vcc
	v_div_scale_f32 v4, s[2:3], v1, v1, v10
	v_rcp_f32_e32 v5, v4
	s_nop 0
	v_fma_f32 v6, -v4, v5, 1.0
	v_fmac_f32_e32 v5, v6, v5
	v_div_scale_f32 v6, vcc, v10, v1, v10
	v_mul_f32_e32 v7, v6, v5
	v_fma_f32 v8, -v4, v7, v6
	v_fmac_f32_e32 v7, v8, v5
	v_fma_f32 v4, -v4, v7, v6
	v_div_fmas_f32 v4, v4, v5, v7
	v_div_fixup_f32 v10, v4, v1, v10
	s_andn2_b64 vcc, exec, s[10:11]
	s_cbranch_vccnz .LBB344_31
.LBB344_34:
	s_load_dwordx2 s[6:7], s[0:1], 0x10
	v_or_b32_e32 v20, 64, v12
	v_or_b32_e32 v19, 0x80, v12
	;; [unrolled: 1-line block ×4, first 2 shown]
	s_cmp_eq_u32 s8, 1
	s_mov_b32 s10, 0
	s_cbranch_scc1 .LBB344_57
; %bb.35:
	v_ashrrev_i32_e32 v1, 31, v0
	s_waitcnt lgkmcnt(0)
	v_lshl_add_u64 v[4:5], v[0:1], 2, s[6:7]
	s_and_b32 s10, s8, 0x7ffffffe
	v_lshl_add_u64 v[4:5], v[4:5], 0, 4
	v_lshl_add_u64 v[6:7], v[2:3], 0, 8
	s_mov_b32 s9, 0
	s_branch .LBB344_37
.LBB344_36:                             ;   in Loop: Header=BB344_37 Depth=1
	s_or_b64 exec, exec, s[0:1]
	s_add_i32 s9, s9, 2
	v_lshl_add_u64 v[4:5], v[4:5], 0, 8
	s_cmp_lg_u32 s10, s9
	v_lshl_add_u64 v[6:7], v[6:7], 0, 16
	s_cbranch_scc0 .LBB344_57
.LBB344_37:                             ; =>This Inner Loop Header: Depth=1
	global_load_dword v1, v[6:7], off offset:-8
	v_mov_b64_e32 v[8:9], 0
	s_waitcnt vmcnt(0)
	v_cmp_eq_u32_e32 vcc, v12, v1
	v_cmp_ne_u32_e64 s[0:1], v12, v1
	s_and_saveexec_b64 s[12:13], s[0:1]
	s_cbranch_execz .LBB344_45
; %bb.38:                               ;   in Loop: Header=BB344_37 Depth=1
	v_cmp_eq_u32_e64 s[0:1], v20, v1
	v_cmp_ne_u32_e64 s[2:3], v20, v1
	v_mov_b64_e32 v[8:9], 1
	s_and_saveexec_b64 s[14:15], s[2:3]
	s_cbranch_execz .LBB344_44
; %bb.39:                               ;   in Loop: Header=BB344_37 Depth=1
	v_cmp_eq_u32_e64 s[2:3], v19, v1
	v_cmp_ne_u32_e64 s[4:5], v19, v1
	v_mov_b64_e32 v[8:9], 2
	;; [unrolled: 6-line block ×3, first 2 shown]
	s_and_saveexec_b64 s[20:21], s[4:5]
	s_xor_b64 s[20:21], exec, s[20:21]
; %bb.41:                               ;   in Loop: Header=BB344_37 Depth=1
	v_cmp_eq_u32_e64 s[4:5], v11, v1
	s_andn2_b64 s[18:19], s[18:19], exec
	s_and_b64 s[4:5], s[4:5], exec
	v_mov_b64_e32 v[8:9], 4
	s_or_b64 s[18:19], s[18:19], s[4:5]
; %bb.42:                               ;   in Loop: Header=BB344_37 Depth=1
	s_or_b64 exec, exec, s[20:21]
	s_andn2_b64 s[2:3], s[2:3], exec
	s_and_b64 s[4:5], s[18:19], exec
	s_or_b64 s[2:3], s[2:3], s[4:5]
.LBB344_43:                             ;   in Loop: Header=BB344_37 Depth=1
	s_or_b64 exec, exec, s[16:17]
	s_andn2_b64 s[0:1], s[0:1], exec
	s_and_b64 s[2:3], s[2:3], exec
	s_or_b64 s[0:1], s[0:1], s[2:3]
.LBB344_44:                             ;   in Loop: Header=BB344_37 Depth=1
	s_or_b64 exec, exec, s[14:15]
	s_andn2_b64 s[2:3], vcc, exec
	s_and_b64 s[0:1], s[0:1], exec
	s_or_b64 vcc, s[2:3], s[0:1]
.LBB344_45:                             ;   in Loop: Header=BB344_37 Depth=1
	s_or_b64 exec, exec, s[12:13]
	s_and_saveexec_b64 s[0:1], vcc
	s_cbranch_execz .LBB344_47
; %bb.46:                               ;   in Loop: Header=BB344_37 Depth=1
	v_cmp_eq_u32_e32 vcc, 1, v8
	v_add_u32_e32 v22, s9, v0
	v_ashrrev_i32_e32 v23, 31, v22
	v_cndmask_b32_e32 v1, v13, v14, vcc
	v_cmp_eq_u32_e32 vcc, 2, v8
	s_nop 1
	v_cndmask_b32_e32 v1, v1, v15, vcc
	v_cmp_eq_u32_e32 vcc, 3, v8
	s_nop 1
	v_cndmask_b32_e32 v1, v1, v16, vcc
	v_cmp_eq_u32_e32 vcc, 4, v8
	v_lshl_add_u64 v[8:9], v[22:23], 2, s[6:7]
	s_nop 0
	v_cndmask_b32_e32 v1, v1, v17, vcc
	v_mul_f32_e32 v1, v10, v1
	global_store_dword v[8:9], v1, off
.LBB344_47:                             ;   in Loop: Header=BB344_37 Depth=1
	s_or_b64 exec, exec, s[0:1]
	global_load_dword v1, v[6:7], off
	v_mov_b64_e32 v[8:9], 0
	s_waitcnt vmcnt(0)
	v_cmp_eq_u32_e64 s[2:3], v12, v1
	v_cmp_ne_u32_e32 vcc, v12, v1
	s_and_saveexec_b64 s[4:5], vcc
	s_cbranch_execz .LBB344_55
; %bb.48:                               ;   in Loop: Header=BB344_37 Depth=1
	v_cmp_eq_u32_e32 vcc, v20, v1
	v_cmp_ne_u32_e64 s[0:1], v20, v1
	v_mov_b64_e32 v[8:9], 1
	s_and_saveexec_b64 s[12:13], s[0:1]
	s_cbranch_execz .LBB344_54
; %bb.49:                               ;   in Loop: Header=BB344_37 Depth=1
	v_cmp_eq_u32_e64 s[14:15], v19, v1
	v_cmp_ne_u32_e64 s[0:1], v19, v1
	v_mov_b64_e32 v[8:9], 2
	s_and_saveexec_b64 s[16:17], s[0:1]
	s_cbranch_execz .LBB344_53
; %bb.50:                               ;   in Loop: Header=BB344_37 Depth=1
	v_cmp_eq_u32_e64 s[18:19], v18, v1
	v_cmp_ne_u32_e64 s[0:1], v18, v1
	v_mov_b64_e32 v[8:9], 3
	s_and_saveexec_b64 s[20:21], s[0:1]
; %bb.51:                               ;   in Loop: Header=BB344_37 Depth=1
	v_cmp_eq_u32_e64 s[0:1], v11, v1
	s_andn2_b64 s[18:19], s[18:19], exec
	s_and_b64 s[0:1], s[0:1], exec
	v_mov_b64_e32 v[8:9], 4
	s_or_b64 s[18:19], s[18:19], s[0:1]
; %bb.52:                               ;   in Loop: Header=BB344_37 Depth=1
	s_or_b64 exec, exec, s[20:21]
	s_andn2_b64 s[0:1], s[14:15], exec
	s_and_b64 s[14:15], s[18:19], exec
	s_or_b64 s[14:15], s[0:1], s[14:15]
.LBB344_53:                             ;   in Loop: Header=BB344_37 Depth=1
	s_or_b64 exec, exec, s[16:17]
	s_andn2_b64 s[0:1], vcc, exec
	s_and_b64 s[14:15], s[14:15], exec
	s_or_b64 vcc, s[0:1], s[14:15]
.LBB344_54:                             ;   in Loop: Header=BB344_37 Depth=1
	s_or_b64 exec, exec, s[12:13]
	s_andn2_b64 s[0:1], s[2:3], exec
	s_and_b64 s[2:3], vcc, exec
	s_or_b64 s[2:3], s[0:1], s[2:3]
.LBB344_55:                             ;   in Loop: Header=BB344_37 Depth=1
	s_or_b64 exec, exec, s[4:5]
	s_and_saveexec_b64 s[0:1], s[2:3]
	s_cbranch_execz .LBB344_36
; %bb.56:                               ;   in Loop: Header=BB344_37 Depth=1
	v_cmp_eq_u32_e32 vcc, 1, v8
	s_nop 1
	v_cndmask_b32_e32 v1, v13, v14, vcc
	v_cmp_eq_u32_e32 vcc, 2, v8
	s_nop 1
	v_cndmask_b32_e32 v1, v1, v15, vcc
	;; [unrolled: 3-line block ×4, first 2 shown]
	v_mul_f32_e32 v1, v10, v1
	global_store_dword v[4:5], v1, off
	s_branch .LBB344_36
.LBB344_57:
	s_bitcmp0_b32 s8, 0
	s_mov_b32 s11, 0
	s_cbranch_scc1 .LBB344_31
; %bb.58:
	v_lshl_add_u64 v[2:3], s[10:11], 3, v[2:3]
	global_load_dword v1, v[2:3], off
	v_mov_b64_e32 v[2:3], 0
	s_waitcnt vmcnt(0)
	v_cmp_eq_u32_e64 s[2:3], v12, v1
	v_cmp_ne_u32_e32 vcc, v12, v1
	s_and_saveexec_b64 s[4:5], vcc
	s_cbranch_execz .LBB344_66
; %bb.59:
	v_cmp_eq_u32_e32 vcc, v20, v1
	v_cmp_ne_u32_e64 s[0:1], v20, v1
	v_mov_b64_e32 v[2:3], 1
	s_and_saveexec_b64 s[8:9], s[0:1]
	s_cbranch_execz .LBB344_65
; %bb.60:
	v_cmp_eq_u32_e64 s[12:13], v19, v1
	v_cmp_ne_u32_e64 s[0:1], v19, v1
	v_mov_b64_e32 v[2:3], 2
	s_and_saveexec_b64 s[14:15], s[0:1]
	s_cbranch_execz .LBB344_64
; %bb.61:
	v_cmp_eq_u32_e64 s[16:17], v18, v1
	v_cmp_ne_u32_e64 s[0:1], v18, v1
	v_mov_b64_e32 v[2:3], 3
	s_and_saveexec_b64 s[18:19], s[0:1]
; %bb.62:
	v_cmp_eq_u32_e64 s[0:1], v11, v1
	s_andn2_b64 s[16:17], s[16:17], exec
	s_and_b64 s[0:1], s[0:1], exec
	v_mov_b64_e32 v[2:3], 4
	s_or_b64 s[16:17], s[16:17], s[0:1]
; %bb.63:
	s_or_b64 exec, exec, s[18:19]
	s_andn2_b64 s[0:1], s[12:13], exec
	s_and_b64 s[12:13], s[16:17], exec
	s_or_b64 s[12:13], s[0:1], s[12:13]
.LBB344_64:
	s_or_b64 exec, exec, s[14:15]
	s_andn2_b64 s[0:1], vcc, exec
	s_and_b64 s[12:13], s[12:13], exec
	s_or_b64 vcc, s[0:1], s[12:13]
.LBB344_65:
	s_or_b64 exec, exec, s[8:9]
	s_andn2_b64 s[0:1], s[2:3], exec
	s_and_b64 s[2:3], vcc, exec
	s_or_b64 s[2:3], s[0:1], s[2:3]
.LBB344_66:
	s_or_b64 exec, exec, s[4:5]
	s_and_b64 exec, exec, s[2:3]
	s_cbranch_execz .LBB344_31
; %bb.67:
	v_cmp_eq_u32_e32 vcc, 1, v2
	v_add_u32_e32 v0, s10, v0
	s_nop 0
	v_cndmask_b32_e32 v1, v13, v14, vcc
	v_cmp_eq_u32_e32 vcc, 2, v2
	s_nop 1
	v_cndmask_b32_e32 v1, v1, v15, vcc
	v_cmp_eq_u32_e32 vcc, 3, v2
	;; [unrolled: 3-line block ×3, first 2 shown]
	s_nop 1
	v_cndmask_b32_e32 v1, v1, v17, vcc
	v_mul_f32_e32 v2, v10, v1
	v_ashrrev_i32_e32 v1, 31, v0
	s_waitcnt lgkmcnt(0)
	v_lshl_add_u64 v[0:1], v[0:1], 2, s[6:7]
	global_store_dword v[0:1], v2, off
	s_endpgm
	.section	.rodata,"a",@progbits
	.p2align	6, 0x0
	.amdhsa_kernel _ZN4vllm3moe22topkGatingSoftplusSqrtILi5ELi320ELi4ELi2ELi64ELb1El6__halfEEvPKT6_PKbPfiPT5_PiiiibdPKfPKS9_SF_
		.amdhsa_group_segment_fixed_size 0
		.amdhsa_private_segment_fixed_size 0
		.amdhsa_kernarg_size 96
		.amdhsa_user_sgpr_count 2
		.amdhsa_user_sgpr_dispatch_ptr 0
		.amdhsa_user_sgpr_queue_ptr 0
		.amdhsa_user_sgpr_kernarg_segment_ptr 1
		.amdhsa_user_sgpr_dispatch_id 0
		.amdhsa_user_sgpr_kernarg_preload_length 0
		.amdhsa_user_sgpr_kernarg_preload_offset 0
		.amdhsa_user_sgpr_private_segment_size 0
		.amdhsa_uses_dynamic_stack 0
		.amdhsa_enable_private_segment 0
		.amdhsa_system_sgpr_workgroup_id_x 1
		.amdhsa_system_sgpr_workgroup_id_y 0
		.amdhsa_system_sgpr_workgroup_id_z 0
		.amdhsa_system_sgpr_workgroup_info 0
		.amdhsa_system_vgpr_workitem_id 1
		.amdhsa_next_free_vgpr 27
		.amdhsa_next_free_sgpr 22
		.amdhsa_accum_offset 28
		.amdhsa_reserve_vcc 1
		.amdhsa_float_round_mode_32 0
		.amdhsa_float_round_mode_16_64 0
		.amdhsa_float_denorm_mode_32 3
		.amdhsa_float_denorm_mode_16_64 3
		.amdhsa_dx10_clamp 1
		.amdhsa_ieee_mode 1
		.amdhsa_fp16_overflow 0
		.amdhsa_tg_split 0
		.amdhsa_exception_fp_ieee_invalid_op 0
		.amdhsa_exception_fp_denorm_src 0
		.amdhsa_exception_fp_ieee_div_zero 0
		.amdhsa_exception_fp_ieee_overflow 0
		.amdhsa_exception_fp_ieee_underflow 0
		.amdhsa_exception_fp_ieee_inexact 0
		.amdhsa_exception_int_div_zero 0
	.end_amdhsa_kernel
	.section	.text._ZN4vllm3moe22topkGatingSoftplusSqrtILi5ELi320ELi4ELi2ELi64ELb1El6__halfEEvPKT6_PKbPfiPT5_PiiiibdPKfPKS9_SF_,"axG",@progbits,_ZN4vllm3moe22topkGatingSoftplusSqrtILi5ELi320ELi4ELi2ELi64ELb1El6__halfEEvPKT6_PKbPfiPT5_PiiiibdPKfPKS9_SF_,comdat
.Lfunc_end344:
	.size	_ZN4vllm3moe22topkGatingSoftplusSqrtILi5ELi320ELi4ELi2ELi64ELb1El6__halfEEvPKT6_PKbPfiPT5_PiiiibdPKfPKS9_SF_, .Lfunc_end344-_ZN4vllm3moe22topkGatingSoftplusSqrtILi5ELi320ELi4ELi2ELi64ELb1El6__halfEEvPKT6_PKbPfiPT5_PiiiibdPKfPKS9_SF_
                                        ; -- End function
	.section	.AMDGPU.csdata,"",@progbits
; Kernel info:
; codeLenInByte = 3924
; NumSgprs: 28
; NumVgprs: 27
; NumAgprs: 0
; TotalNumVgprs: 27
; ScratchSize: 0
; MemoryBound: 0
; FloatMode: 240
; IeeeMode: 1
; LDSByteSize: 0 bytes/workgroup (compile time only)
; SGPRBlocks: 3
; VGPRBlocks: 3
; NumSGPRsForWavesPerEU: 28
; NumVGPRsForWavesPerEU: 27
; AccumOffset: 28
; Occupancy: 8
; WaveLimiterHint : 1
; COMPUTE_PGM_RSRC2:SCRATCH_EN: 0
; COMPUTE_PGM_RSRC2:USER_SGPR: 2
; COMPUTE_PGM_RSRC2:TRAP_HANDLER: 0
; COMPUTE_PGM_RSRC2:TGID_X_EN: 1
; COMPUTE_PGM_RSRC2:TGID_Y_EN: 0
; COMPUTE_PGM_RSRC2:TGID_Z_EN: 0
; COMPUTE_PGM_RSRC2:TIDIG_COMP_CNT: 1
; COMPUTE_PGM_RSRC3_GFX90A:ACCUM_OFFSET: 6
; COMPUTE_PGM_RSRC3_GFX90A:TG_SPLIT: 0
	.section	.text._ZN4vllm3moe22topkGatingSoftplusSqrtILi5ELi320ELi4ELi2ELi64ELb0El6__halfEEvPKT6_PKbPfiPT5_PiiiibdPKfPKS9_SF_,"axG",@progbits,_ZN4vllm3moe22topkGatingSoftplusSqrtILi5ELi320ELi4ELi2ELi64ELb0El6__halfEEvPKT6_PKbPfiPT5_PiiiibdPKfPKS9_SF_,comdat
	.protected	_ZN4vllm3moe22topkGatingSoftplusSqrtILi5ELi320ELi4ELi2ELi64ELb0El6__halfEEvPKT6_PKbPfiPT5_PiiiibdPKfPKS9_SF_ ; -- Begin function _ZN4vllm3moe22topkGatingSoftplusSqrtILi5ELi320ELi4ELi2ELi64ELb0El6__halfEEvPKT6_PKbPfiPT5_PiiiibdPKfPKS9_SF_
	.globl	_ZN4vllm3moe22topkGatingSoftplusSqrtILi5ELi320ELi4ELi2ELi64ELb0El6__halfEEvPKT6_PKbPfiPT5_PiiiibdPKfPKS9_SF_
	.p2align	8
	.type	_ZN4vllm3moe22topkGatingSoftplusSqrtILi5ELi320ELi4ELi2ELi64ELb0El6__halfEEvPKT6_PKbPfiPT5_PiiiibdPKfPKS9_SF_,@function
_ZN4vllm3moe22topkGatingSoftplusSqrtILi5ELi320ELi4ELi2ELi64ELb0El6__halfEEvPKT6_PKbPfiPT5_PiiiibdPKfPKS9_SF_: ; @_ZN4vllm3moe22topkGatingSoftplusSqrtILi5ELi320ELi4ELi2ELi64ELb0El6__halfEEvPKT6_PKbPfiPT5_PiiiibdPKfPKS9_SF_
; %bb.0:
	s_load_dword s30, s[0:1], 0x18
	v_and_b32_e32 v1, 0x3ff, v0
	s_lshl_b32 s2, s2, 2
	v_lshrrev_b32_e32 v2, 6, v1
	v_bfe_u32 v0, v0, 10, 10
	v_add3_u32 v6, s2, v0, v2
	s_waitcnt lgkmcnt(0)
	v_cmp_gt_i32_e32 vcc, s30, v6
	s_and_saveexec_b64 s[2:3], vcc
	s_cbranch_execz .LBB345_59
; %bb.1:
	s_load_dwordx4 s[4:7], s[0:1], 0x0
	s_load_dwordx2 s[20:21], s[0:1], 0x10
	s_waitcnt lgkmcnt(0)
	s_cmp_eq_u64 s[6:7], 0
	s_cbranch_scc1 .LBB345_3
; %bb.2:
	v_ashrrev_i32_e32 v7, 31, v6
	v_lshl_add_u64 v[2:3], s[6:7], 0, v[6:7]
	global_load_ubyte v0, v[2:3], off
	s_waitcnt vmcnt(0)
	v_and_b32_e32 v0, 1, v0
	v_cmp_eq_u32_e32 vcc, 1, v0
	s_xor_b64 s[2:3], vcc, -1
	s_orn2_b64 s[22:23], s[2:3], exec
	s_branch .LBB345_4
.LBB345_3:
	s_mov_b64 s[22:23], -1
.LBB345_4:
	s_movk_i32 s2, 0x140
	v_mul_lo_u32 v4, v6, s2
	v_mov_b32_e32 v2, s4
	v_mov_b32_e32 v3, s5
	v_ashrrev_i32_e32 v5, 31, v4
	v_and_b32_e32 v8, 63, v1
	v_lshl_add_u64 v[2:3], v[4:5], 1, v[2:3]
	v_mov_b32_e32 v1, 0
	v_lshlrev_b32_e32 v0, 1, v8
	v_lshl_add_u64 v[10:11], v[2:3], 0, v[0:1]
	global_load_ushort v0, v[10:11], off
	global_load_ushort v1, v[10:11], off offset:128
	global_load_ushort v2, v[10:11], off offset:256
	;; [unrolled: 1-line block ×4, first 2 shown]
	s_mov_b32 s16, 0x800000
	v_mov_b32_e32 v9, 0x4f800000
	s_mov_b32 s7, 0x3f317217
	s_mov_b32 s14, 0x7f800000
	v_mov_b32_e32 v10, 0x41b17218
	s_movk_i32 s6, 0x4d00
	s_mov_b32 s15, 0xf800000
	s_load_dwordx4 s[8:11], s[0:1], 0x40
	s_waitcnt lgkmcnt(0)
	s_cmp_lg_u64 s[10:11], 0
	s_cselect_b64 s[12:13], -1, 0
	s_and_b64 s[2:3], exec, s[12:13]
	s_waitcnt vmcnt(4)
	v_cvt_f32_f16_e32 v11, v0
	v_mul_f32_e32 v5, 0x3fb8aa3b, v11
	v_exp_f32_e32 v5, v5
	s_nop 0
	v_add_f32_e32 v5, 1.0, v5
	v_cmp_gt_f32_e32 vcc, s16, v5
	s_nop 1
	v_cndmask_b32_e32 v7, 1.0, v9, vcc
	v_mul_f32_e32 v5, v5, v7
	v_log_f32_e32 v12, v5
	v_cndmask_b32_e32 v13, 0, v10, vcc
	v_mov_b32_e32 v7, 0x260
	v_lshlrev_b32_e32 v5, 2, v8
	v_mul_f32_e32 v14, 0x3f317217, v12
	v_fma_f32 v14, v12, s7, -v14
	v_fmac_f32_e32 v14, 0x3377d1cf, v12
	v_fmac_f32_e32 v14, 0x3f317217, v12
	v_cmp_lt_f32_e64 vcc, |v12|, s14
	s_nop 1
	v_cndmask_b32_e32 v12, v12, v14, vcc
	v_sub_f32_e32 v12, v12, v13
	v_cmp_lt_f16_e32 vcc, s6, v0
	s_nop 1
	v_cndmask_b32_e32 v0, v12, v11, vcc
	v_mul_f32_e32 v11, 0x4f800000, v0
	v_cmp_gt_f32_e32 vcc, s15, v0
	s_nop 1
	v_cndmask_b32_e32 v0, v0, v11, vcc
	v_sqrt_f32_e32 v11, v0
	s_nop 0
	v_add_u32_e32 v12, -1, v11
	v_add_u32_e32 v13, 1, v11
	v_fma_f32 v14, -v12, v11, v0
	v_fma_f32 v15, -v13, v11, v0
	v_cmp_ge_f32_e64 s[4:5], 0, v14
	s_nop 1
	v_cndmask_b32_e64 v11, v11, v12, s[4:5]
	v_cmp_lt_f32_e64 s[4:5], 0, v15
	s_nop 1
	v_cndmask_b32_e64 v11, v11, v13, s[4:5]
	v_mul_f32_e32 v12, 0x37800000, v11
	v_cndmask_b32_e32 v11, v11, v12, vcc
	v_cmp_class_f32_e32 vcc, v0, v7
	s_nop 1
	v_cndmask_b32_e32 v0, v11, v0, vcc
	s_mov_b64 vcc, s[2:3]
	s_cbranch_vccz .LBB345_6
; %bb.5:
	global_load_dword v11, v5, s[10:11]
	s_waitcnt vmcnt(0)
	v_add_f32_e32 v0, v0, v11
.LBB345_6:
	s_waitcnt vmcnt(3)
	v_cvt_f32_f16_e32 v11, v1
	v_mul_f32_e32 v12, 0x3fb8aa3b, v11
	v_exp_f32_e32 v12, v12
	s_nop 0
	v_add_f32_e32 v12, 1.0, v12
	v_cmp_gt_f32_e32 vcc, s16, v12
	s_nop 1
	v_cndmask_b32_e32 v9, 1.0, v9, vcc
	v_mul_f32_e32 v9, v12, v9
	v_log_f32_e32 v9, v9
	v_cndmask_b32_e32 v10, 0, v10, vcc
	v_mul_f32_e32 v12, 0x3f317217, v9
	v_fma_f32 v12, v9, s7, -v12
	v_fmac_f32_e32 v12, 0x3377d1cf, v9
	v_fmac_f32_e32 v12, 0x3f317217, v9
	v_cmp_lt_f32_e64 vcc, |v9|, s14
	s_nop 1
	v_cndmask_b32_e32 v9, v9, v12, vcc
	v_sub_f32_e32 v9, v9, v10
	v_cmp_lt_f16_e32 vcc, s6, v1
	v_cndmask_b32_e64 v10, 0, 1, s[12:13]
	v_cmp_ne_u32_e64 s[6:7], 1, v10
	v_cndmask_b32_e32 v1, v9, v11, vcc
	v_mul_f32_e32 v9, 0x4f800000, v1
	v_cmp_gt_f32_e64 s[2:3], s15, v1
	s_andn2_b64 vcc, exec, s[12:13]
	s_nop 0
	v_cndmask_b32_e64 v1, v1, v9, s[2:3]
	v_sqrt_f32_e32 v9, v1
	s_nop 0
	v_add_u32_e32 v10, -1, v9
	v_add_u32_e32 v11, 1, v9
	v_fma_f32 v12, -v10, v9, v1
	v_fma_f32 v13, -v11, v9, v1
	v_cmp_ge_f32_e64 s[4:5], 0, v12
	s_nop 1
	v_cndmask_b32_e64 v9, v9, v10, s[4:5]
	v_cmp_lt_f32_e64 s[4:5], 0, v13
	s_nop 1
	v_cndmask_b32_e64 v9, v9, v11, s[4:5]
	v_mul_f32_e32 v10, 0x37800000, v9
	v_cndmask_b32_e64 v9, v9, v10, s[2:3]
	v_cmp_class_f32_e64 s[2:3], v1, v7
	s_nop 1
	v_cndmask_b32_e64 v1, v9, v1, s[2:3]
	s_cbranch_vccnz .LBB345_8
; %bb.7:
	global_load_dword v7, v5, s[10:11] offset:256
	s_waitcnt vmcnt(0)
	v_add_f32_e32 v1, v1, v7
.LBB345_8:
	s_waitcnt vmcnt(2)
	v_cvt_f32_f16_e32 v7, v2
	s_mov_b32 s12, 0x800000
	s_mov_b32 s5, 0x3f317217
	;; [unrolled: 1-line block ×3, first 2 shown]
	v_mul_f32_e32 v9, 0x3fb8aa3b, v7
	v_exp_f32_e32 v10, v9
	v_mov_b32_e32 v9, 0x4f800000
	s_movk_i32 s4, 0x4d00
	s_mov_b32 s14, 0xf800000
	v_add_f32_e32 v10, 1.0, v10
	v_cmp_gt_f32_e32 vcc, s12, v10
	s_nop 1
	v_cndmask_b32_e32 v11, 1.0, v9, vcc
	v_mul_f32_e32 v10, v10, v11
	v_log_f32_e32 v11, v10
	v_mov_b32_e32 v10, 0x41b17218
	v_cndmask_b32_e32 v12, 0, v10, vcc
	v_mul_f32_e32 v13, 0x3f317217, v11
	v_fma_f32 v13, v11, s5, -v13
	v_fmac_f32_e32 v13, 0x3377d1cf, v11
	v_fmac_f32_e32 v13, 0x3f317217, v11
	v_cmp_lt_f32_e64 vcc, |v11|, s13
	s_nop 1
	v_cndmask_b32_e32 v11, v11, v13, vcc
	v_sub_f32_e32 v11, v11, v12
	v_cmp_lt_f16_e32 vcc, s4, v2
	s_nop 1
	v_cndmask_b32_e32 v2, v11, v7, vcc
	v_mul_f32_e32 v7, 0x4f800000, v2
	v_cmp_gt_f32_e32 vcc, s14, v2
	s_nop 1
	v_cndmask_b32_e32 v2, v2, v7, vcc
	v_sqrt_f32_e32 v7, v2
	s_nop 0
	v_add_u32_e32 v11, -1, v7
	v_fma_f32 v12, -v11, v7, v2
	v_cmp_ge_f32_e64 s[2:3], 0, v12
	v_add_u32_e32 v12, 1, v7
	s_nop 0
	v_cndmask_b32_e64 v11, v7, v11, s[2:3]
	v_fma_f32 v7, -v12, v7, v2
	v_cmp_lt_f32_e64 s[2:3], 0, v7
	s_nop 1
	v_cndmask_b32_e64 v7, v11, v12, s[2:3]
	v_mul_f32_e32 v11, 0x37800000, v7
	v_cndmask_b32_e32 v11, v7, v11, vcc
	v_mov_b32_e32 v7, 0x260
	v_cmp_class_f32_e64 s[2:3], v2, v7
	s_and_b64 vcc, exec, s[6:7]
	s_nop 0
	v_cndmask_b32_e64 v2, v11, v2, s[2:3]
	s_cbranch_vccnz .LBB345_10
; %bb.9:
	global_load_dword v11, v5, s[10:11] offset:512
	s_waitcnt vmcnt(0)
	v_add_f32_e32 v2, v2, v11
.LBB345_10:
	s_waitcnt vmcnt(1)
	v_cvt_f32_f16_e32 v11, v3
	v_mul_f32_e32 v12, 0x3fb8aa3b, v11
	v_exp_f32_e32 v12, v12
	s_nop 0
	v_add_f32_e32 v12, 1.0, v12
	v_cmp_gt_f32_e32 vcc, s12, v12
	s_nop 1
	v_cndmask_b32_e32 v9, 1.0, v9, vcc
	v_mul_f32_e32 v9, v12, v9
	v_log_f32_e32 v9, v9
	v_cndmask_b32_e32 v10, 0, v10, vcc
	v_mul_f32_e32 v12, 0x3f317217, v9
	v_fma_f32 v12, v9, s5, -v12
	v_fmac_f32_e32 v12, 0x3377d1cf, v9
	v_fmac_f32_e32 v12, 0x3f317217, v9
	v_cmp_lt_f32_e64 vcc, |v9|, s13
	s_nop 1
	v_cndmask_b32_e32 v9, v9, v12, vcc
	v_sub_f32_e32 v9, v9, v10
	v_cmp_lt_f16_e32 vcc, s4, v3
	s_nop 1
	v_cndmask_b32_e32 v3, v9, v11, vcc
	v_mul_f32_e32 v9, 0x4f800000, v3
	v_cmp_gt_f32_e64 s[2:3], s14, v3
	s_and_b64 vcc, exec, s[6:7]
	s_nop 0
	v_cndmask_b32_e64 v3, v3, v9, s[2:3]
	v_sqrt_f32_e32 v9, v3
	s_nop 0
	v_add_u32_e32 v10, -1, v9
	v_add_u32_e32 v11, 1, v9
	v_fma_f32 v12, -v10, v9, v3
	v_fma_f32 v13, -v11, v9, v3
	v_cmp_ge_f32_e64 s[4:5], 0, v12
	s_nop 1
	v_cndmask_b32_e64 v9, v9, v10, s[4:5]
	v_cmp_lt_f32_e64 s[4:5], 0, v13
	s_nop 1
	v_cndmask_b32_e64 v9, v9, v11, s[4:5]
	v_mul_f32_e32 v10, 0x37800000, v9
	v_cndmask_b32_e64 v9, v9, v10, s[2:3]
	v_cmp_class_f32_e64 s[2:3], v3, v7
	s_nop 1
	v_cndmask_b32_e64 v3, v9, v3, s[2:3]
	s_cbranch_vccnz .LBB345_12
; %bb.11:
	global_load_dword v7, v5, s[10:11] offset:768
	s_waitcnt vmcnt(0)
	v_add_f32_e32 v3, v3, v7
.LBB345_12:
	s_waitcnt vmcnt(0)
	v_cvt_f32_f16_e32 v7, v4
	s_mov_b32 s3, 0x800000
	v_mov_b32_e32 v10, 0x4f800000
	s_mov_b32 s4, 0x3f317217
	v_mul_f32_e32 v9, 0x3fb8aa3b, v7
	v_exp_f32_e32 v9, v9
	s_movk_i32 s2, 0x4d00
	v_add_f32_e32 v9, 1.0, v9
	v_cmp_gt_f32_e32 vcc, s3, v9
	s_mov_b32 s3, 0x7f800000
	s_nop 0
	v_cndmask_b32_e32 v10, 1.0, v10, vcc
	v_mul_f32_e32 v9, v9, v10
	v_log_f32_e32 v9, v9
	v_mov_b32_e32 v10, 0x41b17218
	v_cndmask_b32_e32 v10, 0, v10, vcc
	v_mul_f32_e32 v11, 0x3f317217, v9
	v_fma_f32 v11, v9, s4, -v11
	v_fmamk_f32 v11, v9, 0x3377d1cf, v11
	v_fmac_f32_e32 v11, 0x3f317217, v9
	v_cmp_lt_f32_e64 vcc, |v9|, s3
	s_nop 1
	v_cndmask_b32_e32 v9, v9, v11, vcc
	v_sub_f32_e32 v9, v9, v10
	v_cmp_lt_f16_e32 vcc, s2, v4
	s_mov_b32 s2, 0xf800000
	s_nop 0
	v_cndmask_b32_e32 v4, v9, v7, vcc
	v_mul_f32_e32 v7, 0x4f800000, v4
	v_cmp_gt_f32_e32 vcc, s2, v4
	s_nop 1
	v_cndmask_b32_e32 v4, v4, v7, vcc
	v_sqrt_f32_e32 v7, v4
	s_nop 0
	v_add_u32_e32 v9, -1, v7
	v_fma_f32 v10, -v9, v7, v4
	v_cmp_ge_f32_e64 s[2:3], 0, v10
	v_add_u32_e32 v10, 1, v7
	s_nop 0
	v_cndmask_b32_e64 v9, v7, v9, s[2:3]
	v_fma_f32 v7, -v10, v7, v4
	v_cmp_lt_f32_e64 s[2:3], 0, v7
	s_nop 1
	v_cndmask_b32_e64 v7, v9, v10, s[2:3]
	v_mul_f32_e32 v9, 0x37800000, v7
	v_cndmask_b32_e32 v7, v7, v9, vcc
	v_mov_b32_e32 v9, 0x260
	v_cmp_class_f32_e64 s[2:3], v4, v9
	s_and_b64 vcc, exec, s[6:7]
	s_nop 0
	v_cndmask_b32_e64 v4, v7, v4, s[2:3]
	s_cbranch_vccnz .LBB345_14
; %bb.13:
	global_load_dword v5, v5, s[10:11] offset:1024
	s_waitcnt vmcnt(0)
	v_add_f32_e32 v4, v4, v5
.LBB345_14:
	s_load_dwordx4 s[12:15], s[0:1], 0x30
	v_cmp_eq_u32_e64 s[4:5], 0, v8
	s_waitcnt lgkmcnt(0)
	s_bitcmp1_b32 s15, 0
	s_cselect_b64 s[2:3], -1, 0
	s_cmp_gt_i32 s12, 0
	s_cselect_b64 s[24:25], -1, 0
	s_and_b64 vcc, exec, s[24:25]
	s_cbranch_vccz .LBB345_45
; %bb.15:
	v_mbcnt_lo_u32_b32 v5, -1, 0
	v_mbcnt_hi_u32_b32 v7, -1, v5
	v_and_b32_e32 v5, 64, v7
	v_add_u32_e32 v10, 64, v5
	v_xor_b32_e32 v11, 32, v7
	v_cmp_lt_i32_e32 vcc, v11, v10
	s_load_dwordx4 s[16:19], s[0:1], 0x20
	s_mov_b32 s15, 0
	v_cndmask_b32_e32 v11, v7, v11, vcc
	v_lshlrev_b32_e32 v15, 2, v11
	v_xor_b32_e32 v11, 16, v7
	v_cmp_lt_i32_e32 vcc, v11, v10
	v_mul_lo_u32 v5, v6, s12
	v_or_b32_e32 v9, 64, v8
	v_cndmask_b32_e32 v11, v7, v11, vcc
	v_lshlrev_b32_e32 v16, 2, v11
	v_xor_b32_e32 v11, 8, v7
	v_cmp_lt_i32_e32 vcc, v11, v10
	v_or_b32_e32 v12, 0x80, v8
	v_or_b32_e32 v13, 0xc0, v8
	v_cndmask_b32_e32 v11, v7, v11, vcc
	v_lshlrev_b32_e32 v17, 2, v11
	v_xor_b32_e32 v11, 4, v7
	v_cmp_lt_i32_e32 vcc, v11, v10
	v_or_b32_e32 v14, 0x100, v8
	v_mov_b32_e32 v21, 0x140
	v_cndmask_b32_e32 v11, v7, v11, vcc
	v_lshlrev_b32_e32 v18, 2, v11
	v_xor_b32_e32 v11, 2, v7
	v_cmp_lt_i32_e32 vcc, v11, v10
	v_mov_b32_e32 v22, 0xc61c4000
	v_mov_b32_e32 v23, v6
	v_cndmask_b32_e32 v11, v7, v11, vcc
	v_lshlrev_b32_e32 v19, 2, v11
	v_xor_b32_e32 v11, 1, v7
	v_cmp_lt_i32_e32 vcc, v11, v10
	s_nop 1
	v_cndmask_b32_e32 v7, v7, v11, vcc
	v_lshlrev_b32_e32 v20, 2, v7
	v_mov_b32_e32 v7, 0
	s_branch .LBB345_18
.LBB345_16:                             ;   in Loop: Header=BB345_18 Depth=1
	v_add_u32_e32 v26, s15, v5
	v_cmp_le_i32_e32 vcc, s13, v10
	v_cmp_gt_i32_e64 s[0:1], s14, v10
	v_ashrrev_i32_e32 v27, 31, v26
	s_and_b64 s[0:1], vcc, s[0:1]
	v_lshlrev_b64 v[28:29], 2, v[26:27]
	v_subrev_u32_e32 v11, s13, v10
	v_lshl_add_u64 v[30:31], s[20:21], 0, v[28:29]
	s_waitcnt lgkmcnt(0)
	v_ashrrev_i32_e32 v25, 31, v11
	s_and_b64 vcc, s[22:23], s[0:1]
	global_store_dword v[30:31], v24, off
	v_cndmask_b32_e32 v31, 0, v25, vcc
	v_cndmask_b32_e32 v30, v21, v11, vcc
	v_lshl_add_u64 v[26:27], v[26:27], 3, s[16:17]
	v_add_f32_e32 v11, v7, v24
	global_store_dwordx2 v[26:27], v[30:31], off
	v_lshl_add_u64 v[26:27], s[18:19], 0, v[28:29]
	v_cndmask_b32_e64 v7, v7, v11, s[2:3]
	global_store_dword v[26:27], v23, off
.LBB345_17:                             ;   in Loop: Header=BB345_18 Depth=1
	s_or_b64 exec, exec, s[26:27]
	v_ashrrev_i32_e32 v11, 31, v10
	v_lshrrev_b32_e32 v11, 26, v11
	v_add_u32_e32 v11, v10, v11
	v_ashrrev_i32_e32 v24, 6, v11
	v_and_b32_e32 v11, 0xffffffc0, v11
	v_sub_u32_e32 v10, v10, v11
	v_cmp_ne_u32_e64 s[0:1], 0, v24
	v_cmp_eq_u32_e32 vcc, v8, v10
	s_add_i32 s15, s15, 1
	v_cndmask_b32_e64 v10, v22, v0, s[0:1]
	v_cmp_ne_u32_e64 s[0:1], 1, v24
	s_cmp_lt_i32 s15, s12
	s_cselect_b64 s[26:27], -1, 0
	v_cndmask_b32_e64 v11, v22, v1, s[0:1]
	v_cmp_ne_u32_e64 s[0:1], 2, v24
	s_and_b64 vcc, s[26:27], vcc
	v_cndmask_b32_e32 v1, v1, v11, vcc
	s_waitcnt lgkmcnt(0)
	v_cndmask_b32_e64 v25, v22, v2, s[0:1]
	v_cmp_ne_u32_e64 s[0:1], 3, v24
	v_cndmask_b32_e32 v2, v2, v25, vcc
	v_cndmask_b32_e32 v0, v0, v10, vcc
	v_cndmask_b32_e64 v26, v22, v3, s[0:1]
	v_cmp_ne_u32_e64 s[0:1], 4, v24
	v_cndmask_b32_e32 v3, v3, v26, vcc
	s_cmp_eq_u32 s12, s15
	v_cndmask_b32_e64 v24, v22, v4, s[0:1]
	v_cndmask_b32_e32 v4, v4, v24, vcc
	v_add_u32_e32 v23, s30, v23
	s_cbranch_scc1 .LBB345_46
.LBB345_18:                             ; =>This Inner Loop Header: Depth=1
	v_cmp_gt_f32_e32 vcc, v1, v0
	s_nop 1
	v_cndmask_b32_e32 v11, v0, v1, vcc
	v_cndmask_b32_e32 v10, v8, v9, vcc
	v_cmp_gt_f32_e32 vcc, v2, v11
	s_nop 1
	v_cndmask_b32_e32 v11, v11, v2, vcc
	v_cndmask_b32_e32 v10, v10, v12, vcc
	;; [unrolled: 4-line block ×4, first 2 shown]
	ds_bpermute_b32 v11, v15, v24
	ds_bpermute_b32 v25, v15, v10
	s_waitcnt lgkmcnt(0)
	v_cmp_lt_f32_e64 s[26:27], v24, v11
	v_cmp_nlt_f32_e32 vcc, v24, v11
	s_and_saveexec_b64 s[28:29], vcc
; %bb.19:                               ;   in Loop: Header=BB345_18 Depth=1
	v_cmp_eq_f32_e32 vcc, v24, v11
	v_cmp_lt_i32_e64 s[0:1], v25, v10
	s_and_b64 s[0:1], vcc, s[0:1]
	s_andn2_b64 s[26:27], s[26:27], exec
	s_and_b64 s[0:1], s[0:1], exec
	s_or_b64 s[26:27], s[26:27], s[0:1]
; %bb.20:                               ;   in Loop: Header=BB345_18 Depth=1
	s_or_b64 exec, exec, s[28:29]
	s_and_saveexec_b64 s[0:1], s[26:27]
; %bb.21:                               ;   in Loop: Header=BB345_18 Depth=1
	v_mov_b32_e32 v24, v11
	v_mov_b32_e32 v10, v25
; %bb.22:                               ;   in Loop: Header=BB345_18 Depth=1
	s_or_b64 exec, exec, s[0:1]
	ds_bpermute_b32 v11, v16, v24
	ds_bpermute_b32 v25, v16, v10
	s_waitcnt lgkmcnt(1)
	v_cmp_lt_f32_e64 s[26:27], v24, v11
	v_cmp_nlt_f32_e32 vcc, v24, v11
	s_and_saveexec_b64 s[28:29], vcc
	s_cbranch_execz .LBB345_24
; %bb.23:                               ;   in Loop: Header=BB345_18 Depth=1
	v_cmp_eq_f32_e32 vcc, v24, v11
	s_waitcnt lgkmcnt(0)
	v_cmp_lt_i32_e64 s[0:1], v25, v10
	s_and_b64 s[0:1], vcc, s[0:1]
	s_andn2_b64 s[26:27], s[26:27], exec
	s_and_b64 s[0:1], s[0:1], exec
	s_or_b64 s[26:27], s[26:27], s[0:1]
.LBB345_24:                             ;   in Loop: Header=BB345_18 Depth=1
	s_or_b64 exec, exec, s[28:29]
	s_and_saveexec_b64 s[0:1], s[26:27]
	s_cbranch_execz .LBB345_26
; %bb.25:                               ;   in Loop: Header=BB345_18 Depth=1
	v_mov_b32_e32 v24, v11
	s_waitcnt lgkmcnt(0)
	v_mov_b32_e32 v10, v25
.LBB345_26:                             ;   in Loop: Header=BB345_18 Depth=1
	s_or_b64 exec, exec, s[0:1]
	ds_bpermute_b32 v11, v17, v24
	s_waitcnt lgkmcnt(1)
	ds_bpermute_b32 v25, v17, v10
	s_waitcnt lgkmcnt(1)
	v_cmp_lt_f32_e64 s[26:27], v24, v11
	v_cmp_nlt_f32_e32 vcc, v24, v11
	s_and_saveexec_b64 s[28:29], vcc
	s_cbranch_execz .LBB345_28
; %bb.27:                               ;   in Loop: Header=BB345_18 Depth=1
	v_cmp_eq_f32_e32 vcc, v24, v11
	s_waitcnt lgkmcnt(0)
	v_cmp_lt_i32_e64 s[0:1], v25, v10
	s_and_b64 s[0:1], vcc, s[0:1]
	s_andn2_b64 s[26:27], s[26:27], exec
	s_and_b64 s[0:1], s[0:1], exec
	s_or_b64 s[26:27], s[26:27], s[0:1]
.LBB345_28:                             ;   in Loop: Header=BB345_18 Depth=1
	s_or_b64 exec, exec, s[28:29]
	s_and_saveexec_b64 s[0:1], s[26:27]
	s_cbranch_execz .LBB345_30
; %bb.29:                               ;   in Loop: Header=BB345_18 Depth=1
	v_mov_b32_e32 v24, v11
	s_waitcnt lgkmcnt(0)
	v_mov_b32_e32 v10, v25
.LBB345_30:                             ;   in Loop: Header=BB345_18 Depth=1
	s_or_b64 exec, exec, s[0:1]
	ds_bpermute_b32 v11, v18, v24
	s_waitcnt lgkmcnt(1)
	;; [unrolled: 26-line block ×4, first 2 shown]
	ds_bpermute_b32 v25, v20, v10
	s_waitcnt lgkmcnt(1)
	v_cmp_lt_f32_e64 s[26:27], v24, v11
	v_cmp_nlt_f32_e32 vcc, v24, v11
	s_and_saveexec_b64 s[28:29], vcc
	s_cbranch_execnz .LBB345_41
; %bb.39:                               ;   in Loop: Header=BB345_18 Depth=1
	s_or_b64 exec, exec, s[28:29]
	s_and_saveexec_b64 s[0:1], s[26:27]
	s_cbranch_execnz .LBB345_42
.LBB345_40:                             ;   in Loop: Header=BB345_18 Depth=1
	s_or_b64 exec, exec, s[0:1]
	s_and_saveexec_b64 s[26:27], s[4:5]
	s_cbranch_execz .LBB345_17
	s_branch .LBB345_43
.LBB345_41:                             ;   in Loop: Header=BB345_18 Depth=1
	v_cmp_eq_f32_e32 vcc, v24, v11
	s_waitcnt lgkmcnt(0)
	v_cmp_lt_i32_e64 s[0:1], v25, v10
	s_and_b64 s[0:1], vcc, s[0:1]
	s_andn2_b64 s[26:27], s[26:27], exec
	s_and_b64 s[0:1], s[0:1], exec
	s_or_b64 s[26:27], s[26:27], s[0:1]
	s_or_b64 exec, exec, s[28:29]
	s_and_saveexec_b64 s[0:1], s[26:27]
	s_cbranch_execz .LBB345_40
.LBB345_42:                             ;   in Loop: Header=BB345_18 Depth=1
	s_waitcnt lgkmcnt(0)
	v_mov_b32_e32 v10, v25
	v_mov_b32_e32 v24, v11
	s_or_b64 exec, exec, s[0:1]
	s_and_saveexec_b64 s[26:27], s[4:5]
	s_cbranch_execz .LBB345_17
.LBB345_43:                             ;   in Loop: Header=BB345_18 Depth=1
	s_and_b64 vcc, exec, s[6:7]
	s_cbranch_vccnz .LBB345_16
; %bb.44:                               ;   in Loop: Header=BB345_18 Depth=1
	v_ashrrev_i32_e32 v11, 31, v10
	v_lshl_add_u64 v[26:27], v[10:11], 2, s[10:11]
	global_load_dword v11, v[26:27], off
	s_waitcnt vmcnt(0)
	v_sub_f32_e32 v24, v24, v11
	s_branch .LBB345_16
.LBB345_45:
	v_mov_b32_e32 v7, 0
.LBB345_46:
	v_cmp_eq_u32_e32 vcc, 0, v8
	s_and_b64 exec, exec, vcc
	s_cbranch_execz .LBB345_59
; %bb.47:
	s_andn2_b64 vcc, exec, s[2:3]
	v_cvt_f32_f64_e32 v0, s[8:9]
	s_cbranch_vccnz .LBB345_49
; %bb.48:
	v_cmp_lt_f32_e32 vcc, 0, v7
	s_nop 1
	v_cndmask_b32_e32 v1, 1.0, v7, vcc
	v_div_scale_f32 v2, s[0:1], v1, v1, v0
	v_rcp_f32_e32 v3, v2
	s_nop 0
	v_fma_f32 v4, -v2, v3, 1.0
	v_fmac_f32_e32 v3, v4, v3
	v_div_scale_f32 v4, vcc, v0, v1, v0
	v_mul_f32_e32 v5, v4, v3
	v_fma_f32 v7, -v2, v5, v4
	v_fmac_f32_e32 v5, v7, v3
	v_fma_f32 v2, -v2, v5, v4
	v_div_fmas_f32 v2, v2, v3, v5
	v_div_fixup_f32 v0, v2, v1, v0
.LBB345_49:
	s_andn2_b64 vcc, exec, s[24:25]
	s_cbranch_vccnz .LBB345_59
; %bb.50:
	v_mul_lo_u32 v2, v6, s12
	s_cmp_gt_u32 s12, 3
	v_ashrrev_i32_e32 v3, 31, v2
	s_cbranch_scc0 .LBB345_54
; %bb.51:
	s_and_b32 s0, s12, 0x7ffffffc
	v_lshl_add_u64 v[4:5], v[2:3], 2, s[20:21]
	v_mov_b32_e32 v1, v0
	v_lshl_add_u64 v[4:5], v[4:5], 0, 8
	s_mov_b32 s1, s0
.LBB345_52:                             ; =>This Inner Loop Header: Depth=1
	global_load_dwordx4 v[6:9], v[4:5], off offset:-8
	s_add_i32 s1, s1, -4
	s_cmp_lg_u32 s1, 0
	s_waitcnt vmcnt(0)
	v_pk_mul_f32 v[6:7], v[0:1], v[6:7]
	v_pk_mul_f32 v[8:9], v[0:1], v[8:9]
	global_store_dwordx4 v[4:5], v[6:9], off offset:-8
	v_lshl_add_u64 v[4:5], v[4:5], 0, 16
	s_cbranch_scc1 .LBB345_52
; %bb.53:
	s_cmp_lg_u32 s0, s12
	s_cselect_b64 s[2:3], -1, 0
	s_branch .LBB345_56
.LBB345_54:
	s_mov_b64 s[2:3], 0
                                        ; implicit-def: $sgpr0
	s_cbranch_execz .LBB345_56
; %bb.55:
	s_mov_b64 s[2:3], -1
	s_mov_b32 s0, 0
.LBB345_56:
	s_andn2_b64 vcc, exec, s[2:3]
	s_cbranch_vccnz .LBB345_59
; %bb.57:
	s_mov_b32 s1, 0
	v_lshl_add_u64 v[2:3], v[2:3], 0, s[0:1]
	s_sub_i32 s2, s12, s0
	v_lshl_add_u64 v[2:3], v[2:3], 2, s[20:21]
.LBB345_58:                             ; =>This Inner Loop Header: Depth=1
	global_load_dword v1, v[2:3], off
	s_add_i32 s2, s2, -1
	s_cmp_lg_u32 s2, 0
	s_waitcnt vmcnt(0)
	v_mul_f32_e32 v1, v0, v1
	global_store_dword v[2:3], v1, off
	v_lshl_add_u64 v[2:3], v[2:3], 0, 4
	s_cbranch_scc1 .LBB345_58
.LBB345_59:
	s_endpgm
	.section	.rodata,"a",@progbits
	.p2align	6, 0x0
	.amdhsa_kernel _ZN4vllm3moe22topkGatingSoftplusSqrtILi5ELi320ELi4ELi2ELi64ELb0El6__halfEEvPKT6_PKbPfiPT5_PiiiibdPKfPKS9_SF_
		.amdhsa_group_segment_fixed_size 0
		.amdhsa_private_segment_fixed_size 0
		.amdhsa_kernarg_size 96
		.amdhsa_user_sgpr_count 2
		.amdhsa_user_sgpr_dispatch_ptr 0
		.amdhsa_user_sgpr_queue_ptr 0
		.amdhsa_user_sgpr_kernarg_segment_ptr 1
		.amdhsa_user_sgpr_dispatch_id 0
		.amdhsa_user_sgpr_kernarg_preload_length 0
		.amdhsa_user_sgpr_kernarg_preload_offset 0
		.amdhsa_user_sgpr_private_segment_size 0
		.amdhsa_uses_dynamic_stack 0
		.amdhsa_enable_private_segment 0
		.amdhsa_system_sgpr_workgroup_id_x 1
		.amdhsa_system_sgpr_workgroup_id_y 0
		.amdhsa_system_sgpr_workgroup_id_z 0
		.amdhsa_system_sgpr_workgroup_info 0
		.amdhsa_system_vgpr_workitem_id 1
		.amdhsa_next_free_vgpr 32
		.amdhsa_next_free_sgpr 31
		.amdhsa_accum_offset 32
		.amdhsa_reserve_vcc 1
		.amdhsa_float_round_mode_32 0
		.amdhsa_float_round_mode_16_64 0
		.amdhsa_float_denorm_mode_32 3
		.amdhsa_float_denorm_mode_16_64 3
		.amdhsa_dx10_clamp 1
		.amdhsa_ieee_mode 1
		.amdhsa_fp16_overflow 0
		.amdhsa_tg_split 0
		.amdhsa_exception_fp_ieee_invalid_op 0
		.amdhsa_exception_fp_denorm_src 0
		.amdhsa_exception_fp_ieee_div_zero 0
		.amdhsa_exception_fp_ieee_overflow 0
		.amdhsa_exception_fp_ieee_underflow 0
		.amdhsa_exception_fp_ieee_inexact 0
		.amdhsa_exception_int_div_zero 0
	.end_amdhsa_kernel
	.section	.text._ZN4vllm3moe22topkGatingSoftplusSqrtILi5ELi320ELi4ELi2ELi64ELb0El6__halfEEvPKT6_PKbPfiPT5_PiiiibdPKfPKS9_SF_,"axG",@progbits,_ZN4vllm3moe22topkGatingSoftplusSqrtILi5ELi320ELi4ELi2ELi64ELb0El6__halfEEvPKT6_PKbPfiPT5_PiiiibdPKfPKS9_SF_,comdat
.Lfunc_end345:
	.size	_ZN4vllm3moe22topkGatingSoftplusSqrtILi5ELi320ELi4ELi2ELi64ELb0El6__halfEEvPKT6_PKbPfiPT5_PiiiibdPKfPKS9_SF_, .Lfunc_end345-_ZN4vllm3moe22topkGatingSoftplusSqrtILi5ELi320ELi4ELi2ELi64ELb0El6__halfEEvPKT6_PKbPfiPT5_PiiiibdPKfPKS9_SF_
                                        ; -- End function
	.section	.AMDGPU.csdata,"",@progbits
; Kernel info:
; codeLenInByte = 3380
; NumSgprs: 37
; NumVgprs: 32
; NumAgprs: 0
; TotalNumVgprs: 32
; ScratchSize: 0
; MemoryBound: 0
; FloatMode: 240
; IeeeMode: 1
; LDSByteSize: 0 bytes/workgroup (compile time only)
; SGPRBlocks: 4
; VGPRBlocks: 3
; NumSGPRsForWavesPerEU: 37
; NumVGPRsForWavesPerEU: 32
; AccumOffset: 32
; Occupancy: 8
; WaveLimiterHint : 1
; COMPUTE_PGM_RSRC2:SCRATCH_EN: 0
; COMPUTE_PGM_RSRC2:USER_SGPR: 2
; COMPUTE_PGM_RSRC2:TRAP_HANDLER: 0
; COMPUTE_PGM_RSRC2:TGID_X_EN: 1
; COMPUTE_PGM_RSRC2:TGID_Y_EN: 0
; COMPUTE_PGM_RSRC2:TGID_Z_EN: 0
; COMPUTE_PGM_RSRC2:TIDIG_COMP_CNT: 1
; COMPUTE_PGM_RSRC3_GFX90A:ACCUM_OFFSET: 7
; COMPUTE_PGM_RSRC3_GFX90A:TG_SPLIT: 0
	.section	.text._ZN4vllm3moe22topkGatingSoftplusSqrtILi10ELi320ELi4ELi2ELi32ELb1El6__halfEEvPKT6_PKbPfiPT5_PiiiibdPKfPKS9_SF_,"axG",@progbits,_ZN4vllm3moe22topkGatingSoftplusSqrtILi10ELi320ELi4ELi2ELi32ELb1El6__halfEEvPKT6_PKbPfiPT5_PiiiibdPKfPKS9_SF_,comdat
	.protected	_ZN4vllm3moe22topkGatingSoftplusSqrtILi10ELi320ELi4ELi2ELi32ELb1El6__halfEEvPKT6_PKbPfiPT5_PiiiibdPKfPKS9_SF_ ; -- Begin function _ZN4vllm3moe22topkGatingSoftplusSqrtILi10ELi320ELi4ELi2ELi32ELb1El6__halfEEvPKT6_PKbPfiPT5_PiiiibdPKfPKS9_SF_
	.globl	_ZN4vllm3moe22topkGatingSoftplusSqrtILi10ELi320ELi4ELi2ELi32ELb1El6__halfEEvPKT6_PKbPfiPT5_PiiiibdPKfPKS9_SF_
	.p2align	8
	.type	_ZN4vllm3moe22topkGatingSoftplusSqrtILi10ELi320ELi4ELi2ELi32ELb1El6__halfEEvPKT6_PKbPfiPT5_PiiiibdPKfPKS9_SF_,@function
_ZN4vllm3moe22topkGatingSoftplusSqrtILi10ELi320ELi4ELi2ELi32ELb1El6__halfEEvPKT6_PKbPfiPT5_PiiiibdPKfPKS9_SF_: ; @_ZN4vllm3moe22topkGatingSoftplusSqrtILi10ELi320ELi4ELi2ELi32ELb1El6__halfEEvPKT6_PKbPfiPT5_PiiiibdPKfPKS9_SF_
; %bb.0:
	s_load_dword s3, s[0:1], 0x18
	v_and_b32_e32 v1, 0x3ff, v0
	s_lshl_b32 s2, s2, 2
	v_lshrrev_b32_e32 v2, 5, v1
	v_bfe_u32 v0, v0, 10, 10
	v_add3_u32 v10, s2, v0, v2
	s_waitcnt lgkmcnt(0)
	v_cmp_gt_i32_e32 vcc, s3, v10
	s_and_saveexec_b64 s[2:3], vcc
	s_cbranch_execz .LBB346_31
; %bb.1:
	s_load_dwordx4 s[8:11], s[0:1], 0x50
	s_load_dwordx2 s[2:3], s[0:1], 0x0
	s_load_dword s16, s[0:1], 0x30
	s_movk_i32 s4, 0x140
	v_mul_lo_u32 v4, v10, s4
	v_ashrrev_i32_e32 v5, 31, v4
	v_and_b32_e32 v22, 31, v1
	s_waitcnt lgkmcnt(0)
	v_lshl_add_u64 v[4:5], v[4:5], 1, s[2:3]
	v_lshlrev_b32_e32 v12, 1, v22
	v_mov_b32_e32 v13, 0
	v_mov_b32_e32 v2, s8
	;; [unrolled: 1-line block ×3, first 2 shown]
	v_lshl_add_u64 v[0:1], v[4:5], 0, v[12:13]
	v_ashrrev_i32_e32 v11, 31, v10
	global_load_ushort v4, v[0:1], off
	global_load_ushort v5, v[0:1], off offset:64
	global_load_ushort v6, v[0:1], off offset:128
	;; [unrolled: 1-line block ×9, first 2 shown]
	v_lshl_add_u64 v[0:1], v[10:11], 3, v[2:3]
	global_load_dwordx2 v[0:1], v[0:1], off
	s_ashr_i32 s17, s16, 31
	s_mov_b32 s19, 0x800000
	v_mov_b32_e32 v11, 0x4f800000
	s_mov_b32 s18, 0x3f317217
	s_mov_b32 s20, 0x7f800000
	v_mov_b32_e32 v19, 0x41b17218
	s_movk_i32 s13, 0x4d00
	s_mov_b32 s21, 0xf800000
	v_mov_b32_e32 v20, 0x260
	v_cmp_lt_i64_e64 s[14:15], s[16:17], 1
	s_mov_b32 s12, 0
	v_cmp_gt_i64_e64 s[8:9], s[16:17], 0
	v_mul_lo_u32 v10, v10, s16
	s_waitcnt vmcnt(10)
	v_cvt_f32_f16_e32 v2, v4
	s_waitcnt vmcnt(9)
	v_cvt_f32_f16_e32 v3, v5
	;; [unrolled: 2-line block ×5, first 2 shown]
	v_mul_f32_e32 v31, 0x3fb8aa3b, v3
	v_exp_f32_e32 v31, v31
	v_mul_f32_e32 v32, 0x3fb8aa3b, v21
	v_exp_f32_e32 v32, v32
	s_waitcnt vmcnt(5)
	v_cvt_f32_f16_e32 v25, v12
	s_waitcnt vmcnt(4)
	v_cvt_f32_f16_e32 v26, v16
	s_waitcnt vmcnt(0)
	v_mul_lo_u32 v30, v0, s17
	v_mad_u64_u32 v[14:15], s[2:3], v0, s16, 0
	v_mul_f32_e32 v0, 0x3fb8aa3b, v2
	v_exp_f32_e32 v0, v0
	v_mul_lo_u32 v1, v1, s16
	v_add3_u32 v15, v15, v30, v1
	v_add_f32_e32 v1, 1.0, v31
	v_add_f32_e32 v0, 1.0, v0
	v_cmp_gt_f32_e32 vcc, s19, v0
	v_cmp_gt_f32_e64 s[2:3], s19, v1
	v_add_f32_e32 v30, 1.0, v32
	v_cndmask_b32_e32 v31, 1.0, v11, vcc
	v_cndmask_b32_e64 v32, 1.0, v11, s[2:3]
	v_mul_f32_e32 v0, v0, v31
	v_mul_f32_e32 v1, v1, v32
	v_log_f32_e32 v0, v0
	v_log_f32_e32 v1, v1
	v_cmp_gt_f32_e64 s[4:5], s19, v30
	v_cndmask_b32_e32 v31, 0, v19, vcc
	v_cmp_lt_f32_e64 vcc, |v0|, s20
	v_cndmask_b32_e64 v33, 1.0, v11, s[4:5]
	v_mul_f32_e32 v30, v30, v33
	v_mul_f32_e32 v33, 0x3f317217, v0
	v_mul_f32_e32 v34, 0x3f317217, v1
	v_fma_f32 v33, v0, s18, -v33
	v_fma_f32 v34, v1, s18, -v34
	v_fmac_f32_e32 v33, 0x3377d1cf, v0
	v_fmac_f32_e32 v34, 0x3377d1cf, v1
	;; [unrolled: 1-line block ×4, first 2 shown]
	v_cndmask_b32_e32 v0, v0, v33, vcc
	v_cmp_lt_f32_e64 vcc, |v1|, s20
	v_cndmask_b32_e64 v32, 0, v19, s[2:3]
	v_sub_f32_e32 v0, v0, v31
	v_cndmask_b32_e32 v1, v1, v34, vcc
	v_cmp_lt_f16_e32 vcc, s13, v4
	v_sub_f32_e32 v1, v1, v32
	v_log_f32_e32 v4, v30
	v_cndmask_b32_e32 v0, v0, v2, vcc
	v_cmp_lt_f16_e32 vcc, s13, v5
	v_mul_f32_e32 v2, 0x4f800000, v0
	v_cvt_f32_f16_e32 v27, v17
	v_cndmask_b32_e32 v1, v1, v3, vcc
	v_cmp_gt_f32_e32 vcc, s21, v0
	v_mul_f32_e32 v3, 0x4f800000, v1
	v_cmp_gt_f32_e64 s[2:3], s21, v1
	v_cndmask_b32_e32 v0, v0, v2, vcc
	v_sqrt_f32_e32 v2, v0
	v_cndmask_b32_e64 v1, v1, v3, s[2:3]
	v_sqrt_f32_e32 v3, v1
	v_cvt_f32_f16_e32 v28, v18
	v_add_u32_e32 v5, -1, v2
	v_fma_f32 v33, -v5, v2, v0
	v_add_u32_e32 v31, -1, v3
	v_add_u32_e32 v30, 1, v2
	v_fma_f32 v35, -v31, v3, v1
	v_cmp_ge_f32_e64 s[6:7], 0, v33
	v_add_u32_e32 v32, 1, v3
	v_fma_f32 v34, -v30, v2, v0
	v_cndmask_b32_e64 v2, v2, v5, s[6:7]
	v_cmp_ge_f32_e64 s[6:7], 0, v35
	v_fma_f32 v36, -v32, v3, v1
	v_cvt_f32_f16_e32 v29, v8
	v_cndmask_b32_e64 v3, v3, v31, s[6:7]
	v_cmp_lt_f32_e64 s[6:7], 0, v34
	v_lshl_add_u64 v[14:15], v[14:15], 3, s[10:11]
	s_nop 0
	v_cndmask_b32_e64 v2, v2, v30, s[6:7]
	v_mul_f32_e32 v5, 0x37800000, v2
	v_cndmask_b32_e32 v2, v2, v5, vcc
	v_cmp_class_f32_e32 vcc, v0, v20
	v_cmp_lt_f32_e64 s[6:7], 0, v36
	s_nop 0
	v_cndmask_b32_e32 v0, v2, v0, vcc
	v_mul_f32_e32 v2, 0x3f317217, v4
	v_fma_f32 v2, v4, s18, -v2
	v_fmac_f32_e32 v2, 0x3377d1cf, v4
	v_fmac_f32_e32 v2, 0x3f317217, v4
	v_cmp_lt_f32_e64 vcc, |v4|, s20
	v_cndmask_b32_e64 v3, v3, v32, s[6:7]
	v_mul_f32_e32 v30, 0x37800000, v3
	v_cndmask_b32_e32 v2, v4, v2, vcc
	v_cndmask_b32_e64 v4, 0, v19, s[4:5]
	v_sub_f32_e32 v2, v2, v4
	v_cmp_lt_f16_e32 vcc, s13, v6
	v_mul_f32_e32 v6, 0x3fb8aa3b, v23
	v_exp_f32_e32 v6, v6
	v_cndmask_b32_e32 v2, v2, v21, vcc
	v_mul_f32_e32 v4, 0x4f800000, v2
	v_cmp_gt_f32_e32 vcc, s21, v2
	v_cndmask_b32_e64 v3, v3, v30, s[2:3]
	v_cmp_class_f32_e64 s[2:3], v1, v20
	v_cndmask_b32_e32 v2, v2, v4, vcc
	v_sqrt_f32_e32 v4, v2
	v_cndmask_b32_e64 v1, v3, v1, s[2:3]
	v_add_f32_e32 v6, 1.0, v6
	v_add_u32_e32 v3, -1, v4
	v_fma_f32 v5, -v3, v4, v2
	v_cmp_ge_f32_e64 s[2:3], 0, v5
	v_add_u32_e32 v5, 1, v4
	s_nop 0
	v_cndmask_b32_e64 v3, v4, v3, s[2:3]
	v_cmp_gt_f32_e64 s[2:3], s19, v6
	v_fma_f32 v4, -v5, v4, v2
	v_cmp_lt_f32_e64 s[4:5], 0, v4
	v_cndmask_b32_e64 v21, 1.0, v11, s[2:3]
	v_mul_f32_e32 v6, v6, v21
	v_log_f32_e32 v6, v6
	v_cndmask_b32_e64 v3, v3, v5, s[4:5]
	v_mul_f32_e32 v4, 0x37800000, v3
	v_cndmask_b32_e32 v3, v3, v4, vcc
	v_mul_f32_e32 v5, 0x3f317217, v6
	v_fma_f32 v5, v6, s18, -v5
	v_fmac_f32_e32 v5, 0x3377d1cf, v6
	v_fmac_f32_e32 v5, 0x3f317217, v6
	v_cmp_lt_f32_e64 s[4:5], |v6|, s20
	v_cmp_class_f32_e32 vcc, v2, v20
	s_nop 0
	v_cndmask_b32_e64 v5, v6, v5, s[4:5]
	v_cndmask_b32_e64 v6, 0, v19, s[2:3]
	v_sub_f32_e32 v5, v5, v6
	v_cmp_lt_f16_e64 s[2:3], s13, v7
	v_mul_f32_e32 v7, 0x3fb8aa3b, v24
	v_exp_f32_e32 v7, v7
	v_cndmask_b32_e64 v5, v5, v23, s[2:3]
	v_mul_f32_e32 v6, 0x4f800000, v5
	v_cmp_gt_f32_e64 s[2:3], s21, v5
	v_cndmask_b32_e32 v2, v3, v2, vcc
	v_add_f32_e32 v7, 1.0, v7
	v_cndmask_b32_e64 v5, v5, v6, s[2:3]
	v_sqrt_f32_e32 v6, v5
	s_nop 0
	v_add_u32_e32 v3, -1, v6
	v_fma_f32 v4, -v3, v6, v5
	v_cmp_ge_f32_e32 vcc, 0, v4
	v_add_u32_e32 v4, 1, v6
	s_nop 0
	v_cndmask_b32_e32 v3, v6, v3, vcc
	v_cmp_gt_f32_e32 vcc, s19, v7
	v_fma_f32 v6, -v4, v6, v5
	v_cmp_lt_f32_e64 s[4:5], 0, v6
	v_cndmask_b32_e32 v21, 1.0, v11, vcc
	v_mul_f32_e32 v7, v7, v21
	v_log_f32_e32 v7, v7
	v_cndmask_b32_e64 v3, v3, v4, s[4:5]
	v_mul_f32_e32 v4, 0x37800000, v3
	v_cndmask_b32_e64 v3, v3, v4, s[2:3]
	v_mul_f32_e32 v6, 0x3f317217, v7
	v_fma_f32 v6, v7, s18, -v6
	v_fmac_f32_e32 v6, 0x3377d1cf, v7
	v_fmac_f32_e32 v6, 0x3f317217, v7
	v_cmp_lt_f32_e64 s[4:5], |v7|, s20
	v_cmp_class_f32_e64 s[2:3], v5, v20
	s_nop 0
	v_cndmask_b32_e64 v6, v7, v6, s[4:5]
	v_cndmask_b32_e32 v7, 0, v19, vcc
	v_sub_f32_e32 v6, v6, v7
	v_cmp_lt_f16_e32 vcc, s13, v9
	v_mul_f32_e32 v9, 0x3fb8aa3b, v25
	v_exp_f32_e32 v9, v9
	v_cndmask_b32_e32 v6, v6, v24, vcc
	v_mul_f32_e32 v7, 0x4f800000, v6
	v_cmp_gt_f32_e32 vcc, s21, v6
	v_cndmask_b32_e64 v3, v3, v5, s[2:3]
	v_add_f32_e32 v9, 1.0, v9
	v_cndmask_b32_e32 v6, v6, v7, vcc
	v_sqrt_f32_e32 v7, v6
	s_nop 0
	v_add_u32_e32 v4, -1, v7
	v_fma_f32 v5, -v4, v7, v6
	v_cmp_ge_f32_e64 s[2:3], 0, v5
	v_add_u32_e32 v5, 1, v7
	s_nop 0
	v_cndmask_b32_e64 v4, v7, v4, s[2:3]
	v_cmp_gt_f32_e64 s[2:3], s19, v9
	v_fma_f32 v7, -v5, v7, v6
	v_cmp_lt_f32_e64 s[4:5], 0, v7
	v_cndmask_b32_e64 v21, 1.0, v11, s[2:3]
	v_mul_f32_e32 v9, v9, v21
	v_log_f32_e32 v9, v9
	v_cndmask_b32_e64 v4, v4, v5, s[4:5]
	v_mul_f32_e32 v5, 0x37800000, v4
	v_cndmask_b32_e32 v4, v4, v5, vcc
	v_mul_f32_e32 v7, 0x3f317217, v9
	v_fma_f32 v7, v9, s18, -v7
	v_fmac_f32_e32 v7, 0x3377d1cf, v9
	v_fmac_f32_e32 v7, 0x3f317217, v9
	v_cmp_lt_f32_e64 s[4:5], |v9|, s20
	v_cmp_class_f32_e32 vcc, v6, v20
	s_nop 0
	v_cndmask_b32_e64 v7, v9, v7, s[4:5]
	v_cndmask_b32_e64 v9, 0, v19, s[2:3]
	v_sub_f32_e32 v7, v7, v9
	v_cmp_lt_f16_e64 s[2:3], s13, v12
	v_mul_f32_e32 v12, 0x3fb8aa3b, v26
	v_exp_f32_e32 v12, v12
	v_cndmask_b32_e64 v7, v7, v25, s[2:3]
	v_mul_f32_e32 v9, 0x4f800000, v7
	v_cmp_gt_f32_e64 s[2:3], s21, v7
	v_cndmask_b32_e32 v4, v4, v6, vcc
	v_add_f32_e32 v12, 1.0, v12
	v_cndmask_b32_e64 v7, v7, v9, s[2:3]
	v_sqrt_f32_e32 v9, v7
	s_nop 0
	v_add_u32_e32 v5, -1, v9
	v_fma_f32 v6, -v5, v9, v7
	v_cmp_ge_f32_e32 vcc, 0, v6
	v_add_u32_e32 v6, 1, v9
	s_nop 0
	v_cndmask_b32_e32 v5, v9, v5, vcc
	v_cmp_gt_f32_e32 vcc, s19, v12
	v_fma_f32 v9, -v6, v9, v7
	v_cmp_lt_f32_e64 s[4:5], 0, v9
	v_cndmask_b32_e32 v21, 1.0, v11, vcc
	v_mul_f32_e32 v12, v12, v21
	v_log_f32_e32 v12, v12
	v_cndmask_b32_e64 v5, v5, v6, s[4:5]
	v_mul_f32_e32 v6, 0x37800000, v5
	v_cndmask_b32_e64 v5, v5, v6, s[2:3]
	v_mul_f32_e32 v9, 0x3f317217, v12
	v_fma_f32 v9, v12, s18, -v9
	v_fmac_f32_e32 v9, 0x3377d1cf, v12
	v_fmac_f32_e32 v9, 0x3f317217, v12
	v_cmp_lt_f32_e64 s[4:5], |v12|, s20
	v_cmp_class_f32_e64 s[2:3], v7, v20
	s_nop 0
	v_cndmask_b32_e64 v9, v12, v9, s[4:5]
	v_cndmask_b32_e32 v12, 0, v19, vcc
	v_sub_f32_e32 v9, v9, v12
	v_cmp_lt_f16_e32 vcc, s13, v16
	v_mul_f32_e32 v16, 0x3fb8aa3b, v27
	v_exp_f32_e32 v16, v16
	v_cndmask_b32_e32 v9, v9, v26, vcc
	v_mul_f32_e32 v12, 0x4f800000, v9
	v_cmp_gt_f32_e32 vcc, s21, v9
	v_cndmask_b32_e64 v5, v5, v7, s[2:3]
	v_add_f32_e32 v16, 1.0, v16
	v_cndmask_b32_e32 v9, v9, v12, vcc
	v_sqrt_f32_e32 v12, v9
	s_nop 0
	v_add_u32_e32 v6, -1, v12
	v_fma_f32 v7, -v6, v12, v9
	v_cmp_ge_f32_e64 s[2:3], 0, v7
	v_add_u32_e32 v7, 1, v12
	s_nop 0
	v_cndmask_b32_e64 v6, v12, v6, s[2:3]
	v_cmp_gt_f32_e64 s[2:3], s19, v16
	v_fma_f32 v12, -v7, v12, v9
	v_cmp_lt_f32_e64 s[4:5], 0, v12
	v_cndmask_b32_e64 v21, 1.0, v11, s[2:3]
	v_mul_f32_e32 v16, v16, v21
	v_log_f32_e32 v16, v16
	v_cndmask_b32_e64 v6, v6, v7, s[4:5]
	v_mul_f32_e32 v7, 0x37800000, v6
	v_cndmask_b32_e32 v6, v6, v7, vcc
	v_mul_f32_e32 v12, 0x3f317217, v16
	v_fma_f32 v12, v16, s18, -v12
	v_fmac_f32_e32 v12, 0x3377d1cf, v16
	v_fmac_f32_e32 v12, 0x3f317217, v16
	v_cmp_lt_f32_e64 s[4:5], |v16|, s20
	v_cmp_class_f32_e32 vcc, v9, v20
	s_nop 0
	v_cndmask_b32_e64 v12, v16, v12, s[4:5]
	v_cndmask_b32_e64 v16, 0, v19, s[2:3]
	v_sub_f32_e32 v12, v12, v16
	v_cmp_lt_f16_e64 s[2:3], s13, v17
	v_mul_f32_e32 v17, 0x3fb8aa3b, v28
	v_exp_f32_e32 v17, v17
	v_cndmask_b32_e64 v12, v12, v27, s[2:3]
	v_mul_f32_e32 v16, 0x4f800000, v12
	v_cmp_gt_f32_e64 s[2:3], s21, v12
	v_cndmask_b32_e32 v6, v6, v9, vcc
	v_add_f32_e32 v17, 1.0, v17
	v_cndmask_b32_e64 v12, v12, v16, s[2:3]
	v_sqrt_f32_e32 v16, v12
	s_nop 0
	v_add_u32_e32 v7, -1, v16
	v_fma_f32 v9, -v7, v16, v12
	v_cmp_ge_f32_e32 vcc, 0, v9
	v_add_u32_e32 v9, 1, v16
	s_nop 0
	v_cndmask_b32_e32 v7, v16, v7, vcc
	v_cmp_gt_f32_e32 vcc, s19, v17
	v_fma_f32 v16, -v9, v16, v12
	v_cmp_lt_f32_e64 s[4:5], 0, v16
	v_cndmask_b32_e32 v21, 1.0, v11, vcc
	v_mul_f32_e32 v17, v17, v21
	v_log_f32_e32 v17, v17
	v_cndmask_b32_e64 v7, v7, v9, s[4:5]
	v_mul_f32_e32 v9, 0x37800000, v7
	v_cndmask_b32_e64 v7, v7, v9, s[2:3]
	v_mul_f32_e32 v16, 0x3f317217, v17
	v_fma_f32 v16, v17, s18, -v16
	v_fmac_f32_e32 v16, 0x3377d1cf, v17
	v_fmac_f32_e32 v16, 0x3f317217, v17
	v_cmp_lt_f32_e64 s[4:5], |v17|, s20
	v_cmp_class_f32_e64 s[2:3], v12, v20
	s_nop 0
	v_cndmask_b32_e64 v16, v17, v16, s[4:5]
	v_cndmask_b32_e32 v17, 0, v19, vcc
	v_sub_f32_e32 v16, v16, v17
	v_cmp_lt_f16_e32 vcc, s13, v18
	v_mul_f32_e32 v18, 0x3fb8aa3b, v29
	v_exp_f32_e32 v18, v18
	v_cndmask_b32_e32 v16, v16, v28, vcc
	v_mul_f32_e32 v17, 0x4f800000, v16
	v_cmp_gt_f32_e32 vcc, s21, v16
	v_cndmask_b32_e64 v7, v7, v12, s[2:3]
	v_add_f32_e32 v18, 1.0, v18
	v_cndmask_b32_e32 v16, v16, v17, vcc
	v_sqrt_f32_e32 v17, v16
	s_nop 0
	v_add_u32_e32 v9, -1, v17
	v_fma_f32 v12, -v9, v17, v16
	v_cmp_ge_f32_e64 s[2:3], 0, v12
	v_add_u32_e32 v12, 1, v17
	s_nop 0
	v_cndmask_b32_e64 v9, v17, v9, s[2:3]
	v_cmp_gt_f32_e64 s[2:3], s19, v18
	v_fma_f32 v17, -v12, v17, v16
	v_cmp_lt_f32_e64 s[4:5], 0, v17
	v_cndmask_b32_e64 v11, 1.0, v11, s[2:3]
	v_mul_f32_e32 v11, v18, v11
	v_log_f32_e32 v11, v11
	v_cndmask_b32_e64 v9, v9, v12, s[4:5]
	v_mul_f32_e32 v12, 0x37800000, v9
	v_mul_f32_e32 v17, 0x3f317217, v11
	v_fma_f32 v17, v11, s18, -v17
	v_fmac_f32_e32 v17, 0x3377d1cf, v11
	v_fmac_f32_e32 v17, 0x3f317217, v11
	v_cmp_lt_f32_e64 s[4:5], |v11|, s20
	s_nop 1
	v_cndmask_b32_e64 v11, v11, v17, s[4:5]
	v_cndmask_b32_e64 v17, 0, v19, s[2:3]
	v_sub_f32_e32 v11, v11, v17
	v_cmp_lt_f16_e64 s[2:3], s13, v8
	s_nop 1
	v_cndmask_b32_e64 v8, v11, v29, s[2:3]
	v_mul_f32_e32 v11, 0x4f800000, v8
	v_cmp_gt_f32_e64 s[2:3], s21, v8
	s_nop 1
	v_cndmask_b32_e64 v11, v8, v11, s[2:3]
	v_sqrt_f32_e32 v17, v11
	v_cndmask_b32_e32 v8, v9, v12, vcc
	v_cmp_class_f32_e32 vcc, v16, v20
	v_add_u32_e32 v9, -1, v17
	v_fma_f32 v12, -v9, v17, v11
	v_cndmask_b32_e32 v8, v8, v16, vcc
	v_cmp_ge_f32_e32 vcc, 0, v12
	v_add_u32_e32 v12, 1, v17
	v_fma_f32 v16, -v12, v17, v11
	v_cndmask_b32_e32 v9, v17, v9, vcc
	v_cmp_lt_f32_e32 vcc, 0, v16
	s_nop 1
	v_cndmask_b32_e32 v9, v9, v12, vcc
	v_mul_f32_e32 v12, 0x37800000, v9
	v_cndmask_b32_e64 v9, v9, v12, s[2:3]
	v_cmp_class_f32_e32 vcc, v11, v20
	s_nop 1
	v_cndmask_b32_e32 v9, v9, v11, vcc
	s_and_b64 vcc, exec, s[14:15]
	s_cbranch_vccnz .LBB346_28
; %bb.2:
	s_load_dwordx2 s[4:5], s[0:1], 0x20
	s_cmp_lt_u32 s16, 4
	v_sub_u32_e32 v12, 0, v22
	s_cbranch_scc1 .LBB346_21
; %bb.3:
	s_mov_b32 s7, 0
	s_and_b32 s12, s16, 0x7ffffffc
	v_ashrrev_i32_e32 v11, 31, v10
	v_mov_b32_e32 v13, 0
	s_mov_b32 s6, s7
	s_branch .LBB346_5
.LBB346_4:                              ;   in Loop: Header=BB346_5 Depth=1
	s_or_b64 exec, exec, s[10:11]
	s_add_i32 s6, s6, 4
	s_cmp_eq_u32 s6, s12
	s_cbranch_scc1 .LBB346_21
.LBB346_5:                              ; =>This Loop Header: Depth=1
                                        ;     Child Loop BB346_7 Depth 2
                                        ;     Child Loop BB346_11 Depth 2
	;; [unrolled: 1-line block ×4, first 2 shown]
	v_lshl_add_u64 v[16:17], s[6:7], 3, v[14:15]
	global_load_dwordx2 v[18:19], v[16:17], off
	v_add_u32_e32 v20, s6, v10
	v_ashrrev_i32_e32 v21, 31, v20
	s_mov_b64 s[10:11], 0
	s_waitcnt lgkmcnt(0)
	v_lshl_add_u64 v[20:21], v[20:21], 3, s[4:5]
	s_mov_b64 s[14:15], 0
	s_waitcnt vmcnt(0)
	v_ashrrev_i32_e32 v19, 31, v18
	v_add_u32_e32 v23, v12, v18
	s_branch .LBB346_7
.LBB346_6:                              ;   in Loop: Header=BB346_7 Depth=2
	s_or_b64 exec, exec, s[18:19]
	s_cmp_gt_u32 s14, 8
	s_cselect_b64 s[2:3], -1, 0
	s_xor_b64 s[18:19], vcc, -1
	s_or_b64 s[2:3], s[18:19], s[2:3]
	s_add_u32 s14, s14, 1
	s_addc_u32 s15, s15, 0
	s_and_b64 s[2:3], exec, s[2:3]
	s_or_b64 s[10:11], s[2:3], s[10:11]
	v_subrev_u32_e32 v23, 32, v23
	s_andn2_b64 exec, exec, s[10:11]
	s_cbranch_execz .LBB346_9
.LBB346_7:                              ;   Parent Loop BB346_5 Depth=1
                                        ; =>  This Inner Loop Header: Depth=2
	v_cmp_ne_u32_e32 vcc, 0, v23
	v_cmp_eq_u32_e64 s[2:3], 0, v23
	s_and_saveexec_b64 s[18:19], s[2:3]
	s_cbranch_execz .LBB346_6
; %bb.8:                                ;   in Loop: Header=BB346_7 Depth=2
	s_set_gpr_idx_on s14, gpr_idx(SRC0)
	v_mov_b32_e32 v24, v0
	s_set_gpr_idx_off
	v_add_f32_e32 v13, v13, v24
	global_store_dwordx2 v[20:21], v[18:19], off
	s_branch .LBB346_6
.LBB346_9:                              ;   in Loop: Header=BB346_5 Depth=1
	s_or_b64 exec, exec, s[10:11]
	global_load_dwordx2 v[20:21], v[16:17], off offset:8
	s_ashr_i32 s3, s6, 31
	s_mov_b32 s2, s6
	v_lshl_add_u64 v[18:19], s[2:3], 0, v[10:11]
	s_mov_b64 s[10:11], 0
	v_lshl_add_u64 v[18:19], v[18:19], 3, s[4:5]
	s_mov_b64 s[14:15], 0
	s_waitcnt vmcnt(0)
	v_ashrrev_i32_e32 v21, 31, v20
	v_add_u32_e32 v23, v12, v20
	s_branch .LBB346_11
.LBB346_10:                             ;   in Loop: Header=BB346_11 Depth=2
	s_or_b64 exec, exec, s[18:19]
	s_cmp_gt_u32 s14, 8
	s_cselect_b64 s[2:3], -1, 0
	s_xor_b64 s[18:19], vcc, -1
	s_or_b64 s[2:3], s[18:19], s[2:3]
	s_add_u32 s14, s14, 1
	s_addc_u32 s15, s15, 0
	s_and_b64 s[2:3], exec, s[2:3]
	s_or_b64 s[10:11], s[2:3], s[10:11]
	v_subrev_u32_e32 v23, 32, v23
	s_andn2_b64 exec, exec, s[10:11]
	s_cbranch_execz .LBB346_13
.LBB346_11:                             ;   Parent Loop BB346_5 Depth=1
                                        ; =>  This Inner Loop Header: Depth=2
	v_cmp_ne_u32_e32 vcc, 0, v23
	v_cmp_eq_u32_e64 s[2:3], 0, v23
	s_and_saveexec_b64 s[18:19], s[2:3]
	s_cbranch_execz .LBB346_10
; %bb.12:                               ;   in Loop: Header=BB346_11 Depth=2
	s_set_gpr_idx_on s14, gpr_idx(SRC0)
	v_mov_b32_e32 v24, v0
	s_set_gpr_idx_off
	v_add_f32_e32 v13, v13, v24
	global_store_dwordx2 v[18:19], v[20:21], off offset:8
	s_branch .LBB346_10
.LBB346_13:                             ;   in Loop: Header=BB346_5 Depth=1
	s_or_b64 exec, exec, s[10:11]
	global_load_dwordx2 v[20:21], v[16:17], off offset:16
	s_mov_b64 s[10:11], 0
	s_mov_b64 s[14:15], 0
	s_waitcnt vmcnt(0)
	v_ashrrev_i32_e32 v21, 31, v20
	v_add_u32_e32 v23, v12, v20
	s_branch .LBB346_15
.LBB346_14:                             ;   in Loop: Header=BB346_15 Depth=2
	s_or_b64 exec, exec, s[18:19]
	s_cmp_gt_u32 s14, 8
	s_cselect_b64 s[2:3], -1, 0
	s_xor_b64 s[18:19], vcc, -1
	s_or_b64 s[2:3], s[18:19], s[2:3]
	s_add_u32 s14, s14, 1
	s_addc_u32 s15, s15, 0
	s_and_b64 s[2:3], exec, s[2:3]
	s_or_b64 s[10:11], s[2:3], s[10:11]
	v_subrev_u32_e32 v23, 32, v23
	s_andn2_b64 exec, exec, s[10:11]
	s_cbranch_execz .LBB346_17
.LBB346_15:                             ;   Parent Loop BB346_5 Depth=1
                                        ; =>  This Inner Loop Header: Depth=2
	v_cmp_ne_u32_e32 vcc, 0, v23
	v_cmp_eq_u32_e64 s[2:3], 0, v23
	s_and_saveexec_b64 s[18:19], s[2:3]
	s_cbranch_execz .LBB346_14
; %bb.16:                               ;   in Loop: Header=BB346_15 Depth=2
	s_set_gpr_idx_on s14, gpr_idx(SRC0)
	v_mov_b32_e32 v24, v0
	s_set_gpr_idx_off
	v_add_f32_e32 v13, v13, v24
	global_store_dwordx2 v[18:19], v[20:21], off offset:16
	s_branch .LBB346_14
.LBB346_17:                             ;   in Loop: Header=BB346_5 Depth=1
	s_or_b64 exec, exec, s[10:11]
	global_load_dwordx2 v[16:17], v[16:17], off offset:24
	s_mov_b64 s[10:11], 0
	s_mov_b64 s[14:15], 0
	s_waitcnt vmcnt(0)
	v_ashrrev_i32_e32 v17, 31, v16
	v_add_u32_e32 v20, v12, v16
	s_branch .LBB346_19
.LBB346_18:                             ;   in Loop: Header=BB346_19 Depth=2
	s_or_b64 exec, exec, s[18:19]
	s_cmp_gt_u32 s14, 8
	s_cselect_b64 s[2:3], -1, 0
	s_xor_b64 s[18:19], vcc, -1
	s_or_b64 s[2:3], s[18:19], s[2:3]
	s_add_u32 s14, s14, 1
	s_addc_u32 s15, s15, 0
	s_and_b64 s[2:3], exec, s[2:3]
	s_or_b64 s[10:11], s[2:3], s[10:11]
	v_subrev_u32_e32 v20, 32, v20
	s_andn2_b64 exec, exec, s[10:11]
	s_cbranch_execz .LBB346_4
.LBB346_19:                             ;   Parent Loop BB346_5 Depth=1
                                        ; =>  This Inner Loop Header: Depth=2
	v_cmp_ne_u32_e32 vcc, 0, v20
	v_cmp_eq_u32_e64 s[2:3], 0, v20
	s_and_saveexec_b64 s[18:19], s[2:3]
	s_cbranch_execz .LBB346_18
; %bb.20:                               ;   in Loop: Header=BB346_19 Depth=2
	s_set_gpr_idx_on s14, gpr_idx(SRC0)
	v_mov_b32_e32 v21, v0
	s_set_gpr_idx_off
	v_add_f32_e32 v13, v13, v21
	global_store_dwordx2 v[18:19], v[16:17], off offset:24
	s_branch .LBB346_18
.LBB346_21:
	s_and_b32 s17, s16, 3
	s_cmp_eq_u32 s17, 0
	s_mov_b32 s13, 0
	s_cbranch_scc1 .LBB346_28
; %bb.22:
	s_mov_b32 s18, s13
	s_branch .LBB346_24
.LBB346_23:                             ;   in Loop: Header=BB346_24 Depth=1
	s_or_b64 exec, exec, s[6:7]
	s_add_i32 s12, s12, 1
	s_add_i32 s18, s18, 1
	s_cmp_lg_u32 s18, s17
	s_cbranch_scc0 .LBB346_28
.LBB346_24:                             ; =>This Loop Header: Depth=1
                                        ;     Child Loop BB346_26 Depth 2
	v_lshl_add_u64 v[16:17], s[12:13], 3, v[14:15]
	global_load_dwordx2 v[16:17], v[16:17], off
	v_add_u32_e32 v18, s12, v10
	v_ashrrev_i32_e32 v19, 31, v18
	s_mov_b64 s[6:7], 0
	s_waitcnt lgkmcnt(0)
	v_lshl_add_u64 v[18:19], v[18:19], 3, s[4:5]
	s_mov_b64 s[10:11], 0
	s_waitcnt vmcnt(0)
	v_ashrrev_i32_e32 v17, 31, v16
	v_add_u32_e32 v11, v12, v16
	s_branch .LBB346_26
.LBB346_25:                             ;   in Loop: Header=BB346_26 Depth=2
	s_or_b64 exec, exec, s[14:15]
	s_cmp_gt_u32 s10, 8
	s_cselect_b64 s[2:3], -1, 0
	s_xor_b64 s[14:15], vcc, -1
	s_or_b64 s[2:3], s[14:15], s[2:3]
	s_add_u32 s10, s10, 1
	s_addc_u32 s11, s11, 0
	s_and_b64 s[2:3], exec, s[2:3]
	s_or_b64 s[6:7], s[2:3], s[6:7]
	v_subrev_u32_e32 v11, 32, v11
	s_andn2_b64 exec, exec, s[6:7]
	s_cbranch_execz .LBB346_23
.LBB346_26:                             ;   Parent Loop BB346_24 Depth=1
                                        ; =>  This Inner Loop Header: Depth=2
	v_cmp_ne_u32_e32 vcc, 0, v11
	v_cmp_eq_u32_e64 s[2:3], 0, v11
	s_and_saveexec_b64 s[14:15], s[2:3]
	s_cbranch_execz .LBB346_25
; %bb.27:                               ;   in Loop: Header=BB346_26 Depth=2
	s_set_gpr_idx_on s10, gpr_idx(SRC0)
	v_mov_b32_e32 v20, v0
	s_set_gpr_idx_off
	v_add_f32_e32 v13, v13, v20
	global_store_dwordx2 v[18:19], v[16:17], off
	s_branch .LBB346_25
.LBB346_28:
	s_waitcnt lgkmcnt(0)
	s_load_dword s4, s[0:1], 0x3c
	s_waitcnt lgkmcnt(0)
	s_bitcmp1_b32 s4, 0
	s_cselect_b64 s[2:3], -1, 0
	s_bitcmp0_b32 s4, 0
	s_cbranch_scc0 .LBB346_32
; %bb.29:
	s_load_dwordx2 s[4:5], s[0:1], 0x40
	s_andn2_b64 vcc, exec, s[2:3]
	s_waitcnt lgkmcnt(0)
	v_cvt_f32_f64_e32 v20, s[4:5]
	s_cbranch_vccz .LBB346_33
.LBB346_30:
	s_andn2_b64 vcc, exec, s[8:9]
	s_cbranch_vccz .LBB346_34
.LBB346_31:
	s_endpgm
.LBB346_32:
	v_mbcnt_lo_u32_b32 v11, -1, 0
	v_mbcnt_hi_u32_b32 v11, -1, v11
	v_and_b32_e32 v12, 0x60, v11
	v_add_u32_e32 v12, 32, v12
	v_xor_b32_e32 v16, 16, v11
	v_cmp_lt_i32_e32 vcc, v16, v12
	v_xor_b32_e32 v17, 8, v11
	s_nop 0
	v_cndmask_b32_e32 v16, v11, v16, vcc
	v_lshlrev_b32_e32 v16, 2, v16
	ds_bpermute_b32 v16, v16, v13
	v_cmp_lt_i32_e32 vcc, v17, v12
	s_waitcnt lgkmcnt(0)
	v_add_f32_e32 v13, v13, v16
	v_cndmask_b32_e32 v16, v11, v17, vcc
	v_lshlrev_b32_e32 v16, 2, v16
	ds_bpermute_b32 v16, v16, v13
	v_xor_b32_e32 v17, 4, v11
	v_cmp_lt_i32_e32 vcc, v17, v12
	s_waitcnt lgkmcnt(0)
	v_add_f32_e32 v13, v13, v16
	v_cndmask_b32_e32 v16, v11, v17, vcc
	v_lshlrev_b32_e32 v16, 2, v16
	ds_bpermute_b32 v16, v16, v13
	v_xor_b32_e32 v17, 2, v11
	;; [unrolled: 7-line block ×3, first 2 shown]
	v_cmp_lt_i32_e32 vcc, v17, v12
	s_waitcnt lgkmcnt(0)
	v_add_f32_e32 v13, v13, v16
	v_cndmask_b32_e32 v11, v11, v17, vcc
	v_lshlrev_b32_e32 v11, 2, v11
	ds_bpermute_b32 v11, v11, v13
	s_waitcnt lgkmcnt(0)
	v_add_f32_e32 v13, v13, v11
	s_load_dwordx2 s[4:5], s[0:1], 0x40
	s_andn2_b64 vcc, exec, s[2:3]
	s_waitcnt lgkmcnt(0)
	v_cvt_f32_f64_e32 v20, s[4:5]
	s_cbranch_vccnz .LBB346_30
.LBB346_33:
	v_cmp_lt_f32_e32 vcc, 0, v13
	s_nop 1
	v_cndmask_b32_e32 v11, 1.0, v13, vcc
	v_div_scale_f32 v12, s[2:3], v11, v11, v20
	v_rcp_f32_e32 v13, v12
	s_nop 0
	v_fma_f32 v16, -v12, v13, 1.0
	v_fmac_f32_e32 v13, v16, v13
	v_div_scale_f32 v16, vcc, v20, v11, v20
	v_mul_f32_e32 v17, v16, v13
	v_fma_f32 v18, -v12, v17, v16
	v_fmac_f32_e32 v17, v18, v13
	v_fma_f32 v12, -v12, v17, v16
	v_div_fmas_f32 v12, v12, v13, v17
	v_div_fixup_f32 v20, v12, v11, v20
	s_andn2_b64 vcc, exec, s[8:9]
	s_cbranch_vccnz .LBB346_31
.LBB346_34:
	s_load_dwordx2 s[18:19], s[0:1], 0x10
	v_or_b32_e32 v30, 32, v22
	v_or_b32_e32 v29, 64, v22
	;; [unrolled: 1-line block ×9, first 2 shown]
	s_cmp_eq_u32 s16, 1
	s_mov_b32 s20, 0
	s_cbranch_scc1 .LBB346_77
; %bb.35:
	v_ashrrev_i32_e32 v11, 31, v10
	s_waitcnt lgkmcnt(0)
	v_lshl_add_u64 v[12:13], v[10:11], 2, s[18:19]
	s_and_b32 s20, s16, 0x7ffffffe
	v_lshl_add_u64 v[12:13], v[12:13], 0, 4
	v_lshl_add_u64 v[16:17], v[14:15], 0, 8
	s_mov_b32 s17, 0
	s_branch .LBB346_37
.LBB346_36:                             ;   in Loop: Header=BB346_37 Depth=1
	s_or_b64 exec, exec, s[0:1]
	s_add_i32 s17, s17, 2
	v_lshl_add_u64 v[12:13], v[12:13], 0, 8
	s_cmp_lg_u32 s20, s17
	v_lshl_add_u64 v[16:17], v[16:17], 0, 16
	s_cbranch_scc0 .LBB346_77
.LBB346_37:                             ; =>This Inner Loop Header: Depth=1
	global_load_dword v11, v[16:17], off offset:-8
	v_mov_b64_e32 v[18:19], 0
	s_waitcnt vmcnt(0)
	v_cmp_eq_u32_e32 vcc, v22, v11
	v_cmp_ne_u32_e64 s[0:1], v22, v11
	s_and_saveexec_b64 s[22:23], s[0:1]
	s_cbranch_execz .LBB346_55
; %bb.38:                               ;   in Loop: Header=BB346_37 Depth=1
	v_cmp_eq_u32_e64 s[0:1], v30, v11
	v_cmp_ne_u32_e64 s[2:3], v30, v11
	v_mov_b64_e32 v[18:19], 1
	s_and_saveexec_b64 s[24:25], s[2:3]
	s_cbranch_execz .LBB346_54
; %bb.39:                               ;   in Loop: Header=BB346_37 Depth=1
	v_cmp_eq_u32_e64 s[2:3], v29, v11
	v_cmp_ne_u32_e64 s[4:5], v29, v11
	v_mov_b64_e32 v[18:19], 2
	;; [unrolled: 6-line block ×8, first 2 shown]
	s_and_saveexec_b64 s[42:43], s[14:15]
	s_xor_b64 s[42:43], exec, s[42:43]
; %bb.46:                               ;   in Loop: Header=BB346_37 Depth=1
	v_cmp_eq_u32_e64 s[14:15], v21, v11
	s_andn2_b64 s[40:41], s[40:41], exec
	s_and_b64 s[14:15], s[14:15], exec
	v_mov_b64_e32 v[18:19], 9
	s_or_b64 s[40:41], s[40:41], s[14:15]
; %bb.47:                               ;   in Loop: Header=BB346_37 Depth=1
	s_or_b64 exec, exec, s[42:43]
	s_andn2_b64 s[12:13], s[12:13], exec
	s_and_b64 s[14:15], s[40:41], exec
	s_or_b64 s[12:13], s[12:13], s[14:15]
.LBB346_48:                             ;   in Loop: Header=BB346_37 Depth=1
	s_or_b64 exec, exec, s[38:39]
	s_andn2_b64 s[10:11], s[10:11], exec
	s_and_b64 s[12:13], s[12:13], exec
	s_or_b64 s[10:11], s[10:11], s[12:13]
.LBB346_49:                             ;   in Loop: Header=BB346_37 Depth=1
	s_or_b64 exec, exec, s[36:37]
	s_andn2_b64 s[8:9], s[8:9], exec
	s_and_b64 s[10:11], s[10:11], exec
	s_or_b64 s[8:9], s[8:9], s[10:11]
.LBB346_50:                             ;   in Loop: Header=BB346_37 Depth=1
	s_or_b64 exec, exec, s[34:35]
	s_andn2_b64 s[6:7], s[6:7], exec
	s_and_b64 s[8:9], s[8:9], exec
	s_or_b64 s[6:7], s[6:7], s[8:9]
.LBB346_51:                             ;   in Loop: Header=BB346_37 Depth=1
	s_or_b64 exec, exec, s[30:31]
	s_andn2_b64 s[4:5], s[4:5], exec
	s_and_b64 s[6:7], s[6:7], exec
	s_or_b64 s[4:5], s[4:5], s[6:7]
.LBB346_52:                             ;   in Loop: Header=BB346_37 Depth=1
	s_or_b64 exec, exec, s[28:29]
	s_andn2_b64 s[2:3], s[2:3], exec
	s_and_b64 s[4:5], s[4:5], exec
	s_or_b64 s[2:3], s[2:3], s[4:5]
.LBB346_53:                             ;   in Loop: Header=BB346_37 Depth=1
	s_or_b64 exec, exec, s[26:27]
	s_andn2_b64 s[0:1], s[0:1], exec
	s_and_b64 s[2:3], s[2:3], exec
	s_or_b64 s[0:1], s[0:1], s[2:3]
.LBB346_54:                             ;   in Loop: Header=BB346_37 Depth=1
	s_or_b64 exec, exec, s[24:25]
	s_andn2_b64 s[2:3], vcc, exec
	s_and_b64 s[0:1], s[0:1], exec
	s_or_b64 vcc, s[2:3], s[0:1]
.LBB346_55:                             ;   in Loop: Header=BB346_37 Depth=1
	s_or_b64 exec, exec, s[22:23]
	s_and_saveexec_b64 s[0:1], vcc
	s_cbranch_execz .LBB346_57
; %bb.56:                               ;   in Loop: Header=BB346_37 Depth=1
	v_cmp_eq_u32_e32 vcc, 1, v18
	v_add_u32_e32 v32, s17, v10
	v_ashrrev_i32_e32 v33, 31, v32
	v_cndmask_b32_e32 v11, v0, v1, vcc
	v_cmp_eq_u32_e32 vcc, 2, v18
	s_nop 1
	v_cndmask_b32_e32 v11, v11, v2, vcc
	v_cmp_eq_u32_e32 vcc, 3, v18
	s_nop 1
	;; [unrolled: 3-line block ×7, first 2 shown]
	v_cndmask_b32_e32 v11, v11, v8, vcc
	v_cmp_eq_u32_e32 vcc, 9, v18
	v_lshl_add_u64 v[18:19], v[32:33], 2, s[18:19]
	s_nop 0
	v_cndmask_b32_e32 v11, v11, v9, vcc
	v_mul_f32_e32 v11, v20, v11
	global_store_dword v[18:19], v11, off
.LBB346_57:                             ;   in Loop: Header=BB346_37 Depth=1
	s_or_b64 exec, exec, s[0:1]
	global_load_dword v11, v[16:17], off
	v_mov_b64_e32 v[18:19], 0
	s_waitcnt vmcnt(0)
	v_cmp_eq_u32_e64 s[12:13], v22, v11
	v_cmp_ne_u32_e32 vcc, v22, v11
	s_and_saveexec_b64 s[14:15], vcc
	s_cbranch_execz .LBB346_75
; %bb.58:                               ;   in Loop: Header=BB346_37 Depth=1
	v_cmp_eq_u32_e32 vcc, v30, v11
	v_cmp_ne_u32_e64 s[0:1], v30, v11
	v_mov_b64_e32 v[18:19], 1
	s_and_saveexec_b64 s[22:23], s[0:1]
	s_cbranch_execz .LBB346_74
; %bb.59:                               ;   in Loop: Header=BB346_37 Depth=1
	v_cmp_eq_u32_e64 s[0:1], v29, v11
	v_cmp_ne_u32_e64 s[2:3], v29, v11
	v_mov_b64_e32 v[18:19], 2
	s_and_saveexec_b64 s[24:25], s[2:3]
	s_cbranch_execz .LBB346_73
; %bb.60:                               ;   in Loop: Header=BB346_37 Depth=1
	v_cmp_eq_u32_e64 s[2:3], v28, v11
	;; [unrolled: 6-line block ×7, first 2 shown]
	v_cmp_ne_u32_e64 s[10:11], v23, v11
	v_mov_b64_e32 v[18:19], 8
	s_and_saveexec_b64 s[42:43], s[10:11]
; %bb.66:                               ;   in Loop: Header=BB346_37 Depth=1
	v_cmp_eq_u32_e64 s[10:11], v21, v11
	s_andn2_b64 s[40:41], s[40:41], exec
	s_and_b64 s[10:11], s[10:11], exec
	v_mov_b64_e32 v[18:19], 9
	s_or_b64 s[40:41], s[40:41], s[10:11]
; %bb.67:                               ;   in Loop: Header=BB346_37 Depth=1
	s_or_b64 exec, exec, s[42:43]
	s_andn2_b64 s[10:11], s[36:37], exec
	s_and_b64 s[36:37], s[40:41], exec
	s_or_b64 s[36:37], s[10:11], s[36:37]
.LBB346_68:                             ;   in Loop: Header=BB346_37 Depth=1
	s_or_b64 exec, exec, s[38:39]
	s_andn2_b64 s[8:9], s[8:9], exec
	s_and_b64 s[10:11], s[36:37], exec
	s_or_b64 s[8:9], s[8:9], s[10:11]
.LBB346_69:                             ;   in Loop: Header=BB346_37 Depth=1
	s_or_b64 exec, exec, s[34:35]
	s_andn2_b64 s[6:7], s[6:7], exec
	s_and_b64 s[8:9], s[8:9], exec
	s_or_b64 s[6:7], s[6:7], s[8:9]
.LBB346_70:                             ;   in Loop: Header=BB346_37 Depth=1
	s_or_b64 exec, exec, s[30:31]
	s_andn2_b64 s[4:5], s[4:5], exec
	s_and_b64 s[6:7], s[6:7], exec
	s_or_b64 s[4:5], s[4:5], s[6:7]
.LBB346_71:                             ;   in Loop: Header=BB346_37 Depth=1
	s_or_b64 exec, exec, s[28:29]
	s_andn2_b64 s[2:3], s[2:3], exec
	s_and_b64 s[4:5], s[4:5], exec
	s_or_b64 s[2:3], s[2:3], s[4:5]
.LBB346_72:                             ;   in Loop: Header=BB346_37 Depth=1
	s_or_b64 exec, exec, s[26:27]
	s_andn2_b64 s[0:1], s[0:1], exec
	s_and_b64 s[2:3], s[2:3], exec
	s_or_b64 s[0:1], s[0:1], s[2:3]
.LBB346_73:                             ;   in Loop: Header=BB346_37 Depth=1
	s_or_b64 exec, exec, s[24:25]
	s_andn2_b64 s[2:3], vcc, exec
	s_and_b64 s[0:1], s[0:1], exec
	s_or_b64 vcc, s[2:3], s[0:1]
.LBB346_74:                             ;   in Loop: Header=BB346_37 Depth=1
	s_or_b64 exec, exec, s[22:23]
	s_andn2_b64 s[0:1], s[12:13], exec
	s_and_b64 s[2:3], vcc, exec
	s_or_b64 s[12:13], s[0:1], s[2:3]
.LBB346_75:                             ;   in Loop: Header=BB346_37 Depth=1
	s_or_b64 exec, exec, s[14:15]
	s_and_saveexec_b64 s[0:1], s[12:13]
	s_cbranch_execz .LBB346_36
; %bb.76:                               ;   in Loop: Header=BB346_37 Depth=1
	v_cmp_eq_u32_e32 vcc, 1, v18
	s_nop 1
	v_cndmask_b32_e32 v11, v0, v1, vcc
	v_cmp_eq_u32_e32 vcc, 2, v18
	s_nop 1
	v_cndmask_b32_e32 v11, v11, v2, vcc
	;; [unrolled: 3-line block ×9, first 2 shown]
	v_mul_f32_e32 v11, v20, v11
	global_store_dword v[12:13], v11, off
	s_branch .LBB346_36
.LBB346_77:
	s_bitcmp0_b32 s16, 0
	s_mov_b32 s21, 0
	s_cbranch_scc1 .LBB346_31
; %bb.78:
	v_lshl_add_u64 v[12:13], s[20:21], 3, v[14:15]
	global_load_dword v11, v[12:13], off
	v_mov_b64_e32 v[12:13], 0
	s_waitcnt vmcnt(0)
	v_cmp_eq_u32_e64 s[12:13], v22, v11
	v_cmp_ne_u32_e32 vcc, v22, v11
	s_and_saveexec_b64 s[14:15], vcc
	s_cbranch_execz .LBB346_96
; %bb.79:
	v_cmp_eq_u32_e32 vcc, v30, v11
	v_cmp_ne_u32_e64 s[0:1], v30, v11
	v_mov_b64_e32 v[12:13], 1
	s_and_saveexec_b64 s[16:17], s[0:1]
	s_cbranch_execz .LBB346_95
; %bb.80:
	v_cmp_eq_u32_e64 s[0:1], v29, v11
	v_cmp_ne_u32_e64 s[2:3], v29, v11
	v_mov_b64_e32 v[12:13], 2
	s_and_saveexec_b64 s[22:23], s[2:3]
	s_cbranch_execz .LBB346_94
; %bb.81:
	v_cmp_eq_u32_e64 s[2:3], v28, v11
	;; [unrolled: 6-line block ×7, first 2 shown]
	v_cmp_ne_u32_e64 s[10:11], v23, v11
	v_mov_b64_e32 v[12:13], 8
	s_and_saveexec_b64 s[40:41], s[10:11]
; %bb.87:
	v_cmp_eq_u32_e64 s[10:11], v21, v11
	s_andn2_b64 s[38:39], s[38:39], exec
	s_and_b64 s[10:11], s[10:11], exec
	v_mov_b64_e32 v[12:13], 9
	s_or_b64 s[38:39], s[38:39], s[10:11]
; %bb.88:
	s_or_b64 exec, exec, s[40:41]
	s_andn2_b64 s[10:11], s[34:35], exec
	s_and_b64 s[34:35], s[38:39], exec
	s_or_b64 s[34:35], s[10:11], s[34:35]
.LBB346_89:
	s_or_b64 exec, exec, s[36:37]
	s_andn2_b64 s[8:9], s[8:9], exec
	s_and_b64 s[10:11], s[34:35], exec
	s_or_b64 s[8:9], s[8:9], s[10:11]
.LBB346_90:
	s_or_b64 exec, exec, s[30:31]
	s_andn2_b64 s[6:7], s[6:7], exec
	s_and_b64 s[8:9], s[8:9], exec
	s_or_b64 s[6:7], s[6:7], s[8:9]
.LBB346_91:
	s_or_b64 exec, exec, s[28:29]
	s_andn2_b64 s[4:5], s[4:5], exec
	s_and_b64 s[6:7], s[6:7], exec
	s_or_b64 s[4:5], s[4:5], s[6:7]
.LBB346_92:
	s_or_b64 exec, exec, s[26:27]
	s_andn2_b64 s[2:3], s[2:3], exec
	s_and_b64 s[4:5], s[4:5], exec
	s_or_b64 s[2:3], s[2:3], s[4:5]
.LBB346_93:
	s_or_b64 exec, exec, s[24:25]
	s_andn2_b64 s[0:1], s[0:1], exec
	s_and_b64 s[2:3], s[2:3], exec
	s_or_b64 s[0:1], s[0:1], s[2:3]
.LBB346_94:
	s_or_b64 exec, exec, s[22:23]
	s_andn2_b64 s[2:3], vcc, exec
	s_and_b64 s[0:1], s[0:1], exec
	s_or_b64 vcc, s[2:3], s[0:1]
.LBB346_95:
	s_or_b64 exec, exec, s[16:17]
	s_andn2_b64 s[0:1], s[12:13], exec
	s_and_b64 s[2:3], vcc, exec
	s_or_b64 s[12:13], s[0:1], s[2:3]
.LBB346_96:
	s_or_b64 exec, exec, s[14:15]
	s_and_b64 exec, exec, s[12:13]
	s_cbranch_execz .LBB346_31
; %bb.97:
	v_cmp_eq_u32_e32 vcc, 1, v12
	v_add_u32_e32 v10, s20, v10
	v_ashrrev_i32_e32 v11, 31, v10
	v_cndmask_b32_e32 v0, v0, v1, vcc
	v_cmp_eq_u32_e32 vcc, 2, v12
	s_nop 1
	v_cndmask_b32_e32 v0, v0, v2, vcc
	v_cmp_eq_u32_e32 vcc, 3, v12
	s_nop 1
	;; [unrolled: 3-line block ×8, first 2 shown]
	v_cndmask_b32_e32 v0, v0, v9, vcc
	v_mul_f32_e32 v2, v20, v0
	s_waitcnt lgkmcnt(0)
	v_lshl_add_u64 v[0:1], v[10:11], 2, s[18:19]
	global_store_dword v[0:1], v2, off
	s_endpgm
	.section	.rodata,"a",@progbits
	.p2align	6, 0x0
	.amdhsa_kernel _ZN4vllm3moe22topkGatingSoftplusSqrtILi10ELi320ELi4ELi2ELi32ELb1El6__halfEEvPKT6_PKbPfiPT5_PiiiibdPKfPKS9_SF_
		.amdhsa_group_segment_fixed_size 0
		.amdhsa_private_segment_fixed_size 0
		.amdhsa_kernarg_size 96
		.amdhsa_user_sgpr_count 2
		.amdhsa_user_sgpr_dispatch_ptr 0
		.amdhsa_user_sgpr_queue_ptr 0
		.amdhsa_user_sgpr_kernarg_segment_ptr 1
		.amdhsa_user_sgpr_dispatch_id 0
		.amdhsa_user_sgpr_kernarg_preload_length 0
		.amdhsa_user_sgpr_kernarg_preload_offset 0
		.amdhsa_user_sgpr_private_segment_size 0
		.amdhsa_uses_dynamic_stack 0
		.amdhsa_enable_private_segment 0
		.amdhsa_system_sgpr_workgroup_id_x 1
		.amdhsa_system_sgpr_workgroup_id_y 0
		.amdhsa_system_sgpr_workgroup_id_z 0
		.amdhsa_system_sgpr_workgroup_info 0
		.amdhsa_system_vgpr_workitem_id 1
		.amdhsa_next_free_vgpr 37
		.amdhsa_next_free_sgpr 44
		.amdhsa_accum_offset 40
		.amdhsa_reserve_vcc 1
		.amdhsa_float_round_mode_32 0
		.amdhsa_float_round_mode_16_64 0
		.amdhsa_float_denorm_mode_32 3
		.amdhsa_float_denorm_mode_16_64 3
		.amdhsa_dx10_clamp 1
		.amdhsa_ieee_mode 1
		.amdhsa_fp16_overflow 0
		.amdhsa_tg_split 0
		.amdhsa_exception_fp_ieee_invalid_op 0
		.amdhsa_exception_fp_denorm_src 0
		.amdhsa_exception_fp_ieee_div_zero 0
		.amdhsa_exception_fp_ieee_overflow 0
		.amdhsa_exception_fp_ieee_underflow 0
		.amdhsa_exception_fp_ieee_inexact 0
		.amdhsa_exception_int_div_zero 0
	.end_amdhsa_kernel
	.section	.text._ZN4vllm3moe22topkGatingSoftplusSqrtILi10ELi320ELi4ELi2ELi32ELb1El6__halfEEvPKT6_PKbPfiPT5_PiiiibdPKfPKS9_SF_,"axG",@progbits,_ZN4vllm3moe22topkGatingSoftplusSqrtILi10ELi320ELi4ELi2ELi32ELb1El6__halfEEvPKT6_PKbPfiPT5_PiiiibdPKfPKS9_SF_,comdat
.Lfunc_end346:
	.size	_ZN4vllm3moe22topkGatingSoftplusSqrtILi10ELi320ELi4ELi2ELi32ELb1El6__halfEEvPKT6_PKbPfiPT5_PiiiibdPKfPKS9_SF_, .Lfunc_end346-_ZN4vllm3moe22topkGatingSoftplusSqrtILi10ELi320ELi4ELi2ELi32ELb1El6__halfEEvPKT6_PKbPfiPT5_PiiiibdPKfPKS9_SF_
                                        ; -- End function
	.section	.AMDGPU.csdata,"",@progbits
; Kernel info:
; codeLenInByte = 5676
; NumSgprs: 50
; NumVgprs: 37
; NumAgprs: 0
; TotalNumVgprs: 37
; ScratchSize: 0
; MemoryBound: 0
; FloatMode: 240
; IeeeMode: 1
; LDSByteSize: 0 bytes/workgroup (compile time only)
; SGPRBlocks: 6
; VGPRBlocks: 4
; NumSGPRsForWavesPerEU: 50
; NumVGPRsForWavesPerEU: 37
; AccumOffset: 40
; Occupancy: 8
; WaveLimiterHint : 1
; COMPUTE_PGM_RSRC2:SCRATCH_EN: 0
; COMPUTE_PGM_RSRC2:USER_SGPR: 2
; COMPUTE_PGM_RSRC2:TRAP_HANDLER: 0
; COMPUTE_PGM_RSRC2:TGID_X_EN: 1
; COMPUTE_PGM_RSRC2:TGID_Y_EN: 0
; COMPUTE_PGM_RSRC2:TGID_Z_EN: 0
; COMPUTE_PGM_RSRC2:TIDIG_COMP_CNT: 1
; COMPUTE_PGM_RSRC3_GFX90A:ACCUM_OFFSET: 9
; COMPUTE_PGM_RSRC3_GFX90A:TG_SPLIT: 0
	.section	.text._ZN4vllm3moe22topkGatingSoftplusSqrtILi10ELi320ELi4ELi2ELi32ELb0El6__halfEEvPKT6_PKbPfiPT5_PiiiibdPKfPKS9_SF_,"axG",@progbits,_ZN4vllm3moe22topkGatingSoftplusSqrtILi10ELi320ELi4ELi2ELi32ELb0El6__halfEEvPKT6_PKbPfiPT5_PiiiibdPKfPKS9_SF_,comdat
	.protected	_ZN4vllm3moe22topkGatingSoftplusSqrtILi10ELi320ELi4ELi2ELi32ELb0El6__halfEEvPKT6_PKbPfiPT5_PiiiibdPKfPKS9_SF_ ; -- Begin function _ZN4vllm3moe22topkGatingSoftplusSqrtILi10ELi320ELi4ELi2ELi32ELb0El6__halfEEvPKT6_PKbPfiPT5_PiiiibdPKfPKS9_SF_
	.globl	_ZN4vllm3moe22topkGatingSoftplusSqrtILi10ELi320ELi4ELi2ELi32ELb0El6__halfEEvPKT6_PKbPfiPT5_PiiiibdPKfPKS9_SF_
	.p2align	8
	.type	_ZN4vllm3moe22topkGatingSoftplusSqrtILi10ELi320ELi4ELi2ELi32ELb0El6__halfEEvPKT6_PKbPfiPT5_PiiiibdPKfPKS9_SF_,@function
_ZN4vllm3moe22topkGatingSoftplusSqrtILi10ELi320ELi4ELi2ELi32ELb0El6__halfEEvPKT6_PKbPfiPT5_PiiiibdPKfPKS9_SF_: ; @_ZN4vllm3moe22topkGatingSoftplusSqrtILi10ELi320ELi4ELi2ELi32ELb0El6__halfEEvPKT6_PKbPfiPT5_PiiiibdPKfPKS9_SF_
; %bb.0:
	s_load_dword s30, s[0:1], 0x18
	v_and_b32_e32 v1, 0x3ff, v0
	s_lshl_b32 s2, s2, 2
	v_lshrrev_b32_e32 v2, 5, v1
	v_bfe_u32 v0, v0, 10, 10
	v_add3_u32 v10, s2, v0, v2
	s_waitcnt lgkmcnt(0)
	v_cmp_gt_i32_e32 vcc, s30, v10
	s_and_saveexec_b64 s[2:3], vcc
	s_cbranch_execz .LBB347_65
; %bb.1:
	s_load_dwordx4 s[4:7], s[0:1], 0x0
	s_load_dwordx2 s[20:21], s[0:1], 0x10
	s_waitcnt lgkmcnt(0)
	s_cmp_eq_u64 s[6:7], 0
	s_cbranch_scc1 .LBB347_3
; %bb.2:
	v_ashrrev_i32_e32 v11, 31, v10
	v_lshl_add_u64 v[2:3], s[6:7], 0, v[10:11]
	global_load_ubyte v0, v[2:3], off
	s_waitcnt vmcnt(0)
	v_and_b32_e32 v0, 1, v0
	v_cmp_eq_u32_e32 vcc, 1, v0
	s_xor_b64 s[2:3], vcc, -1
	s_orn2_b64 s[22:23], s[2:3], exec
	s_branch .LBB347_4
.LBB347_3:
	s_mov_b64 s[22:23], -1
.LBB347_4:
	s_movk_i32 s2, 0x140
	v_mul_lo_u32 v4, v10, s2
	v_mov_b32_e32 v2, s4
	v_mov_b32_e32 v3, s5
	v_ashrrev_i32_e32 v5, 31, v4
	v_and_b32_e32 v12, 31, v1
	v_lshl_add_u64 v[2:3], v[4:5], 1, v[2:3]
	v_mov_b32_e32 v1, 0
	v_lshlrev_b32_e32 v0, 1, v12
	v_lshl_add_u64 v[14:15], v[2:3], 0, v[0:1]
	global_load_ushort v0, v[14:15], off
	global_load_ushort v1, v[14:15], off offset:64
	global_load_ushort v2, v[14:15], off offset:128
	global_load_ushort v3, v[14:15], off offset:192
	global_load_ushort v4, v[14:15], off offset:256
	global_load_ushort v5, v[14:15], off offset:320
	global_load_ushort v6, v[14:15], off offset:384
	global_load_ushort v7, v[14:15], off offset:448
	global_load_ushort v8, v[14:15], off offset:512
	global_load_ushort v9, v[14:15], off offset:576
	s_mov_b32 s16, 0x800000
	v_mov_b32_e32 v14, 0x4f800000
	s_mov_b32 s13, 0x3f317217
	s_mov_b32 s14, 0x7f800000
	v_mov_b32_e32 v15, 0x41b17218
	s_movk_i32 s12, 0x4d00
	s_mov_b32 s15, 0xf800000
	s_load_dwordx4 s[8:11], s[0:1], 0x40
	s_waitcnt lgkmcnt(0)
	s_cmp_lg_u64 s[10:11], 0
	s_cselect_b64 s[6:7], -1, 0
	s_and_b64 s[2:3], exec, s[6:7]
	s_waitcnt vmcnt(9)
	v_cvt_f32_f16_e32 v16, v0
	v_mul_f32_e32 v11, 0x3fb8aa3b, v16
	v_exp_f32_e32 v11, v11
	s_nop 0
	v_add_f32_e32 v11, 1.0, v11
	v_cmp_gt_f32_e32 vcc, s16, v11
	s_nop 1
	v_cndmask_b32_e32 v13, 1.0, v14, vcc
	v_mul_f32_e32 v11, v11, v13
	v_log_f32_e32 v17, v11
	v_cndmask_b32_e32 v18, 0, v15, vcc
	v_mov_b32_e32 v13, 0x260
	v_lshlrev_b32_e32 v11, 2, v12
	v_mul_f32_e32 v19, 0x3f317217, v17
	v_fma_f32 v19, v17, s13, -v19
	v_fmac_f32_e32 v19, 0x3377d1cf, v17
	v_fmac_f32_e32 v19, 0x3f317217, v17
	v_cmp_lt_f32_e64 vcc, |v17|, s14
	s_nop 1
	v_cndmask_b32_e32 v17, v17, v19, vcc
	v_sub_f32_e32 v17, v17, v18
	v_cmp_lt_f16_e32 vcc, s12, v0
	s_nop 1
	v_cndmask_b32_e32 v0, v17, v16, vcc
	v_mul_f32_e32 v16, 0x4f800000, v0
	v_cmp_gt_f32_e32 vcc, s15, v0
	s_nop 1
	v_cndmask_b32_e32 v0, v0, v16, vcc
	v_sqrt_f32_e32 v16, v0
	s_nop 0
	v_add_u32_e32 v17, -1, v16
	v_add_u32_e32 v18, 1, v16
	v_fma_f32 v19, -v17, v16, v0
	v_fma_f32 v20, -v18, v16, v0
	v_cmp_ge_f32_e64 s[4:5], 0, v19
	s_nop 1
	v_cndmask_b32_e64 v16, v16, v17, s[4:5]
	v_cmp_lt_f32_e64 s[4:5], 0, v20
	s_nop 1
	v_cndmask_b32_e64 v16, v16, v18, s[4:5]
	v_mul_f32_e32 v17, 0x37800000, v16
	v_cndmask_b32_e32 v16, v16, v17, vcc
	v_cmp_class_f32_e32 vcc, v0, v13
	s_nop 1
	v_cndmask_b32_e32 v0, v16, v0, vcc
	s_mov_b64 vcc, s[2:3]
	s_cbranch_vccz .LBB347_6
; %bb.5:
	global_load_dword v16, v11, s[10:11]
	s_waitcnt vmcnt(0)
	v_add_f32_e32 v0, v0, v16
.LBB347_6:
	s_waitcnt vmcnt(8)
	v_cvt_f32_f16_e32 v16, v1
	v_mul_f32_e32 v17, 0x3fb8aa3b, v16
	v_exp_f32_e32 v17, v17
	s_nop 0
	v_add_f32_e32 v17, 1.0, v17
	v_cmp_gt_f32_e32 vcc, s16, v17
	s_nop 1
	v_cndmask_b32_e32 v14, 1.0, v14, vcc
	v_mul_f32_e32 v14, v17, v14
	v_log_f32_e32 v14, v14
	v_cndmask_b32_e32 v15, 0, v15, vcc
	v_mul_f32_e32 v17, 0x3f317217, v14
	v_fma_f32 v17, v14, s13, -v17
	v_fmac_f32_e32 v17, 0x3377d1cf, v14
	v_fmac_f32_e32 v17, 0x3f317217, v14
	v_cmp_lt_f32_e64 vcc, |v14|, s14
	s_nop 1
	v_cndmask_b32_e32 v14, v14, v17, vcc
	v_sub_f32_e32 v14, v14, v15
	v_cmp_lt_f16_e32 vcc, s12, v1
	v_cndmask_b32_e64 v15, 0, 1, s[6:7]
	v_cmp_ne_u32_e64 s[2:3], 1, v15
	v_cndmask_b32_e32 v1, v14, v16, vcc
	v_mul_f32_e32 v14, 0x4f800000, v1
	v_cmp_gt_f32_e64 s[4:5], s15, v1
	s_andn2_b64 vcc, exec, s[6:7]
	s_nop 0
	v_cndmask_b32_e64 v1, v1, v14, s[4:5]
	v_sqrt_f32_e32 v14, v1
	s_nop 0
	v_add_u32_e32 v15, -1, v14
	v_add_u32_e32 v16, 1, v14
	v_fma_f32 v17, -v15, v14, v1
	v_fma_f32 v18, -v16, v14, v1
	v_cmp_ge_f32_e64 s[6:7], 0, v17
	s_nop 1
	v_cndmask_b32_e64 v14, v14, v15, s[6:7]
	v_cmp_lt_f32_e64 s[6:7], 0, v18
	s_nop 1
	v_cndmask_b32_e64 v14, v14, v16, s[6:7]
	v_mul_f32_e32 v15, 0x37800000, v14
	v_cndmask_b32_e64 v14, v14, v15, s[4:5]
	v_cmp_class_f32_e64 s[4:5], v1, v13
	s_nop 1
	v_cndmask_b32_e64 v1, v14, v1, s[4:5]
	s_cbranch_vccnz .LBB347_8
; %bb.7:
	global_load_dword v13, v11, s[10:11] offset:128
	s_waitcnt vmcnt(0)
	v_add_f32_e32 v1, v1, v13
.LBB347_8:
	s_waitcnt vmcnt(7)
	v_cvt_f32_f16_e32 v13, v2
	s_mov_b32 s12, 0x800000
	s_mov_b32 s7, 0x3f317217
	;; [unrolled: 1-line block ×3, first 2 shown]
	v_mul_f32_e32 v14, 0x3fb8aa3b, v13
	v_exp_f32_e32 v15, v14
	v_mov_b32_e32 v14, 0x4f800000
	s_movk_i32 s6, 0x4d00
	s_mov_b32 s14, 0xf800000
	v_add_f32_e32 v15, 1.0, v15
	v_cmp_gt_f32_e32 vcc, s12, v15
	s_nop 1
	v_cndmask_b32_e32 v16, 1.0, v14, vcc
	v_mul_f32_e32 v15, v15, v16
	v_log_f32_e32 v16, v15
	v_mov_b32_e32 v15, 0x41b17218
	v_cndmask_b32_e32 v17, 0, v15, vcc
	v_mul_f32_e32 v18, 0x3f317217, v16
	v_fma_f32 v18, v16, s7, -v18
	v_fmac_f32_e32 v18, 0x3377d1cf, v16
	v_fmac_f32_e32 v18, 0x3f317217, v16
	v_cmp_lt_f32_e64 vcc, |v16|, s13
	s_nop 1
	v_cndmask_b32_e32 v16, v16, v18, vcc
	v_sub_f32_e32 v16, v16, v17
	v_cmp_lt_f16_e32 vcc, s6, v2
	s_nop 1
	v_cndmask_b32_e32 v2, v16, v13, vcc
	v_mul_f32_e32 v13, 0x4f800000, v2
	v_cmp_gt_f32_e32 vcc, s14, v2
	s_nop 1
	v_cndmask_b32_e32 v2, v2, v13, vcc
	v_sqrt_f32_e32 v13, v2
	s_nop 0
	v_add_u32_e32 v16, -1, v13
	v_fma_f32 v17, -v16, v13, v2
	v_cmp_ge_f32_e64 s[4:5], 0, v17
	v_add_u32_e32 v17, 1, v13
	s_nop 0
	v_cndmask_b32_e64 v16, v13, v16, s[4:5]
	v_fma_f32 v13, -v17, v13, v2
	v_cmp_lt_f32_e64 s[4:5], 0, v13
	s_nop 1
	v_cndmask_b32_e64 v13, v16, v17, s[4:5]
	v_mul_f32_e32 v16, 0x37800000, v13
	v_cndmask_b32_e32 v16, v13, v16, vcc
	v_mov_b32_e32 v13, 0x260
	v_cmp_class_f32_e64 s[4:5], v2, v13
	s_and_b64 vcc, exec, s[2:3]
	s_nop 0
	v_cndmask_b32_e64 v2, v16, v2, s[4:5]
	s_cbranch_vccnz .LBB347_10
; %bb.9:
	global_load_dword v16, v11, s[10:11] offset:256
	s_waitcnt vmcnt(0)
	v_add_f32_e32 v2, v2, v16
.LBB347_10:
	s_waitcnt vmcnt(6)
	v_cvt_f32_f16_e32 v16, v3
	v_mul_f32_e32 v17, 0x3fb8aa3b, v16
	v_exp_f32_e32 v17, v17
	s_nop 0
	v_add_f32_e32 v17, 1.0, v17
	v_cmp_gt_f32_e32 vcc, s12, v17
	s_nop 1
	v_cndmask_b32_e32 v14, 1.0, v14, vcc
	v_mul_f32_e32 v14, v17, v14
	v_log_f32_e32 v14, v14
	v_cndmask_b32_e32 v15, 0, v15, vcc
	v_mul_f32_e32 v17, 0x3f317217, v14
	v_fma_f32 v17, v14, s7, -v17
	v_fmac_f32_e32 v17, 0x3377d1cf, v14
	v_fmac_f32_e32 v17, 0x3f317217, v14
	v_cmp_lt_f32_e64 vcc, |v14|, s13
	s_nop 1
	v_cndmask_b32_e32 v14, v14, v17, vcc
	v_sub_f32_e32 v14, v14, v15
	v_cmp_lt_f16_e32 vcc, s6, v3
	s_nop 1
	v_cndmask_b32_e32 v3, v14, v16, vcc
	v_mul_f32_e32 v14, 0x4f800000, v3
	v_cmp_gt_f32_e64 s[4:5], s14, v3
	s_and_b64 vcc, exec, s[2:3]
	s_nop 0
	v_cndmask_b32_e64 v3, v3, v14, s[4:5]
	v_sqrt_f32_e32 v14, v3
	s_nop 0
	v_add_u32_e32 v15, -1, v14
	v_add_u32_e32 v16, 1, v14
	v_fma_f32 v17, -v15, v14, v3
	v_fma_f32 v18, -v16, v14, v3
	v_cmp_ge_f32_e64 s[6:7], 0, v17
	s_nop 1
	v_cndmask_b32_e64 v14, v14, v15, s[6:7]
	v_cmp_lt_f32_e64 s[6:7], 0, v18
	s_nop 1
	v_cndmask_b32_e64 v14, v14, v16, s[6:7]
	v_mul_f32_e32 v15, 0x37800000, v14
	v_cndmask_b32_e64 v14, v14, v15, s[4:5]
	v_cmp_class_f32_e64 s[4:5], v3, v13
	s_nop 1
	v_cndmask_b32_e64 v3, v14, v3, s[4:5]
	s_cbranch_vccnz .LBB347_12
; %bb.11:
	global_load_dword v13, v11, s[10:11] offset:384
	s_waitcnt vmcnt(0)
	v_add_f32_e32 v3, v3, v13
.LBB347_12:
	s_waitcnt vmcnt(5)
	v_cvt_f32_f16_e32 v13, v4
	s_mov_b32 s7, 0x3f317217
	s_movk_i32 s6, 0x4d00
	v_mul_f32_e32 v14, 0x3fb8aa3b, v13
	v_exp_f32_e32 v15, v14
	v_mov_b32_e32 v14, 0x4f800000
	v_add_f32_e32 v15, 1.0, v15
	v_cmp_gt_f32_e32 vcc, s12, v15
	s_nop 1
	v_cndmask_b32_e32 v16, 1.0, v14, vcc
	v_mul_f32_e32 v15, v15, v16
	v_log_f32_e32 v16, v15
	v_mov_b32_e32 v15, 0x41b17218
	v_cndmask_b32_e32 v17, 0, v15, vcc
	v_mul_f32_e32 v18, 0x3f317217, v16
	v_fma_f32 v18, v16, s7, -v18
	v_fmac_f32_e32 v18, 0x3377d1cf, v16
	v_fmac_f32_e32 v18, 0x3f317217, v16
	v_cmp_lt_f32_e64 vcc, |v16|, s13
	s_nop 1
	v_cndmask_b32_e32 v16, v16, v18, vcc
	v_sub_f32_e32 v16, v16, v17
	v_cmp_lt_f16_e32 vcc, s6, v4
	s_nop 1
	v_cndmask_b32_e32 v4, v16, v13, vcc
	v_mul_f32_e32 v13, 0x4f800000, v4
	v_cmp_gt_f32_e32 vcc, s14, v4
	s_nop 1
	v_cndmask_b32_e32 v4, v4, v13, vcc
	v_sqrt_f32_e32 v13, v4
	s_nop 0
	v_add_u32_e32 v16, -1, v13
	v_fma_f32 v17, -v16, v13, v4
	v_cmp_ge_f32_e64 s[4:5], 0, v17
	v_add_u32_e32 v17, 1, v13
	s_nop 0
	v_cndmask_b32_e64 v16, v13, v16, s[4:5]
	v_fma_f32 v13, -v17, v13, v4
	v_cmp_lt_f32_e64 s[4:5], 0, v13
	s_nop 1
	v_cndmask_b32_e64 v13, v16, v17, s[4:5]
	v_mul_f32_e32 v16, 0x37800000, v13
	v_cndmask_b32_e32 v16, v13, v16, vcc
	v_mov_b32_e32 v13, 0x260
	v_cmp_class_f32_e64 s[4:5], v4, v13
	s_and_b64 vcc, exec, s[2:3]
	s_nop 0
	v_cndmask_b32_e64 v4, v16, v4, s[4:5]
	s_cbranch_vccnz .LBB347_14
; %bb.13:
	global_load_dword v16, v11, s[10:11] offset:512
	s_waitcnt vmcnt(0)
	v_add_f32_e32 v4, v4, v16
.LBB347_14:
	s_waitcnt vmcnt(4)
	v_cvt_f32_f16_e32 v16, v5
	v_mul_f32_e32 v17, 0x3fb8aa3b, v16
	v_exp_f32_e32 v17, v17
	s_nop 0
	v_add_f32_e32 v17, 1.0, v17
	v_cmp_gt_f32_e32 vcc, s12, v17
	s_nop 1
	v_cndmask_b32_e32 v14, 1.0, v14, vcc
	v_mul_f32_e32 v14, v17, v14
	v_log_f32_e32 v14, v14
	v_cndmask_b32_e32 v15, 0, v15, vcc
	v_mul_f32_e32 v17, 0x3f317217, v14
	v_fma_f32 v17, v14, s7, -v17
	v_fmac_f32_e32 v17, 0x3377d1cf, v14
	v_fmac_f32_e32 v17, 0x3f317217, v14
	v_cmp_lt_f32_e64 vcc, |v14|, s13
	s_nop 1
	v_cndmask_b32_e32 v14, v14, v17, vcc
	v_sub_f32_e32 v14, v14, v15
	v_cmp_lt_f16_e32 vcc, s6, v5
	s_nop 1
	v_cndmask_b32_e32 v5, v14, v16, vcc
	v_mul_f32_e32 v14, 0x4f800000, v5
	v_cmp_gt_f32_e64 s[4:5], s14, v5
	s_and_b64 vcc, exec, s[2:3]
	s_nop 0
	v_cndmask_b32_e64 v5, v5, v14, s[4:5]
	v_sqrt_f32_e32 v14, v5
	s_nop 0
	v_add_u32_e32 v15, -1, v14
	v_add_u32_e32 v16, 1, v14
	v_fma_f32 v17, -v15, v14, v5
	v_fma_f32 v18, -v16, v14, v5
	v_cmp_ge_f32_e64 s[6:7], 0, v17
	s_nop 1
	v_cndmask_b32_e64 v14, v14, v15, s[6:7]
	v_cmp_lt_f32_e64 s[6:7], 0, v18
	s_nop 1
	v_cndmask_b32_e64 v14, v14, v16, s[6:7]
	v_mul_f32_e32 v15, 0x37800000, v14
	v_cndmask_b32_e64 v14, v14, v15, s[4:5]
	v_cmp_class_f32_e64 s[4:5], v5, v13
	s_nop 1
	v_cndmask_b32_e64 v5, v14, v5, s[4:5]
	s_cbranch_vccnz .LBB347_16
; %bb.15:
	global_load_dword v13, v11, s[10:11] offset:640
	s_waitcnt vmcnt(0)
	v_add_f32_e32 v5, v5, v13
.LBB347_16:
	s_waitcnt vmcnt(3)
	v_cvt_f32_f16_e32 v13, v6
	s_mov_b32 s7, 0x3f317217
	s_movk_i32 s6, 0x4d00
	v_mul_f32_e32 v14, 0x3fb8aa3b, v13
	v_exp_f32_e32 v15, v14
	v_mov_b32_e32 v14, 0x4f800000
	v_add_f32_e32 v15, 1.0, v15
	v_cmp_gt_f32_e32 vcc, s12, v15
	s_nop 1
	v_cndmask_b32_e32 v16, 1.0, v14, vcc
	v_mul_f32_e32 v15, v15, v16
	v_log_f32_e32 v16, v15
	v_mov_b32_e32 v15, 0x41b17218
	v_cndmask_b32_e32 v17, 0, v15, vcc
	v_mul_f32_e32 v18, 0x3f317217, v16
	v_fma_f32 v18, v16, s7, -v18
	v_fmac_f32_e32 v18, 0x3377d1cf, v16
	v_fmac_f32_e32 v18, 0x3f317217, v16
	v_cmp_lt_f32_e64 vcc, |v16|, s13
	s_nop 1
	v_cndmask_b32_e32 v16, v16, v18, vcc
	v_sub_f32_e32 v16, v16, v17
	v_cmp_lt_f16_e32 vcc, s6, v6
	s_nop 1
	v_cndmask_b32_e32 v6, v16, v13, vcc
	v_mul_f32_e32 v13, 0x4f800000, v6
	v_cmp_gt_f32_e32 vcc, s14, v6
	s_nop 1
	v_cndmask_b32_e32 v6, v6, v13, vcc
	v_sqrt_f32_e32 v13, v6
	s_nop 0
	v_add_u32_e32 v16, -1, v13
	v_fma_f32 v17, -v16, v13, v6
	v_cmp_ge_f32_e64 s[4:5], 0, v17
	v_add_u32_e32 v17, 1, v13
	s_nop 0
	v_cndmask_b32_e64 v16, v13, v16, s[4:5]
	v_fma_f32 v13, -v17, v13, v6
	v_cmp_lt_f32_e64 s[4:5], 0, v13
	s_nop 1
	v_cndmask_b32_e64 v13, v16, v17, s[4:5]
	v_mul_f32_e32 v16, 0x37800000, v13
	v_cndmask_b32_e32 v16, v13, v16, vcc
	v_mov_b32_e32 v13, 0x260
	v_cmp_class_f32_e64 s[4:5], v6, v13
	s_and_b64 vcc, exec, s[2:3]
	s_nop 0
	v_cndmask_b32_e64 v6, v16, v6, s[4:5]
	s_cbranch_vccnz .LBB347_18
; %bb.17:
	global_load_dword v16, v11, s[10:11] offset:768
	s_waitcnt vmcnt(0)
	v_add_f32_e32 v6, v6, v16
.LBB347_18:
	s_waitcnt vmcnt(2)
	v_cvt_f32_f16_e32 v16, v7
	v_mul_f32_e32 v17, 0x3fb8aa3b, v16
	v_exp_f32_e32 v17, v17
	s_nop 0
	v_add_f32_e32 v17, 1.0, v17
	v_cmp_gt_f32_e32 vcc, s12, v17
	s_nop 1
	v_cndmask_b32_e32 v14, 1.0, v14, vcc
	v_mul_f32_e32 v14, v17, v14
	v_log_f32_e32 v14, v14
	v_cndmask_b32_e32 v15, 0, v15, vcc
	v_mul_f32_e32 v17, 0x3f317217, v14
	v_fma_f32 v17, v14, s7, -v17
	v_fmac_f32_e32 v17, 0x3377d1cf, v14
	v_fmac_f32_e32 v17, 0x3f317217, v14
	v_cmp_lt_f32_e64 vcc, |v14|, s13
	s_nop 1
	v_cndmask_b32_e32 v14, v14, v17, vcc
	v_sub_f32_e32 v14, v14, v15
	v_cmp_lt_f16_e32 vcc, s6, v7
	s_nop 1
	v_cndmask_b32_e32 v7, v14, v16, vcc
	v_mul_f32_e32 v14, 0x4f800000, v7
	v_cmp_gt_f32_e64 s[4:5], s14, v7
	s_and_b64 vcc, exec, s[2:3]
	s_nop 0
	v_cndmask_b32_e64 v7, v7, v14, s[4:5]
	v_sqrt_f32_e32 v14, v7
	s_nop 0
	v_add_u32_e32 v15, -1, v14
	v_add_u32_e32 v16, 1, v14
	v_fma_f32 v17, -v15, v14, v7
	v_fma_f32 v18, -v16, v14, v7
	v_cmp_ge_f32_e64 s[6:7], 0, v17
	s_nop 1
	v_cndmask_b32_e64 v14, v14, v15, s[6:7]
	v_cmp_lt_f32_e64 s[6:7], 0, v18
	s_nop 1
	v_cndmask_b32_e64 v14, v14, v16, s[6:7]
	v_mul_f32_e32 v15, 0x37800000, v14
	v_cndmask_b32_e64 v14, v14, v15, s[4:5]
	v_cmp_class_f32_e64 s[4:5], v7, v13
	s_nop 1
	v_cndmask_b32_e64 v7, v14, v7, s[4:5]
	s_cbranch_vccnz .LBB347_20
; %bb.19:
	global_load_dword v13, v11, s[10:11] offset:896
	s_waitcnt vmcnt(0)
	v_add_f32_e32 v7, v7, v13
.LBB347_20:
	s_waitcnt vmcnt(1)
	v_cvt_f32_f16_e32 v13, v8
	s_mov_b32 s7, 0x3f317217
	s_movk_i32 s6, 0x4d00
	v_mul_f32_e32 v14, 0x3fb8aa3b, v13
	v_exp_f32_e32 v15, v14
	v_mov_b32_e32 v14, 0x4f800000
	v_add_f32_e32 v15, 1.0, v15
	v_cmp_gt_f32_e32 vcc, s12, v15
	s_nop 1
	v_cndmask_b32_e32 v16, 1.0, v14, vcc
	v_mul_f32_e32 v15, v15, v16
	v_log_f32_e32 v16, v15
	v_mov_b32_e32 v15, 0x41b17218
	v_cndmask_b32_e32 v17, 0, v15, vcc
	v_mul_f32_e32 v18, 0x3f317217, v16
	v_fma_f32 v18, v16, s7, -v18
	v_fmac_f32_e32 v18, 0x3377d1cf, v16
	v_fmac_f32_e32 v18, 0x3f317217, v16
	v_cmp_lt_f32_e64 vcc, |v16|, s13
	s_nop 1
	v_cndmask_b32_e32 v16, v16, v18, vcc
	v_sub_f32_e32 v16, v16, v17
	v_cmp_lt_f16_e32 vcc, s6, v8
	s_nop 1
	v_cndmask_b32_e32 v8, v16, v13, vcc
	v_mul_f32_e32 v13, 0x4f800000, v8
	v_cmp_gt_f32_e32 vcc, s14, v8
	s_nop 1
	v_cndmask_b32_e32 v8, v8, v13, vcc
	v_sqrt_f32_e32 v13, v8
	s_nop 0
	v_add_u32_e32 v16, -1, v13
	v_fma_f32 v17, -v16, v13, v8
	v_cmp_ge_f32_e64 s[4:5], 0, v17
	v_add_u32_e32 v17, 1, v13
	s_nop 0
	v_cndmask_b32_e64 v16, v13, v16, s[4:5]
	v_fma_f32 v13, -v17, v13, v8
	v_cmp_lt_f32_e64 s[4:5], 0, v13
	s_nop 1
	v_cndmask_b32_e64 v13, v16, v17, s[4:5]
	v_mul_f32_e32 v16, 0x37800000, v13
	v_cndmask_b32_e32 v16, v13, v16, vcc
	v_mov_b32_e32 v13, 0x260
	v_cmp_class_f32_e64 s[4:5], v8, v13
	s_and_b64 vcc, exec, s[2:3]
	s_nop 0
	v_cndmask_b32_e64 v8, v16, v8, s[4:5]
	s_cbranch_vccnz .LBB347_22
; %bb.21:
	global_load_dword v16, v11, s[10:11] offset:1024
	s_waitcnt vmcnt(0)
	v_add_f32_e32 v8, v8, v16
.LBB347_22:
	s_waitcnt vmcnt(0)
	v_cvt_f32_f16_e32 v16, v9
	v_mul_f32_e32 v17, 0x3fb8aa3b, v16
	v_exp_f32_e32 v17, v17
	s_nop 0
	v_add_f32_e32 v17, 1.0, v17
	v_cmp_gt_f32_e32 vcc, s12, v17
	s_nop 1
	v_cndmask_b32_e32 v14, 1.0, v14, vcc
	v_mul_f32_e32 v14, v17, v14
	v_log_f32_e32 v14, v14
	v_cndmask_b32_e32 v15, 0, v15, vcc
	v_mul_f32_e32 v17, 0x3f317217, v14
	v_fma_f32 v17, v14, s7, -v17
	v_fmac_f32_e32 v17, 0x3377d1cf, v14
	v_fmac_f32_e32 v17, 0x3f317217, v14
	v_cmp_lt_f32_e64 vcc, |v14|, s13
	s_nop 1
	v_cndmask_b32_e32 v14, v14, v17, vcc
	v_sub_f32_e32 v14, v14, v15
	v_cmp_lt_f16_e32 vcc, s6, v9
	s_nop 1
	v_cndmask_b32_e32 v9, v14, v16, vcc
	v_mul_f32_e32 v14, 0x4f800000, v9
	v_cmp_gt_f32_e64 s[4:5], s14, v9
	s_and_b64 vcc, exec, s[2:3]
	s_nop 0
	v_cndmask_b32_e64 v9, v9, v14, s[4:5]
	v_sqrt_f32_e32 v14, v9
	s_nop 0
	v_add_u32_e32 v15, -1, v14
	v_add_u32_e32 v16, 1, v14
	v_fma_f32 v17, -v15, v14, v9
	v_fma_f32 v18, -v16, v14, v9
	v_cmp_ge_f32_e64 s[6:7], 0, v17
	s_nop 1
	v_cndmask_b32_e64 v14, v14, v15, s[6:7]
	v_cmp_lt_f32_e64 s[6:7], 0, v18
	s_nop 1
	v_cndmask_b32_e64 v14, v14, v16, s[6:7]
	v_mul_f32_e32 v15, 0x37800000, v14
	v_cndmask_b32_e64 v14, v14, v15, s[4:5]
	v_cmp_class_f32_e64 s[4:5], v9, v13
	s_nop 1
	v_cndmask_b32_e64 v9, v14, v9, s[4:5]
	s_cbranch_vccnz .LBB347_24
; %bb.23:
	global_load_dword v11, v11, s[10:11] offset:1152
	s_waitcnt vmcnt(0)
	v_add_f32_e32 v9, v9, v11
.LBB347_24:
	s_load_dwordx4 s[12:15], s[0:1], 0x30
	s_mov_b32 s31, 0
	v_cmp_eq_u32_e64 s[6:7], 0, v12
	s_waitcnt lgkmcnt(0)
	s_bitcmp1_b32 s15, 0
	s_cselect_b64 s[4:5], -1, 0
	s_cmp_gt_i32 s12, 0
	s_cselect_b64 s[24:25], -1, 0
	s_and_b64 vcc, exec, s[24:25]
	s_cbranch_vccz .LBB347_51
; %bb.25:
	v_mbcnt_lo_u32_b32 v11, -1, 0
	v_mbcnt_hi_u32_b32 v14, -1, v11
	v_and_b32_e32 v11, 0x60, v14
	v_add_u32_e32 v15, 32, v11
	v_xor_b32_e32 v16, 16, v14
	v_cmp_lt_i32_e32 vcc, v16, v15
	s_load_dwordx4 s[16:19], s[0:1], 0x20
	v_mul_lo_u32 v11, v10, s12
	v_cndmask_b32_e32 v16, v14, v16, vcc
	v_lshlrev_b32_e32 v25, 2, v16
	v_xor_b32_e32 v16, 8, v14
	v_cmp_lt_i32_e32 vcc, v16, v15
	v_or_b32_e32 v13, 32, v12
	v_or_b32_e32 v17, 64, v12
	v_cndmask_b32_e32 v16, v14, v16, vcc
	v_lshlrev_b32_e32 v26, 2, v16
	v_xor_b32_e32 v16, 4, v14
	v_cmp_lt_i32_e32 vcc, v16, v15
	v_or_b32_e32 v18, 0x60, v12
	v_or_b32_e32 v19, 0x80, v12
	;; [unrolled: 6-line block ×4, first 2 shown]
	v_cndmask_b32_e32 v14, v14, v16, vcc
	v_or_b32_e32 v24, 0x120, v12
	v_lshlrev_b32_e32 v29, 2, v14
	v_mov_b32_e32 v16, 0
	v_mov_b32_e32 v30, 0x140
	v_mov_b32_e32 v31, 0xc61c4000
	v_mov_b32_e32 v32, v10
	s_branch .LBB347_28
.LBB347_26:                             ;   in Loop: Header=BB347_28 Depth=1
	s_waitcnt lgkmcnt(0)
	v_add_u32_e32 v34, s31, v11
	v_ashrrev_i32_e32 v35, 31, v34
	v_cmp_le_i32_e32 vcc, s13, v14
	v_cmp_gt_i32_e64 s[0:1], s14, v14
	v_lshlrev_b64 v[36:37], 2, v[34:35]
	s_and_b64 s[0:1], vcc, s[0:1]
	v_lshl_add_u64 v[38:39], s[20:21], 0, v[36:37]
	v_subrev_u32_e32 v15, s13, v14
	global_store_dword v[38:39], v33, off
	v_ashrrev_i32_e32 v38, 31, v15
	s_and_b64 vcc, s[22:23], s[0:1]
	v_cndmask_b32_e32 v39, 0, v38, vcc
	v_cndmask_b32_e32 v38, v30, v15, vcc
	v_lshl_add_u64 v[34:35], v[34:35], 3, s[16:17]
	v_add_f32_e32 v15, v16, v33
	global_store_dwordx2 v[34:35], v[38:39], off
	v_lshl_add_u64 v[34:35], s[18:19], 0, v[36:37]
	v_cndmask_b32_e64 v16, v16, v15, s[4:5]
	global_store_dword v[34:35], v32, off
.LBB347_27:                             ;   in Loop: Header=BB347_28 Depth=1
	s_or_b64 exec, exec, s[26:27]
	v_ashrrev_i32_e32 v15, 31, v14
	v_lshrrev_b32_e32 v15, 27, v15
	v_add_u32_e32 v15, v14, v15
	v_and_b32_e32 v33, 0xffffffe0, v15
	v_sub_u32_e32 v14, v14, v33
	s_add_i32 s31, s31, 1
	v_cmp_eq_u32_e32 vcc, v12, v14
	s_cmp_lt_i32 s31, s12
	v_ashrrev_i32_e32 v14, 5, v15
	s_cselect_b64 s[26:27], -1, 0
	v_cmp_ne_u32_e64 s[0:1], 9, v14
	s_and_b64 vcc, s[26:27], vcc
	s_cmp_eq_u32 s12, s31
	v_cndmask_b32_e64 v15, v31, v9, s[0:1]
	v_cmp_ne_u32_e64 s[0:1], 8, v14
	v_cndmask_b32_e32 v9, v9, v15, vcc
	v_add_u32_e32 v32, s30, v32
	v_cndmask_b32_e64 v15, v31, v8, s[0:1]
	v_cmp_ne_u32_e64 s[0:1], 7, v14
	v_cndmask_b32_e32 v8, v8, v15, vcc
	s_nop 0
	v_cndmask_b32_e64 v15, v31, v7, s[0:1]
	v_cmp_ne_u32_e64 s[0:1], 6, v14
	v_cndmask_b32_e32 v7, v7, v15, vcc
	s_nop 0
	;; [unrolled: 4-line block ×8, first 2 shown]
	v_cndmask_b32_e64 v14, v31, v0, s[0:1]
	v_cndmask_b32_e32 v0, v0, v14, vcc
	s_cbranch_scc1 .LBB347_52
.LBB347_28:                             ; =>This Inner Loop Header: Depth=1
	v_cmp_gt_f32_e32 vcc, v1, v0
	s_nop 1
	v_cndmask_b32_e32 v15, v0, v1, vcc
	v_cndmask_b32_e32 v14, v12, v13, vcc
	v_cmp_gt_f32_e32 vcc, v2, v15
	s_nop 1
	v_cndmask_b32_e32 v15, v15, v2, vcc
	v_cndmask_b32_e32 v14, v14, v17, vcc
	;; [unrolled: 4-line block ×9, first 2 shown]
	ds_bpermute_b32 v15, v25, v33
	s_waitcnt lgkmcnt(0)
	ds_bpermute_b32 v34, v25, v14
	s_waitcnt lgkmcnt(0)
	v_cmp_lt_f32_e64 s[26:27], v33, v15
	v_cmp_nlt_f32_e32 vcc, v33, v15
	s_and_saveexec_b64 s[28:29], vcc
; %bb.29:                               ;   in Loop: Header=BB347_28 Depth=1
	v_cmp_eq_f32_e32 vcc, v33, v15
	v_cmp_lt_i32_e64 s[0:1], v34, v14
	s_and_b64 s[0:1], vcc, s[0:1]
	s_andn2_b64 s[26:27], s[26:27], exec
	s_and_b64 s[0:1], s[0:1], exec
	s_or_b64 s[26:27], s[26:27], s[0:1]
; %bb.30:                               ;   in Loop: Header=BB347_28 Depth=1
	s_or_b64 exec, exec, s[28:29]
	s_and_saveexec_b64 s[0:1], s[26:27]
; %bb.31:                               ;   in Loop: Header=BB347_28 Depth=1
	v_mov_b32_e32 v33, v15
	v_mov_b32_e32 v14, v34
; %bb.32:                               ;   in Loop: Header=BB347_28 Depth=1
	s_or_b64 exec, exec, s[0:1]
	ds_bpermute_b32 v15, v26, v33
	ds_bpermute_b32 v34, v26, v14
	s_waitcnt lgkmcnt(1)
	v_cmp_lt_f32_e64 s[26:27], v33, v15
	v_cmp_nlt_f32_e32 vcc, v33, v15
	s_and_saveexec_b64 s[28:29], vcc
	s_cbranch_execz .LBB347_34
; %bb.33:                               ;   in Loop: Header=BB347_28 Depth=1
	v_cmp_eq_f32_e32 vcc, v33, v15
	s_waitcnt lgkmcnt(0)
	v_cmp_lt_i32_e64 s[0:1], v34, v14
	s_and_b64 s[0:1], vcc, s[0:1]
	s_andn2_b64 s[26:27], s[26:27], exec
	s_and_b64 s[0:1], s[0:1], exec
	s_or_b64 s[26:27], s[26:27], s[0:1]
.LBB347_34:                             ;   in Loop: Header=BB347_28 Depth=1
	s_or_b64 exec, exec, s[28:29]
	s_and_saveexec_b64 s[0:1], s[26:27]
	s_cbranch_execz .LBB347_36
; %bb.35:                               ;   in Loop: Header=BB347_28 Depth=1
	v_mov_b32_e32 v33, v15
	s_waitcnt lgkmcnt(0)
	v_mov_b32_e32 v14, v34
.LBB347_36:                             ;   in Loop: Header=BB347_28 Depth=1
	s_or_b64 exec, exec, s[0:1]
	ds_bpermute_b32 v15, v27, v33
	s_waitcnt lgkmcnt(1)
	ds_bpermute_b32 v34, v27, v14
	s_waitcnt lgkmcnt(1)
	v_cmp_lt_f32_e64 s[26:27], v33, v15
	v_cmp_nlt_f32_e32 vcc, v33, v15
	s_and_saveexec_b64 s[28:29], vcc
	s_cbranch_execz .LBB347_38
; %bb.37:                               ;   in Loop: Header=BB347_28 Depth=1
	v_cmp_eq_f32_e32 vcc, v33, v15
	s_waitcnt lgkmcnt(0)
	v_cmp_lt_i32_e64 s[0:1], v34, v14
	s_and_b64 s[0:1], vcc, s[0:1]
	s_andn2_b64 s[26:27], s[26:27], exec
	s_and_b64 s[0:1], s[0:1], exec
	s_or_b64 s[26:27], s[26:27], s[0:1]
.LBB347_38:                             ;   in Loop: Header=BB347_28 Depth=1
	s_or_b64 exec, exec, s[28:29]
	s_and_saveexec_b64 s[0:1], s[26:27]
	s_cbranch_execz .LBB347_40
; %bb.39:                               ;   in Loop: Header=BB347_28 Depth=1
	v_mov_b32_e32 v33, v15
	s_waitcnt lgkmcnt(0)
	v_mov_b32_e32 v14, v34
.LBB347_40:                             ;   in Loop: Header=BB347_28 Depth=1
	s_or_b64 exec, exec, s[0:1]
	ds_bpermute_b32 v15, v28, v33
	s_waitcnt lgkmcnt(1)
	;; [unrolled: 26-line block ×3, first 2 shown]
	ds_bpermute_b32 v34, v29, v14
	s_waitcnt lgkmcnt(1)
	v_cmp_lt_f32_e64 s[26:27], v33, v15
	v_cmp_nlt_f32_e32 vcc, v33, v15
	s_and_saveexec_b64 s[28:29], vcc
	s_cbranch_execnz .LBB347_47
; %bb.45:                               ;   in Loop: Header=BB347_28 Depth=1
	s_or_b64 exec, exec, s[28:29]
	s_and_saveexec_b64 s[0:1], s[26:27]
	s_cbranch_execnz .LBB347_48
.LBB347_46:                             ;   in Loop: Header=BB347_28 Depth=1
	s_or_b64 exec, exec, s[0:1]
	s_and_saveexec_b64 s[26:27], s[6:7]
	s_cbranch_execz .LBB347_27
	s_branch .LBB347_49
.LBB347_47:                             ;   in Loop: Header=BB347_28 Depth=1
	v_cmp_eq_f32_e32 vcc, v33, v15
	s_waitcnt lgkmcnt(0)
	v_cmp_lt_i32_e64 s[0:1], v34, v14
	s_and_b64 s[0:1], vcc, s[0:1]
	s_andn2_b64 s[26:27], s[26:27], exec
	s_and_b64 s[0:1], s[0:1], exec
	s_or_b64 s[26:27], s[26:27], s[0:1]
	s_or_b64 exec, exec, s[28:29]
	s_and_saveexec_b64 s[0:1], s[26:27]
	s_cbranch_execz .LBB347_46
.LBB347_48:                             ;   in Loop: Header=BB347_28 Depth=1
	s_waitcnt lgkmcnt(0)
	v_mov_b32_e32 v14, v34
	v_mov_b32_e32 v33, v15
	s_or_b64 exec, exec, s[0:1]
	s_and_saveexec_b64 s[26:27], s[6:7]
	s_cbranch_execz .LBB347_27
.LBB347_49:                             ;   in Loop: Header=BB347_28 Depth=1
	s_and_b64 vcc, exec, s[2:3]
	s_cbranch_vccnz .LBB347_26
; %bb.50:                               ;   in Loop: Header=BB347_28 Depth=1
	v_ashrrev_i32_e32 v15, 31, v14
	s_waitcnt lgkmcnt(0)
	v_lshl_add_u64 v[34:35], v[14:15], 2, s[10:11]
	global_load_dword v15, v[34:35], off
	s_waitcnt vmcnt(0)
	v_sub_f32_e32 v33, v33, v15
	s_branch .LBB347_26
.LBB347_51:
	v_mov_b32_e32 v16, 0
.LBB347_52:
	v_cmp_eq_u32_e32 vcc, 0, v12
	s_and_b64 exec, exec, vcc
	s_cbranch_execz .LBB347_65
; %bb.53:
	s_andn2_b64 vcc, exec, s[4:5]
	v_cvt_f32_f64_e32 v0, s[8:9]
	s_cbranch_vccnz .LBB347_55
; %bb.54:
	v_cmp_lt_f32_e32 vcc, 0, v16
	s_nop 1
	v_cndmask_b32_e32 v1, 1.0, v16, vcc
	v_div_scale_f32 v2, s[0:1], v1, v1, v0
	v_rcp_f32_e32 v3, v2
	s_nop 0
	v_fma_f32 v4, -v2, v3, 1.0
	v_fmac_f32_e32 v3, v4, v3
	v_div_scale_f32 v4, vcc, v0, v1, v0
	v_mul_f32_e32 v5, v4, v3
	v_fma_f32 v6, -v2, v5, v4
	v_fmac_f32_e32 v5, v6, v3
	v_fma_f32 v2, -v2, v5, v4
	v_div_fmas_f32 v2, v2, v3, v5
	v_div_fixup_f32 v0, v2, v1, v0
.LBB347_55:
	s_andn2_b64 vcc, exec, s[24:25]
	s_cbranch_vccnz .LBB347_65
; %bb.56:
	v_mul_lo_u32 v2, v10, s12
	s_cmp_gt_u32 s12, 3
	v_ashrrev_i32_e32 v3, 31, v2
	s_cbranch_scc0 .LBB347_60
; %bb.57:
	s_and_b32 s0, s12, 0x7ffffffc
	v_lshl_add_u64 v[4:5], v[2:3], 2, s[20:21]
	v_mov_b32_e32 v1, v0
	v_lshl_add_u64 v[4:5], v[4:5], 0, 8
	s_mov_b32 s1, s0
.LBB347_58:                             ; =>This Inner Loop Header: Depth=1
	global_load_dwordx4 v[6:9], v[4:5], off offset:-8
	s_add_i32 s1, s1, -4
	s_cmp_lg_u32 s1, 0
	s_waitcnt vmcnt(0)
	v_pk_mul_f32 v[6:7], v[0:1], v[6:7]
	v_pk_mul_f32 v[8:9], v[0:1], v[8:9]
	global_store_dwordx4 v[4:5], v[6:9], off offset:-8
	v_lshl_add_u64 v[4:5], v[4:5], 0, 16
	s_cbranch_scc1 .LBB347_58
; %bb.59:
	s_cmp_lg_u32 s0, s12
	s_cselect_b64 s[2:3], -1, 0
	s_branch .LBB347_62
.LBB347_60:
	s_mov_b64 s[2:3], 0
                                        ; implicit-def: $sgpr0
	s_cbranch_execz .LBB347_62
; %bb.61:
	s_mov_b64 s[2:3], -1
	s_mov_b32 s0, 0
.LBB347_62:
	s_andn2_b64 vcc, exec, s[2:3]
	s_cbranch_vccnz .LBB347_65
; %bb.63:
	s_mov_b32 s1, 0
	v_lshl_add_u64 v[2:3], v[2:3], 0, s[0:1]
	s_sub_i32 s2, s12, s0
	v_lshl_add_u64 v[2:3], v[2:3], 2, s[20:21]
.LBB347_64:                             ; =>This Inner Loop Header: Depth=1
	global_load_dword v1, v[2:3], off
	s_add_i32 s2, s2, -1
	s_cmp_lg_u32 s2, 0
	s_waitcnt vmcnt(0)
	v_mul_f32_e32 v1, v0, v1
	global_store_dword v[2:3], v1, off
	v_lshl_add_u64 v[2:3], v[2:3], 0, 4
	s_cbranch_scc1 .LBB347_64
.LBB347_65:
	s_endpgm
	.section	.rodata,"a",@progbits
	.p2align	6, 0x0
	.amdhsa_kernel _ZN4vllm3moe22topkGatingSoftplusSqrtILi10ELi320ELi4ELi2ELi32ELb0El6__halfEEvPKT6_PKbPfiPT5_PiiiibdPKfPKS9_SF_
		.amdhsa_group_segment_fixed_size 0
		.amdhsa_private_segment_fixed_size 0
		.amdhsa_kernarg_size 96
		.amdhsa_user_sgpr_count 2
		.amdhsa_user_sgpr_dispatch_ptr 0
		.amdhsa_user_sgpr_queue_ptr 0
		.amdhsa_user_sgpr_kernarg_segment_ptr 1
		.amdhsa_user_sgpr_dispatch_id 0
		.amdhsa_user_sgpr_kernarg_preload_length 0
		.amdhsa_user_sgpr_kernarg_preload_offset 0
		.amdhsa_user_sgpr_private_segment_size 0
		.amdhsa_uses_dynamic_stack 0
		.amdhsa_enable_private_segment 0
		.amdhsa_system_sgpr_workgroup_id_x 1
		.amdhsa_system_sgpr_workgroup_id_y 0
		.amdhsa_system_sgpr_workgroup_id_z 0
		.amdhsa_system_sgpr_workgroup_info 0
		.amdhsa_system_vgpr_workitem_id 1
		.amdhsa_next_free_vgpr 40
		.amdhsa_next_free_sgpr 32
		.amdhsa_accum_offset 40
		.amdhsa_reserve_vcc 1
		.amdhsa_float_round_mode_32 0
		.amdhsa_float_round_mode_16_64 0
		.amdhsa_float_denorm_mode_32 3
		.amdhsa_float_denorm_mode_16_64 3
		.amdhsa_dx10_clamp 1
		.amdhsa_ieee_mode 1
		.amdhsa_fp16_overflow 0
		.amdhsa_tg_split 0
		.amdhsa_exception_fp_ieee_invalid_op 0
		.amdhsa_exception_fp_denorm_src 0
		.amdhsa_exception_fp_ieee_div_zero 0
		.amdhsa_exception_fp_ieee_overflow 0
		.amdhsa_exception_fp_ieee_underflow 0
		.amdhsa_exception_fp_ieee_inexact 0
		.amdhsa_exception_int_div_zero 0
	.end_amdhsa_kernel
	.section	.text._ZN4vllm3moe22topkGatingSoftplusSqrtILi10ELi320ELi4ELi2ELi32ELb0El6__halfEEvPKT6_PKbPfiPT5_PiiiibdPKfPKS9_SF_,"axG",@progbits,_ZN4vllm3moe22topkGatingSoftplusSqrtILi10ELi320ELi4ELi2ELi32ELb0El6__halfEEvPKT6_PKbPfiPT5_PiiiibdPKfPKS9_SF_,comdat
.Lfunc_end347:
	.size	_ZN4vllm3moe22topkGatingSoftplusSqrtILi10ELi320ELi4ELi2ELi32ELb0El6__halfEEvPKT6_PKbPfiPT5_PiiiibdPKfPKS9_SF_, .Lfunc_end347-_ZN4vllm3moe22topkGatingSoftplusSqrtILi10ELi320ELi4ELi2ELi32ELb0El6__halfEEvPKT6_PKbPfiPT5_PiiiibdPKfPKS9_SF_
                                        ; -- End function
	.section	.AMDGPU.csdata,"",@progbits
; Kernel info:
; codeLenInByte = 4948
; NumSgprs: 38
; NumVgprs: 40
; NumAgprs: 0
; TotalNumVgprs: 40
; ScratchSize: 0
; MemoryBound: 0
; FloatMode: 240
; IeeeMode: 1
; LDSByteSize: 0 bytes/workgroup (compile time only)
; SGPRBlocks: 4
; VGPRBlocks: 4
; NumSGPRsForWavesPerEU: 38
; NumVGPRsForWavesPerEU: 40
; AccumOffset: 40
; Occupancy: 8
; WaveLimiterHint : 0
; COMPUTE_PGM_RSRC2:SCRATCH_EN: 0
; COMPUTE_PGM_RSRC2:USER_SGPR: 2
; COMPUTE_PGM_RSRC2:TRAP_HANDLER: 0
; COMPUTE_PGM_RSRC2:TGID_X_EN: 1
; COMPUTE_PGM_RSRC2:TGID_Y_EN: 0
; COMPUTE_PGM_RSRC2:TGID_Z_EN: 0
; COMPUTE_PGM_RSRC2:TIDIG_COMP_CNT: 1
; COMPUTE_PGM_RSRC3_GFX90A:ACCUM_OFFSET: 9
; COMPUTE_PGM_RSRC3_GFX90A:TG_SPLIT: 0
	.section	.text._ZN4vllm3moe22topkGatingSoftplusSqrtILi6ELi384ELi4ELi4ELi64ELb1El6__halfEEvPKT6_PKbPfiPT5_PiiiibdPKfPKS9_SF_,"axG",@progbits,_ZN4vllm3moe22topkGatingSoftplusSqrtILi6ELi384ELi4ELi4ELi64ELb1El6__halfEEvPKT6_PKbPfiPT5_PiiiibdPKfPKS9_SF_,comdat
	.protected	_ZN4vllm3moe22topkGatingSoftplusSqrtILi6ELi384ELi4ELi4ELi64ELb1El6__halfEEvPKT6_PKbPfiPT5_PiiiibdPKfPKS9_SF_ ; -- Begin function _ZN4vllm3moe22topkGatingSoftplusSqrtILi6ELi384ELi4ELi4ELi64ELb1El6__halfEEvPKT6_PKbPfiPT5_PiiiibdPKfPKS9_SF_
	.globl	_ZN4vllm3moe22topkGatingSoftplusSqrtILi6ELi384ELi4ELi4ELi64ELb1El6__halfEEvPKT6_PKbPfiPT5_PiiiibdPKfPKS9_SF_
	.p2align	8
	.type	_ZN4vllm3moe22topkGatingSoftplusSqrtILi6ELi384ELi4ELi4ELi64ELb1El6__halfEEvPKT6_PKbPfiPT5_PiiiibdPKfPKS9_SF_,@function
_ZN4vllm3moe22topkGatingSoftplusSqrtILi6ELi384ELi4ELi4ELi64ELb1El6__halfEEvPKT6_PKbPfiPT5_PiiiibdPKfPKS9_SF_: ; @_ZN4vllm3moe22topkGatingSoftplusSqrtILi6ELi384ELi4ELi4ELi64ELb1El6__halfEEvPKT6_PKbPfiPT5_PiiiibdPKfPKS9_SF_
; %bb.0:
	s_load_dword s3, s[0:1], 0x18
	v_and_b32_e32 v1, 0x3ff, v0
	s_lshl_b32 s2, s2, 2
	v_lshrrev_b32_e32 v2, 6, v1
	v_bfe_u32 v0, v0, 10, 10
	v_add3_u32 v0, s2, v0, v2
	s_waitcnt lgkmcnt(0)
	v_cmp_gt_i32_e32 vcc, s3, v0
	s_and_saveexec_b64 s[2:3], vcc
	s_cbranch_execz .LBB348_31
; %bb.1:
	s_load_dwordx4 s[8:11], s[0:1], 0x50
	s_load_dwordx2 s[2:3], s[0:1], 0x0
	s_load_dword s12, s[0:1], 0x30
	s_movk_i32 s4, 0x180
	v_mul_lo_u32 v2, v0, s4
	v_lshlrev_b32_e32 v1, 1, v1
	v_ashrrev_i32_e32 v3, 31, v2
	v_and_b32_e32 v12, 0x7e, v1
	s_waitcnt lgkmcnt(0)
	v_mov_b32_e32 v4, s8
	v_mov_b32_e32 v5, s9
	v_lshl_add_u64 v[6:7], v[2:3], 1, s[2:3]
	v_lshlrev_b32_e32 v2, 1, v12
	v_mov_b32_e32 v3, 0
	v_ashrrev_i32_e32 v1, 31, v0
	v_lshl_add_u64 v[4:5], v[0:1], 3, v[4:5]
	v_lshl_add_u64 v[6:7], v[6:7], 0, v[2:3]
	global_load_dwordx2 v[4:5], v[4:5], off
	s_nop 0
	global_load_dword v1, v[6:7], off
	global_load_dword v2, v[6:7], off offset:256
	global_load_dword v16, v[6:7], off offset:512
	s_ashr_i32 s13, s12, 31
	s_mov_b32 s23, 0x800000
	v_mov_b32_e32 v13, 0x4f800000
	s_mov_b32 s21, 0x3f317217
	s_mov_b32 s22, 0x7f800000
	v_mov_b32_e32 v14, 0x41b17218
	s_movk_i32 s17, 0x4d00
	s_mov_b32 s20, 0xf800000
	v_mov_b32_e32 v15, 0x260
	v_cmp_lt_i64_e64 s[18:19], s[12:13], 1
	s_mov_b32 s16, 0
	v_cmp_gt_i64_e64 s[14:15], s[12:13], 0
	v_mul_lo_u32 v0, v0, s12
	s_waitcnt vmcnt(2)
	v_cvt_f32_f16_e32 v18, v1
	v_cvt_f32_f16_sdwa v19, v1 dst_sel:DWORD dst_unused:UNUSED_PAD src0_sel:WORD_1
	s_waitcnt vmcnt(1)
	v_cvt_f32_f16_e32 v20, v2
	v_cvt_f32_f16_sdwa v21, v2 dst_sel:DWORD dst_unused:UNUSED_PAD src0_sel:WORD_1
	v_mul_f32_e32 v6, 0x3fb8aa3b, v18
	v_mul_f32_e32 v7, 0x3fb8aa3b, v19
	v_exp_f32_e32 v6, v6
	v_exp_f32_e32 v7, v7
	v_mul_f32_e32 v8, 0x3fb8aa3b, v20
	v_mul_f32_e32 v9, 0x3fb8aa3b, v21
	v_exp_f32_e32 v8, v8
	v_exp_f32_e32 v9, v9
	v_mul_lo_u32 v5, v5, s12
	v_mul_lo_u32 v17, v4, s13
	v_mad_u64_u32 v[10:11], s[2:3], v4, s12, 0
	v_add3_u32 v11, v11, v17, v5
	v_pk_add_f32 v[4:5], v[6:7], 1.0 op_sel_hi:[1,0]
	v_pk_add_f32 v[6:7], v[8:9], 1.0 op_sel_hi:[1,0]
	v_cmp_gt_f32_e32 vcc, s23, v5
	v_cmp_gt_f32_e64 s[2:3], s23, v4
	v_cmp_gt_f32_e64 s[4:5], s23, v7
	v_cndmask_b32_e32 v8, 1.0, v13, vcc
	v_cndmask_b32_e64 v9, 1.0, v13, s[2:3]
	v_mul_f32_e32 v5, v5, v8
	v_mul_f32_e32 v4, v4, v9
	v_log_f32_e32 v5, v5
	v_log_f32_e32 v4, v4
	v_cndmask_b32_e64 v17, 1.0, v13, s[4:5]
	v_cmp_gt_f32_e64 s[6:7], s23, v6
	v_mul_f32_e32 v7, v7, v17
	v_mul_f32_e32 v17, 0x3f317217, v5
	v_cndmask_b32_e64 v22, 1.0, v13, s[6:7]
	v_mul_f32_e32 v6, v6, v22
	v_mul_f32_e32 v22, 0x3f317217, v4
	v_fma_f32 v17, v5, s21, -v17
	v_fma_f32 v22, v4, s21, -v22
	v_fmac_f32_e32 v17, 0x3377d1cf, v5
	v_cndmask_b32_e32 v8, 0, v14, vcc
	v_fmac_f32_e32 v22, 0x3377d1cf, v4
	v_fmac_f32_e32 v17, 0x3f317217, v5
	v_cmp_lt_f32_e64 vcc, |v5|, s22
	v_fmac_f32_e32 v22, 0x3f317217, v4
	v_cndmask_b32_e64 v9, 0, v14, s[2:3]
	v_cndmask_b32_e32 v5, v5, v17, vcc
	v_cmp_lt_f32_e64 vcc, |v4|, s22
	v_sub_f32_e32 v5, v5, v8
	v_log_f32_e32 v7, v7
	v_cndmask_b32_e32 v4, v4, v22, vcc
	v_sub_f32_e32 v4, v4, v9
	v_cmp_lt_f16_e32 vcc, s17, v1
	v_mul_f32_e32 v23, 0x3f317217, v7
	v_log_f32_e32 v6, v6
	v_cndmask_b32_e32 v4, v4, v18, vcc
	v_cmp_gt_f16_sdwa vcc, v1, s17 src0_sel:WORD_1 src1_sel:DWORD
	v_mul_f32_e32 v8, 0x4f800000, v4
	v_cmp_gt_f32_e64 s[2:3], s20, v4
	v_cndmask_b32_e32 v1, v5, v19, vcc
	v_mul_f32_e32 v5, 0x4f800000, v1
	v_cmp_gt_f32_e32 vcc, s20, v1
	v_cndmask_b32_e64 v4, v4, v8, s[2:3]
	v_sqrt_f32_e32 v8, v4
	v_cndmask_b32_e32 v1, v1, v5, vcc
	v_sqrt_f32_e32 v5, v1
	v_fma_f32 v23, v7, s21, -v23
	v_add_u32_e32 v18, -1, v8
	v_fma_f32 v25, -v18, v8, v4
	v_add_u32_e32 v9, -1, v5
	v_fma_f32 v22, -v9, v5, v1
	v_add_u32_e32 v17, 1, v5
	v_cmp_ge_f32_e64 s[8:9], 0, v22
	v_add_u32_e32 v19, 1, v8
	v_fma_f32 v24, -v17, v5, v1
	v_cndmask_b32_e64 v5, v5, v9, s[8:9]
	v_cmp_ge_f32_e64 s[8:9], 0, v25
	v_fma_f32 v26, -v19, v8, v4
	v_fmac_f32_e32 v23, 0x3377d1cf, v7
	v_cndmask_b32_e64 v8, v8, v18, s[8:9]
	v_cmp_lt_f32_e64 s[8:9], 0, v24
	v_fmac_f32_e32 v23, 0x3f317217, v7
	s_waitcnt vmcnt(0)
	v_cvt_f32_f16_sdwa v18, v16 dst_sel:DWORD dst_unused:UNUSED_PAD src0_sel:WORD_1
	v_cndmask_b32_e64 v5, v5, v17, s[8:9]
	v_cmp_lt_f32_e64 s[8:9], 0, v26
	v_mul_f32_e32 v9, 0x37800000, v5
	v_cndmask_b32_e32 v5, v5, v9, vcc
	v_cndmask_b32_e64 v8, v8, v19, s[8:9]
	v_mul_f32_e32 v17, 0x37800000, v8
	v_cmp_class_f32_e32 vcc, v1, v15
	v_cndmask_b32_e64 v8, v8, v17, s[2:3]
	v_cmp_lt_f16_e64 s[2:3], s17, v2
	v_cndmask_b32_e32 v5, v5, v1, vcc
	v_cmp_class_f32_e32 vcc, v4, v15
	v_cvt_f32_f16_e32 v17, v16
	v_mul_f32_e32 v9, 0x3fb8aa3b, v18
	v_cndmask_b32_e32 v4, v8, v4, vcc
	v_cmp_lt_f32_e64 vcc, |v7|, s22
	v_exp_f32_e32 v9, v9
	s_nop 0
	v_cndmask_b32_e32 v1, v7, v23, vcc
	v_cndmask_b32_e64 v7, 0, v14, s[4:5]
	v_sub_f32_e32 v1, v1, v7
	v_mul_f32_e32 v7, 0x3f317217, v6
	v_fma_f32 v7, v6, s21, -v7
	v_fmac_f32_e32 v7, 0x3377d1cf, v6
	v_fmac_f32_e32 v7, 0x3f317217, v6
	v_cmp_lt_f32_e64 vcc, |v6|, s22
	s_nop 1
	v_cndmask_b32_e32 v6, v6, v7, vcc
	v_cmp_gt_f16_sdwa vcc, v2, s17 src0_sel:WORD_1 src1_sel:DWORD
	v_cndmask_b32_e64 v7, 0, v14, s[6:7]
	v_sub_f32_e32 v6, v6, v7
	v_cndmask_b32_e32 v1, v1, v21, vcc
	v_mul_f32_e32 v8, 0x4f800000, v1
	v_cmp_gt_f32_e32 vcc, s20, v1
	v_cndmask_b32_e64 v2, v6, v20, s[2:3]
	s_nop 0
	v_cndmask_b32_e32 v1, v1, v8, vcc
	v_sqrt_f32_e32 v8, v1
	s_nop 0
	v_add_u32_e32 v6, -1, v8
	v_fma_f32 v7, -v6, v8, v1
	v_cmp_ge_f32_e64 s[2:3], 0, v7
	v_add_u32_e32 v7, 1, v8
	s_nop 0
	v_cndmask_b32_e64 v6, v8, v6, s[2:3]
	v_fma_f32 v8, -v7, v8, v1
	v_cmp_lt_f32_e64 s[2:3], 0, v8
	v_mul_f32_e32 v8, 0x4f800000, v2
	s_nop 0
	v_cndmask_b32_e64 v6, v6, v7, s[2:3]
	v_cmp_gt_f32_e64 s[2:3], s20, v2
	v_mul_f32_e32 v7, 0x37800000, v6
	v_cndmask_b32_e32 v6, v6, v7, vcc
	v_cndmask_b32_e64 v2, v2, v8, s[2:3]
	v_sqrt_f32_e32 v8, v2
	v_cmp_class_f32_e32 vcc, v1, v15
	s_nop 1
	v_cndmask_b32_e32 v7, v6, v1, vcc
	v_add_u32_e32 v1, -1, v8
	v_fma_f32 v6, -v1, v8, v2
	v_cmp_ge_f32_e32 vcc, 0, v6
	v_add_u32_e32 v6, 1, v8
	v_fma_f32 v19, -v6, v8, v2
	v_cndmask_b32_e32 v1, v8, v1, vcc
	v_mul_f32_e32 v8, 0x3fb8aa3b, v17
	v_exp_f32_e32 v8, v8
	v_cmp_lt_f32_e32 vcc, 0, v19
	v_pk_add_f32 v[8:9], v[8:9], 1.0 op_sel_hi:[1,0]
	s_nop 0
	v_cndmask_b32_e32 v1, v1, v6, vcc
	v_mul_f32_e32 v6, 0x37800000, v1
	v_cmp_gt_f32_e32 vcc, s23, v9
	v_cndmask_b32_e64 v1, v1, v6, s[2:3]
	v_cmp_class_f32_e64 s[2:3], v2, v15
	v_cndmask_b32_e32 v6, 1.0, v13, vcc
	v_mul_f32_e32 v6, v9, v6
	v_log_f32_e32 v9, v6
	v_cndmask_b32_e64 v6, v1, v2, s[2:3]
	v_cmp_gt_f32_e64 s[2:3], s23, v8
	scratch_store_dwordx4 off, v[4:7], off
	v_mul_f32_e32 v1, 0x3f317217, v9
	v_cndmask_b32_e64 v2, 1.0, v13, s[2:3]
	v_mul_f32_e32 v2, v8, v2
	v_fma_f32 v1, v9, s21, -v1
	v_log_f32_e32 v2, v2
	v_fmac_f32_e32 v1, 0x3377d1cf, v9
	v_fmac_f32_e32 v1, 0x3f317217, v9
	v_cmp_lt_f32_e64 s[4:5], |v9|, s22
	v_cndmask_b32_e32 v4, 0, v14, vcc
	v_cmp_lt_f32_e64 vcc, |v2|, s22
	v_cndmask_b32_e64 v1, v9, v1, s[4:5]
	v_sub_f32_e32 v1, v1, v4
	v_mul_f32_e32 v4, 0x3f317217, v2
	v_fma_f32 v4, v2, s21, -v4
	v_fmac_f32_e32 v4, 0x3377d1cf, v2
	v_fmac_f32_e32 v4, 0x3f317217, v2
	v_cndmask_b32_e32 v2, v2, v4, vcc
	v_cmp_gt_f16_sdwa vcc, v16, s17 src0_sel:WORD_1 src1_sel:DWORD
	v_cndmask_b32_e64 v4, 0, v14, s[2:3]
	v_sub_f32_e32 v2, v2, v4
	v_cndmask_b32_e32 v1, v1, v18, vcc
	v_mul_f32_e32 v5, 0x4f800000, v1
	v_cmp_gt_f32_e32 vcc, s20, v1
	v_cmp_lt_f16_e64 s[2:3], s17, v16
	s_nop 0
	v_cndmask_b32_e32 v1, v1, v5, vcc
	v_sqrt_f32_e32 v5, v1
	v_cndmask_b32_e64 v2, v2, v17, s[2:3]
	v_add_u32_e32 v4, -1, v5
	v_fma_f32 v6, -v4, v5, v1
	v_cmp_ge_f32_e64 s[2:3], 0, v6
	v_add_u32_e32 v6, 1, v5
	s_nop 0
	v_cndmask_b32_e64 v4, v5, v4, s[2:3]
	v_fma_f32 v5, -v6, v5, v1
	v_cmp_lt_f32_e64 s[2:3], 0, v5
	s_nop 1
	v_cndmask_b32_e64 v4, v4, v6, s[2:3]
	v_mul_f32_e32 v6, 0x4f800000, v2
	v_cmp_gt_f32_e64 s[2:3], s20, v2
	v_mul_f32_e32 v5, 0x37800000, v4
	v_cndmask_b32_e32 v4, v4, v5, vcc
	v_cndmask_b32_e64 v2, v2, v6, s[2:3]
	v_sqrt_f32_e32 v6, v2
	v_cmp_class_f32_e32 vcc, v1, v15
	s_nop 1
	v_cndmask_b32_e32 v5, v4, v1, vcc
	v_add_u32_e32 v1, -1, v6
	v_fma_f32 v4, -v1, v6, v2
	v_cmp_ge_f32_e32 vcc, 0, v4
	v_add_u32_e32 v4, 1, v6
	s_nop 0
	v_cndmask_b32_e32 v1, v6, v1, vcc
	v_fma_f32 v6, -v4, v6, v2
	v_cmp_lt_f32_e32 vcc, 0, v6
	s_nop 1
	v_cndmask_b32_e32 v1, v1, v4, vcc
	v_mul_f32_e32 v4, 0x37800000, v1
	v_cndmask_b32_e64 v1, v1, v4, s[2:3]
	v_cmp_class_f32_e32 vcc, v2, v15
	s_nop 1
	v_cndmask_b32_e32 v4, v1, v2, vcc
	scratch_store_dwordx2 off, v[4:5], off offset:16
	v_lshl_add_u64 v[4:5], v[10:11], 3, s[10:11]
	s_and_b64 vcc, exec, s[18:19]
	s_cbranch_vccnz .LBB348_28
; %bb.2:
	s_load_dwordx2 s[4:5], s[0:1], 0x20
	s_cmp_lt_u32 s12, 4
	s_cbranch_scc1 .LBB348_21
; %bb.3:
	s_mov_b32 s7, 0
	s_and_b32 s16, s12, 0x7ffffffc
	v_ashrrev_i32_e32 v1, 31, v0
	v_mov_b32_e32 v3, 0
	s_mov_b32 s6, s7
	s_branch .LBB348_5
.LBB348_4:                              ;   in Loop: Header=BB348_5 Depth=1
	s_or_b64 exec, exec, s[8:9]
	s_add_i32 s6, s6, 4
	s_cmp_eq_u32 s6, s16
	s_cbranch_scc1 .LBB348_21
.LBB348_5:                              ; =>This Loop Header: Depth=1
                                        ;     Child Loop BB348_7 Depth 2
                                        ;     Child Loop BB348_11 Depth 2
	;; [unrolled: 1-line block ×4, first 2 shown]
	v_lshl_add_u64 v[6:7], s[6:7], 3, v[4:5]
	global_load_dwordx2 v[8:9], v[6:7], off
	v_add_u32_e32 v10, s6, v0
	v_ashrrev_i32_e32 v11, 31, v10
	v_mov_b32_e32 v2, 0
	s_mov_b64 s[8:9], 0
	s_mov_b32 s13, 0
	s_waitcnt lgkmcnt(0)
	v_lshl_add_u64 v[10:11], v[10:11], 3, s[4:5]
	s_mov_b32 s17, 0
	s_waitcnt vmcnt(0)
	v_ashrrev_i32_e32 v9, 31, v8
	s_branch .LBB348_7
.LBB348_6:                              ;   in Loop: Header=BB348_7 Depth=2
	s_or_b64 exec, exec, s[10:11]
	s_add_i32 s18, s17, 1
	s_cmp_gt_u32 s17, 4
	s_cselect_b64 s[2:3], -1, 0
	s_xor_b64 s[10:11], vcc, -1
	s_or_b64 s[2:3], s[10:11], s[2:3]
	s_add_i32 s13, s13, 64
	s_and_b64 s[2:3], exec, s[2:3]
	v_add_u32_e32 v2, 4, v2
	s_or_b64 s[8:9], s[2:3], s[8:9]
	s_mov_b32 s17, s18
	s_andn2_b64 exec, exec, s[8:9]
	s_cbranch_execz .LBB348_9
.LBB348_7:                              ;   Parent Loop BB348_5 Depth=1
                                        ; =>  This Inner Loop Header: Depth=2
	s_and_b32 s2, s17, 1
	s_and_b32 s3, s13, 0x180
	s_or_b32 s2, s2, s3
	v_or_b32_e32 v13, s2, v12
	v_cmp_ne_u32_e32 vcc, v13, v8
	v_cmp_eq_u32_e64 s[2:3], v13, v8
	s_and_saveexec_b64 s[10:11], s[2:3]
	s_cbranch_execz .LBB348_6
; %bb.8:                                ;   in Loop: Header=BB348_7 Depth=2
	scratch_load_dword v13, v2, off
	s_waitcnt vmcnt(0)
	v_add_f32_e32 v3, v3, v13
	global_store_dwordx2 v[10:11], v[8:9], off
	s_branch .LBB348_6
.LBB348_9:                              ;   in Loop: Header=BB348_5 Depth=1
	s_or_b64 exec, exec, s[8:9]
	global_load_dwordx2 v[10:11], v[6:7], off offset:8
	s_ashr_i32 s3, s6, 31
	s_mov_b32 s2, s6
	v_lshl_add_u64 v[8:9], s[2:3], 0, v[0:1]
	v_mov_b32_e32 v2, 0
	s_mov_b32 s13, 0
	s_mov_b64 s[8:9], 0
	v_lshl_add_u64 v[8:9], v[8:9], 3, s[4:5]
	s_mov_b32 s17, 0
	s_waitcnt vmcnt(0)
	v_ashrrev_i32_e32 v11, 31, v10
	s_branch .LBB348_11
.LBB348_10:                             ;   in Loop: Header=BB348_11 Depth=2
	s_or_b64 exec, exec, s[10:11]
	s_add_i32 s18, s17, 1
	s_cmp_gt_u32 s17, 4
	s_cselect_b64 s[2:3], -1, 0
	s_xor_b64 s[10:11], vcc, -1
	s_or_b64 s[2:3], s[10:11], s[2:3]
	s_add_i32 s13, s13, 64
	s_and_b64 s[2:3], exec, s[2:3]
	v_add_u32_e32 v2, 4, v2
	s_or_b64 s[8:9], s[2:3], s[8:9]
	s_mov_b32 s17, s18
	s_andn2_b64 exec, exec, s[8:9]
	s_cbranch_execz .LBB348_13
.LBB348_11:                             ;   Parent Loop BB348_5 Depth=1
                                        ; =>  This Inner Loop Header: Depth=2
	s_and_b32 s2, s17, 1
	s_and_b32 s3, s13, 0x180
	s_or_b32 s2, s2, s3
	v_or_b32_e32 v13, s2, v12
	v_cmp_ne_u32_e32 vcc, v13, v10
	v_cmp_eq_u32_e64 s[2:3], v13, v10
	s_and_saveexec_b64 s[10:11], s[2:3]
	s_cbranch_execz .LBB348_10
; %bb.12:                               ;   in Loop: Header=BB348_11 Depth=2
	scratch_load_dword v13, v2, off
	s_waitcnt vmcnt(0)
	v_add_f32_e32 v3, v3, v13
	global_store_dwordx2 v[8:9], v[10:11], off offset:8
	s_branch .LBB348_10
.LBB348_13:                             ;   in Loop: Header=BB348_5 Depth=1
	s_or_b64 exec, exec, s[8:9]
	global_load_dwordx2 v[10:11], v[6:7], off offset:16
	v_mov_b32_e32 v2, 0
	s_mov_b32 s13, 0
	s_mov_b64 s[8:9], 0
	s_mov_b32 s17, 0
	s_waitcnt vmcnt(0)
	v_ashrrev_i32_e32 v11, 31, v10
	s_branch .LBB348_15
.LBB348_14:                             ;   in Loop: Header=BB348_15 Depth=2
	s_or_b64 exec, exec, s[10:11]
	s_add_i32 s18, s17, 1
	s_cmp_gt_u32 s17, 4
	s_cselect_b64 s[2:3], -1, 0
	s_xor_b64 s[10:11], vcc, -1
	s_or_b64 s[2:3], s[10:11], s[2:3]
	s_add_i32 s13, s13, 64
	s_and_b64 s[2:3], exec, s[2:3]
	v_add_u32_e32 v2, 4, v2
	s_or_b64 s[8:9], s[2:3], s[8:9]
	s_mov_b32 s17, s18
	s_andn2_b64 exec, exec, s[8:9]
	s_cbranch_execz .LBB348_17
.LBB348_15:                             ;   Parent Loop BB348_5 Depth=1
                                        ; =>  This Inner Loop Header: Depth=2
	s_and_b32 s2, s17, 1
	s_and_b32 s3, s13, 0x180
	s_or_b32 s2, s2, s3
	v_or_b32_e32 v13, s2, v12
	v_cmp_ne_u32_e32 vcc, v13, v10
	v_cmp_eq_u32_e64 s[2:3], v13, v10
	s_and_saveexec_b64 s[10:11], s[2:3]
	s_cbranch_execz .LBB348_14
; %bb.16:                               ;   in Loop: Header=BB348_15 Depth=2
	scratch_load_dword v13, v2, off
	s_waitcnt vmcnt(0)
	v_add_f32_e32 v3, v3, v13
	global_store_dwordx2 v[8:9], v[10:11], off offset:16
	s_branch .LBB348_14
.LBB348_17:                             ;   in Loop: Header=BB348_5 Depth=1
	s_or_b64 exec, exec, s[8:9]
	global_load_dwordx2 v[6:7], v[6:7], off offset:24
	v_mov_b32_e32 v2, 0
	s_mov_b32 s13, 0
	s_mov_b64 s[8:9], 0
	s_mov_b32 s17, 0
	s_waitcnt vmcnt(0)
	v_ashrrev_i32_e32 v7, 31, v6
	s_branch .LBB348_19
.LBB348_18:                             ;   in Loop: Header=BB348_19 Depth=2
	s_or_b64 exec, exec, s[10:11]
	s_add_i32 s18, s17, 1
	s_cmp_gt_u32 s17, 4
	s_cselect_b64 s[2:3], -1, 0
	s_xor_b64 s[10:11], vcc, -1
	s_or_b64 s[2:3], s[10:11], s[2:3]
	s_add_i32 s13, s13, 64
	s_and_b64 s[2:3], exec, s[2:3]
	v_add_u32_e32 v2, 4, v2
	s_or_b64 s[8:9], s[2:3], s[8:9]
	s_mov_b32 s17, s18
	s_andn2_b64 exec, exec, s[8:9]
	s_cbranch_execz .LBB348_4
.LBB348_19:                             ;   Parent Loop BB348_5 Depth=1
                                        ; =>  This Inner Loop Header: Depth=2
	s_and_b32 s2, s17, 1
	s_and_b32 s3, s13, 0x180
	s_or_b32 s2, s2, s3
	v_or_b32_e32 v10, s2, v12
	v_cmp_ne_u32_e32 vcc, v10, v6
	v_cmp_eq_u32_e64 s[2:3], v10, v6
	s_and_saveexec_b64 s[10:11], s[2:3]
	s_cbranch_execz .LBB348_18
; %bb.20:                               ;   in Loop: Header=BB348_19 Depth=2
	scratch_load_dword v10, v2, off
	s_waitcnt vmcnt(0)
	v_add_f32_e32 v3, v3, v10
	global_store_dwordx2 v[8:9], v[6:7], off offset:24
	s_branch .LBB348_18
.LBB348_21:
	s_and_b32 s10, s12, 3
	s_cmp_eq_u32 s10, 0
	s_mov_b32 s17, 0
	s_cbranch_scc1 .LBB348_28
; %bb.22:
	s_mov_b32 s11, s17
	s_branch .LBB348_24
.LBB348_23:                             ;   in Loop: Header=BB348_24 Depth=1
	s_or_b64 exec, exec, s[6:7]
	s_add_i32 s16, s16, 1
	s_add_i32 s11, s11, 1
	s_cmp_lg_u32 s11, s10
	s_cbranch_scc0 .LBB348_28
.LBB348_24:                             ; =>This Loop Header: Depth=1
                                        ;     Child Loop BB348_26 Depth 2
	v_lshl_add_u64 v[6:7], s[16:17], 3, v[4:5]
	global_load_dwordx2 v[6:7], v[6:7], off
	v_add_u32_e32 v8, s16, v0
	v_ashrrev_i32_e32 v9, 31, v8
	v_mov_b32_e32 v1, 0
	s_mov_b32 s13, 0
	s_mov_b64 s[6:7], 0
	s_waitcnt lgkmcnt(0)
	v_lshl_add_u64 v[8:9], v[8:9], 3, s[4:5]
	s_mov_b32 s18, 0
	s_waitcnt vmcnt(0)
	v_ashrrev_i32_e32 v7, 31, v6
	s_branch .LBB348_26
.LBB348_25:                             ;   in Loop: Header=BB348_26 Depth=2
	s_or_b64 exec, exec, s[8:9]
	s_add_i32 s19, s18, 1
	s_cmp_gt_u32 s18, 4
	s_cselect_b64 s[2:3], -1, 0
	s_xor_b64 s[8:9], vcc, -1
	s_or_b64 s[2:3], s[8:9], s[2:3]
	s_add_i32 s13, s13, 64
	s_and_b64 s[2:3], exec, s[2:3]
	v_add_u32_e32 v1, 4, v1
	s_or_b64 s[6:7], s[2:3], s[6:7]
	s_mov_b32 s18, s19
	s_andn2_b64 exec, exec, s[6:7]
	s_cbranch_execz .LBB348_23
.LBB348_26:                             ;   Parent Loop BB348_24 Depth=1
                                        ; =>  This Inner Loop Header: Depth=2
	s_and_b32 s2, s18, 1
	s_and_b32 s3, s13, 0x180
	s_or_b32 s2, s2, s3
	v_or_b32_e32 v2, s2, v12
	v_cmp_ne_u32_e32 vcc, v2, v6
	v_cmp_eq_u32_e64 s[2:3], v2, v6
	s_and_saveexec_b64 s[8:9], s[2:3]
	s_cbranch_execz .LBB348_25
; %bb.27:                               ;   in Loop: Header=BB348_26 Depth=2
	scratch_load_dword v2, v1, off
	s_waitcnt vmcnt(0)
	v_add_f32_e32 v3, v3, v2
	global_store_dwordx2 v[8:9], v[6:7], off
	s_branch .LBB348_25
.LBB348_28:
	s_waitcnt lgkmcnt(0)
	s_load_dword s4, s[0:1], 0x3c
	s_waitcnt lgkmcnt(0)
	s_bitcmp1_b32 s4, 0
	s_cselect_b64 s[2:3], -1, 0
	s_bitcmp0_b32 s4, 0
	s_cbranch_scc0 .LBB348_32
; %bb.29:
	s_load_dwordx2 s[4:5], s[0:1], 0x40
	s_andn2_b64 vcc, exec, s[2:3]
	s_waitcnt lgkmcnt(0)
	v_cvt_f32_f64_e32 v8, s[4:5]
	s_cbranch_vccz .LBB348_33
.LBB348_30:
	s_andn2_b64 vcc, exec, s[14:15]
	s_cbranch_vccz .LBB348_34
.LBB348_31:
	s_endpgm
.LBB348_32:
	v_mbcnt_lo_u32_b32 v1, -1, 0
	v_mbcnt_hi_u32_b32 v1, -1, v1
	v_and_b32_e32 v2, 64, v1
	v_add_u32_e32 v2, 64, v2
	v_xor_b32_e32 v6, 32, v1
	v_cmp_lt_i32_e32 vcc, v6, v2
	v_xor_b32_e32 v7, 16, v1
	s_nop 0
	v_cndmask_b32_e32 v6, v1, v6, vcc
	v_lshlrev_b32_e32 v6, 2, v6
	ds_bpermute_b32 v6, v6, v3
	v_cmp_lt_i32_e32 vcc, v7, v2
	s_waitcnt lgkmcnt(0)
	v_add_f32_e32 v3, v3, v6
	v_cndmask_b32_e32 v6, v1, v7, vcc
	v_lshlrev_b32_e32 v6, 2, v6
	ds_bpermute_b32 v6, v6, v3
	v_xor_b32_e32 v7, 8, v1
	v_cmp_lt_i32_e32 vcc, v7, v2
	s_waitcnt lgkmcnt(0)
	v_add_f32_e32 v3, v3, v6
	v_cndmask_b32_e32 v6, v1, v7, vcc
	v_lshlrev_b32_e32 v6, 2, v6
	ds_bpermute_b32 v6, v6, v3
	v_xor_b32_e32 v7, 4, v1
	;; [unrolled: 7-line block ×4, first 2 shown]
	v_cmp_lt_i32_e32 vcc, v7, v2
	s_waitcnt lgkmcnt(0)
	v_add_f32_e32 v3, v3, v6
	v_cndmask_b32_e32 v1, v1, v7, vcc
	v_lshlrev_b32_e32 v1, 2, v1
	ds_bpermute_b32 v1, v1, v3
	s_waitcnt lgkmcnt(0)
	v_add_f32_e32 v3, v3, v1
	s_load_dwordx2 s[4:5], s[0:1], 0x40
	s_andn2_b64 vcc, exec, s[2:3]
	s_waitcnt lgkmcnt(0)
	v_cvt_f32_f64_e32 v8, s[4:5]
	s_cbranch_vccnz .LBB348_30
.LBB348_33:
	v_cmp_lt_f32_e32 vcc, 0, v3
	s_nop 1
	v_cndmask_b32_e32 v1, 1.0, v3, vcc
	v_div_scale_f32 v2, s[2:3], v1, v1, v8
	v_rcp_f32_e32 v3, v2
	s_nop 0
	v_fma_f32 v6, -v2, v3, 1.0
	v_fmac_f32_e32 v3, v6, v3
	v_div_scale_f32 v6, vcc, v8, v1, v8
	v_mul_f32_e32 v7, v6, v3
	v_fma_f32 v9, -v2, v7, v6
	v_fmac_f32_e32 v7, v9, v3
	v_fma_f32 v2, -v2, v7, v6
	v_div_fmas_f32 v2, v2, v3, v7
	v_div_fixup_f32 v8, v2, v1, v8
	s_andn2_b64 vcc, exec, s[14:15]
	s_cbranch_vccnz .LBB348_31
.LBB348_34:
	s_load_dwordx2 s[8:9], s[0:1], 0x10
	v_mov_b32_e32 v1, 0
	v_or_b32_e32 v16, 4, v1
	v_or_b32_e32 v14, 8, v1
	;; [unrolled: 1-line block ×3, first 2 shown]
	v_add_u32_e32 v9, 16, v1
	v_add_u32_e32 v10, 20, v1
	v_or_b32_e32 v19, 1, v12
	v_or_b32_e32 v18, 0x80, v12
	;; [unrolled: 1-line block ×5, first 2 shown]
	s_cmp_eq_u32 s12, 1
	s_mov_b32 s10, 0
	s_cbranch_scc1 .LBB348_61
; %bb.35:
	v_ashrrev_i32_e32 v1, 31, v0
	s_waitcnt lgkmcnt(0)
	v_lshl_add_u64 v[2:3], v[0:1], 2, s[8:9]
	s_and_b32 s10, s12, 0x7ffffffe
	v_lshl_add_u64 v[2:3], v[2:3], 0, 4
	v_lshl_add_u64 v[6:7], v[4:5], 0, 8
	s_mov_b32 s11, 0
	s_branch .LBB348_37
.LBB348_36:                             ;   in Loop: Header=BB348_37 Depth=1
	s_or_b64 exec, exec, s[0:1]
	s_add_i32 s11, s11, 2
	v_lshl_add_u64 v[2:3], v[2:3], 0, 8
	s_cmp_eq_u32 s10, s11
	v_lshl_add_u64 v[6:7], v[6:7], 0, 16
	s_cbranch_scc1 .LBB348_61
.LBB348_37:                             ; =>This Inner Loop Header: Depth=1
	global_load_dword v20, v[6:7], off offset:-8
	v_mov_b32_e32 v1, 0
	s_waitcnt vmcnt(0)
	v_cmp_eq_u32_e32 vcc, v12, v20
	v_cmp_ne_u32_e64 s[0:1], v12, v20
	s_and_saveexec_b64 s[14:15], s[0:1]
	s_cbranch_execz .LBB348_47
; %bb.38:                               ;   in Loop: Header=BB348_37 Depth=1
	v_cmp_eq_u32_e64 s[0:1], v19, v20
	v_cmp_ne_u32_e64 s[2:3], v19, v20
	v_mov_b32_e32 v1, v16
	s_and_saveexec_b64 s[16:17], s[2:3]
	s_cbranch_execz .LBB348_46
; %bb.39:                               ;   in Loop: Header=BB348_37 Depth=1
	v_cmp_eq_u32_e64 s[2:3], v18, v20
	v_cmp_ne_u32_e64 s[4:5], v18, v20
	v_mov_b32_e32 v1, v14
	;; [unrolled: 6-line block ×4, first 2 shown]
	s_and_saveexec_b64 s[24:25], s[6:7]
	s_xor_b64 s[24:25], exec, s[24:25]
; %bb.42:                               ;   in Loop: Header=BB348_37 Depth=1
	v_cmp_eq_u32_e64 s[6:7], v13, v20
	s_andn2_b64 s[22:23], s[22:23], exec
	s_and_b64 s[6:7], s[6:7], exec
	s_or_b64 s[22:23], s[22:23], s[6:7]
	v_mov_b32_e32 v1, v10
; %bb.43:                               ;   in Loop: Header=BB348_37 Depth=1
	s_or_b64 exec, exec, s[24:25]
	s_andn2_b64 s[4:5], s[4:5], exec
	s_and_b64 s[6:7], s[22:23], exec
	s_or_b64 s[4:5], s[4:5], s[6:7]
.LBB348_44:                             ;   in Loop: Header=BB348_37 Depth=1
	s_or_b64 exec, exec, s[20:21]
	s_andn2_b64 s[2:3], s[2:3], exec
	s_and_b64 s[4:5], s[4:5], exec
	s_or_b64 s[2:3], s[2:3], s[4:5]
.LBB348_45:                             ;   in Loop: Header=BB348_37 Depth=1
	s_or_b64 exec, exec, s[18:19]
	s_andn2_b64 s[0:1], s[0:1], exec
	s_and_b64 s[2:3], s[2:3], exec
	s_or_b64 s[0:1], s[0:1], s[2:3]
.LBB348_46:                             ;   in Loop: Header=BB348_37 Depth=1
	s_or_b64 exec, exec, s[16:17]
	s_andn2_b64 s[2:3], vcc, exec
	s_and_b64 s[0:1], s[0:1], exec
	s_or_b64 vcc, s[2:3], s[0:1]
.LBB348_47:                             ;   in Loop: Header=BB348_37 Depth=1
	s_or_b64 exec, exec, s[14:15]
	s_and_saveexec_b64 s[0:1], vcc
	s_cbranch_execz .LBB348_49
; %bb.48:                               ;   in Loop: Header=BB348_37 Depth=1
	scratch_load_dword v1, v1, off
	v_add_u32_e32 v20, s11, v0
	v_ashrrev_i32_e32 v21, 31, v20
	v_lshl_add_u64 v[20:21], v[20:21], 2, s[8:9]
	s_waitcnt vmcnt(0)
	v_mul_f32_e32 v1, v8, v1
	global_store_dword v[20:21], v1, off
.LBB348_49:                             ;   in Loop: Header=BB348_37 Depth=1
	s_or_b64 exec, exec, s[0:1]
	global_load_dword v20, v[6:7], off
	v_mov_b32_e32 v1, 0
	s_waitcnt vmcnt(0)
	v_cmp_eq_u32_e64 s[4:5], v12, v20
	v_cmp_ne_u32_e32 vcc, v12, v20
	s_and_saveexec_b64 s[6:7], vcc
	s_cbranch_execz .LBB348_59
; %bb.50:                               ;   in Loop: Header=BB348_37 Depth=1
	v_cmp_eq_u32_e32 vcc, v19, v20
	v_cmp_ne_u32_e64 s[0:1], v19, v20
	v_mov_b32_e32 v1, v16
	s_and_saveexec_b64 s[14:15], s[0:1]
	s_cbranch_execz .LBB348_58
; %bb.51:                               ;   in Loop: Header=BB348_37 Depth=1
	v_cmp_eq_u32_e64 s[0:1], v18, v20
	v_cmp_ne_u32_e64 s[2:3], v18, v20
	v_mov_b32_e32 v1, v14
	s_and_saveexec_b64 s[16:17], s[2:3]
	s_cbranch_execz .LBB348_57
; %bb.52:                               ;   in Loop: Header=BB348_37 Depth=1
	v_cmp_eq_u32_e64 s[18:19], v17, v20
	;; [unrolled: 6-line block ×3, first 2 shown]
	v_cmp_ne_u32_e64 s[2:3], v15, v20
	v_mov_b32_e32 v1, v9
	s_and_saveexec_b64 s[24:25], s[2:3]
; %bb.54:                               ;   in Loop: Header=BB348_37 Depth=1
	v_cmp_eq_u32_e64 s[2:3], v13, v20
	s_andn2_b64 s[22:23], s[22:23], exec
	s_and_b64 s[2:3], s[2:3], exec
	s_or_b64 s[22:23], s[22:23], s[2:3]
	v_mov_b32_e32 v1, v10
; %bb.55:                               ;   in Loop: Header=BB348_37 Depth=1
	s_or_b64 exec, exec, s[24:25]
	s_andn2_b64 s[2:3], s[18:19], exec
	s_and_b64 s[18:19], s[22:23], exec
	s_or_b64 s[18:19], s[2:3], s[18:19]
.LBB348_56:                             ;   in Loop: Header=BB348_37 Depth=1
	s_or_b64 exec, exec, s[20:21]
	s_andn2_b64 s[0:1], s[0:1], exec
	s_and_b64 s[2:3], s[18:19], exec
	s_or_b64 s[0:1], s[0:1], s[2:3]
.LBB348_57:                             ;   in Loop: Header=BB348_37 Depth=1
	s_or_b64 exec, exec, s[16:17]
	s_andn2_b64 s[2:3], vcc, exec
	s_and_b64 s[0:1], s[0:1], exec
	s_or_b64 vcc, s[2:3], s[0:1]
.LBB348_58:                             ;   in Loop: Header=BB348_37 Depth=1
	s_or_b64 exec, exec, s[14:15]
	s_andn2_b64 s[0:1], s[4:5], exec
	s_and_b64 s[2:3], vcc, exec
	s_or_b64 s[4:5], s[0:1], s[2:3]
.LBB348_59:                             ;   in Loop: Header=BB348_37 Depth=1
	s_or_b64 exec, exec, s[6:7]
	s_and_saveexec_b64 s[0:1], s[4:5]
	s_cbranch_execz .LBB348_36
; %bb.60:                               ;   in Loop: Header=BB348_37 Depth=1
	scratch_load_dword v1, v1, off
	s_waitcnt vmcnt(0)
	v_mul_f32_e32 v1, v8, v1
	global_store_dword v[2:3], v1, off
	s_branch .LBB348_36
.LBB348_61:
	s_bitcmp0_b32 s12, 0
	s_mov_b32 s11, 0
	s_cbranch_scc1 .LBB348_31
; %bb.62:
	v_lshl_add_u64 v[2:3], s[10:11], 3, v[4:5]
	global_load_dword v1, v[2:3], off
	v_mov_b32_e32 v2, 0
	s_waitcnt vmcnt(0)
	v_cmp_eq_u32_e64 s[4:5], v12, v1
	v_cmp_ne_u32_e32 vcc, v12, v1
	s_and_saveexec_b64 s[6:7], vcc
	s_cbranch_execz .LBB348_72
; %bb.63:
	v_cmp_eq_u32_e32 vcc, v19, v1
	v_cmp_ne_u32_e64 s[0:1], v19, v1
	s_and_saveexec_b64 s[12:13], s[0:1]
	s_cbranch_execz .LBB348_71
; %bb.64:
	v_cmp_eq_u32_e64 s[0:1], v18, v1
	v_cmp_ne_u32_e64 s[2:3], v18, v1
	s_and_saveexec_b64 s[14:15], s[2:3]
	s_cbranch_execz .LBB348_70
; %bb.65:
	v_cmp_eq_u32_e64 s[16:17], v17, v1
	;; [unrolled: 5-line block ×3, first 2 shown]
	v_cmp_ne_u32_e64 s[2:3], v15, v1
	s_and_saveexec_b64 s[22:23], s[2:3]
; %bb.67:
	v_cmp_eq_u32_e64 s[2:3], v13, v1
	s_andn2_b64 s[20:21], s[20:21], exec
	s_and_b64 s[2:3], s[2:3], exec
	s_or_b64 s[20:21], s[20:21], s[2:3]
	v_mov_b32_e32 v9, v10
; %bb.68:
	s_or_b64 exec, exec, s[22:23]
	s_andn2_b64 s[2:3], s[16:17], exec
	s_and_b64 s[16:17], s[20:21], exec
	s_or_b64 s[16:17], s[2:3], s[16:17]
	v_mov_b32_e32 v11, v9
.LBB348_69:
	s_or_b64 exec, exec, s[18:19]
	s_andn2_b64 s[0:1], s[0:1], exec
	s_and_b64 s[2:3], s[16:17], exec
	s_or_b64 s[0:1], s[0:1], s[2:3]
	v_mov_b32_e32 v14, v11
.LBB348_70:
	s_or_b64 exec, exec, s[14:15]
	s_andn2_b64 s[2:3], vcc, exec
	s_and_b64 s[0:1], s[0:1], exec
	s_or_b64 vcc, s[2:3], s[0:1]
	v_mov_b32_e32 v16, v14
.LBB348_71:
	s_or_b64 exec, exec, s[12:13]
	s_andn2_b64 s[0:1], s[4:5], exec
	s_and_b64 s[2:3], vcc, exec
	s_or_b64 s[4:5], s[0:1], s[2:3]
	v_mov_b32_e32 v2, v16
.LBB348_72:
	s_or_b64 exec, exec, s[6:7]
	s_and_b64 exec, exec, s[4:5]
	s_cbranch_execz .LBB348_31
; %bb.73:
	scratch_load_dword v2, v2, off
	v_add_u32_e32 v0, s10, v0
	v_ashrrev_i32_e32 v1, 31, v0
	s_waitcnt lgkmcnt(0)
	v_lshl_add_u64 v[0:1], v[0:1], 2, s[8:9]
	s_waitcnt vmcnt(0)
	v_mul_f32_e32 v2, v8, v2
	global_store_dword v[0:1], v2, off
	s_endpgm
	.section	.rodata,"a",@progbits
	.p2align	6, 0x0
	.amdhsa_kernel _ZN4vllm3moe22topkGatingSoftplusSqrtILi6ELi384ELi4ELi4ELi64ELb1El6__halfEEvPKT6_PKbPfiPT5_PiiiibdPKfPKS9_SF_
		.amdhsa_group_segment_fixed_size 0
		.amdhsa_private_segment_fixed_size 32
		.amdhsa_kernarg_size 96
		.amdhsa_user_sgpr_count 2
		.amdhsa_user_sgpr_dispatch_ptr 0
		.amdhsa_user_sgpr_queue_ptr 0
		.amdhsa_user_sgpr_kernarg_segment_ptr 1
		.amdhsa_user_sgpr_dispatch_id 0
		.amdhsa_user_sgpr_kernarg_preload_length 0
		.amdhsa_user_sgpr_kernarg_preload_offset 0
		.amdhsa_user_sgpr_private_segment_size 0
		.amdhsa_uses_dynamic_stack 0
		.amdhsa_enable_private_segment 1
		.amdhsa_system_sgpr_workgroup_id_x 1
		.amdhsa_system_sgpr_workgroup_id_y 0
		.amdhsa_system_sgpr_workgroup_id_z 0
		.amdhsa_system_sgpr_workgroup_info 0
		.amdhsa_system_vgpr_workitem_id 1
		.amdhsa_next_free_vgpr 27
		.amdhsa_next_free_sgpr 26
		.amdhsa_accum_offset 28
		.amdhsa_reserve_vcc 1
		.amdhsa_float_round_mode_32 0
		.amdhsa_float_round_mode_16_64 0
		.amdhsa_float_denorm_mode_32 3
		.amdhsa_float_denorm_mode_16_64 3
		.amdhsa_dx10_clamp 1
		.amdhsa_ieee_mode 1
		.amdhsa_fp16_overflow 0
		.amdhsa_tg_split 0
		.amdhsa_exception_fp_ieee_invalid_op 0
		.amdhsa_exception_fp_denorm_src 0
		.amdhsa_exception_fp_ieee_div_zero 0
		.amdhsa_exception_fp_ieee_overflow 0
		.amdhsa_exception_fp_ieee_underflow 0
		.amdhsa_exception_fp_ieee_inexact 0
		.amdhsa_exception_int_div_zero 0
	.end_amdhsa_kernel
	.section	.text._ZN4vllm3moe22topkGatingSoftplusSqrtILi6ELi384ELi4ELi4ELi64ELb1El6__halfEEvPKT6_PKbPfiPT5_PiiiibdPKfPKS9_SF_,"axG",@progbits,_ZN4vllm3moe22topkGatingSoftplusSqrtILi6ELi384ELi4ELi4ELi64ELb1El6__halfEEvPKT6_PKbPfiPT5_PiiiibdPKfPKS9_SF_,comdat
.Lfunc_end348:
	.size	_ZN4vllm3moe22topkGatingSoftplusSqrtILi6ELi384ELi4ELi4ELi64ELb1El6__halfEEvPKT6_PKbPfiPT5_PiiiibdPKfPKS9_SF_, .Lfunc_end348-_ZN4vllm3moe22topkGatingSoftplusSqrtILi6ELi384ELi4ELi4ELi64ELb1El6__halfEEvPKT6_PKbPfiPT5_PiiiibdPKfPKS9_SF_
                                        ; -- End function
	.section	.AMDGPU.csdata,"",@progbits
; Kernel info:
; codeLenInByte = 4088
; NumSgprs: 32
; NumVgprs: 27
; NumAgprs: 0
; TotalNumVgprs: 27
; ScratchSize: 32
; MemoryBound: 0
; FloatMode: 240
; IeeeMode: 1
; LDSByteSize: 0 bytes/workgroup (compile time only)
; SGPRBlocks: 3
; VGPRBlocks: 3
; NumSGPRsForWavesPerEU: 32
; NumVGPRsForWavesPerEU: 27
; AccumOffset: 28
; Occupancy: 8
; WaveLimiterHint : 1
; COMPUTE_PGM_RSRC2:SCRATCH_EN: 1
; COMPUTE_PGM_RSRC2:USER_SGPR: 2
; COMPUTE_PGM_RSRC2:TRAP_HANDLER: 0
; COMPUTE_PGM_RSRC2:TGID_X_EN: 1
; COMPUTE_PGM_RSRC2:TGID_Y_EN: 0
; COMPUTE_PGM_RSRC2:TGID_Z_EN: 0
; COMPUTE_PGM_RSRC2:TIDIG_COMP_CNT: 1
; COMPUTE_PGM_RSRC3_GFX90A:ACCUM_OFFSET: 6
; COMPUTE_PGM_RSRC3_GFX90A:TG_SPLIT: 0
	.section	.text._ZN4vllm3moe22topkGatingSoftplusSqrtILi6ELi384ELi4ELi4ELi64ELb0El6__halfEEvPKT6_PKbPfiPT5_PiiiibdPKfPKS9_SF_,"axG",@progbits,_ZN4vllm3moe22topkGatingSoftplusSqrtILi6ELi384ELi4ELi4ELi64ELb0El6__halfEEvPKT6_PKbPfiPT5_PiiiibdPKfPKS9_SF_,comdat
	.protected	_ZN4vllm3moe22topkGatingSoftplusSqrtILi6ELi384ELi4ELi4ELi64ELb0El6__halfEEvPKT6_PKbPfiPT5_PiiiibdPKfPKS9_SF_ ; -- Begin function _ZN4vllm3moe22topkGatingSoftplusSqrtILi6ELi384ELi4ELi4ELi64ELb0El6__halfEEvPKT6_PKbPfiPT5_PiiiibdPKfPKS9_SF_
	.globl	_ZN4vllm3moe22topkGatingSoftplusSqrtILi6ELi384ELi4ELi4ELi64ELb0El6__halfEEvPKT6_PKbPfiPT5_PiiiibdPKfPKS9_SF_
	.p2align	8
	.type	_ZN4vllm3moe22topkGatingSoftplusSqrtILi6ELi384ELi4ELi4ELi64ELb0El6__halfEEvPKT6_PKbPfiPT5_PiiiibdPKfPKS9_SF_,@function
_ZN4vllm3moe22topkGatingSoftplusSqrtILi6ELi384ELi4ELi4ELi64ELb0El6__halfEEvPKT6_PKbPfiPT5_PiiiibdPKfPKS9_SF_: ; @_ZN4vllm3moe22topkGatingSoftplusSqrtILi6ELi384ELi4ELi4ELi64ELb0El6__halfEEvPKT6_PKbPfiPT5_PiiiibdPKfPKS9_SF_
; %bb.0:
	s_load_dword s30, s[0:1], 0x18
	v_and_b32_e32 v1, 0x3ff, v0
	s_lshl_b32 s2, s2, 2
	v_lshrrev_b32_e32 v2, 6, v1
	v_bfe_u32 v0, v0, 10, 10
	v_add3_u32 v6, s2, v0, v2
	s_waitcnt lgkmcnt(0)
	v_cmp_gt_i32_e32 vcc, s30, v6
	s_and_saveexec_b64 s[2:3], vcc
	s_cbranch_execz .LBB349_65
; %bb.1:
	s_load_dwordx4 s[4:7], s[0:1], 0x0
	s_load_dwordx2 s[20:21], s[0:1], 0x10
	s_waitcnt lgkmcnt(0)
	s_cmp_eq_u64 s[6:7], 0
	s_cbranch_scc1 .LBB349_3
; %bb.2:
	v_ashrrev_i32_e32 v7, 31, v6
	v_lshl_add_u64 v[2:3], s[6:7], 0, v[6:7]
	global_load_ubyte v0, v[2:3], off
	s_waitcnt vmcnt(0)
	v_and_b32_e32 v0, 1, v0
	v_cmp_eq_u32_e32 vcc, 1, v0
	s_xor_b64 s[2:3], vcc, -1
	s_orn2_b64 s[22:23], s[2:3], exec
	s_branch .LBB349_4
.LBB349_3:
	s_mov_b64 s[22:23], -1
.LBB349_4:
	s_movk_i32 s2, 0x180
	v_mul_lo_u32 v4, v6, s2
	v_mov_b32_e32 v2, s4
	v_mov_b32_e32 v3, s5
	v_ashrrev_i32_e32 v5, 31, v4
	v_and_b32_e32 v7, 63, v1
	v_lshl_add_u64 v[2:3], v[4:5], 1, v[2:3]
	v_mov_b32_e32 v1, 0
	v_lshlrev_b32_e32 v0, 2, v7
	v_lshl_add_u64 v[8:9], v[2:3], 0, v[0:1]
	global_load_dword v1, v[8:9], off
	global_load_dword v3, v[8:9], off offset:256
	global_load_dword v5, v[8:9], off offset:512
	s_mov_b32 s16, 0x800000
	v_mov_b32_e32 v4, 0x4f800000
	s_mov_b32 s13, 0x3f317217
	s_mov_b32 s14, 0x7f800000
	v_mov_b32_e32 v9, 0x41b17218
	s_movk_i32 s12, 0x4d00
	s_mov_b32 s15, 0xf800000
	s_load_dwordx4 s[8:11], s[0:1], 0x40
	s_waitcnt lgkmcnt(0)
	s_cmp_lg_u64 s[10:11], 0
	s_cselect_b64 s[6:7], -1, 0
	s_and_b64 s[2:3], exec, s[6:7]
	s_waitcnt vmcnt(2)
	v_cvt_f32_f16_e32 v0, v1
	v_mul_f32_e32 v2, 0x3fb8aa3b, v0
	v_exp_f32_e32 v8, v2
	v_mov_b32_e32 v2, 0x260
	v_add_f32_e32 v8, 1.0, v8
	v_cmp_gt_f32_e32 vcc, s16, v8
	s_nop 1
	v_cndmask_b32_e32 v10, 1.0, v4, vcc
	v_mul_f32_e32 v8, v8, v10
	v_log_f32_e32 v11, v8
	v_cndmask_b32_e32 v12, 0, v9, vcc
	v_lshlrev_b32_e32 v10, 1, v7
	v_lshlrev_b32_e32 v8, 2, v10
	v_mul_f32_e32 v13, 0x3f317217, v11
	v_fma_f32 v13, v11, s13, -v13
	v_fmac_f32_e32 v13, 0x3377d1cf, v11
	v_fmac_f32_e32 v13, 0x3f317217, v11
	v_cmp_lt_f32_e64 vcc, |v11|, s14
	s_nop 1
	v_cndmask_b32_e32 v11, v11, v13, vcc
	v_sub_f32_e32 v11, v11, v12
	v_cmp_lt_f16_e32 vcc, s12, v1
	s_nop 1
	v_cndmask_b32_e32 v0, v11, v0, vcc
	v_mul_f32_e32 v11, 0x4f800000, v0
	v_cmp_gt_f32_e32 vcc, s15, v0
	s_nop 1
	v_cndmask_b32_e32 v0, v0, v11, vcc
	v_sqrt_f32_e32 v11, v0
	s_nop 0
	v_add_u32_e32 v12, -1, v11
	v_add_u32_e32 v13, 1, v11
	v_fma_f32 v14, -v12, v11, v0
	v_fma_f32 v15, -v13, v11, v0
	v_cmp_ge_f32_e64 s[4:5], 0, v14
	s_nop 1
	v_cndmask_b32_e64 v11, v11, v12, s[4:5]
	v_cmp_lt_f32_e64 s[4:5], 0, v15
	s_nop 1
	v_cndmask_b32_e64 v11, v11, v13, s[4:5]
	v_mul_f32_e32 v12, 0x37800000, v11
	v_cndmask_b32_e32 v11, v11, v12, vcc
	v_cmp_class_f32_e32 vcc, v0, v2
	s_nop 1
	v_cndmask_b32_e32 v0, v11, v0, vcc
	s_mov_b64 vcc, s[2:3]
	s_cbranch_vccz .LBB349_6
; %bb.5:
	global_load_dword v11, v8, s[10:11]
	s_waitcnt vmcnt(0)
	v_add_f32_e32 v0, v0, v11
.LBB349_6:
	v_cvt_f32_f16_sdwa v11, v1 dst_sel:DWORD dst_unused:UNUSED_PAD src0_sel:WORD_1
	v_mul_f32_e32 v12, 0x3fb8aa3b, v11
	v_exp_f32_e32 v12, v12
	s_nop 0
	v_add_f32_e32 v12, 1.0, v12
	v_cmp_gt_f32_e32 vcc, s16, v12
	s_nop 1
	v_cndmask_b32_e32 v4, 1.0, v4, vcc
	v_mul_f32_e32 v4, v12, v4
	v_log_f32_e32 v4, v4
	v_cndmask_b32_e32 v9, 0, v9, vcc
	v_mul_f32_e32 v12, 0x3f317217, v4
	v_fma_f32 v12, v4, s13, -v12
	v_fmac_f32_e32 v12, 0x3377d1cf, v4
	v_fmac_f32_e32 v12, 0x3f317217, v4
	v_cmp_lt_f32_e64 vcc, |v4|, s14
	s_nop 1
	v_cndmask_b32_e32 v4, v4, v12, vcc
	v_sub_f32_e32 v4, v4, v9
	v_cmp_gt_f16_sdwa vcc, v1, s12 src0_sel:WORD_1 src1_sel:DWORD
	v_cndmask_b32_e64 v9, 0, 1, s[6:7]
	v_cmp_ne_u32_e64 s[2:3], 1, v9
	v_cndmask_b32_e32 v1, v4, v11, vcc
	v_mul_f32_e32 v4, 0x4f800000, v1
	v_cmp_gt_f32_e64 s[4:5], s15, v1
	s_andn2_b64 vcc, exec, s[6:7]
	s_nop 0
	v_cndmask_b32_e64 v1, v1, v4, s[4:5]
	v_sqrt_f32_e32 v4, v1
	s_nop 0
	v_add_u32_e32 v9, -1, v4
	v_add_u32_e32 v11, 1, v4
	v_fma_f32 v12, -v9, v4, v1
	v_fma_f32 v13, -v11, v4, v1
	v_cmp_ge_f32_e64 s[6:7], 0, v12
	s_nop 1
	v_cndmask_b32_e64 v4, v4, v9, s[6:7]
	v_cmp_lt_f32_e64 s[6:7], 0, v13
	s_nop 1
	v_cndmask_b32_e64 v4, v4, v11, s[6:7]
	v_mul_f32_e32 v9, 0x37800000, v4
	v_cndmask_b32_e64 v4, v4, v9, s[4:5]
	v_cmp_class_f32_e64 s[4:5], v1, v2
	s_nop 1
	v_cndmask_b32_e64 v1, v4, v1, s[4:5]
	s_cbranch_vccnz .LBB349_8
; %bb.7:
	global_load_dword v2, v8, s[10:11] offset:4
	s_waitcnt vmcnt(0)
	v_add_f32_e32 v1, v1, v2
.LBB349_8:
	s_waitcnt vmcnt(1)
	v_cvt_f32_f16_e32 v2, v3
	s_mov_b32 s12, 0x800000
	v_mov_b32_e32 v9, 0x4f800000
	s_mov_b32 s7, 0x3f317217
	v_mul_f32_e32 v4, 0x3fb8aa3b, v2
	v_exp_f32_e32 v4, v4
	s_mov_b32 s13, 0x7f800000
	s_movk_i32 s6, 0x4d00
	s_mov_b32 s14, 0xf800000
	v_add_f32_e32 v4, 1.0, v4
	v_cmp_gt_f32_e32 vcc, s12, v4
	s_nop 1
	v_cndmask_b32_e32 v11, 1.0, v9, vcc
	v_mul_f32_e32 v4, v4, v11
	v_log_f32_e32 v4, v4
	v_mov_b32_e32 v11, 0x41b17218
	v_cndmask_b32_e32 v12, 0, v11, vcc
	v_mul_f32_e32 v13, 0x3f317217, v4
	v_fma_f32 v13, v4, s7, -v13
	v_fmac_f32_e32 v13, 0x3377d1cf, v4
	v_fmac_f32_e32 v13, 0x3f317217, v4
	v_cmp_lt_f32_e64 vcc, |v4|, s13
	s_nop 1
	v_cndmask_b32_e32 v4, v4, v13, vcc
	v_sub_f32_e32 v4, v4, v12
	v_cmp_lt_f16_e32 vcc, s6, v3
	s_nop 1
	v_cndmask_b32_e32 v2, v4, v2, vcc
	v_mul_f32_e32 v4, 0x4f800000, v2
	v_cmp_gt_f32_e32 vcc, s14, v2
	s_nop 1
	v_cndmask_b32_e32 v2, v2, v4, vcc
	v_sqrt_f32_e32 v4, v2
	s_nop 0
	v_add_u32_e32 v12, -1, v4
	v_fma_f32 v13, -v12, v4, v2
	v_cmp_ge_f32_e64 s[4:5], 0, v13
	v_add_u32_e32 v13, 1, v4
	s_nop 0
	v_cndmask_b32_e64 v12, v4, v12, s[4:5]
	v_fma_f32 v4, -v13, v4, v2
	v_cmp_lt_f32_e64 s[4:5], 0, v4
	s_nop 1
	v_cndmask_b32_e64 v4, v12, v13, s[4:5]
	v_mul_f32_e32 v12, 0x37800000, v4
	v_cndmask_b32_e32 v12, v4, v12, vcc
	v_mov_b32_e32 v4, 0x260
	v_cmp_class_f32_e64 s[4:5], v2, v4
	s_and_b64 vcc, exec, s[2:3]
	s_nop 0
	v_cndmask_b32_e64 v2, v12, v2, s[4:5]
	s_cbranch_vccnz .LBB349_10
; %bb.9:
	global_load_dword v12, v8, s[10:11] offset:512
	s_waitcnt vmcnt(0)
	v_add_f32_e32 v2, v2, v12
.LBB349_10:
	v_cvt_f32_f16_sdwa v12, v3 dst_sel:DWORD dst_unused:UNUSED_PAD src0_sel:WORD_1
	v_mul_f32_e32 v13, 0x3fb8aa3b, v12
	v_exp_f32_e32 v13, v13
	s_nop 0
	v_add_f32_e32 v13, 1.0, v13
	v_cmp_gt_f32_e32 vcc, s12, v13
	s_nop 1
	v_cndmask_b32_e32 v9, 1.0, v9, vcc
	v_mul_f32_e32 v9, v13, v9
	v_log_f32_e32 v9, v9
	v_cndmask_b32_e32 v11, 0, v11, vcc
	v_mul_f32_e32 v13, 0x3f317217, v9
	v_fma_f32 v13, v9, s7, -v13
	v_fmac_f32_e32 v13, 0x3377d1cf, v9
	v_fmac_f32_e32 v13, 0x3f317217, v9
	v_cmp_lt_f32_e64 vcc, |v9|, s13
	s_nop 1
	v_cndmask_b32_e32 v9, v9, v13, vcc
	v_sub_f32_e32 v9, v9, v11
	v_cmp_gt_f16_sdwa vcc, v3, s6 src0_sel:WORD_1 src1_sel:DWORD
	s_nop 1
	v_cndmask_b32_e32 v3, v9, v12, vcc
	v_mul_f32_e32 v9, 0x4f800000, v3
	v_cmp_gt_f32_e64 s[4:5], s14, v3
	s_and_b64 vcc, exec, s[2:3]
	s_nop 0
	v_cndmask_b32_e64 v3, v3, v9, s[4:5]
	v_sqrt_f32_e32 v9, v3
	s_nop 0
	v_add_u32_e32 v11, -1, v9
	v_add_u32_e32 v12, 1, v9
	v_fma_f32 v13, -v11, v9, v3
	v_fma_f32 v14, -v12, v9, v3
	v_cmp_ge_f32_e64 s[6:7], 0, v13
	s_nop 1
	v_cndmask_b32_e64 v9, v9, v11, s[6:7]
	v_cmp_lt_f32_e64 s[6:7], 0, v14
	s_nop 1
	v_cndmask_b32_e64 v9, v9, v12, s[6:7]
	v_mul_f32_e32 v11, 0x37800000, v9
	v_cndmask_b32_e64 v9, v9, v11, s[4:5]
	v_cmp_class_f32_e64 s[4:5], v3, v4
	s_nop 1
	v_cndmask_b32_e64 v3, v9, v3, s[4:5]
	s_cbranch_vccnz .LBB349_12
; %bb.11:
	global_load_dword v4, v8, s[10:11] offset:516
	s_waitcnt vmcnt(0)
	v_add_f32_e32 v3, v3, v4
.LBB349_12:
	s_waitcnt vmcnt(0)
	v_cvt_f32_f16_e32 v4, v5
	v_mov_b32_e32 v11, 0x4f800000
	s_mov_b32 s7, 0x3f317217
	s_movk_i32 s6, 0x4d00
	v_mul_f32_e32 v9, 0x3fb8aa3b, v4
	v_exp_f32_e32 v9, v9
	s_nop 0
	v_add_f32_e32 v9, 1.0, v9
	v_cmp_gt_f32_e32 vcc, s12, v9
	s_nop 1
	v_cndmask_b32_e32 v12, 1.0, v11, vcc
	v_mul_f32_e32 v9, v9, v12
	v_log_f32_e32 v9, v9
	v_mov_b32_e32 v12, 0x41b17218
	v_cndmask_b32_e32 v13, 0, v12, vcc
	v_mul_f32_e32 v14, 0x3f317217, v9
	v_fma_f32 v14, v9, s7, -v14
	v_fmac_f32_e32 v14, 0x3377d1cf, v9
	v_fmac_f32_e32 v14, 0x3f317217, v9
	v_cmp_lt_f32_e64 vcc, |v9|, s13
	s_nop 1
	v_cndmask_b32_e32 v9, v9, v14, vcc
	v_sub_f32_e32 v9, v9, v13
	v_cmp_lt_f16_e32 vcc, s6, v5
	s_nop 1
	v_cndmask_b32_e32 v4, v9, v4, vcc
	v_mul_f32_e32 v9, 0x4f800000, v4
	v_cmp_gt_f32_e32 vcc, s14, v4
	s_nop 1
	v_cndmask_b32_e32 v4, v4, v9, vcc
	v_sqrt_f32_e32 v9, v4
	s_nop 0
	v_add_u32_e32 v13, -1, v9
	v_fma_f32 v14, -v13, v9, v4
	v_cmp_ge_f32_e64 s[4:5], 0, v14
	v_add_u32_e32 v14, 1, v9
	s_nop 0
	v_cndmask_b32_e64 v13, v9, v13, s[4:5]
	v_fma_f32 v9, -v14, v9, v4
	v_cmp_lt_f32_e64 s[4:5], 0, v9
	s_nop 1
	v_cndmask_b32_e64 v9, v13, v14, s[4:5]
	v_mul_f32_e32 v13, 0x37800000, v9
	v_cndmask_b32_e32 v13, v9, v13, vcc
	v_mov_b32_e32 v9, 0x260
	v_cmp_class_f32_e64 s[4:5], v4, v9
	s_and_b64 vcc, exec, s[2:3]
	s_nop 0
	v_cndmask_b32_e64 v4, v13, v4, s[4:5]
	s_cbranch_vccnz .LBB349_14
; %bb.13:
	global_load_dword v13, v8, s[10:11] offset:1024
	s_waitcnt vmcnt(0)
	v_add_f32_e32 v4, v4, v13
.LBB349_14:
	v_cvt_f32_f16_sdwa v13, v5 dst_sel:DWORD dst_unused:UNUSED_PAD src0_sel:WORD_1
	v_mul_f32_e32 v14, 0x3fb8aa3b, v13
	v_exp_f32_e32 v14, v14
	s_nop 0
	v_add_f32_e32 v14, 1.0, v14
	v_cmp_gt_f32_e32 vcc, s12, v14
	s_nop 1
	v_cndmask_b32_e32 v11, 1.0, v11, vcc
	v_mul_f32_e32 v11, v14, v11
	v_log_f32_e32 v11, v11
	v_cndmask_b32_e32 v12, 0, v12, vcc
	v_mul_f32_e32 v14, 0x3f317217, v11
	v_fma_f32 v14, v11, s7, -v14
	v_fmac_f32_e32 v14, 0x3377d1cf, v11
	v_fmac_f32_e32 v14, 0x3f317217, v11
	v_cmp_lt_f32_e64 vcc, |v11|, s13
	s_nop 1
	v_cndmask_b32_e32 v11, v11, v14, vcc
	v_sub_f32_e32 v11, v11, v12
	v_cmp_gt_f16_sdwa vcc, v5, s6 src0_sel:WORD_1 src1_sel:DWORD
	s_nop 1
	v_cndmask_b32_e32 v5, v11, v13, vcc
	v_mul_f32_e32 v11, 0x4f800000, v5
	v_cmp_gt_f32_e64 s[4:5], s14, v5
	s_and_b64 vcc, exec, s[2:3]
	s_nop 0
	v_cndmask_b32_e64 v5, v5, v11, s[4:5]
	v_sqrt_f32_e32 v11, v5
	s_nop 0
	v_add_u32_e32 v12, -1, v11
	v_add_u32_e32 v13, 1, v11
	v_fma_f32 v14, -v12, v11, v5
	v_fma_f32 v15, -v13, v11, v5
	v_cmp_ge_f32_e64 s[6:7], 0, v14
	s_nop 1
	v_cndmask_b32_e64 v11, v11, v12, s[6:7]
	v_cmp_lt_f32_e64 s[6:7], 0, v15
	s_nop 1
	v_cndmask_b32_e64 v11, v11, v13, s[6:7]
	v_mul_f32_e32 v12, 0x37800000, v11
	v_cndmask_b32_e64 v11, v11, v12, s[4:5]
	v_cmp_class_f32_e64 s[4:5], v5, v9
	s_nop 1
	v_cndmask_b32_e64 v5, v11, v5, s[4:5]
	s_cbranch_vccnz .LBB349_16
; %bb.15:
	global_load_dword v8, v8, s[10:11] offset:1028
	s_waitcnt vmcnt(0)
	v_add_f32_e32 v5, v5, v8
.LBB349_16:
	s_load_dwordx4 s[12:15], s[0:1], 0x30
	s_mov_b32 s31, 0
	v_cmp_eq_u32_e64 s[6:7], 0, v7
	s_waitcnt lgkmcnt(0)
	s_bitcmp1_b32 s15, 0
	s_cselect_b64 s[4:5], -1, 0
	s_cmp_gt_i32 s12, 0
	s_cselect_b64 s[24:25], -1, 0
	s_and_b64 vcc, exec, s[24:25]
	s_cbranch_vccz .LBB349_51
; %bb.17:
	v_mbcnt_lo_u32_b32 v8, -1, 0
	v_mbcnt_hi_u32_b32 v8, -1, v8
	v_and_b32_e32 v9, 64, v8
	v_add_u32_e32 v9, 64, v9
	v_xor_b32_e32 v11, 32, v8
	v_cmp_lt_i32_e32 vcc, v11, v9
	s_load_dwordx4 s[16:19], s[0:1], 0x20
	v_mul_lo_u32 v12, v6, s12
	v_cndmask_b32_e32 v11, v8, v11, vcc
	v_lshlrev_b32_e32 v13, 2, v11
	v_xor_b32_e32 v11, 16, v8
	v_cmp_lt_i32_e32 vcc, v11, v9
	v_mov_b32_e32 v19, 0x80
	v_mov_b32_e32 v20, 0x81
	v_cndmask_b32_e32 v11, v8, v11, vcc
	v_lshlrev_b32_e32 v14, 2, v11
	v_xor_b32_e32 v11, 8, v8
	v_cmp_lt_i32_e32 vcc, v11, v9
	v_mov_b32_e32 v21, 0x100
	v_mov_b32_e32 v22, 0x101
	;; [unrolled: 6-line block ×3, first 2 shown]
	v_cndmask_b32_e32 v11, v8, v11, vcc
	v_lshlrev_b32_e32 v16, 2, v11
	v_xor_b32_e32 v11, 2, v8
	v_cmp_lt_i32_e32 vcc, v11, v9
	v_mov_b32_e32 v25, v6
	s_nop 0
	v_cndmask_b32_e32 v11, v8, v11, vcc
	v_lshlrev_b32_e32 v17, 2, v11
	v_xor_b32_e32 v11, 1, v8
	v_cmp_lt_i32_e32 vcc, v11, v9
	s_nop 1
	v_cndmask_b32_e32 v8, v8, v11, vcc
	v_lshlrev_b32_e32 v18, 2, v8
	v_mov_b32_e32 v11, 0
	s_branch .LBB349_20
.LBB349_18:                             ;   in Loop: Header=BB349_20 Depth=1
	s_or_b64 exec, exec, s[0:1]
.LBB349_19:                             ;   in Loop: Header=BB349_20 Depth=1
	s_cmp_eq_u32 s12, s31
	v_add_u32_e32 v25, s30, v25
	s_cbranch_scc1 .LBB349_52
.LBB349_20:                             ; =>This Inner Loop Header: Depth=1
	v_cmp_gt_f32_e32 vcc, v1, v0
	s_nop 1
	v_cndmask_b32_e32 v9, v0, v1, vcc
	v_cndmask_b32_e64 v8, 0, 1, vcc
	v_cmp_gt_f32_e32 vcc, v2, v9
	s_nop 1
	v_cndmask_b32_e32 v9, v9, v2, vcc
	v_cndmask_b32_e32 v8, v8, v19, vcc
	v_cmp_gt_f32_e32 vcc, v3, v9
	s_nop 1
	v_cndmask_b32_e32 v9, v9, v3, vcc
	v_cndmask_b32_e32 v8, v8, v20, vcc
	v_cmp_gt_f32_e32 vcc, v4, v9
	s_nop 1
	v_cndmask_b32_e32 v9, v9, v4, vcc
	v_cndmask_b32_e32 v8, v8, v21, vcc
	v_cmp_gt_f32_e32 vcc, v5, v9
	s_nop 1
	v_cndmask_b32_e32 v8, v8, v22, vcc
	v_cndmask_b32_e32 v26, v9, v5, vcc
	ds_bpermute_b32 v9, v13, v26
	v_or_b32_e32 v8, v10, v8
	s_waitcnt lgkmcnt(0)
	ds_bpermute_b32 v27, v13, v8
	s_waitcnt lgkmcnt(0)
	v_cmp_lt_f32_e64 s[26:27], v26, v9
	v_cmp_nlt_f32_e32 vcc, v26, v9
	s_and_saveexec_b64 s[28:29], vcc
; %bb.21:                               ;   in Loop: Header=BB349_20 Depth=1
	v_cmp_eq_f32_e32 vcc, v26, v9
	v_cmp_lt_i32_e64 s[0:1], v27, v8
	s_and_b64 s[0:1], vcc, s[0:1]
	s_andn2_b64 s[26:27], s[26:27], exec
	s_and_b64 s[0:1], s[0:1], exec
	s_or_b64 s[26:27], s[26:27], s[0:1]
; %bb.22:                               ;   in Loop: Header=BB349_20 Depth=1
	s_or_b64 exec, exec, s[28:29]
	s_and_saveexec_b64 s[0:1], s[26:27]
; %bb.23:                               ;   in Loop: Header=BB349_20 Depth=1
	v_mov_b32_e32 v26, v9
	v_mov_b32_e32 v8, v27
; %bb.24:                               ;   in Loop: Header=BB349_20 Depth=1
	s_or_b64 exec, exec, s[0:1]
	ds_bpermute_b32 v9, v14, v26
	ds_bpermute_b32 v27, v14, v8
	s_waitcnt lgkmcnt(1)
	v_cmp_lt_f32_e64 s[26:27], v26, v9
	v_cmp_nlt_f32_e32 vcc, v26, v9
	s_and_saveexec_b64 s[28:29], vcc
	s_cbranch_execz .LBB349_26
; %bb.25:                               ;   in Loop: Header=BB349_20 Depth=1
	v_cmp_eq_f32_e32 vcc, v26, v9
	s_waitcnt lgkmcnt(0)
	v_cmp_lt_i32_e64 s[0:1], v27, v8
	s_and_b64 s[0:1], vcc, s[0:1]
	s_andn2_b64 s[26:27], s[26:27], exec
	s_and_b64 s[0:1], s[0:1], exec
	s_or_b64 s[26:27], s[26:27], s[0:1]
.LBB349_26:                             ;   in Loop: Header=BB349_20 Depth=1
	s_or_b64 exec, exec, s[28:29]
	s_and_saveexec_b64 s[0:1], s[26:27]
	s_cbranch_execz .LBB349_28
; %bb.27:                               ;   in Loop: Header=BB349_20 Depth=1
	v_mov_b32_e32 v26, v9
	s_waitcnt lgkmcnt(0)
	v_mov_b32_e32 v8, v27
.LBB349_28:                             ;   in Loop: Header=BB349_20 Depth=1
	s_or_b64 exec, exec, s[0:1]
	ds_bpermute_b32 v9, v15, v26
	s_waitcnt lgkmcnt(1)
	ds_bpermute_b32 v27, v15, v8
	s_waitcnt lgkmcnt(1)
	v_cmp_lt_f32_e64 s[26:27], v26, v9
	v_cmp_nlt_f32_e32 vcc, v26, v9
	s_and_saveexec_b64 s[28:29], vcc
	s_cbranch_execz .LBB349_30
; %bb.29:                               ;   in Loop: Header=BB349_20 Depth=1
	v_cmp_eq_f32_e32 vcc, v26, v9
	s_waitcnt lgkmcnt(0)
	v_cmp_lt_i32_e64 s[0:1], v27, v8
	s_and_b64 s[0:1], vcc, s[0:1]
	s_andn2_b64 s[26:27], s[26:27], exec
	s_and_b64 s[0:1], s[0:1], exec
	s_or_b64 s[26:27], s[26:27], s[0:1]
.LBB349_30:                             ;   in Loop: Header=BB349_20 Depth=1
	s_or_b64 exec, exec, s[28:29]
	s_and_saveexec_b64 s[0:1], s[26:27]
	s_cbranch_execz .LBB349_32
; %bb.31:                               ;   in Loop: Header=BB349_20 Depth=1
	v_mov_b32_e32 v26, v9
	s_waitcnt lgkmcnt(0)
	v_mov_b32_e32 v8, v27
.LBB349_32:                             ;   in Loop: Header=BB349_20 Depth=1
	s_or_b64 exec, exec, s[0:1]
	ds_bpermute_b32 v9, v16, v26
	s_waitcnt lgkmcnt(1)
	;; [unrolled: 26-line block ×4, first 2 shown]
	ds_bpermute_b32 v27, v18, v8
	s_waitcnt lgkmcnt(1)
	v_cmp_lt_f32_e64 s[26:27], v26, v9
	v_cmp_nlt_f32_e32 vcc, v26, v9
	s_and_saveexec_b64 s[28:29], vcc
	s_cbranch_execnz .LBB349_44
; %bb.41:                               ;   in Loop: Header=BB349_20 Depth=1
	s_or_b64 exec, exec, s[28:29]
	s_and_saveexec_b64 s[0:1], s[26:27]
	s_cbranch_execnz .LBB349_45
.LBB349_42:                             ;   in Loop: Header=BB349_20 Depth=1
	s_or_b64 exec, exec, s[0:1]
	s_and_saveexec_b64 s[26:27], s[6:7]
	s_cbranch_execnz .LBB349_46
.LBB349_43:                             ;   in Loop: Header=BB349_20 Depth=1
	s_or_b64 exec, exec, s[26:27]
	s_add_i32 s31, s31, 1
	s_cmp_ge_i32 s31, s12
	s_cbranch_scc1 .LBB349_19
	s_branch .LBB349_49
.LBB349_44:                             ;   in Loop: Header=BB349_20 Depth=1
	v_cmp_eq_f32_e32 vcc, v26, v9
	s_waitcnt lgkmcnt(0)
	v_cmp_lt_i32_e64 s[0:1], v27, v8
	s_and_b64 s[0:1], vcc, s[0:1]
	s_andn2_b64 s[26:27], s[26:27], exec
	s_and_b64 s[0:1], s[0:1], exec
	s_or_b64 s[26:27], s[26:27], s[0:1]
	s_or_b64 exec, exec, s[28:29]
	s_and_saveexec_b64 s[0:1], s[26:27]
	s_cbranch_execz .LBB349_42
.LBB349_45:                             ;   in Loop: Header=BB349_20 Depth=1
	s_waitcnt lgkmcnt(0)
	v_mov_b32_e32 v8, v27
	v_mov_b32_e32 v26, v9
	s_or_b64 exec, exec, s[0:1]
	s_and_saveexec_b64 s[26:27], s[6:7]
	s_cbranch_execz .LBB349_43
.LBB349_46:                             ;   in Loop: Header=BB349_20 Depth=1
	s_and_b64 vcc, exec, s[2:3]
	s_cbranch_vccnz .LBB349_48
; %bb.47:                               ;   in Loop: Header=BB349_20 Depth=1
	v_ashrrev_i32_e32 v9, 31, v8
	v_lshl_add_u64 v[28:29], v[8:9], 2, s[10:11]
	global_load_dword v9, v[28:29], off
	s_waitcnt vmcnt(0)
	v_sub_f32_e32 v26, v26, v9
.LBB349_48:                             ;   in Loop: Header=BB349_20 Depth=1
	v_add_u32_e32 v28, s31, v12
	v_cmp_le_i32_e32 vcc, s13, v8
	v_cmp_gt_i32_e64 s[0:1], s14, v8
	v_ashrrev_i32_e32 v29, 31, v28
	s_and_b64 s[0:1], vcc, s[0:1]
	v_lshlrev_b64 v[30:31], 2, v[28:29]
	v_subrev_u32_e32 v9, s13, v8
	v_lshl_add_u64 v[32:33], s[20:21], 0, v[30:31]
	s_waitcnt lgkmcnt(0)
	v_ashrrev_i32_e32 v27, 31, v9
	s_and_b64 vcc, s[22:23], s[0:1]
	global_store_dword v[32:33], v26, off
	v_cndmask_b32_e32 v33, 0, v27, vcc
	v_cndmask_b32_e32 v32, v23, v9, vcc
	v_lshl_add_u64 v[28:29], v[28:29], 3, s[16:17]
	v_add_f32_e32 v9, v11, v26
	global_store_dwordx2 v[28:29], v[32:33], off
	v_lshl_add_u64 v[28:29], s[18:19], 0, v[30:31]
	v_cndmask_b32_e64 v11, v11, v9, s[4:5]
	global_store_dword v[28:29], v25, off
	s_or_b64 exec, exec, s[26:27]
	s_add_i32 s31, s31, 1
	s_cmp_ge_i32 s31, s12
	s_cbranch_scc1 .LBB349_19
.LBB349_49:                             ;   in Loop: Header=BB349_20 Depth=1
	v_lshrrev_b32_e32 v9, 31, v8
	v_add_u32_e32 v26, v8, v9
	v_ashrrev_i32_e32 v9, 1, v26
	v_ashrrev_i32_e32 v26, 31, v26
	v_lshrrev_b32_e32 v26, 26, v26
	v_add_u32_e32 v26, v9, v26
	v_and_b32_e32 v26, 0xffffffc0, v26
	v_sub_u32_e32 v26, v9, v26
	v_cmp_eq_u32_e32 vcc, v7, v26
	s_and_saveexec_b64 s[0:1], vcc
	s_cbranch_execz .LBB349_18
; %bb.50:                               ;   in Loop: Header=BB349_20 Depth=1
	v_ashrrev_i32_e32 v26, 31, v8
	v_lshrrev_b32_e32 v26, 25, v26
	v_add_u32_e32 v26, v8, v26
	v_lshlrev_b32_e32 v9, 1, v9
	v_ashrrev_i32_e32 v26, 7, v26
	v_sub_u32_e32 v8, v8, v9
	v_lshl_add_u32 v8, v26, 1, v8
	v_cmp_ne_u32_e32 vcc, 5, v8
	s_nop 1
	v_cndmask_b32_e32 v5, v24, v5, vcc
	v_cmp_ne_u32_e32 vcc, 4, v8
	s_nop 1
	v_cndmask_b32_e32 v4, v24, v4, vcc
	;; [unrolled: 3-line block ×6, first 2 shown]
	s_branch .LBB349_18
.LBB349_51:
	v_mov_b32_e32 v11, 0
.LBB349_52:
	v_cmp_eq_u32_e32 vcc, 0, v7
	s_and_b64 exec, exec, vcc
	s_cbranch_execz .LBB349_65
; %bb.53:
	s_andn2_b64 vcc, exec, s[4:5]
	v_cvt_f32_f64_e32 v0, s[8:9]
	s_cbranch_vccnz .LBB349_55
; %bb.54:
	v_cmp_lt_f32_e32 vcc, 0, v11
	s_nop 1
	v_cndmask_b32_e32 v1, 1.0, v11, vcc
	v_div_scale_f32 v2, s[0:1], v1, v1, v0
	v_rcp_f32_e32 v3, v2
	s_nop 0
	v_fma_f32 v4, -v2, v3, 1.0
	v_fmac_f32_e32 v3, v4, v3
	v_div_scale_f32 v4, vcc, v0, v1, v0
	v_mul_f32_e32 v5, v4, v3
	v_fma_f32 v7, -v2, v5, v4
	v_fmac_f32_e32 v5, v7, v3
	v_fma_f32 v2, -v2, v5, v4
	v_div_fmas_f32 v2, v2, v3, v5
	v_div_fixup_f32 v0, v2, v1, v0
.LBB349_55:
	s_andn2_b64 vcc, exec, s[24:25]
	s_cbranch_vccnz .LBB349_65
; %bb.56:
	v_mul_lo_u32 v2, v6, s12
	s_cmp_gt_u32 s12, 3
	v_ashrrev_i32_e32 v3, 31, v2
	s_cbranch_scc0 .LBB349_60
; %bb.57:
	s_and_b32 s0, s12, 0x7ffffffc
	v_lshl_add_u64 v[4:5], v[2:3], 2, s[20:21]
	v_mov_b32_e32 v1, v0
	v_lshl_add_u64 v[4:5], v[4:5], 0, 8
	s_mov_b32 s1, s0
.LBB349_58:                             ; =>This Inner Loop Header: Depth=1
	global_load_dwordx4 v[6:9], v[4:5], off offset:-8
	s_add_i32 s1, s1, -4
	s_cmp_lg_u32 s1, 0
	s_waitcnt vmcnt(0)
	v_pk_mul_f32 v[6:7], v[0:1], v[6:7]
	v_pk_mul_f32 v[8:9], v[0:1], v[8:9]
	global_store_dwordx4 v[4:5], v[6:9], off offset:-8
	v_lshl_add_u64 v[4:5], v[4:5], 0, 16
	s_cbranch_scc1 .LBB349_58
; %bb.59:
	s_cmp_lg_u32 s0, s12
	s_cselect_b64 s[2:3], -1, 0
	s_branch .LBB349_62
.LBB349_60:
	s_mov_b64 s[2:3], 0
                                        ; implicit-def: $sgpr0
	s_cbranch_execz .LBB349_62
; %bb.61:
	s_mov_b64 s[2:3], -1
	s_mov_b32 s0, 0
.LBB349_62:
	s_andn2_b64 vcc, exec, s[2:3]
	s_cbranch_vccnz .LBB349_65
; %bb.63:
	s_mov_b32 s1, 0
	v_lshl_add_u64 v[2:3], v[2:3], 0, s[0:1]
	s_sub_i32 s2, s12, s0
	v_lshl_add_u64 v[2:3], v[2:3], 2, s[20:21]
.LBB349_64:                             ; =>This Inner Loop Header: Depth=1
	global_load_dword v1, v[2:3], off
	s_add_i32 s2, s2, -1
	s_cmp_lg_u32 s2, 0
	s_waitcnt vmcnt(0)
	v_mul_f32_e32 v1, v0, v1
	global_store_dword v[2:3], v1, off
	v_lshl_add_u64 v[2:3], v[2:3], 0, 4
	s_cbranch_scc1 .LBB349_64
.LBB349_65:
	s_endpgm
	.section	.rodata,"a",@progbits
	.p2align	6, 0x0
	.amdhsa_kernel _ZN4vllm3moe22topkGatingSoftplusSqrtILi6ELi384ELi4ELi4ELi64ELb0El6__halfEEvPKT6_PKbPfiPT5_PiiiibdPKfPKS9_SF_
		.amdhsa_group_segment_fixed_size 0
		.amdhsa_private_segment_fixed_size 0
		.amdhsa_kernarg_size 96
		.amdhsa_user_sgpr_count 2
		.amdhsa_user_sgpr_dispatch_ptr 0
		.amdhsa_user_sgpr_queue_ptr 0
		.amdhsa_user_sgpr_kernarg_segment_ptr 1
		.amdhsa_user_sgpr_dispatch_id 0
		.amdhsa_user_sgpr_kernarg_preload_length 0
		.amdhsa_user_sgpr_kernarg_preload_offset 0
		.amdhsa_user_sgpr_private_segment_size 0
		.amdhsa_uses_dynamic_stack 0
		.amdhsa_enable_private_segment 0
		.amdhsa_system_sgpr_workgroup_id_x 1
		.amdhsa_system_sgpr_workgroup_id_y 0
		.amdhsa_system_sgpr_workgroup_id_z 0
		.amdhsa_system_sgpr_workgroup_info 0
		.amdhsa_system_vgpr_workitem_id 1
		.amdhsa_next_free_vgpr 34
		.amdhsa_next_free_sgpr 32
		.amdhsa_accum_offset 36
		.amdhsa_reserve_vcc 1
		.amdhsa_float_round_mode_32 0
		.amdhsa_float_round_mode_16_64 0
		.amdhsa_float_denorm_mode_32 3
		.amdhsa_float_denorm_mode_16_64 3
		.amdhsa_dx10_clamp 1
		.amdhsa_ieee_mode 1
		.amdhsa_fp16_overflow 0
		.amdhsa_tg_split 0
		.amdhsa_exception_fp_ieee_invalid_op 0
		.amdhsa_exception_fp_denorm_src 0
		.amdhsa_exception_fp_ieee_div_zero 0
		.amdhsa_exception_fp_ieee_overflow 0
		.amdhsa_exception_fp_ieee_underflow 0
		.amdhsa_exception_fp_ieee_inexact 0
		.amdhsa_exception_int_div_zero 0
	.end_amdhsa_kernel
	.section	.text._ZN4vllm3moe22topkGatingSoftplusSqrtILi6ELi384ELi4ELi4ELi64ELb0El6__halfEEvPKT6_PKbPfiPT5_PiiiibdPKfPKS9_SF_,"axG",@progbits,_ZN4vllm3moe22topkGatingSoftplusSqrtILi6ELi384ELi4ELi4ELi64ELb0El6__halfEEvPKT6_PKbPfiPT5_PiiiibdPKfPKS9_SF_,comdat
.Lfunc_end349:
	.size	_ZN4vllm3moe22topkGatingSoftplusSqrtILi6ELi384ELi4ELi4ELi64ELb0El6__halfEEvPKT6_PKbPfiPT5_PiiiibdPKfPKS9_SF_, .Lfunc_end349-_ZN4vllm3moe22topkGatingSoftplusSqrtILi6ELi384ELi4ELi4ELi64ELb0El6__halfEEvPKT6_PKbPfiPT5_PiiiibdPKfPKS9_SF_
                                        ; -- End function
	.section	.AMDGPU.csdata,"",@progbits
; Kernel info:
; codeLenInByte = 3700
; NumSgprs: 38
; NumVgprs: 34
; NumAgprs: 0
; TotalNumVgprs: 34
; ScratchSize: 0
; MemoryBound: 0
; FloatMode: 240
; IeeeMode: 1
; LDSByteSize: 0 bytes/workgroup (compile time only)
; SGPRBlocks: 4
; VGPRBlocks: 4
; NumSGPRsForWavesPerEU: 38
; NumVGPRsForWavesPerEU: 34
; AccumOffset: 36
; Occupancy: 8
; WaveLimiterHint : 1
; COMPUTE_PGM_RSRC2:SCRATCH_EN: 0
; COMPUTE_PGM_RSRC2:USER_SGPR: 2
; COMPUTE_PGM_RSRC2:TRAP_HANDLER: 0
; COMPUTE_PGM_RSRC2:TGID_X_EN: 1
; COMPUTE_PGM_RSRC2:TGID_Y_EN: 0
; COMPUTE_PGM_RSRC2:TGID_Z_EN: 0
; COMPUTE_PGM_RSRC2:TIDIG_COMP_CNT: 1
; COMPUTE_PGM_RSRC3_GFX90A:ACCUM_OFFSET: 8
; COMPUTE_PGM_RSRC3_GFX90A:TG_SPLIT: 0
	.section	.text._ZN4vllm3moe22topkGatingSoftplusSqrtILi12ELi384ELi4ELi4ELi32ELb1El6__halfEEvPKT6_PKbPfiPT5_PiiiibdPKfPKS9_SF_,"axG",@progbits,_ZN4vllm3moe22topkGatingSoftplusSqrtILi12ELi384ELi4ELi4ELi32ELb1El6__halfEEvPKT6_PKbPfiPT5_PiiiibdPKfPKS9_SF_,comdat
	.protected	_ZN4vllm3moe22topkGatingSoftplusSqrtILi12ELi384ELi4ELi4ELi32ELb1El6__halfEEvPKT6_PKbPfiPT5_PiiiibdPKfPKS9_SF_ ; -- Begin function _ZN4vllm3moe22topkGatingSoftplusSqrtILi12ELi384ELi4ELi4ELi32ELb1El6__halfEEvPKT6_PKbPfiPT5_PiiiibdPKfPKS9_SF_
	.globl	_ZN4vllm3moe22topkGatingSoftplusSqrtILi12ELi384ELi4ELi4ELi32ELb1El6__halfEEvPKT6_PKbPfiPT5_PiiiibdPKfPKS9_SF_
	.p2align	8
	.type	_ZN4vllm3moe22topkGatingSoftplusSqrtILi12ELi384ELi4ELi4ELi32ELb1El6__halfEEvPKT6_PKbPfiPT5_PiiiibdPKfPKS9_SF_,@function
_ZN4vllm3moe22topkGatingSoftplusSqrtILi12ELi384ELi4ELi4ELi32ELb1El6__halfEEvPKT6_PKbPfiPT5_PiiiibdPKfPKS9_SF_: ; @_ZN4vllm3moe22topkGatingSoftplusSqrtILi12ELi384ELi4ELi4ELi32ELb1El6__halfEEvPKT6_PKbPfiPT5_PiiiibdPKfPKS9_SF_
; %bb.0:
	s_load_dword s3, s[0:1], 0x18
	v_and_b32_e32 v1, 0x3ff, v0
	s_lshl_b32 s2, s2, 2
	v_lshrrev_b32_e32 v2, 5, v1
	v_bfe_u32 v0, v0, 10, 10
	v_add3_u32 v4, s2, v0, v2
	s_waitcnt lgkmcnt(0)
	v_cmp_gt_i32_e32 vcc, s3, v4
	s_and_saveexec_b64 s[2:3], vcc
	s_cbranch_execz .LBB350_59
; %bb.1:
	s_load_dwordx4 s[4:7], s[0:1], 0x50
	s_load_dwordx2 s[2:3], s[0:1], 0x0
	s_load_dword s20, s[0:1], 0x30
	s_movk_i32 s8, 0x180
	v_mul_lo_u32 v6, v4, s8
	v_lshlrev_b32_e32 v0, 1, v1
	v_ashrrev_i32_e32 v7, 31, v6
	v_and_b32_e32 v12, 62, v0
	s_waitcnt lgkmcnt(0)
	v_mov_b32_e32 v2, s4
	v_mov_b32_e32 v3, s5
	v_lshl_add_u64 v[6:7], v[6:7], 1, s[2:3]
	v_lshlrev_b32_e32 v0, 1, v12
	v_mov_b32_e32 v1, 0
	v_ashrrev_i32_e32 v5, 31, v4
	v_lshl_add_u64 v[2:3], v[4:5], 3, v[2:3]
	v_lshl_add_u64 v[6:7], v[6:7], 0, v[0:1]
	global_load_dwordx2 v[10:11], v[2:3], off
	global_load_dword v13, v[6:7], off
	global_load_dword v18, v[6:7], off offset:128
	global_load_dword v19, v[6:7], off offset:256
	;; [unrolled: 1-line block ×5, first 2 shown]
	s_ashr_i32 s21, s20, 31
	s_mov_b32 s17, 0x800000
	v_mov_b32_e32 v5, 0x4f800000
	s_mov_b32 s15, 0x3f317217
	s_mov_b32 s16, 0x7f800000
	v_mov_b32_e32 v8, 0x41b17218
	s_movk_i32 s11, 0x4d00
	s_mov_b32 s14, 0xf800000
	v_mov_b32_e32 v2, s6
	v_mov_b32_e32 v3, s7
	;; [unrolled: 1-line block ×3, first 2 shown]
	v_cmp_lt_i64_e64 s[12:13], s[20:21], 1
	s_mov_b32 s10, 0
	v_cmp_gt_i64_e64 s[8:9], s[20:21], 0
	s_waitcnt vmcnt(5)
	v_cvt_f32_f16_e32 v23, v13
	v_cvt_f32_f16_sdwa v24, v13 dst_sel:DWORD dst_unused:UNUSED_PAD src0_sel:WORD_1
	s_waitcnt vmcnt(4)
	v_cvt_f32_f16_e32 v25, v18
	v_cvt_f32_f16_sdwa v26, v18 dst_sel:DWORD dst_unused:UNUSED_PAD src0_sel:WORD_1
	v_mul_f32_e32 v6, 0x3fb8aa3b, v23
	v_mul_f32_e32 v7, 0x3fb8aa3b, v24
	v_exp_f32_e32 v14, v6
	v_exp_f32_e32 v15, v7
	v_mul_lo_u32 v11, v11, s20
	v_mul_lo_u32 v22, v10, s21
	v_mad_u64_u32 v[6:7], s[2:3], v10, s20, 0
	v_mul_f32_e32 v16, 0x3fb8aa3b, v25
	v_mul_f32_e32 v17, 0x3fb8aa3b, v26
	v_add3_u32 v7, v7, v22, v11
	v_pk_add_f32 v[10:11], v[14:15], 1.0 op_sel_hi:[1,0]
	v_exp_f32_e32 v16, v16
	v_exp_f32_e32 v17, v17
	v_cmp_gt_f32_e32 vcc, s17, v11
	v_cmp_gt_f32_e64 s[2:3], s17, v10
	v_lshl_add_u64 v[2:3], v[6:7], 3, v[2:3]
	v_cndmask_b32_e32 v14, 1.0, v5, vcc
	v_cndmask_b32_e64 v15, 1.0, v5, s[2:3]
	v_mul_f32_e32 v11, v11, v14
	v_mul_f32_e32 v10, v10, v15
	v_log_f32_e32 v11, v11
	v_pk_add_f32 v[16:17], v[16:17], 1.0 op_sel_hi:[1,0]
	v_log_f32_e32 v10, v10
	v_cmp_gt_f32_e64 s[4:5], s17, v17
	v_cndmask_b32_e32 v14, 0, v8, vcc
	v_cmp_lt_f32_e64 vcc, |v11|, s16
	v_cndmask_b32_e64 v22, 1.0, v5, s[4:5]
	v_mul_f32_e32 v15, v17, v22
	v_mul_f32_e32 v22, 0x3f317217, v11
	;; [unrolled: 1-line block ×3, first 2 shown]
	v_fma_f32 v22, v11, s15, -v22
	v_fma_f32 v27, v10, s15, -v27
	v_fmac_f32_e32 v22, 0x3377d1cf, v11
	v_fmac_f32_e32 v27, 0x3377d1cf, v10
	;; [unrolled: 1-line block ×4, first 2 shown]
	v_cndmask_b32_e32 v11, v11, v22, vcc
	v_cmp_lt_f32_e64 vcc, |v10|, s16
	v_log_f32_e32 v17, v15
	v_cndmask_b32_e64 v15, 0, v8, s[2:3]
	v_cndmask_b32_e32 v10, v10, v27, vcc
	v_sub_f32_e32 v10, v10, v15
	v_cmp_lt_f16_e32 vcc, s11, v13
	v_sub_f32_e32 v11, v11, v14
	v_mul_f32_e32 v28, 0x3f317217, v17
	v_cndmask_b32_e32 v10, v10, v23, vcc
	v_cmp_gt_f16_sdwa vcc, v13, s11 src0_sel:WORD_1 src1_sel:DWORD
	v_mul_f32_e32 v14, 0x4f800000, v10
	v_cmp_gt_f32_e64 s[2:3], s14, v10
	v_cndmask_b32_e32 v11, v11, v24, vcc
	v_mul_f32_e32 v13, 0x4f800000, v11
	v_cmp_gt_f32_e32 vcc, s14, v11
	v_cndmask_b32_e64 v10, v10, v14, s[2:3]
	v_sqrt_f32_e32 v14, v10
	v_cndmask_b32_e32 v11, v11, v13, vcc
	v_sqrt_f32_e32 v13, v11
	v_fma_f32 v28, v17, s15, -v28
	v_add_u32_e32 v23, -1, v14
	v_fma_f32 v30, -v23, v14, v10
	v_add_u32_e32 v15, -1, v13
	v_fma_f32 v27, -v15, v13, v11
	v_add_u32_e32 v22, 1, v13
	v_cmp_ge_f32_e64 s[6:7], 0, v27
	v_add_u32_e32 v24, 1, v14
	v_fma_f32 v29, -v22, v13, v11
	v_cndmask_b32_e64 v13, v13, v15, s[6:7]
	v_cmp_ge_f32_e64 s[6:7], 0, v30
	v_fma_f32 v31, -v24, v14, v10
	v_fmac_f32_e32 v28, 0x3377d1cf, v17
	v_cndmask_b32_e64 v14, v14, v23, s[6:7]
	v_cmp_lt_f32_e64 s[6:7], 0, v29
	v_fmac_f32_e32 v28, 0x3f317217, v17
	s_waitcnt vmcnt(3)
	v_cvt_f32_f16_sdwa v23, v19 dst_sel:DWORD dst_unused:UNUSED_PAD src0_sel:WORD_1
	v_cndmask_b32_e64 v13, v13, v22, s[6:7]
	v_cmp_lt_f32_e64 s[6:7], 0, v31
	v_mul_f32_e32 v15, 0x37800000, v13
	v_cndmask_b32_e32 v13, v13, v15, vcc
	v_cndmask_b32_e64 v14, v14, v24, s[6:7]
	v_mul_f32_e32 v22, 0x37800000, v14
	v_cmp_class_f32_e32 vcc, v11, v0
	v_cndmask_b32_e64 v14, v14, v22, s[2:3]
	v_cmp_lt_f32_e64 s[2:3], |v17|, s16
	v_cndmask_b32_e32 v15, v13, v11, vcc
	v_cmp_class_f32_e32 vcc, v10, v0
	v_cndmask_b32_e64 v11, v17, v28, s[2:3]
	v_cndmask_b32_e64 v13, 0, v8, s[4:5]
	v_cndmask_b32_e32 v14, v14, v10, vcc
	v_cmp_gt_f32_e32 vcc, s17, v16
	v_sub_f32_e32 v11, v11, v13
	v_cvt_f32_f16_e32 v22, v19
	v_cndmask_b32_e32 v10, 1.0, v5, vcc
	v_mul_f32_e32 v10, v16, v10
	v_log_f32_e32 v10, v10
	s_nop 0
	v_mul_f32_e32 v13, 0x3f317217, v10
	v_fma_f32 v13, v10, s15, -v13
	v_fmac_f32_e32 v13, 0x3377d1cf, v10
	v_fmac_f32_e32 v13, 0x3f317217, v10
	v_cmp_lt_f32_e64 s[2:3], |v10|, s16
	s_nop 1
	v_cndmask_b32_e64 v10, v10, v13, s[2:3]
	v_cndmask_b32_e32 v13, 0, v8, vcc
	v_cmp_gt_f16_sdwa vcc, v18, s11 src0_sel:WORD_1 src1_sel:DWORD
	v_sub_f32_e32 v10, v10, v13
	v_cmp_lt_f16_e64 s[2:3], s11, v18
	v_cndmask_b32_e32 v11, v11, v26, vcc
	v_mul_f32_e32 v16, 0x4f800000, v11
	v_cmp_gt_f32_e32 vcc, s14, v11
	v_cndmask_b32_e64 v10, v10, v25, s[2:3]
	s_nop 0
	v_cndmask_b32_e32 v11, v11, v16, vcc
	v_sqrt_f32_e32 v16, v11
	s_nop 0
	v_add_u32_e32 v13, -1, v16
	v_fma_f32 v17, -v13, v16, v11
	v_cmp_ge_f32_e64 s[2:3], 0, v17
	v_add_u32_e32 v17, 1, v16
	s_nop 0
	v_cndmask_b32_e64 v13, v16, v13, s[2:3]
	v_fma_f32 v16, -v17, v16, v11
	v_cmp_lt_f32_e64 s[2:3], 0, v16
	s_nop 1
	v_cndmask_b32_e64 v13, v13, v17, s[2:3]
	v_mul_f32_e32 v17, 0x4f800000, v10
	v_cmp_gt_f32_e64 s[2:3], s14, v10
	v_mul_f32_e32 v16, 0x37800000, v13
	v_cndmask_b32_e32 v13, v13, v16, vcc
	v_cndmask_b32_e64 v18, v10, v17, s[2:3]
	v_sqrt_f32_e32 v10, v18
	v_cmp_class_f32_e32 vcc, v11, v0
	v_add_u32_e32 v16, 1, v10
	s_nop 0
	v_cndmask_b32_e32 v17, v13, v11, vcc
	v_add_u32_e32 v11, -1, v10
	v_fma_f32 v13, -v11, v10, v18
	v_cmp_ge_f32_e32 vcc, 0, v13
	v_fma_f32 v24, -v16, v10, v18
	s_nop 0
	v_cndmask_b32_e32 v13, v10, v11, vcc
	v_mul_f32_e32 v10, 0x3fb8aa3b, v22
	v_mul_f32_e32 v11, 0x3fb8aa3b, v23
	v_exp_f32_e32 v10, v10
	v_exp_f32_e32 v11, v11
	v_cmp_lt_f32_e32 vcc, 0, v24
	v_pk_add_f32 v[10:11], v[10:11], 1.0 op_sel_hi:[1,0]
	s_nop 0
	v_cndmask_b32_e32 v13, v13, v16, vcc
	v_mul_f32_e32 v16, 0x37800000, v13
	v_cmp_gt_f32_e32 vcc, s17, v11
	v_cndmask_b32_e64 v13, v13, v16, s[2:3]
	v_cmp_class_f32_e64 s[2:3], v18, v0
	v_cndmask_b32_e32 v16, 1.0, v5, vcc
	v_mul_f32_e32 v11, v11, v16
	v_log_f32_e32 v11, v11
	v_cndmask_b32_e64 v16, v13, v18, s[2:3]
	v_cmp_gt_f32_e64 s[2:3], s17, v10
	scratch_store_dwordx4 off, v[14:17], off
	v_mul_f32_e32 v13, 0x3f317217, v11
	v_fma_f32 v13, v11, s15, -v13
	v_cndmask_b32_e64 v14, 1.0, v5, s[2:3]
	v_mul_f32_e32 v10, v10, v14
	v_log_f32_e32 v10, v10
	v_fmac_f32_e32 v13, 0x3377d1cf, v11
	v_fmac_f32_e32 v13, 0x3f317217, v11
	v_cmp_lt_f32_e64 s[4:5], |v11|, s16
	s_waitcnt vmcnt(3)
	v_cvt_f32_f16_e32 v17, v20
	v_cvt_f32_f16_sdwa v18, v20 dst_sel:DWORD dst_unused:UNUSED_PAD src0_sel:WORD_1
	v_cndmask_b32_e64 v11, v11, v13, s[4:5]
	v_cndmask_b32_e32 v13, 0, v8, vcc
	v_sub_f32_e32 v11, v11, v13
	v_mul_f32_e32 v13, 0x3f317217, v10
	v_fma_f32 v13, v10, s15, -v13
	v_fmac_f32_e32 v13, 0x3377d1cf, v10
	v_fmac_f32_e32 v13, 0x3f317217, v10
	v_cmp_lt_f32_e64 vcc, |v10|, s16
	s_nop 1
	v_cndmask_b32_e32 v10, v10, v13, vcc
	v_cmp_gt_f16_sdwa vcc, v19, s11 src0_sel:WORD_1 src1_sel:DWORD
	v_cndmask_b32_e64 v13, 0, v8, s[2:3]
	v_sub_f32_e32 v10, v10, v13
	v_cndmask_b32_e32 v11, v11, v23, vcc
	v_mul_f32_e32 v14, 0x4f800000, v11
	v_cmp_gt_f32_e32 vcc, s14, v11
	v_cmp_lt_f16_e64 s[2:3], s11, v19
	s_nop 0
	v_cndmask_b32_e32 v11, v11, v14, vcc
	v_sqrt_f32_e32 v14, v11
	v_cndmask_b32_e64 v10, v10, v22, s[2:3]
	v_add_u32_e32 v13, -1, v14
	v_fma_f32 v15, -v13, v14, v11
	v_cmp_ge_f32_e64 s[2:3], 0, v15
	v_add_u32_e32 v15, 1, v14
	s_nop 0
	v_cndmask_b32_e64 v13, v14, v13, s[2:3]
	v_fma_f32 v14, -v15, v14, v11
	v_cmp_lt_f32_e64 s[2:3], 0, v14
	s_nop 1
	v_cndmask_b32_e64 v13, v13, v15, s[2:3]
	v_mul_f32_e32 v15, 0x4f800000, v10
	v_cmp_gt_f32_e64 s[2:3], s14, v10
	v_mul_f32_e32 v14, 0x37800000, v13
	v_cndmask_b32_e32 v13, v13, v14, vcc
	v_cndmask_b32_e64 v16, v10, v15, s[2:3]
	v_sqrt_f32_e32 v10, v16
	v_cmp_class_f32_e32 vcc, v11, v0
	v_add_u32_e32 v14, 1, v10
	s_nop 0
	v_cndmask_b32_e32 v15, v13, v11, vcc
	v_add_u32_e32 v11, -1, v10
	v_fma_f32 v13, -v11, v10, v16
	v_cmp_ge_f32_e32 vcc, 0, v13
	v_fma_f32 v19, -v14, v10, v16
	s_nop 0
	v_cndmask_b32_e32 v13, v10, v11, vcc
	v_mul_f32_e32 v10, 0x3fb8aa3b, v17
	v_mul_f32_e32 v11, 0x3fb8aa3b, v18
	v_exp_f32_e32 v10, v10
	v_exp_f32_e32 v11, v11
	v_cmp_lt_f32_e32 vcc, 0, v19
	v_pk_add_f32 v[10:11], v[10:11], 1.0 op_sel_hi:[1,0]
	s_nop 0
	v_cndmask_b32_e32 v13, v13, v14, vcc
	v_cmp_gt_f32_e32 vcc, s17, v11
	v_mul_f32_e32 v14, 0x37800000, v13
	v_cndmask_b32_e64 v13, v13, v14, s[2:3]
	v_cndmask_b32_e32 v19, 1.0, v5, vcc
	v_mul_f32_e32 v11, v11, v19
	v_log_f32_e32 v11, v11
	v_cmp_class_f32_e64 s[2:3], v16, v0
	s_waitcnt vmcnt(2)
	v_cvt_f32_f16_e32 v19, v21
	v_cmp_lt_f32_e64 s[4:5], |v11|, s16
	v_cndmask_b32_e64 v14, v13, v16, s[2:3]
	v_cmp_gt_f32_e64 s[2:3], s17, v10
	v_mul_f32_e32 v13, 0x3f317217, v11
	v_fma_f32 v13, v11, s15, -v13
	v_cndmask_b32_e64 v16, 1.0, v5, s[2:3]
	v_mul_f32_e32 v10, v10, v16
	v_log_f32_e32 v10, v10
	v_fmac_f32_e32 v13, 0x3377d1cf, v11
	v_fmac_f32_e32 v13, 0x3f317217, v11
	v_cndmask_b32_e64 v11, v11, v13, s[4:5]
	v_cndmask_b32_e32 v13, 0, v8, vcc
	v_sub_f32_e32 v11, v11, v13
	v_mul_f32_e32 v13, 0x3f317217, v10
	v_fma_f32 v13, v10, s15, -v13
	v_fmac_f32_e32 v13, 0x3377d1cf, v10
	v_fmac_f32_e32 v13, 0x3f317217, v10
	v_cmp_lt_f32_e64 vcc, |v10|, s16
	s_nop 1
	v_cndmask_b32_e32 v10, v10, v13, vcc
	v_cmp_gt_f16_sdwa vcc, v20, s11 src0_sel:WORD_1 src1_sel:DWORD
	v_cndmask_b32_e64 v13, 0, v8, s[2:3]
	v_sub_f32_e32 v10, v10, v13
	v_cndmask_b32_e32 v11, v11, v18, vcc
	v_mul_f32_e32 v16, 0x4f800000, v11
	v_cmp_gt_f32_e32 vcc, s14, v11
	v_cmp_lt_f16_e64 s[2:3], s11, v20
	v_cvt_f32_f16_sdwa v20, v21 dst_sel:DWORD dst_unused:UNUSED_PAD src0_sel:WORD_1
	v_cndmask_b32_e32 v11, v11, v16, vcc
	v_sqrt_f32_e32 v16, v11
	v_cndmask_b32_e64 v10, v10, v17, s[2:3]
	v_add_u32_e32 v13, -1, v16
	v_fma_f32 v17, -v13, v16, v11
	v_cmp_ge_f32_e64 s[2:3], 0, v17
	v_add_u32_e32 v17, 1, v16
	s_nop 0
	v_cndmask_b32_e64 v13, v16, v13, s[2:3]
	v_fma_f32 v16, -v17, v16, v11
	v_cmp_lt_f32_e64 s[2:3], 0, v16
	s_nop 1
	v_cndmask_b32_e64 v13, v13, v17, s[2:3]
	v_mul_f32_e32 v17, 0x4f800000, v10
	v_cmp_gt_f32_e64 s[2:3], s14, v10
	v_mul_f32_e32 v16, 0x37800000, v13
	v_cndmask_b32_e32 v13, v13, v16, vcc
	v_cndmask_b32_e64 v18, v10, v17, s[2:3]
	v_sqrt_f32_e32 v10, v18
	v_cmp_class_f32_e32 vcc, v11, v0
	v_add_u32_e32 v16, 1, v10
	s_nop 0
	v_cndmask_b32_e32 v17, v13, v11, vcc
	v_add_u32_e32 v11, -1, v10
	v_fma_f32 v13, -v11, v10, v18
	v_cmp_ge_f32_e32 vcc, 0, v13
	v_fma_f32 v22, -v16, v10, v18
	s_nop 0
	v_cndmask_b32_e32 v13, v10, v11, vcc
	v_mul_f32_e32 v10, 0x3fb8aa3b, v19
	v_mul_f32_e32 v11, 0x3fb8aa3b, v20
	v_exp_f32_e32 v10, v10
	v_exp_f32_e32 v11, v11
	v_cmp_lt_f32_e32 vcc, 0, v22
	v_pk_add_f32 v[10:11], v[10:11], 1.0 op_sel_hi:[1,0]
	s_nop 0
	v_cndmask_b32_e32 v13, v13, v16, vcc
	v_mul_f32_e32 v16, 0x37800000, v13
	v_cmp_gt_f32_e32 vcc, s17, v11
	v_cndmask_b32_e64 v13, v13, v16, s[2:3]
	v_cmp_class_f32_e64 s[2:3], v18, v0
	v_cndmask_b32_e32 v16, 1.0, v5, vcc
	v_mul_f32_e32 v11, v11, v16
	v_log_f32_e32 v11, v11
	v_cndmask_b32_e64 v16, v13, v18, s[2:3]
	v_cmp_gt_f32_e64 s[2:3], s17, v10
	scratch_store_dwordx4 off, v[14:17], off offset:16
	v_mul_f32_e32 v13, 0x3f317217, v11
	v_fma_f32 v13, v11, s15, -v13
	v_cndmask_b32_e64 v14, 1.0, v5, s[2:3]
	v_mul_f32_e32 v10, v10, v14
	v_log_f32_e32 v10, v10
	v_fmac_f32_e32 v13, 0x3377d1cf, v11
	v_fmac_f32_e32 v13, 0x3f317217, v11
	v_cmp_lt_f32_e64 s[4:5], |v11|, s16
	s_waitcnt vmcnt(2)
	v_cvt_f32_f16_e32 v17, v9
	v_cvt_f32_f16_sdwa v18, v9 dst_sel:DWORD dst_unused:UNUSED_PAD src0_sel:WORD_1
	v_cndmask_b32_e64 v11, v11, v13, s[4:5]
	v_cndmask_b32_e32 v13, 0, v8, vcc
	v_sub_f32_e32 v11, v11, v13
	v_mul_f32_e32 v13, 0x3f317217, v10
	v_fma_f32 v13, v10, s15, -v13
	v_fmac_f32_e32 v13, 0x3377d1cf, v10
	v_fmac_f32_e32 v13, 0x3f317217, v10
	v_cmp_lt_f32_e64 vcc, |v10|, s16
	s_nop 1
	v_cndmask_b32_e32 v10, v10, v13, vcc
	v_cmp_gt_f16_sdwa vcc, v21, s11 src0_sel:WORD_1 src1_sel:DWORD
	v_cndmask_b32_e64 v13, 0, v8, s[2:3]
	v_sub_f32_e32 v10, v10, v13
	v_cndmask_b32_e32 v11, v11, v20, vcc
	v_mul_f32_e32 v14, 0x4f800000, v11
	v_cmp_gt_f32_e32 vcc, s14, v11
	v_cmp_lt_f16_e64 s[2:3], s11, v21
	s_nop 0
	v_cndmask_b32_e32 v11, v11, v14, vcc
	v_sqrt_f32_e32 v14, v11
	v_cndmask_b32_e64 v10, v10, v19, s[2:3]
	v_add_u32_e32 v13, -1, v14
	v_fma_f32 v15, -v13, v14, v11
	v_cmp_ge_f32_e64 s[2:3], 0, v15
	v_add_u32_e32 v15, 1, v14
	s_nop 0
	v_cndmask_b32_e64 v13, v14, v13, s[2:3]
	v_fma_f32 v14, -v15, v14, v11
	v_cmp_lt_f32_e64 s[2:3], 0, v14
	s_nop 1
	v_cndmask_b32_e64 v13, v13, v15, s[2:3]
	v_mul_f32_e32 v15, 0x4f800000, v10
	v_cmp_gt_f32_e64 s[2:3], s14, v10
	v_mul_f32_e32 v14, 0x37800000, v13
	v_cndmask_b32_e32 v13, v13, v14, vcc
	v_cndmask_b32_e64 v16, v10, v15, s[2:3]
	v_sqrt_f32_e32 v10, v16
	v_cmp_class_f32_e32 vcc, v11, v0
	v_add_u32_e32 v14, 1, v10
	s_nop 0
	v_cndmask_b32_e32 v15, v13, v11, vcc
	v_add_u32_e32 v11, -1, v10
	v_fma_f32 v13, -v11, v10, v16
	v_cmp_ge_f32_e32 vcc, 0, v13
	v_fma_f32 v19, -v14, v10, v16
	s_nop 0
	v_cndmask_b32_e32 v13, v10, v11, vcc
	v_mul_f32_e32 v10, 0x3fb8aa3b, v17
	v_mul_f32_e32 v11, 0x3fb8aa3b, v18
	v_exp_f32_e32 v10, v10
	v_exp_f32_e32 v11, v11
	v_cmp_lt_f32_e32 vcc, 0, v19
	v_pk_add_f32 v[10:11], v[10:11], 1.0 op_sel_hi:[1,0]
	s_nop 0
	v_cndmask_b32_e32 v13, v13, v14, vcc
	v_cmp_gt_f32_e32 vcc, s17, v11
	v_mul_f32_e32 v14, 0x37800000, v13
	v_cndmask_b32_e64 v13, v13, v14, s[2:3]
	v_cndmask_b32_e32 v19, 1.0, v5, vcc
	v_mul_f32_e32 v11, v11, v19
	v_log_f32_e32 v11, v11
	v_cmp_class_f32_e64 s[2:3], v16, v0
	v_cmp_lt_f32_e64 s[4:5], |v11|, s16
	s_nop 0
	v_cndmask_b32_e64 v14, v13, v16, s[2:3]
	v_cmp_gt_f32_e64 s[2:3], s17, v10
	v_mul_f32_e32 v13, 0x3f317217, v11
	v_fma_f32 v13, v11, s15, -v13
	v_cndmask_b32_e64 v5, 1.0, v5, s[2:3]
	v_mul_f32_e32 v5, v10, v5
	v_log_f32_e32 v5, v5
	v_fmac_f32_e32 v13, 0x3377d1cf, v11
	v_fmac_f32_e32 v13, 0x3f317217, v11
	v_cndmask_b32_e64 v10, v11, v13, s[4:5]
	v_cndmask_b32_e32 v11, 0, v8, vcc
	v_sub_f32_e32 v10, v10, v11
	v_mul_f32_e32 v11, 0x3f317217, v5
	v_fma_f32 v11, v5, s15, -v11
	v_fmac_f32_e32 v11, 0x3377d1cf, v5
	v_fmac_f32_e32 v11, 0x3f317217, v5
	v_cmp_lt_f32_e64 vcc, |v5|, s16
	v_cndmask_b32_e64 v8, 0, v8, s[2:3]
	v_cmp_lt_f16_e64 s[2:3], s11, v9
	v_cndmask_b32_e32 v5, v5, v11, vcc
	v_cmp_gt_f16_sdwa vcc, v9, s11 src0_sel:WORD_1 src1_sel:DWORD
	v_sub_f32_e32 v5, v5, v8
	v_cndmask_b32_e64 v5, v5, v17, s[2:3]
	v_cndmask_b32_e32 v10, v10, v18, vcc
	v_mul_f32_e32 v11, 0x4f800000, v10
	v_cmp_gt_f32_e32 vcc, s14, v10
	s_nop 1
	v_cndmask_b32_e32 v10, v10, v11, vcc
	v_sqrt_f32_e32 v11, v10
	s_nop 0
	v_add_u32_e32 v8, -1, v11
	v_fma_f32 v9, -v8, v11, v10
	v_cmp_ge_f32_e64 s[2:3], 0, v9
	v_add_u32_e32 v9, 1, v11
	s_nop 0
	v_cndmask_b32_e64 v8, v11, v8, s[2:3]
	v_fma_f32 v11, -v9, v11, v10
	v_cmp_lt_f32_e64 s[2:3], 0, v11
	v_mul_f32_e32 v11, 0x4f800000, v5
	s_nop 0
	v_cndmask_b32_e64 v8, v8, v9, s[2:3]
	v_cmp_gt_f32_e64 s[2:3], s14, v5
	v_mul_f32_e32 v9, 0x37800000, v8
	v_cndmask_b32_e32 v8, v8, v9, vcc
	v_cndmask_b32_e64 v5, v5, v11, s[2:3]
	v_sqrt_f32_e32 v11, v5
	v_cmp_class_f32_e32 vcc, v10, v0
	s_nop 1
	v_cndmask_b32_e32 v17, v8, v10, vcc
	v_add_u32_e32 v8, -1, v11
	v_fma_f32 v9, -v8, v11, v5
	v_cmp_ge_f32_e32 vcc, 0, v9
	v_add_u32_e32 v9, 1, v11
	v_fma_f32 v10, -v9, v11, v5
	v_cndmask_b32_e32 v8, v11, v8, vcc
	v_cmp_lt_f32_e32 vcc, 0, v10
	s_nop 1
	v_cndmask_b32_e32 v8, v8, v9, vcc
	v_mul_f32_e32 v9, 0x37800000, v8
	v_cndmask_b32_e64 v8, v8, v9, s[2:3]
	v_cmp_class_f32_e32 vcc, v5, v0
	v_mul_lo_u32 v0, v4, s20
	s_nop 0
	v_cndmask_b32_e32 v16, v8, v5, vcc
	s_and_b64 vcc, exec, s[12:13]
	scratch_store_dwordx4 off, v[14:17], off offset:32
	s_cbranch_vccnz .LBB350_28
; %bb.2:
	s_load_dwordx2 s[4:5], s[0:1], 0x20
	s_cmp_lt_u32 s20, 4
	v_mul_lo_u32 v4, v4, s20
	s_cbranch_scc1 .LBB350_21
; %bb.3:
	s_mov_b32 s7, 0
	s_and_b32 s10, s20, 0x7ffffffc
	v_ashrrev_i32_e32 v5, 31, v4
	v_mov_b32_e32 v1, 0
	s_mov_b32 s6, s7
	s_branch .LBB350_5
.LBB350_4:                              ;   in Loop: Header=BB350_5 Depth=1
	s_or_b64 exec, exec, s[12:13]
	s_add_i32 s6, s6, 4
	s_cmp_eq_u32 s6, s10
	s_cbranch_scc1 .LBB350_21
.LBB350_5:                              ; =>This Loop Header: Depth=1
                                        ;     Child Loop BB350_7 Depth 2
                                        ;     Child Loop BB350_11 Depth 2
	;; [unrolled: 1-line block ×4, first 2 shown]
	v_lshl_add_u64 v[6:7], s[6:7], 3, v[2:3]
	global_load_dwordx2 v[8:9], v[6:7], off
	v_add_u32_e32 v10, s6, v4
	v_ashrrev_i32_e32 v11, 31, v10
	v_mov_b32_e32 v13, 0
	s_mov_b64 s[12:13], 0
	s_mov_b32 s11, 0
	s_waitcnt lgkmcnt(0)
	v_lshl_add_u64 v[10:11], v[10:11], 3, s[4:5]
	s_mov_b32 s16, 0
	s_waitcnt vmcnt(0)
	v_ashrrev_i32_e32 v9, 31, v8
	s_branch .LBB350_7
.LBB350_6:                              ;   in Loop: Header=BB350_7 Depth=2
	s_or_b64 exec, exec, s[14:15]
	s_add_i32 s17, s16, 1
	s_cmp_gt_u32 s16, 10
	s_cselect_b64 s[2:3], -1, 0
	s_xor_b64 s[14:15], vcc, -1
	s_or_b64 s[2:3], s[14:15], s[2:3]
	s_add_i32 s11, s11, 32
	s_and_b64 s[2:3], exec, s[2:3]
	v_add_u32_e32 v13, 4, v13
	s_or_b64 s[12:13], s[2:3], s[12:13]
	s_mov_b32 s16, s17
	s_andn2_b64 exec, exec, s[12:13]
	s_cbranch_execz .LBB350_9
.LBB350_7:                              ;   Parent Loop BB350_5 Depth=1
                                        ; =>  This Inner Loop Header: Depth=2
	s_and_b32 s2, s16, 1
	s_and_b32 s3, s11, 0x1c0
	s_or_b32 s2, s2, s3
	v_or_b32_e32 v14, s2, v12
	v_cmp_ne_u32_e32 vcc, v14, v8
	v_cmp_eq_u32_e64 s[2:3], v14, v8
	s_and_saveexec_b64 s[14:15], s[2:3]
	s_cbranch_execz .LBB350_6
; %bb.8:                                ;   in Loop: Header=BB350_7 Depth=2
	scratch_load_dword v14, v13, off
	s_waitcnt vmcnt(0)
	v_add_f32_e32 v1, v1, v14
	global_store_dwordx2 v[10:11], v[8:9], off
	s_branch .LBB350_6
.LBB350_9:                              ;   in Loop: Header=BB350_5 Depth=1
	s_or_b64 exec, exec, s[12:13]
	global_load_dwordx2 v[10:11], v[6:7], off offset:8
	s_ashr_i32 s3, s6, 31
	s_mov_b32 s2, s6
	v_lshl_add_u64 v[8:9], s[2:3], 0, v[4:5]
	v_mov_b32_e32 v13, 0
	s_mov_b32 s11, 0
	s_mov_b64 s[12:13], 0
	v_lshl_add_u64 v[8:9], v[8:9], 3, s[4:5]
	s_mov_b32 s16, 0
	s_waitcnt vmcnt(0)
	v_ashrrev_i32_e32 v11, 31, v10
	s_branch .LBB350_11
.LBB350_10:                             ;   in Loop: Header=BB350_11 Depth=2
	s_or_b64 exec, exec, s[14:15]
	s_add_i32 s17, s16, 1
	s_cmp_gt_u32 s16, 10
	s_cselect_b64 s[2:3], -1, 0
	s_xor_b64 s[14:15], vcc, -1
	s_or_b64 s[2:3], s[14:15], s[2:3]
	s_add_i32 s11, s11, 32
	s_and_b64 s[2:3], exec, s[2:3]
	v_add_u32_e32 v13, 4, v13
	s_or_b64 s[12:13], s[2:3], s[12:13]
	s_mov_b32 s16, s17
	s_andn2_b64 exec, exec, s[12:13]
	s_cbranch_execz .LBB350_13
.LBB350_11:                             ;   Parent Loop BB350_5 Depth=1
                                        ; =>  This Inner Loop Header: Depth=2
	s_and_b32 s2, s16, 1
	s_and_b32 s3, s11, 0x1c0
	s_or_b32 s2, s2, s3
	v_or_b32_e32 v14, s2, v12
	v_cmp_ne_u32_e32 vcc, v14, v10
	v_cmp_eq_u32_e64 s[2:3], v14, v10
	s_and_saveexec_b64 s[14:15], s[2:3]
	s_cbranch_execz .LBB350_10
; %bb.12:                               ;   in Loop: Header=BB350_11 Depth=2
	scratch_load_dword v14, v13, off
	s_waitcnt vmcnt(0)
	v_add_f32_e32 v1, v1, v14
	global_store_dwordx2 v[8:9], v[10:11], off offset:8
	s_branch .LBB350_10
.LBB350_13:                             ;   in Loop: Header=BB350_5 Depth=1
	s_or_b64 exec, exec, s[12:13]
	global_load_dwordx2 v[10:11], v[6:7], off offset:16
	v_mov_b32_e32 v13, 0
	s_mov_b32 s11, 0
	s_mov_b64 s[12:13], 0
	s_mov_b32 s16, 0
	s_waitcnt vmcnt(0)
	v_ashrrev_i32_e32 v11, 31, v10
	s_branch .LBB350_15
.LBB350_14:                             ;   in Loop: Header=BB350_15 Depth=2
	s_or_b64 exec, exec, s[14:15]
	s_add_i32 s17, s16, 1
	s_cmp_gt_u32 s16, 10
	s_cselect_b64 s[2:3], -1, 0
	s_xor_b64 s[14:15], vcc, -1
	s_or_b64 s[2:3], s[14:15], s[2:3]
	s_add_i32 s11, s11, 32
	s_and_b64 s[2:3], exec, s[2:3]
	v_add_u32_e32 v13, 4, v13
	s_or_b64 s[12:13], s[2:3], s[12:13]
	s_mov_b32 s16, s17
	s_andn2_b64 exec, exec, s[12:13]
	s_cbranch_execz .LBB350_17
.LBB350_15:                             ;   Parent Loop BB350_5 Depth=1
                                        ; =>  This Inner Loop Header: Depth=2
	s_and_b32 s2, s16, 1
	s_and_b32 s3, s11, 0x1c0
	s_or_b32 s2, s2, s3
	v_or_b32_e32 v14, s2, v12
	v_cmp_ne_u32_e32 vcc, v14, v10
	v_cmp_eq_u32_e64 s[2:3], v14, v10
	s_and_saveexec_b64 s[14:15], s[2:3]
	s_cbranch_execz .LBB350_14
; %bb.16:                               ;   in Loop: Header=BB350_15 Depth=2
	scratch_load_dword v14, v13, off
	s_waitcnt vmcnt(0)
	v_add_f32_e32 v1, v1, v14
	global_store_dwordx2 v[8:9], v[10:11], off offset:16
	s_branch .LBB350_14
.LBB350_17:                             ;   in Loop: Header=BB350_5 Depth=1
	s_or_b64 exec, exec, s[12:13]
	global_load_dwordx2 v[6:7], v[6:7], off offset:24
	v_mov_b32_e32 v10, 0
	s_mov_b32 s11, 0
	s_mov_b64 s[12:13], 0
	s_mov_b32 s16, 0
	s_waitcnt vmcnt(0)
	v_ashrrev_i32_e32 v7, 31, v6
	s_branch .LBB350_19
.LBB350_18:                             ;   in Loop: Header=BB350_19 Depth=2
	s_or_b64 exec, exec, s[14:15]
	s_add_i32 s17, s16, 1
	s_cmp_gt_u32 s16, 10
	s_cselect_b64 s[2:3], -1, 0
	s_xor_b64 s[14:15], vcc, -1
	s_or_b64 s[2:3], s[14:15], s[2:3]
	s_add_i32 s11, s11, 32
	s_and_b64 s[2:3], exec, s[2:3]
	v_add_u32_e32 v10, 4, v10
	s_or_b64 s[12:13], s[2:3], s[12:13]
	s_mov_b32 s16, s17
	s_andn2_b64 exec, exec, s[12:13]
	s_cbranch_execz .LBB350_4
.LBB350_19:                             ;   Parent Loop BB350_5 Depth=1
                                        ; =>  This Inner Loop Header: Depth=2
	s_and_b32 s2, s16, 1
	s_and_b32 s3, s11, 0x1c0
	s_or_b32 s2, s2, s3
	v_or_b32_e32 v11, s2, v12
	v_cmp_ne_u32_e32 vcc, v11, v6
	v_cmp_eq_u32_e64 s[2:3], v11, v6
	s_and_saveexec_b64 s[14:15], s[2:3]
	s_cbranch_execz .LBB350_18
; %bb.20:                               ;   in Loop: Header=BB350_19 Depth=2
	scratch_load_dword v11, v10, off
	s_waitcnt vmcnt(0)
	v_add_f32_e32 v1, v1, v11
	global_store_dwordx2 v[8:9], v[6:7], off offset:24
	s_branch .LBB350_18
.LBB350_21:
	s_and_b32 s14, s20, 3
	s_cmp_eq_u32 s14, 0
	s_mov_b32 s11, 0
	s_cbranch_scc1 .LBB350_28
; %bb.22:
	s_mov_b32 s15, s11
	s_branch .LBB350_24
.LBB350_23:                             ;   in Loop: Header=BB350_24 Depth=1
	s_or_b64 exec, exec, s[6:7]
	s_add_i32 s10, s10, 1
	s_add_i32 s15, s15, 1
	s_cmp_lg_u32 s15, s14
	s_cbranch_scc0 .LBB350_28
.LBB350_24:                             ; =>This Loop Header: Depth=1
                                        ;     Child Loop BB350_26 Depth 2
	v_lshl_add_u64 v[6:7], s[10:11], 3, v[2:3]
	global_load_dwordx2 v[6:7], v[6:7], off
	v_add_u32_e32 v8, s10, v4
	v_ashrrev_i32_e32 v9, 31, v8
	v_mov_b32_e32 v5, 0
	s_mov_b32 s16, 0
	s_mov_b64 s[6:7], 0
	s_waitcnt lgkmcnt(0)
	v_lshl_add_u64 v[8:9], v[8:9], 3, s[4:5]
	s_mov_b32 s17, 0
	s_waitcnt vmcnt(0)
	v_ashrrev_i32_e32 v7, 31, v6
	s_branch .LBB350_26
.LBB350_25:                             ;   in Loop: Header=BB350_26 Depth=2
	s_or_b64 exec, exec, s[12:13]
	s_add_i32 s18, s17, 1
	s_cmp_gt_u32 s17, 10
	s_cselect_b64 s[2:3], -1, 0
	s_xor_b64 s[12:13], vcc, -1
	s_or_b64 s[2:3], s[12:13], s[2:3]
	s_add_i32 s16, s16, 32
	s_and_b64 s[2:3], exec, s[2:3]
	v_add_u32_e32 v5, 4, v5
	s_or_b64 s[6:7], s[2:3], s[6:7]
	s_mov_b32 s17, s18
	s_andn2_b64 exec, exec, s[6:7]
	s_cbranch_execz .LBB350_23
.LBB350_26:                             ;   Parent Loop BB350_24 Depth=1
                                        ; =>  This Inner Loop Header: Depth=2
	s_and_b32 s2, s17, 1
	s_and_b32 s3, s16, 0x1c0
	s_or_b32 s2, s2, s3
	v_or_b32_e32 v10, s2, v12
	v_cmp_ne_u32_e32 vcc, v10, v6
	v_cmp_eq_u32_e64 s[2:3], v10, v6
	s_and_saveexec_b64 s[12:13], s[2:3]
	s_cbranch_execz .LBB350_25
; %bb.27:                               ;   in Loop: Header=BB350_26 Depth=2
	scratch_load_dword v10, v5, off
	s_waitcnt vmcnt(0)
	v_add_f32_e32 v1, v1, v10
	global_store_dwordx2 v[8:9], v[6:7], off
	s_branch .LBB350_25
.LBB350_28:
	s_waitcnt lgkmcnt(0)
	s_load_dword s4, s[0:1], 0x3c
	s_waitcnt lgkmcnt(0)
	s_bitcmp1_b32 s4, 0
	s_cselect_b64 s[2:3], -1, 0
	s_bitcmp0_b32 s4, 0
	s_cbranch_scc0 .LBB350_31
; %bb.29:
	s_load_dwordx2 s[4:5], s[0:1], 0x40
	s_andn2_b64 vcc, exec, s[2:3]
	s_waitcnt lgkmcnt(0)
	v_cvt_f32_f64_e32 v4, s[4:5]
	s_cbranch_vccz .LBB350_32
.LBB350_30:
	s_andn2_b64 vcc, exec, s[8:9]
	s_cbranch_vccz .LBB350_33
	s_branch .LBB350_59
.LBB350_31:
	v_mbcnt_lo_u32_b32 v4, -1, 0
	v_mbcnt_hi_u32_b32 v4, -1, v4
	v_and_b32_e32 v5, 0x60, v4
	v_add_u32_e32 v5, 32, v5
	v_xor_b32_e32 v6, 16, v4
	v_cmp_lt_i32_e32 vcc, v6, v5
	v_xor_b32_e32 v7, 8, v4
	s_nop 0
	v_cndmask_b32_e32 v6, v4, v6, vcc
	v_lshlrev_b32_e32 v6, 2, v6
	ds_bpermute_b32 v6, v6, v1
	v_cmp_lt_i32_e32 vcc, v7, v5
	s_waitcnt lgkmcnt(0)
	v_add_f32_e32 v1, v1, v6
	v_cndmask_b32_e32 v6, v4, v7, vcc
	v_lshlrev_b32_e32 v6, 2, v6
	ds_bpermute_b32 v6, v6, v1
	v_xor_b32_e32 v7, 4, v4
	v_cmp_lt_i32_e32 vcc, v7, v5
	s_waitcnt lgkmcnt(0)
	v_add_f32_e32 v1, v1, v6
	v_cndmask_b32_e32 v6, v4, v7, vcc
	v_lshlrev_b32_e32 v6, 2, v6
	ds_bpermute_b32 v6, v6, v1
	v_xor_b32_e32 v7, 2, v4
	v_cmp_lt_i32_e32 vcc, v7, v5
	s_waitcnt lgkmcnt(0)
	v_add_f32_e32 v1, v1, v6
	v_cndmask_b32_e32 v6, v4, v7, vcc
	v_lshlrev_b32_e32 v6, 2, v6
	ds_bpermute_b32 v6, v6, v1
	v_xor_b32_e32 v7, 1, v4
	v_cmp_lt_i32_e32 vcc, v7, v5
	s_waitcnt lgkmcnt(0)
	v_add_f32_e32 v1, v1, v6
	v_cndmask_b32_e32 v4, v4, v7, vcc
	v_lshlrev_b32_e32 v4, 2, v4
	ds_bpermute_b32 v4, v4, v1
	s_waitcnt lgkmcnt(0)
	v_add_f32_e32 v1, v1, v4
	s_load_dwordx2 s[4:5], s[0:1], 0x40
	s_andn2_b64 vcc, exec, s[2:3]
	s_waitcnt lgkmcnt(0)
	v_cvt_f32_f64_e32 v4, s[4:5]
	s_cbranch_vccnz .LBB350_30
.LBB350_32:
	v_cmp_lt_f32_e32 vcc, 0, v1
	s_nop 1
	v_cndmask_b32_e32 v1, 1.0, v1, vcc
	v_div_scale_f32 v5, s[2:3], v1, v1, v4
	v_rcp_f32_e32 v6, v5
	s_nop 0
	v_fma_f32 v7, -v5, v6, 1.0
	v_fmac_f32_e32 v6, v7, v6
	v_div_scale_f32 v7, vcc, v4, v1, v4
	v_mul_f32_e32 v8, v7, v6
	v_fma_f32 v9, -v5, v8, v7
	v_fmac_f32_e32 v8, v9, v6
	v_fma_f32 v5, -v5, v8, v7
	v_div_fmas_f32 v5, v5, v6, v8
	v_div_fixup_f32 v4, v5, v1, v4
	s_andn2_b64 vcc, exec, s[8:9]
	s_cbranch_vccnz .LBB350_59
.LBB350_33:
	s_load_dwordx2 s[22:23], s[0:1], 0x10
	v_mov_b32_e32 v1, 0
	v_or_b32_e32 v5, 4, v1
	v_or_b32_e32 v6, 8, v1
	;; [unrolled: 1-line block ×3, first 2 shown]
	v_add_u32_e32 v8, 16, v1
	v_add_u32_e32 v9, 20, v1
	;; [unrolled: 1-line block ×8, first 2 shown]
	v_or_b32_e32 v17, 1, v12
	v_or_b32_e32 v18, 64, v12
	;; [unrolled: 1-line block ×11, first 2 shown]
	s_branch .LBB350_35
.LBB350_34:                             ;   in Loop: Header=BB350_35 Depth=1
	s_or_b64 exec, exec, s[0:1]
	s_add_i32 s20, s20, -1
	v_add_u32_e32 v0, 1, v0
	s_cmp_eq_u32 s20, 0
	v_lshl_add_u64 v[2:3], v[2:3], 0, 8
	s_cbranch_scc1 .LBB350_59
.LBB350_35:                             ; =>This Inner Loop Header: Depth=1
	global_load_dword v28, v[2:3], off
	v_mov_b32_e32 v1, 0
	s_waitcnt vmcnt(0)
	v_cmp_eq_u32_e32 vcc, v12, v28
	v_cmp_ne_u32_e64 s[0:1], v12, v28
	s_and_saveexec_b64 s[24:25], s[0:1]
	s_cbranch_execz .LBB350_57
; %bb.36:                               ;   in Loop: Header=BB350_35 Depth=1
	v_cmp_eq_u32_e64 s[0:1], v17, v28
	v_cmp_ne_u32_e64 s[2:3], v17, v28
	v_mov_b32_e32 v1, v5
	s_and_saveexec_b64 s[26:27], s[2:3]
	s_cbranch_execz .LBB350_56
; %bb.37:                               ;   in Loop: Header=BB350_35 Depth=1
	v_cmp_eq_u32_e64 s[2:3], v18, v28
	v_cmp_ne_u32_e64 s[4:5], v18, v28
	v_mov_b32_e32 v1, v6
	;; [unrolled: 6-line block ×10, first 2 shown]
	s_and_saveexec_b64 s[48:49], s[18:19]
	s_xor_b64 s[48:49], exec, s[48:49]
; %bb.46:                               ;   in Loop: Header=BB350_35 Depth=1
	v_cmp_eq_u32_e64 s[18:19], v27, v28
	s_andn2_b64 s[46:47], s[46:47], exec
	s_and_b64 s[18:19], s[18:19], exec
	s_or_b64 s[46:47], s[46:47], s[18:19]
	v_mov_b32_e32 v1, v16
; %bb.47:                               ;   in Loop: Header=BB350_35 Depth=1
	s_or_b64 exec, exec, s[48:49]
	s_andn2_b64 s[16:17], s[16:17], exec
	s_and_b64 s[18:19], s[46:47], exec
	s_or_b64 s[16:17], s[16:17], s[18:19]
.LBB350_48:                             ;   in Loop: Header=BB350_35 Depth=1
	s_or_b64 exec, exec, s[44:45]
	s_andn2_b64 s[14:15], s[14:15], exec
	s_and_b64 s[16:17], s[16:17], exec
	s_or_b64 s[14:15], s[14:15], s[16:17]
.LBB350_49:                             ;   in Loop: Header=BB350_35 Depth=1
	s_or_b64 exec, exec, s[42:43]
	s_andn2_b64 s[12:13], s[12:13], exec
	s_and_b64 s[14:15], s[14:15], exec
	s_or_b64 s[12:13], s[12:13], s[14:15]
.LBB350_50:                             ;   in Loop: Header=BB350_35 Depth=1
	s_or_b64 exec, exec, s[40:41]
	s_andn2_b64 s[10:11], s[10:11], exec
	s_and_b64 s[12:13], s[12:13], exec
	s_or_b64 s[10:11], s[10:11], s[12:13]
.LBB350_51:                             ;   in Loop: Header=BB350_35 Depth=1
	s_or_b64 exec, exec, s[38:39]
	s_andn2_b64 s[8:9], s[8:9], exec
	s_and_b64 s[10:11], s[10:11], exec
	s_or_b64 s[8:9], s[8:9], s[10:11]
.LBB350_52:                             ;   in Loop: Header=BB350_35 Depth=1
	s_or_b64 exec, exec, s[36:37]
	s_andn2_b64 s[6:7], s[6:7], exec
	s_and_b64 s[8:9], s[8:9], exec
	s_or_b64 s[6:7], s[6:7], s[8:9]
.LBB350_53:                             ;   in Loop: Header=BB350_35 Depth=1
	s_or_b64 exec, exec, s[34:35]
	s_andn2_b64 s[4:5], s[4:5], exec
	s_and_b64 s[6:7], s[6:7], exec
	s_or_b64 s[4:5], s[4:5], s[6:7]
.LBB350_54:                             ;   in Loop: Header=BB350_35 Depth=1
	s_or_b64 exec, exec, s[30:31]
	s_andn2_b64 s[2:3], s[2:3], exec
	s_and_b64 s[4:5], s[4:5], exec
	s_or_b64 s[2:3], s[2:3], s[4:5]
.LBB350_55:                             ;   in Loop: Header=BB350_35 Depth=1
	s_or_b64 exec, exec, s[28:29]
	s_andn2_b64 s[0:1], s[0:1], exec
	s_and_b64 s[2:3], s[2:3], exec
	s_or_b64 s[0:1], s[0:1], s[2:3]
.LBB350_56:                             ;   in Loop: Header=BB350_35 Depth=1
	s_or_b64 exec, exec, s[26:27]
	s_andn2_b64 s[2:3], vcc, exec
	s_and_b64 s[0:1], s[0:1], exec
	s_or_b64 vcc, s[2:3], s[0:1]
.LBB350_57:                             ;   in Loop: Header=BB350_35 Depth=1
	s_or_b64 exec, exec, s[24:25]
	s_and_saveexec_b64 s[0:1], vcc
	s_cbranch_execz .LBB350_34
; %bb.58:                               ;   in Loop: Header=BB350_35 Depth=1
	scratch_load_dword v28, v1, off
	v_ashrrev_i32_e32 v1, 31, v0
	s_waitcnt vmcnt(0)
	v_mul_f32_e32 v30, v4, v28
	s_waitcnt lgkmcnt(0)
	v_lshl_add_u64 v[28:29], v[0:1], 2, s[22:23]
	global_store_dword v[28:29], v30, off
	s_branch .LBB350_34
.LBB350_59:
	s_endpgm
	.section	.rodata,"a",@progbits
	.p2align	6, 0x0
	.amdhsa_kernel _ZN4vllm3moe22topkGatingSoftplusSqrtILi12ELi384ELi4ELi4ELi32ELb1El6__halfEEvPKT6_PKbPfiPT5_PiiiibdPKfPKS9_SF_
		.amdhsa_group_segment_fixed_size 0
		.amdhsa_private_segment_fixed_size 64
		.amdhsa_kernarg_size 96
		.amdhsa_user_sgpr_count 2
		.amdhsa_user_sgpr_dispatch_ptr 0
		.amdhsa_user_sgpr_queue_ptr 0
		.amdhsa_user_sgpr_kernarg_segment_ptr 1
		.amdhsa_user_sgpr_dispatch_id 0
		.amdhsa_user_sgpr_kernarg_preload_length 0
		.amdhsa_user_sgpr_kernarg_preload_offset 0
		.amdhsa_user_sgpr_private_segment_size 0
		.amdhsa_uses_dynamic_stack 0
		.amdhsa_enable_private_segment 1
		.amdhsa_system_sgpr_workgroup_id_x 1
		.amdhsa_system_sgpr_workgroup_id_y 0
		.amdhsa_system_sgpr_workgroup_id_z 0
		.amdhsa_system_sgpr_workgroup_info 0
		.amdhsa_system_vgpr_workitem_id 1
		.amdhsa_next_free_vgpr 32
		.amdhsa_next_free_sgpr 50
		.amdhsa_accum_offset 32
		.amdhsa_reserve_vcc 1
		.amdhsa_float_round_mode_32 0
		.amdhsa_float_round_mode_16_64 0
		.amdhsa_float_denorm_mode_32 3
		.amdhsa_float_denorm_mode_16_64 3
		.amdhsa_dx10_clamp 1
		.amdhsa_ieee_mode 1
		.amdhsa_fp16_overflow 0
		.amdhsa_tg_split 0
		.amdhsa_exception_fp_ieee_invalid_op 0
		.amdhsa_exception_fp_denorm_src 0
		.amdhsa_exception_fp_ieee_div_zero 0
		.amdhsa_exception_fp_ieee_overflow 0
		.amdhsa_exception_fp_ieee_underflow 0
		.amdhsa_exception_fp_ieee_inexact 0
		.amdhsa_exception_int_div_zero 0
	.end_amdhsa_kernel
	.section	.text._ZN4vllm3moe22topkGatingSoftplusSqrtILi12ELi384ELi4ELi4ELi32ELb1El6__halfEEvPKT6_PKbPfiPT5_PiiiibdPKfPKS9_SF_,"axG",@progbits,_ZN4vllm3moe22topkGatingSoftplusSqrtILi12ELi384ELi4ELi4ELi32ELb1El6__halfEEvPKT6_PKbPfiPT5_PiiiibdPKfPKS9_SF_,comdat
.Lfunc_end350:
	.size	_ZN4vllm3moe22topkGatingSoftplusSqrtILi12ELi384ELi4ELi4ELi32ELb1El6__halfEEvPKT6_PKbPfiPT5_PiiiibdPKfPKS9_SF_, .Lfunc_end350-_ZN4vllm3moe22topkGatingSoftplusSqrtILi12ELi384ELi4ELi4ELi32ELb1El6__halfEEvPKT6_PKbPfiPT5_PiiiibdPKfPKS9_SF_
                                        ; -- End function
	.section	.AMDGPU.csdata,"",@progbits
; Kernel info:
; codeLenInByte = 5156
; NumSgprs: 56
; NumVgprs: 32
; NumAgprs: 0
; TotalNumVgprs: 32
; ScratchSize: 64
; MemoryBound: 0
; FloatMode: 240
; IeeeMode: 1
; LDSByteSize: 0 bytes/workgroup (compile time only)
; SGPRBlocks: 6
; VGPRBlocks: 3
; NumSGPRsForWavesPerEU: 56
; NumVGPRsForWavesPerEU: 32
; AccumOffset: 32
; Occupancy: 8
; WaveLimiterHint : 1
; COMPUTE_PGM_RSRC2:SCRATCH_EN: 1
; COMPUTE_PGM_RSRC2:USER_SGPR: 2
; COMPUTE_PGM_RSRC2:TRAP_HANDLER: 0
; COMPUTE_PGM_RSRC2:TGID_X_EN: 1
; COMPUTE_PGM_RSRC2:TGID_Y_EN: 0
; COMPUTE_PGM_RSRC2:TGID_Z_EN: 0
; COMPUTE_PGM_RSRC2:TIDIG_COMP_CNT: 1
; COMPUTE_PGM_RSRC3_GFX90A:ACCUM_OFFSET: 7
; COMPUTE_PGM_RSRC3_GFX90A:TG_SPLIT: 0
	.section	.text._ZN4vllm3moe22topkGatingSoftplusSqrtILi12ELi384ELi4ELi4ELi32ELb0El6__halfEEvPKT6_PKbPfiPT5_PiiiibdPKfPKS9_SF_,"axG",@progbits,_ZN4vllm3moe22topkGatingSoftplusSqrtILi12ELi384ELi4ELi4ELi32ELb0El6__halfEEvPKT6_PKbPfiPT5_PiiiibdPKfPKS9_SF_,comdat
	.protected	_ZN4vllm3moe22topkGatingSoftplusSqrtILi12ELi384ELi4ELi4ELi32ELb0El6__halfEEvPKT6_PKbPfiPT5_PiiiibdPKfPKS9_SF_ ; -- Begin function _ZN4vllm3moe22topkGatingSoftplusSqrtILi12ELi384ELi4ELi4ELi32ELb0El6__halfEEvPKT6_PKbPfiPT5_PiiiibdPKfPKS9_SF_
	.globl	_ZN4vllm3moe22topkGatingSoftplusSqrtILi12ELi384ELi4ELi4ELi32ELb0El6__halfEEvPKT6_PKbPfiPT5_PiiiibdPKfPKS9_SF_
	.p2align	8
	.type	_ZN4vllm3moe22topkGatingSoftplusSqrtILi12ELi384ELi4ELi4ELi32ELb0El6__halfEEvPKT6_PKbPfiPT5_PiiiibdPKfPKS9_SF_,@function
_ZN4vllm3moe22topkGatingSoftplusSqrtILi12ELi384ELi4ELi4ELi32ELb0El6__halfEEvPKT6_PKbPfiPT5_PiiiibdPKfPKS9_SF_: ; @_ZN4vllm3moe22topkGatingSoftplusSqrtILi12ELi384ELi4ELi4ELi32ELb0El6__halfEEvPKT6_PKbPfiPT5_PiiiibdPKfPKS9_SF_
; %bb.0:
	s_load_dword s33, s[0:1], 0x18
	v_and_b32_e32 v1, 0x3ff, v0
	s_lshl_b32 s2, s2, 2
	v_lshrrev_b32_e32 v2, 5, v1
	v_bfe_u32 v0, v0, 10, 10
	v_add3_u32 v12, s2, v0, v2
	s_waitcnt lgkmcnt(0)
	v_cmp_gt_i32_e32 vcc, s33, v12
	s_and_saveexec_b64 s[2:3], vcc
	s_cbranch_execz .LBB351_73
; %bb.1:
	s_load_dwordx4 s[4:7], s[0:1], 0x0
	s_load_dwordx2 s[34:35], s[0:1], 0x10
	s_waitcnt lgkmcnt(0)
	s_cmp_eq_u64 s[6:7], 0
	s_cbranch_scc1 .LBB351_3
; %bb.2:
	v_ashrrev_i32_e32 v13, 31, v12
	v_lshl_add_u64 v[2:3], s[6:7], 0, v[12:13]
	global_load_ubyte v0, v[2:3], off
	s_waitcnt vmcnt(0)
	v_and_b32_e32 v0, 1, v0
	v_cmp_eq_u32_e32 vcc, 1, v0
	s_xor_b64 s[2:3], vcc, -1
	s_orn2_b64 s[44:45], s[2:3], exec
	s_branch .LBB351_4
.LBB351_3:
	s_mov_b64 s[44:45], -1
.LBB351_4:
	s_movk_i32 s2, 0x180
	v_mul_lo_u32 v4, v12, s2
	v_mov_b32_e32 v2, s4
	v_mov_b32_e32 v3, s5
	v_ashrrev_i32_e32 v5, 31, v4
	v_and_b32_e32 v13, 31, v1
	v_lshl_add_u64 v[2:3], v[4:5], 1, v[2:3]
	v_mov_b32_e32 v1, 0
	v_lshlrev_b32_e32 v0, 2, v13
	v_lshl_add_u64 v[14:15], v[2:3], 0, v[0:1]
	global_load_dword v1, v[14:15], off
	global_load_dword v3, v[14:15], off offset:128
	global_load_dword v5, v[14:15], off offset:256
	;; [unrolled: 1-line block ×5, first 2 shown]
	s_mov_b32 s12, 0x800000
	v_mov_b32_e32 v4, 0x4f800000
	s_mov_b32 s9, 0x3f317217
	s_mov_b32 s10, 0x7f800000
	v_mov_b32_e32 v6, 0x41b17218
	s_movk_i32 s8, 0x4d00
	s_mov_b32 s11, 0xf800000
	s_load_dwordx4 s[28:31], s[0:1], 0x40
	v_lshlrev_b32_e32 v16, 1, v13
	v_lshlrev_b32_e32 v14, 2, v16
	s_waitcnt lgkmcnt(0)
	s_cmp_lg_u64 s[30:31], 0
	s_cselect_b64 s[6:7], -1, 0
	s_and_b64 s[2:3], exec, s[6:7]
	s_waitcnt vmcnt(5)
	v_cvt_f32_f16_e32 v0, v1
	v_mul_f32_e32 v2, 0x3fb8aa3b, v0
	v_exp_f32_e32 v8, v2
	v_mov_b32_e32 v2, 0x260
	v_add_f32_e32 v8, 1.0, v8
	v_cmp_gt_f32_e32 vcc, s12, v8
	s_nop 1
	v_cndmask_b32_e32 v10, 1.0, v4, vcc
	v_mul_f32_e32 v8, v8, v10
	v_log_f32_e32 v8, v8
	v_cndmask_b32_e32 v10, 0, v6, vcc
	v_mul_f32_e32 v15, 0x3f317217, v8
	v_fma_f32 v15, v8, s9, -v15
	v_fmac_f32_e32 v15, 0x3377d1cf, v8
	v_fmac_f32_e32 v15, 0x3f317217, v8
	v_cmp_lt_f32_e64 vcc, |v8|, s10
	s_nop 1
	v_cndmask_b32_e32 v8, v8, v15, vcc
	v_sub_f32_e32 v8, v8, v10
	v_cmp_lt_f16_e32 vcc, s8, v1
	s_nop 1
	v_cndmask_b32_e32 v0, v8, v0, vcc
	v_mul_f32_e32 v8, 0x4f800000, v0
	v_cmp_gt_f32_e32 vcc, s11, v0
	s_nop 1
	v_cndmask_b32_e32 v0, v0, v8, vcc
	v_sqrt_f32_e32 v8, v0
	s_nop 0
	v_add_u32_e32 v10, -1, v8
	v_add_u32_e32 v15, 1, v8
	v_fma_f32 v17, -v10, v8, v0
	v_fma_f32 v18, -v15, v8, v0
	v_cmp_ge_f32_e64 s[4:5], 0, v17
	s_nop 1
	v_cndmask_b32_e64 v8, v8, v10, s[4:5]
	v_cmp_lt_f32_e64 s[4:5], 0, v18
	s_nop 1
	v_cndmask_b32_e64 v8, v8, v15, s[4:5]
	v_mul_f32_e32 v10, 0x37800000, v8
	v_cndmask_b32_e32 v8, v8, v10, vcc
	v_cmp_class_f32_e32 vcc, v0, v2
	s_nop 1
	v_cndmask_b32_e32 v0, v8, v0, vcc
	s_mov_b64 vcc, s[2:3]
	s_cbranch_vccz .LBB351_6
; %bb.5:
	global_load_dword v8, v14, s[30:31]
	s_waitcnt vmcnt(0)
	v_add_f32_e32 v0, v0, v8
.LBB351_6:
	v_cvt_f32_f16_sdwa v8, v1 dst_sel:DWORD dst_unused:UNUSED_PAD src0_sel:WORD_1
	v_mul_f32_e32 v10, 0x3fb8aa3b, v8
	v_exp_f32_e32 v10, v10
	s_nop 0
	v_add_f32_e32 v10, 1.0, v10
	v_cmp_gt_f32_e32 vcc, s12, v10
	s_nop 1
	v_cndmask_b32_e32 v4, 1.0, v4, vcc
	v_mul_f32_e32 v4, v10, v4
	v_log_f32_e32 v4, v4
	v_cndmask_b32_e32 v6, 0, v6, vcc
	v_mul_f32_e32 v10, 0x3f317217, v4
	v_fma_f32 v10, v4, s9, -v10
	v_fmac_f32_e32 v10, 0x3377d1cf, v4
	v_fmac_f32_e32 v10, 0x3f317217, v4
	v_cmp_lt_f32_e64 vcc, |v4|, s10
	s_nop 1
	v_cndmask_b32_e32 v4, v4, v10, vcc
	v_sub_f32_e32 v4, v4, v6
	v_cmp_gt_f16_sdwa vcc, v1, s8 src0_sel:WORD_1 src1_sel:DWORD
	v_cndmask_b32_e64 v6, 0, 1, s[6:7]
	v_cmp_ne_u32_e64 s[2:3], 1, v6
	v_cndmask_b32_e32 v1, v4, v8, vcc
	v_mul_f32_e32 v4, 0x4f800000, v1
	v_cmp_gt_f32_e64 s[4:5], s11, v1
	s_andn2_b64 vcc, exec, s[6:7]
	s_nop 0
	v_cndmask_b32_e64 v1, v1, v4, s[4:5]
	v_sqrt_f32_e32 v4, v1
	s_nop 0
	v_add_u32_e32 v6, -1, v4
	v_add_u32_e32 v8, 1, v4
	v_fma_f32 v10, -v6, v4, v1
	v_fma_f32 v15, -v8, v4, v1
	v_cmp_ge_f32_e64 s[6:7], 0, v10
	s_nop 1
	v_cndmask_b32_e64 v4, v4, v6, s[6:7]
	v_cmp_lt_f32_e64 s[6:7], 0, v15
	s_nop 1
	v_cndmask_b32_e64 v4, v4, v8, s[6:7]
	v_mul_f32_e32 v6, 0x37800000, v4
	v_cndmask_b32_e64 v4, v4, v6, s[4:5]
	v_cmp_class_f32_e64 s[4:5], v1, v2
	s_nop 1
	v_cndmask_b32_e64 v1, v4, v1, s[4:5]
	s_cbranch_vccnz .LBB351_8
; %bb.7:
	global_load_dword v2, v14, s[30:31] offset:4
	s_waitcnt vmcnt(0)
	v_add_f32_e32 v1, v1, v2
.LBB351_8:
	s_waitcnt vmcnt(4)
	v_cvt_f32_f16_e32 v2, v3
	s_mov_b32 s8, 0x800000
	v_mov_b32_e32 v6, 0x4f800000
	s_mov_b32 s7, 0x3f317217
	v_mul_f32_e32 v4, 0x3fb8aa3b, v2
	v_exp_f32_e32 v4, v4
	s_mov_b32 s9, 0x7f800000
	s_movk_i32 s6, 0x4d00
	s_mov_b32 s10, 0xf800000
	v_add_f32_e32 v4, 1.0, v4
	v_cmp_gt_f32_e32 vcc, s8, v4
	s_nop 1
	v_cndmask_b32_e32 v8, 1.0, v6, vcc
	v_mul_f32_e32 v4, v4, v8
	v_log_f32_e32 v4, v4
	v_mov_b32_e32 v8, 0x41b17218
	v_cndmask_b32_e32 v10, 0, v8, vcc
	v_mul_f32_e32 v15, 0x3f317217, v4
	v_fma_f32 v15, v4, s7, -v15
	v_fmac_f32_e32 v15, 0x3377d1cf, v4
	v_fmac_f32_e32 v15, 0x3f317217, v4
	v_cmp_lt_f32_e64 vcc, |v4|, s9
	s_nop 1
	v_cndmask_b32_e32 v4, v4, v15, vcc
	v_sub_f32_e32 v4, v4, v10
	v_cmp_lt_f16_e32 vcc, s6, v3
	s_nop 1
	v_cndmask_b32_e32 v2, v4, v2, vcc
	v_mul_f32_e32 v4, 0x4f800000, v2
	v_cmp_gt_f32_e32 vcc, s10, v2
	s_nop 1
	v_cndmask_b32_e32 v2, v2, v4, vcc
	v_sqrt_f32_e32 v4, v2
	s_nop 0
	v_add_u32_e32 v10, -1, v4
	v_fma_f32 v15, -v10, v4, v2
	v_cmp_ge_f32_e64 s[4:5], 0, v15
	v_add_u32_e32 v15, 1, v4
	s_nop 0
	v_cndmask_b32_e64 v10, v4, v10, s[4:5]
	v_fma_f32 v4, -v15, v4, v2
	v_cmp_lt_f32_e64 s[4:5], 0, v4
	s_nop 1
	v_cndmask_b32_e64 v4, v10, v15, s[4:5]
	v_mul_f32_e32 v10, 0x37800000, v4
	v_cndmask_b32_e32 v10, v4, v10, vcc
	v_mov_b32_e32 v4, 0x260
	v_cmp_class_f32_e64 s[4:5], v2, v4
	s_and_b64 vcc, exec, s[2:3]
	s_nop 0
	v_cndmask_b32_e64 v2, v10, v2, s[4:5]
	s_cbranch_vccnz .LBB351_10
; %bb.9:
	global_load_dword v10, v14, s[30:31] offset:256
	s_waitcnt vmcnt(0)
	v_add_f32_e32 v2, v2, v10
.LBB351_10:
	v_cvt_f32_f16_sdwa v10, v3 dst_sel:DWORD dst_unused:UNUSED_PAD src0_sel:WORD_1
	v_mul_f32_e32 v15, 0x3fb8aa3b, v10
	v_exp_f32_e32 v15, v15
	s_nop 0
	v_add_f32_e32 v15, 1.0, v15
	v_cmp_gt_f32_e32 vcc, s8, v15
	s_nop 1
	v_cndmask_b32_e32 v6, 1.0, v6, vcc
	v_mul_f32_e32 v6, v15, v6
	v_log_f32_e32 v6, v6
	v_cndmask_b32_e32 v8, 0, v8, vcc
	v_mul_f32_e32 v15, 0x3f317217, v6
	v_fma_f32 v15, v6, s7, -v15
	v_fmac_f32_e32 v15, 0x3377d1cf, v6
	v_fmac_f32_e32 v15, 0x3f317217, v6
	v_cmp_lt_f32_e64 vcc, |v6|, s9
	s_nop 1
	v_cndmask_b32_e32 v6, v6, v15, vcc
	v_sub_f32_e32 v6, v6, v8
	v_cmp_gt_f16_sdwa vcc, v3, s6 src0_sel:WORD_1 src1_sel:DWORD
	s_nop 1
	v_cndmask_b32_e32 v3, v6, v10, vcc
	v_mul_f32_e32 v6, 0x4f800000, v3
	v_cmp_gt_f32_e64 s[4:5], s10, v3
	s_and_b64 vcc, exec, s[2:3]
	s_nop 0
	v_cndmask_b32_e64 v3, v3, v6, s[4:5]
	v_sqrt_f32_e32 v6, v3
	s_nop 0
	v_add_u32_e32 v8, -1, v6
	v_add_u32_e32 v10, 1, v6
	v_fma_f32 v15, -v8, v6, v3
	v_fma_f32 v17, -v10, v6, v3
	v_cmp_ge_f32_e64 s[6:7], 0, v15
	s_nop 1
	v_cndmask_b32_e64 v6, v6, v8, s[6:7]
	v_cmp_lt_f32_e64 s[6:7], 0, v17
	s_nop 1
	v_cndmask_b32_e64 v6, v6, v10, s[6:7]
	v_mul_f32_e32 v8, 0x37800000, v6
	v_cndmask_b32_e64 v6, v6, v8, s[4:5]
	v_cmp_class_f32_e64 s[4:5], v3, v4
	s_nop 1
	v_cndmask_b32_e64 v3, v6, v3, s[4:5]
	s_cbranch_vccnz .LBB351_12
; %bb.11:
	global_load_dword v4, v14, s[30:31] offset:260
	s_waitcnt vmcnt(0)
	v_add_f32_e32 v3, v3, v4
.LBB351_12:
	s_waitcnt vmcnt(3)
	v_cvt_f32_f16_e32 v4, v5
	v_mov_b32_e32 v8, 0x4f800000
	s_mov_b32 s7, 0x3f317217
	s_movk_i32 s6, 0x4d00
	v_mul_f32_e32 v6, 0x3fb8aa3b, v4
	v_exp_f32_e32 v6, v6
	s_nop 0
	v_add_f32_e32 v6, 1.0, v6
	v_cmp_gt_f32_e32 vcc, s8, v6
	s_nop 1
	v_cndmask_b32_e32 v10, 1.0, v8, vcc
	v_mul_f32_e32 v6, v6, v10
	v_log_f32_e32 v6, v6
	v_mov_b32_e32 v10, 0x41b17218
	v_cndmask_b32_e32 v15, 0, v10, vcc
	v_mul_f32_e32 v17, 0x3f317217, v6
	v_fma_f32 v17, v6, s7, -v17
	v_fmac_f32_e32 v17, 0x3377d1cf, v6
	v_fmac_f32_e32 v17, 0x3f317217, v6
	v_cmp_lt_f32_e64 vcc, |v6|, s9
	s_nop 1
	v_cndmask_b32_e32 v6, v6, v17, vcc
	v_sub_f32_e32 v6, v6, v15
	v_cmp_lt_f16_e32 vcc, s6, v5
	s_nop 1
	v_cndmask_b32_e32 v4, v6, v4, vcc
	v_mul_f32_e32 v6, 0x4f800000, v4
	v_cmp_gt_f32_e32 vcc, s10, v4
	s_nop 1
	v_cndmask_b32_e32 v4, v4, v6, vcc
	v_sqrt_f32_e32 v6, v4
	s_nop 0
	v_add_u32_e32 v15, -1, v6
	v_fma_f32 v17, -v15, v6, v4
	v_cmp_ge_f32_e64 s[4:5], 0, v17
	v_add_u32_e32 v17, 1, v6
	s_nop 0
	v_cndmask_b32_e64 v15, v6, v15, s[4:5]
	v_fma_f32 v6, -v17, v6, v4
	v_cmp_lt_f32_e64 s[4:5], 0, v6
	s_nop 1
	v_cndmask_b32_e64 v6, v15, v17, s[4:5]
	v_mul_f32_e32 v15, 0x37800000, v6
	v_cndmask_b32_e32 v15, v6, v15, vcc
	v_mov_b32_e32 v6, 0x260
	v_cmp_class_f32_e64 s[4:5], v4, v6
	s_and_b64 vcc, exec, s[2:3]
	s_nop 0
	v_cndmask_b32_e64 v4, v15, v4, s[4:5]
	s_cbranch_vccnz .LBB351_14
; %bb.13:
	global_load_dword v15, v14, s[30:31] offset:512
	s_waitcnt vmcnt(0)
	v_add_f32_e32 v4, v4, v15
.LBB351_14:
	v_cvt_f32_f16_sdwa v15, v5 dst_sel:DWORD dst_unused:UNUSED_PAD src0_sel:WORD_1
	v_mul_f32_e32 v17, 0x3fb8aa3b, v15
	v_exp_f32_e32 v17, v17
	s_nop 0
	v_add_f32_e32 v17, 1.0, v17
	v_cmp_gt_f32_e32 vcc, s8, v17
	s_nop 1
	v_cndmask_b32_e32 v8, 1.0, v8, vcc
	v_mul_f32_e32 v8, v17, v8
	v_log_f32_e32 v8, v8
	v_cndmask_b32_e32 v10, 0, v10, vcc
	v_mul_f32_e32 v17, 0x3f317217, v8
	v_fma_f32 v17, v8, s7, -v17
	v_fmac_f32_e32 v17, 0x3377d1cf, v8
	v_fmac_f32_e32 v17, 0x3f317217, v8
	v_cmp_lt_f32_e64 vcc, |v8|, s9
	s_nop 1
	v_cndmask_b32_e32 v8, v8, v17, vcc
	v_sub_f32_e32 v8, v8, v10
	v_cmp_gt_f16_sdwa vcc, v5, s6 src0_sel:WORD_1 src1_sel:DWORD
	s_nop 1
	v_cndmask_b32_e32 v5, v8, v15, vcc
	v_mul_f32_e32 v8, 0x4f800000, v5
	v_cmp_gt_f32_e64 s[4:5], s10, v5
	s_and_b64 vcc, exec, s[2:3]
	s_nop 0
	v_cndmask_b32_e64 v5, v5, v8, s[4:5]
	v_sqrt_f32_e32 v8, v5
	s_nop 0
	v_add_u32_e32 v10, -1, v8
	v_add_u32_e32 v15, 1, v8
	v_fma_f32 v17, -v10, v8, v5
	v_fma_f32 v18, -v15, v8, v5
	v_cmp_ge_f32_e64 s[6:7], 0, v17
	s_nop 1
	v_cndmask_b32_e64 v8, v8, v10, s[6:7]
	v_cmp_lt_f32_e64 s[6:7], 0, v18
	s_nop 1
	v_cndmask_b32_e64 v8, v8, v15, s[6:7]
	v_mul_f32_e32 v10, 0x37800000, v8
	v_cndmask_b32_e64 v8, v8, v10, s[4:5]
	v_cmp_class_f32_e64 s[4:5], v5, v6
	s_nop 1
	v_cndmask_b32_e64 v5, v8, v5, s[4:5]
	s_cbranch_vccnz .LBB351_16
; %bb.15:
	global_load_dword v6, v14, s[30:31] offset:516
	s_waitcnt vmcnt(0)
	v_add_f32_e32 v5, v5, v6
.LBB351_16:
	s_waitcnt vmcnt(2)
	v_cvt_f32_f16_e32 v6, v7
	v_mov_b32_e32 v10, 0x4f800000
	s_mov_b32 s7, 0x3f317217
	s_movk_i32 s6, 0x4d00
	v_mul_f32_e32 v8, 0x3fb8aa3b, v6
	v_exp_f32_e32 v8, v8
	s_nop 0
	v_add_f32_e32 v8, 1.0, v8
	v_cmp_gt_f32_e32 vcc, s8, v8
	s_nop 1
	v_cndmask_b32_e32 v15, 1.0, v10, vcc
	v_mul_f32_e32 v8, v8, v15
	v_log_f32_e32 v8, v8
	v_mov_b32_e32 v15, 0x41b17218
	v_cndmask_b32_e32 v17, 0, v15, vcc
	v_mul_f32_e32 v18, 0x3f317217, v8
	v_fma_f32 v18, v8, s7, -v18
	v_fmac_f32_e32 v18, 0x3377d1cf, v8
	v_fmac_f32_e32 v18, 0x3f317217, v8
	v_cmp_lt_f32_e64 vcc, |v8|, s9
	s_nop 1
	v_cndmask_b32_e32 v8, v8, v18, vcc
	v_sub_f32_e32 v8, v8, v17
	v_cmp_lt_f16_e32 vcc, s6, v7
	s_nop 1
	v_cndmask_b32_e32 v6, v8, v6, vcc
	v_mul_f32_e32 v8, 0x4f800000, v6
	v_cmp_gt_f32_e32 vcc, s10, v6
	s_nop 1
	v_cndmask_b32_e32 v6, v6, v8, vcc
	v_sqrt_f32_e32 v8, v6
	s_nop 0
	v_add_u32_e32 v17, -1, v8
	v_fma_f32 v18, -v17, v8, v6
	v_cmp_ge_f32_e64 s[4:5], 0, v18
	v_add_u32_e32 v18, 1, v8
	s_nop 0
	v_cndmask_b32_e64 v17, v8, v17, s[4:5]
	v_fma_f32 v8, -v18, v8, v6
	v_cmp_lt_f32_e64 s[4:5], 0, v8
	s_nop 1
	v_cndmask_b32_e64 v8, v17, v18, s[4:5]
	v_mul_f32_e32 v17, 0x37800000, v8
	v_cndmask_b32_e32 v17, v8, v17, vcc
	v_mov_b32_e32 v8, 0x260
	v_cmp_class_f32_e64 s[4:5], v6, v8
	s_and_b64 vcc, exec, s[2:3]
	s_nop 0
	v_cndmask_b32_e64 v6, v17, v6, s[4:5]
	s_cbranch_vccnz .LBB351_18
; %bb.17:
	global_load_dword v17, v14, s[30:31] offset:768
	s_waitcnt vmcnt(0)
	v_add_f32_e32 v6, v6, v17
.LBB351_18:
	v_cvt_f32_f16_sdwa v17, v7 dst_sel:DWORD dst_unused:UNUSED_PAD src0_sel:WORD_1
	v_mul_f32_e32 v18, 0x3fb8aa3b, v17
	v_exp_f32_e32 v18, v18
	s_nop 0
	v_add_f32_e32 v18, 1.0, v18
	v_cmp_gt_f32_e32 vcc, s8, v18
	s_nop 1
	v_cndmask_b32_e32 v10, 1.0, v10, vcc
	v_mul_f32_e32 v10, v18, v10
	v_log_f32_e32 v10, v10
	v_cndmask_b32_e32 v15, 0, v15, vcc
	v_mul_f32_e32 v18, 0x3f317217, v10
	v_fma_f32 v18, v10, s7, -v18
	v_fmac_f32_e32 v18, 0x3377d1cf, v10
	v_fmac_f32_e32 v18, 0x3f317217, v10
	v_cmp_lt_f32_e64 vcc, |v10|, s9
	s_nop 1
	v_cndmask_b32_e32 v10, v10, v18, vcc
	v_sub_f32_e32 v10, v10, v15
	v_cmp_gt_f16_sdwa vcc, v7, s6 src0_sel:WORD_1 src1_sel:DWORD
	s_nop 1
	v_cndmask_b32_e32 v7, v10, v17, vcc
	v_mul_f32_e32 v10, 0x4f800000, v7
	v_cmp_gt_f32_e64 s[4:5], s10, v7
	s_and_b64 vcc, exec, s[2:3]
	s_nop 0
	v_cndmask_b32_e64 v7, v7, v10, s[4:5]
	v_sqrt_f32_e32 v10, v7
	s_nop 0
	v_add_u32_e32 v15, -1, v10
	v_add_u32_e32 v17, 1, v10
	v_fma_f32 v18, -v15, v10, v7
	v_fma_f32 v19, -v17, v10, v7
	v_cmp_ge_f32_e64 s[6:7], 0, v18
	s_nop 1
	v_cndmask_b32_e64 v10, v10, v15, s[6:7]
	v_cmp_lt_f32_e64 s[6:7], 0, v19
	s_nop 1
	v_cndmask_b32_e64 v10, v10, v17, s[6:7]
	v_mul_f32_e32 v15, 0x37800000, v10
	v_cndmask_b32_e64 v10, v10, v15, s[4:5]
	v_cmp_class_f32_e64 s[4:5], v7, v8
	s_nop 1
	v_cndmask_b32_e64 v7, v10, v7, s[4:5]
	s_cbranch_vccnz .LBB351_20
; %bb.19:
	global_load_dword v8, v14, s[30:31] offset:772
	s_waitcnt vmcnt(0)
	v_add_f32_e32 v7, v7, v8
.LBB351_20:
	s_waitcnt vmcnt(1)
	v_cvt_f32_f16_e32 v8, v9
	v_mov_b32_e32 v15, 0x4f800000
	s_mov_b32 s7, 0x3f317217
	s_movk_i32 s6, 0x4d00
	v_mul_f32_e32 v10, 0x3fb8aa3b, v8
	v_exp_f32_e32 v10, v10
	s_nop 0
	v_add_f32_e32 v10, 1.0, v10
	v_cmp_gt_f32_e32 vcc, s8, v10
	s_nop 1
	v_cndmask_b32_e32 v17, 1.0, v15, vcc
	v_mul_f32_e32 v10, v10, v17
	v_log_f32_e32 v10, v10
	v_mov_b32_e32 v17, 0x41b17218
	v_cndmask_b32_e32 v18, 0, v17, vcc
	v_mul_f32_e32 v19, 0x3f317217, v10
	v_fma_f32 v19, v10, s7, -v19
	v_fmac_f32_e32 v19, 0x3377d1cf, v10
	v_fmac_f32_e32 v19, 0x3f317217, v10
	v_cmp_lt_f32_e64 vcc, |v10|, s9
	s_nop 1
	v_cndmask_b32_e32 v10, v10, v19, vcc
	v_sub_f32_e32 v10, v10, v18
	v_cmp_lt_f16_e32 vcc, s6, v9
	s_nop 1
	v_cndmask_b32_e32 v8, v10, v8, vcc
	v_mul_f32_e32 v10, 0x4f800000, v8
	v_cmp_gt_f32_e32 vcc, s10, v8
	s_nop 1
	v_cndmask_b32_e32 v8, v8, v10, vcc
	v_sqrt_f32_e32 v10, v8
	s_nop 0
	v_add_u32_e32 v18, -1, v10
	v_fma_f32 v19, -v18, v10, v8
	v_cmp_ge_f32_e64 s[4:5], 0, v19
	v_add_u32_e32 v19, 1, v10
	s_nop 0
	v_cndmask_b32_e64 v18, v10, v18, s[4:5]
	v_fma_f32 v10, -v19, v10, v8
	v_cmp_lt_f32_e64 s[4:5], 0, v10
	s_nop 1
	v_cndmask_b32_e64 v10, v18, v19, s[4:5]
	v_mul_f32_e32 v18, 0x37800000, v10
	v_cndmask_b32_e32 v18, v10, v18, vcc
	v_mov_b32_e32 v10, 0x260
	v_cmp_class_f32_e64 s[4:5], v8, v10
	s_and_b64 vcc, exec, s[2:3]
	s_nop 0
	v_cndmask_b32_e64 v8, v18, v8, s[4:5]
	s_cbranch_vccnz .LBB351_22
; %bb.21:
	global_load_dword v18, v14, s[30:31] offset:1024
	s_waitcnt vmcnt(0)
	v_add_f32_e32 v8, v8, v18
.LBB351_22:
	v_cvt_f32_f16_sdwa v18, v9 dst_sel:DWORD dst_unused:UNUSED_PAD src0_sel:WORD_1
	v_mul_f32_e32 v19, 0x3fb8aa3b, v18
	v_exp_f32_e32 v19, v19
	s_nop 0
	v_add_f32_e32 v19, 1.0, v19
	v_cmp_gt_f32_e32 vcc, s8, v19
	s_nop 1
	v_cndmask_b32_e32 v15, 1.0, v15, vcc
	v_mul_f32_e32 v15, v19, v15
	v_log_f32_e32 v15, v15
	v_cndmask_b32_e32 v17, 0, v17, vcc
	v_mul_f32_e32 v19, 0x3f317217, v15
	v_fma_f32 v19, v15, s7, -v19
	v_fmac_f32_e32 v19, 0x3377d1cf, v15
	v_fmac_f32_e32 v19, 0x3f317217, v15
	v_cmp_lt_f32_e64 vcc, |v15|, s9
	s_nop 1
	v_cndmask_b32_e32 v15, v15, v19, vcc
	v_sub_f32_e32 v15, v15, v17
	v_cmp_gt_f16_sdwa vcc, v9, s6 src0_sel:WORD_1 src1_sel:DWORD
	s_nop 1
	v_cndmask_b32_e32 v9, v15, v18, vcc
	v_mul_f32_e32 v15, 0x4f800000, v9
	v_cmp_gt_f32_e64 s[4:5], s10, v9
	s_and_b64 vcc, exec, s[2:3]
	s_nop 0
	v_cndmask_b32_e64 v9, v9, v15, s[4:5]
	v_sqrt_f32_e32 v15, v9
	s_nop 0
	v_add_u32_e32 v17, -1, v15
	v_add_u32_e32 v18, 1, v15
	v_fma_f32 v19, -v17, v15, v9
	v_fma_f32 v20, -v18, v15, v9
	v_cmp_ge_f32_e64 s[6:7], 0, v19
	s_nop 1
	v_cndmask_b32_e64 v15, v15, v17, s[6:7]
	v_cmp_lt_f32_e64 s[6:7], 0, v20
	s_nop 1
	v_cndmask_b32_e64 v15, v15, v18, s[6:7]
	v_mul_f32_e32 v17, 0x37800000, v15
	v_cndmask_b32_e64 v15, v15, v17, s[4:5]
	v_cmp_class_f32_e64 s[4:5], v9, v10
	s_nop 1
	v_cndmask_b32_e64 v9, v15, v9, s[4:5]
	s_cbranch_vccnz .LBB351_24
; %bb.23:
	global_load_dword v10, v14, s[30:31] offset:1028
	s_waitcnt vmcnt(0)
	v_add_f32_e32 v9, v9, v10
.LBB351_24:
	s_waitcnt vmcnt(0)
	v_cvt_f32_f16_e32 v10, v11
	v_mov_b32_e32 v17, 0x4f800000
	s_mov_b32 s7, 0x3f317217
	s_movk_i32 s6, 0x4d00
	v_mul_f32_e32 v15, 0x3fb8aa3b, v10
	v_exp_f32_e32 v15, v15
	s_nop 0
	v_add_f32_e32 v15, 1.0, v15
	v_cmp_gt_f32_e32 vcc, s8, v15
	s_nop 1
	v_cndmask_b32_e32 v18, 1.0, v17, vcc
	v_mul_f32_e32 v15, v15, v18
	v_log_f32_e32 v15, v15
	v_mov_b32_e32 v18, 0x41b17218
	v_cndmask_b32_e32 v19, 0, v18, vcc
	v_mul_f32_e32 v20, 0x3f317217, v15
	v_fma_f32 v20, v15, s7, -v20
	v_fmac_f32_e32 v20, 0x3377d1cf, v15
	v_fmac_f32_e32 v20, 0x3f317217, v15
	v_cmp_lt_f32_e64 vcc, |v15|, s9
	s_nop 1
	v_cndmask_b32_e32 v15, v15, v20, vcc
	v_sub_f32_e32 v15, v15, v19
	v_cmp_lt_f16_e32 vcc, s6, v11
	s_nop 1
	v_cndmask_b32_e32 v10, v15, v10, vcc
	v_mul_f32_e32 v15, 0x4f800000, v10
	v_cmp_gt_f32_e32 vcc, s10, v10
	s_nop 1
	v_cndmask_b32_e32 v10, v10, v15, vcc
	v_sqrt_f32_e32 v15, v10
	s_nop 0
	v_add_u32_e32 v19, -1, v15
	v_fma_f32 v20, -v19, v15, v10
	v_cmp_ge_f32_e64 s[4:5], 0, v20
	v_add_u32_e32 v20, 1, v15
	s_nop 0
	v_cndmask_b32_e64 v19, v15, v19, s[4:5]
	v_fma_f32 v15, -v20, v15, v10
	v_cmp_lt_f32_e64 s[4:5], 0, v15
	s_nop 1
	v_cndmask_b32_e64 v15, v19, v20, s[4:5]
	v_mul_f32_e32 v19, 0x37800000, v15
	v_cndmask_b32_e32 v19, v15, v19, vcc
	v_mov_b32_e32 v15, 0x260
	v_cmp_class_f32_e64 s[4:5], v10, v15
	s_and_b64 vcc, exec, s[2:3]
	s_nop 0
	v_cndmask_b32_e64 v10, v19, v10, s[4:5]
	s_cbranch_vccnz .LBB351_26
; %bb.25:
	global_load_dword v19, v14, s[30:31] offset:1280
	s_waitcnt vmcnt(0)
	v_add_f32_e32 v10, v10, v19
.LBB351_26:
	v_cvt_f32_f16_sdwa v19, v11 dst_sel:DWORD dst_unused:UNUSED_PAD src0_sel:WORD_1
	v_mul_f32_e32 v20, 0x3fb8aa3b, v19
	v_exp_f32_e32 v20, v20
	s_nop 0
	v_add_f32_e32 v20, 1.0, v20
	v_cmp_gt_f32_e32 vcc, s8, v20
	s_nop 1
	v_cndmask_b32_e32 v17, 1.0, v17, vcc
	v_mul_f32_e32 v17, v20, v17
	v_log_f32_e32 v17, v17
	v_cndmask_b32_e32 v18, 0, v18, vcc
	v_mul_f32_e32 v20, 0x3f317217, v17
	v_fma_f32 v20, v17, s7, -v20
	v_fmac_f32_e32 v20, 0x3377d1cf, v17
	v_fmac_f32_e32 v20, 0x3f317217, v17
	v_cmp_lt_f32_e64 vcc, |v17|, s9
	s_nop 1
	v_cndmask_b32_e32 v17, v17, v20, vcc
	v_sub_f32_e32 v17, v17, v18
	v_cmp_gt_f16_sdwa vcc, v11, s6 src0_sel:WORD_1 src1_sel:DWORD
	s_nop 1
	v_cndmask_b32_e32 v11, v17, v19, vcc
	v_mul_f32_e32 v17, 0x4f800000, v11
	v_cmp_gt_f32_e64 s[4:5], s10, v11
	s_and_b64 vcc, exec, s[2:3]
	s_nop 0
	v_cndmask_b32_e64 v11, v11, v17, s[4:5]
	v_sqrt_f32_e32 v17, v11
	s_nop 0
	v_add_u32_e32 v18, -1, v17
	v_add_u32_e32 v19, 1, v17
	v_fma_f32 v20, -v18, v17, v11
	v_fma_f32 v21, -v19, v17, v11
	v_cmp_ge_f32_e64 s[6:7], 0, v20
	s_nop 1
	v_cndmask_b32_e64 v17, v17, v18, s[6:7]
	v_cmp_lt_f32_e64 s[6:7], 0, v21
	s_nop 1
	v_cndmask_b32_e64 v17, v17, v19, s[6:7]
	v_mul_f32_e32 v18, 0x37800000, v17
	v_cndmask_b32_e64 v17, v17, v18, s[4:5]
	v_cmp_class_f32_e64 s[4:5], v11, v15
	s_nop 1
	v_cndmask_b32_e64 v11, v17, v11, s[4:5]
	s_cbranch_vccnz .LBB351_28
; %bb.27:
	global_load_dword v14, v14, s[30:31] offset:1284
	s_waitcnt vmcnt(0)
	v_add_f32_e32 v11, v11, v14
.LBB351_28:
	s_load_dwordx4 s[36:39], s[0:1], 0x30
	s_mov_b32 s50, 0
	v_cmp_eq_u32_e64 s[6:7], 0, v13
	s_waitcnt lgkmcnt(0)
	s_bitcmp1_b32 s39, 0
	s_cselect_b64 s[4:5], -1, 0
	s_cmp_gt_i32 s36, 0
	s_cselect_b64 s[46:47], -1, 0
	s_and_b64 vcc, exec, s[46:47]
	s_cbranch_vccz .LBB351_59
; %bb.29:
	v_mbcnt_lo_u32_b32 v14, -1, 0
	v_mbcnt_hi_u32_b32 v14, -1, v14
	v_and_b32_e32 v15, 0x60, v14
	v_add_u32_e32 v15, 32, v15
	v_xor_b32_e32 v17, 16, v14
	v_cmp_lt_i32_e32 vcc, v17, v15
	s_load_dwordx4 s[40:43], s[0:1], 0x20
	v_mul_lo_u32 v18, v12, s36
	v_cndmask_b32_e32 v17, v14, v17, vcc
	v_lshlrev_b32_e32 v19, 2, v17
	v_xor_b32_e32 v17, 8, v14
	v_cmp_lt_i32_e32 vcc, v17, v15
	v_mov_b32_e32 v24, 0x41
	v_mov_b32_e32 v25, 0x80
	v_cndmask_b32_e32 v17, v14, v17, vcc
	v_lshlrev_b32_e32 v20, 2, v17
	v_xor_b32_e32 v17, 4, v14
	v_cmp_lt_i32_e32 vcc, v17, v15
	v_mov_b32_e32 v26, 0x81
	v_mov_b32_e32 v27, 0xc0
	;; [unrolled: 6-line block ×4, first 2 shown]
	v_cndmask_b32_e32 v14, v14, v17, vcc
	v_lshlrev_b32_e32 v23, 2, v14
	v_mov_b32_e32 v17, 0
	v_mov_b32_e32 v32, 0x141
	;; [unrolled: 1-line block ×5, first 2 shown]
	s_branch .LBB351_32
.LBB351_30:                             ;   in Loop: Header=BB351_32 Depth=1
	s_or_b64 exec, exec, s[48:49]
.LBB351_31:                             ;   in Loop: Header=BB351_32 Depth=1
	s_cmp_eq_u32 s36, s50
	v_add_u32_e32 v35, s33, v35
	s_cbranch_scc1 .LBB351_60
.LBB351_32:                             ; =>This Inner Loop Header: Depth=1
	v_cmp_gt_f32_e32 vcc, v1, v0
	s_nop 1
	v_cndmask_b32_e32 v15, v0, v1, vcc
	v_cndmask_b32_e64 v14, 0, 1, vcc
	v_cmp_gt_f32_e32 vcc, v2, v15
	s_nop 1
	v_cndmask_b32_e32 v15, v15, v2, vcc
	v_cndmask_b32_e64 v14, v14, 64, vcc
	v_cmp_gt_f32_e32 vcc, v3, v15
	s_nop 1
	v_cndmask_b32_e32 v15, v15, v3, vcc
	v_cndmask_b32_e32 v14, v14, v24, vcc
	v_cmp_gt_f32_e32 vcc, v4, v15
	s_nop 1
	v_cndmask_b32_e32 v15, v15, v4, vcc
	v_cndmask_b32_e32 v14, v14, v25, vcc
	;; [unrolled: 4-line block ×9, first 2 shown]
	ds_bpermute_b32 v15, v19, v36
	v_or_b32_e32 v14, v16, v14
	s_waitcnt lgkmcnt(0)
	ds_bpermute_b32 v37, v19, v14
	s_waitcnt lgkmcnt(0)
	v_cmp_lt_f32_e64 s[8:9], v36, v15
	v_cmp_nlt_f32_e32 vcc, v36, v15
	s_and_saveexec_b64 s[10:11], vcc
; %bb.33:                               ;   in Loop: Header=BB351_32 Depth=1
	v_cmp_eq_f32_e32 vcc, v36, v15
	v_cmp_lt_i32_e64 s[0:1], v37, v14
	s_and_b64 s[0:1], vcc, s[0:1]
	s_andn2_b64 s[8:9], s[8:9], exec
	s_and_b64 s[0:1], s[0:1], exec
	s_or_b64 s[8:9], s[8:9], s[0:1]
; %bb.34:                               ;   in Loop: Header=BB351_32 Depth=1
	s_or_b64 exec, exec, s[10:11]
	s_and_saveexec_b64 s[0:1], s[8:9]
; %bb.35:                               ;   in Loop: Header=BB351_32 Depth=1
	v_mov_b32_e32 v36, v15
	v_mov_b32_e32 v14, v37
; %bb.36:                               ;   in Loop: Header=BB351_32 Depth=1
	s_or_b64 exec, exec, s[0:1]
	ds_bpermute_b32 v15, v20, v36
	ds_bpermute_b32 v37, v20, v14
	s_waitcnt lgkmcnt(1)
	v_cmp_lt_f32_e64 s[8:9], v36, v15
	v_cmp_nlt_f32_e32 vcc, v36, v15
	s_and_saveexec_b64 s[10:11], vcc
	s_cbranch_execz .LBB351_38
; %bb.37:                               ;   in Loop: Header=BB351_32 Depth=1
	v_cmp_eq_f32_e32 vcc, v36, v15
	s_waitcnt lgkmcnt(0)
	v_cmp_lt_i32_e64 s[0:1], v37, v14
	s_and_b64 s[0:1], vcc, s[0:1]
	s_andn2_b64 s[8:9], s[8:9], exec
	s_and_b64 s[0:1], s[0:1], exec
	s_or_b64 s[8:9], s[8:9], s[0:1]
.LBB351_38:                             ;   in Loop: Header=BB351_32 Depth=1
	s_or_b64 exec, exec, s[10:11]
	s_and_saveexec_b64 s[0:1], s[8:9]
	s_cbranch_execz .LBB351_40
; %bb.39:                               ;   in Loop: Header=BB351_32 Depth=1
	v_mov_b32_e32 v36, v15
	s_waitcnt lgkmcnt(0)
	v_mov_b32_e32 v14, v37
.LBB351_40:                             ;   in Loop: Header=BB351_32 Depth=1
	s_or_b64 exec, exec, s[0:1]
	ds_bpermute_b32 v15, v21, v36
	s_waitcnt lgkmcnt(1)
	ds_bpermute_b32 v37, v21, v14
	s_waitcnt lgkmcnt(1)
	v_cmp_lt_f32_e64 s[8:9], v36, v15
	v_cmp_nlt_f32_e32 vcc, v36, v15
	s_and_saveexec_b64 s[10:11], vcc
	s_cbranch_execz .LBB351_42
; %bb.41:                               ;   in Loop: Header=BB351_32 Depth=1
	v_cmp_eq_f32_e32 vcc, v36, v15
	s_waitcnt lgkmcnt(0)
	v_cmp_lt_i32_e64 s[0:1], v37, v14
	s_and_b64 s[0:1], vcc, s[0:1]
	s_andn2_b64 s[8:9], s[8:9], exec
	s_and_b64 s[0:1], s[0:1], exec
	s_or_b64 s[8:9], s[8:9], s[0:1]
.LBB351_42:                             ;   in Loop: Header=BB351_32 Depth=1
	s_or_b64 exec, exec, s[10:11]
	s_and_saveexec_b64 s[0:1], s[8:9]
	s_cbranch_execz .LBB351_44
; %bb.43:                               ;   in Loop: Header=BB351_32 Depth=1
	v_mov_b32_e32 v36, v15
	s_waitcnt lgkmcnt(0)
	v_mov_b32_e32 v14, v37
.LBB351_44:                             ;   in Loop: Header=BB351_32 Depth=1
	s_or_b64 exec, exec, s[0:1]
	ds_bpermute_b32 v15, v22, v36
	s_waitcnt lgkmcnt(1)
	;; [unrolled: 26-line block ×3, first 2 shown]
	ds_bpermute_b32 v37, v23, v14
	s_waitcnt lgkmcnt(1)
	v_cmp_lt_f32_e64 s[8:9], v36, v15
	v_cmp_nlt_f32_e32 vcc, v36, v15
	s_and_saveexec_b64 s[10:11], vcc
	s_cbranch_execnz .LBB351_52
; %bb.49:                               ;   in Loop: Header=BB351_32 Depth=1
	s_or_b64 exec, exec, s[10:11]
	s_and_saveexec_b64 s[0:1], s[8:9]
	s_cbranch_execnz .LBB351_53
.LBB351_50:                             ;   in Loop: Header=BB351_32 Depth=1
	s_or_b64 exec, exec, s[0:1]
	s_and_saveexec_b64 s[8:9], s[6:7]
	s_cbranch_execnz .LBB351_54
.LBB351_51:                             ;   in Loop: Header=BB351_32 Depth=1
	s_or_b64 exec, exec, s[8:9]
	s_add_i32 s50, s50, 1
	s_cmp_ge_i32 s50, s36
	s_cbranch_scc1 .LBB351_31
	s_branch .LBB351_57
.LBB351_52:                             ;   in Loop: Header=BB351_32 Depth=1
	v_cmp_eq_f32_e32 vcc, v36, v15
	s_waitcnt lgkmcnt(0)
	v_cmp_lt_i32_e64 s[0:1], v37, v14
	s_and_b64 s[0:1], vcc, s[0:1]
	s_andn2_b64 s[8:9], s[8:9], exec
	s_and_b64 s[0:1], s[0:1], exec
	s_or_b64 s[8:9], s[8:9], s[0:1]
	s_or_b64 exec, exec, s[10:11]
	s_and_saveexec_b64 s[0:1], s[8:9]
	s_cbranch_execz .LBB351_50
.LBB351_53:                             ;   in Loop: Header=BB351_32 Depth=1
	s_waitcnt lgkmcnt(0)
	v_mov_b32_e32 v14, v37
	v_mov_b32_e32 v36, v15
	s_or_b64 exec, exec, s[0:1]
	s_and_saveexec_b64 s[8:9], s[6:7]
	s_cbranch_execz .LBB351_51
.LBB351_54:                             ;   in Loop: Header=BB351_32 Depth=1
	s_and_b64 vcc, exec, s[2:3]
	s_cbranch_vccnz .LBB351_56
; %bb.55:                               ;   in Loop: Header=BB351_32 Depth=1
	v_ashrrev_i32_e32 v15, 31, v14
	v_lshl_add_u64 v[38:39], v[14:15], 2, s[30:31]
	global_load_dword v15, v[38:39], off
	s_waitcnt vmcnt(0)
	v_sub_f32_e32 v36, v36, v15
.LBB351_56:                             ;   in Loop: Header=BB351_32 Depth=1
	v_add_u32_e32 v38, s50, v18
	v_cmp_le_i32_e32 vcc, s37, v14
	v_cmp_gt_i32_e64 s[0:1], s38, v14
	v_ashrrev_i32_e32 v39, 31, v38
	s_and_b64 s[0:1], vcc, s[0:1]
	v_lshlrev_b64 v[40:41], 2, v[38:39]
	v_subrev_u32_e32 v15, s37, v14
	v_lshl_add_u64 v[42:43], s[34:35], 0, v[40:41]
	s_waitcnt lgkmcnt(0)
	v_ashrrev_i32_e32 v37, 31, v15
	s_and_b64 vcc, s[44:45], s[0:1]
	global_store_dword v[42:43], v36, off
	v_cndmask_b32_e32 v43, 0, v37, vcc
	v_cndmask_b32_e32 v42, v33, v15, vcc
	v_lshl_add_u64 v[38:39], v[38:39], 3, s[40:41]
	v_add_f32_e32 v15, v17, v36
	global_store_dwordx2 v[38:39], v[42:43], off
	v_lshl_add_u64 v[38:39], s[42:43], 0, v[40:41]
	v_cndmask_b32_e64 v17, v17, v15, s[4:5]
	global_store_dword v[38:39], v35, off
	s_or_b64 exec, exec, s[8:9]
	s_add_i32 s50, s50, 1
	s_cmp_ge_i32 s50, s36
	s_cbranch_scc1 .LBB351_31
.LBB351_57:                             ;   in Loop: Header=BB351_32 Depth=1
	v_lshrrev_b32_e32 v15, 31, v14
	v_add_u32_e32 v36, v14, v15
	v_ashrrev_i32_e32 v15, 1, v36
	v_ashrrev_i32_e32 v36, 31, v36
	v_lshrrev_b32_e32 v36, 27, v36
	v_add_u32_e32 v36, v15, v36
	v_and_b32_e32 v36, 0xffffffe0, v36
	v_sub_u32_e32 v36, v15, v36
	v_cmp_eq_u32_e32 vcc, v13, v36
	s_and_saveexec_b64 s[48:49], vcc
	s_cbranch_execz .LBB351_30
; %bb.58:                               ;   in Loop: Header=BB351_32 Depth=1
	v_ashrrev_i32_e32 v36, 31, v14
	v_lshrrev_b32_e32 v36, 26, v36
	v_add_u32_e32 v36, v14, v36
	v_lshlrev_b32_e32 v15, 1, v15
	v_sub_u32_e32 v14, v14, v15
	v_ashrrev_i32_e32 v15, 6, v36
	v_lshl_add_u32 v14, v15, 1, v14
	v_cmp_ne_u32_e32 vcc, 10, v14
	v_cmp_ne_u32_e64 s[0:1], 9, v14
	v_cmp_ne_u32_e64 s[8:9], 8, v14
	;; [unrolled: 1-line block ×11, first 2 shown]
	v_cndmask_b32_e32 v10, v34, v10, vcc
	v_cndmask_b32_e64 v9, v34, v9, s[0:1]
	v_cndmask_b32_e64 v11, v34, v11, s[26:27]
	;; [unrolled: 1-line block ×11, first 2 shown]
	s_branch .LBB351_30
.LBB351_59:
	v_mov_b32_e32 v17, 0
.LBB351_60:
	v_cmp_eq_u32_e32 vcc, 0, v13
	s_and_b64 exec, exec, vcc
	s_cbranch_execz .LBB351_73
; %bb.61:
	s_andn2_b64 vcc, exec, s[4:5]
	v_cvt_f32_f64_e32 v0, s[28:29]
	s_cbranch_vccnz .LBB351_63
; %bb.62:
	v_cmp_lt_f32_e32 vcc, 0, v17
	s_nop 1
	v_cndmask_b32_e32 v1, 1.0, v17, vcc
	v_div_scale_f32 v2, s[0:1], v1, v1, v0
	v_rcp_f32_e32 v3, v2
	s_nop 0
	v_fma_f32 v4, -v2, v3, 1.0
	v_fmac_f32_e32 v3, v4, v3
	v_div_scale_f32 v4, vcc, v0, v1, v0
	v_mul_f32_e32 v5, v4, v3
	v_fma_f32 v6, -v2, v5, v4
	v_fmac_f32_e32 v5, v6, v3
	v_fma_f32 v2, -v2, v5, v4
	v_div_fmas_f32 v2, v2, v3, v5
	v_div_fixup_f32 v0, v2, v1, v0
.LBB351_63:
	s_andn2_b64 vcc, exec, s[46:47]
	s_cbranch_vccnz .LBB351_73
; %bb.64:
	v_mul_lo_u32 v2, v12, s36
	s_cmp_gt_u32 s36, 3
	v_ashrrev_i32_e32 v3, 31, v2
	s_cbranch_scc0 .LBB351_68
; %bb.65:
	s_and_b32 s0, s36, 0x7ffffffc
	v_lshl_add_u64 v[4:5], v[2:3], 2, s[34:35]
	v_mov_b32_e32 v1, v0
	v_lshl_add_u64 v[4:5], v[4:5], 0, 8
	s_mov_b32 s1, s0
.LBB351_66:                             ; =>This Inner Loop Header: Depth=1
	global_load_dwordx4 v[6:9], v[4:5], off offset:-8
	s_add_i32 s1, s1, -4
	s_cmp_lg_u32 s1, 0
	s_waitcnt vmcnt(0)
	v_pk_mul_f32 v[6:7], v[0:1], v[6:7]
	v_pk_mul_f32 v[8:9], v[0:1], v[8:9]
	global_store_dwordx4 v[4:5], v[6:9], off offset:-8
	v_lshl_add_u64 v[4:5], v[4:5], 0, 16
	s_cbranch_scc1 .LBB351_66
; %bb.67:
	s_cmp_lg_u32 s0, s36
	s_cselect_b64 s[2:3], -1, 0
	s_branch .LBB351_70
.LBB351_68:
	s_mov_b64 s[2:3], 0
                                        ; implicit-def: $sgpr0
	s_cbranch_execz .LBB351_70
; %bb.69:
	s_mov_b64 s[2:3], -1
	s_mov_b32 s0, 0
.LBB351_70:
	s_andn2_b64 vcc, exec, s[2:3]
	s_cbranch_vccnz .LBB351_73
; %bb.71:
	s_mov_b32 s1, 0
	v_lshl_add_u64 v[2:3], v[2:3], 0, s[0:1]
	s_sub_i32 s2, s36, s0
	v_lshl_add_u64 v[2:3], v[2:3], 2, s[34:35]
.LBB351_72:                             ; =>This Inner Loop Header: Depth=1
	global_load_dword v1, v[2:3], off
	s_add_i32 s2, s2, -1
	s_cmp_lg_u32 s2, 0
	s_waitcnt vmcnt(0)
	v_mul_f32_e32 v1, v0, v1
	global_store_dword v[2:3], v1, off
	v_lshl_add_u64 v[2:3], v[2:3], 0, 4
	s_cbranch_scc1 .LBB351_72
.LBB351_73:
	s_endpgm
	.section	.rodata,"a",@progbits
	.p2align	6, 0x0
	.amdhsa_kernel _ZN4vllm3moe22topkGatingSoftplusSqrtILi12ELi384ELi4ELi4ELi32ELb0El6__halfEEvPKT6_PKbPfiPT5_PiiiibdPKfPKS9_SF_
		.amdhsa_group_segment_fixed_size 0
		.amdhsa_private_segment_fixed_size 0
		.amdhsa_kernarg_size 96
		.amdhsa_user_sgpr_count 2
		.amdhsa_user_sgpr_dispatch_ptr 0
		.amdhsa_user_sgpr_queue_ptr 0
		.amdhsa_user_sgpr_kernarg_segment_ptr 1
		.amdhsa_user_sgpr_dispatch_id 0
		.amdhsa_user_sgpr_kernarg_preload_length 0
		.amdhsa_user_sgpr_kernarg_preload_offset 0
		.amdhsa_user_sgpr_private_segment_size 0
		.amdhsa_uses_dynamic_stack 0
		.amdhsa_enable_private_segment 0
		.amdhsa_system_sgpr_workgroup_id_x 1
		.amdhsa_system_sgpr_workgroup_id_y 0
		.amdhsa_system_sgpr_workgroup_id_z 0
		.amdhsa_system_sgpr_workgroup_info 0
		.amdhsa_system_vgpr_workitem_id 1
		.amdhsa_next_free_vgpr 44
		.amdhsa_next_free_sgpr 51
		.amdhsa_accum_offset 44
		.amdhsa_reserve_vcc 1
		.amdhsa_float_round_mode_32 0
		.amdhsa_float_round_mode_16_64 0
		.amdhsa_float_denorm_mode_32 3
		.amdhsa_float_denorm_mode_16_64 3
		.amdhsa_dx10_clamp 1
		.amdhsa_ieee_mode 1
		.amdhsa_fp16_overflow 0
		.amdhsa_tg_split 0
		.amdhsa_exception_fp_ieee_invalid_op 0
		.amdhsa_exception_fp_denorm_src 0
		.amdhsa_exception_fp_ieee_div_zero 0
		.amdhsa_exception_fp_ieee_overflow 0
		.amdhsa_exception_fp_ieee_underflow 0
		.amdhsa_exception_fp_ieee_inexact 0
		.amdhsa_exception_int_div_zero 0
	.end_amdhsa_kernel
	.section	.text._ZN4vllm3moe22topkGatingSoftplusSqrtILi12ELi384ELi4ELi4ELi32ELb0El6__halfEEvPKT6_PKbPfiPT5_PiiiibdPKfPKS9_SF_,"axG",@progbits,_ZN4vllm3moe22topkGatingSoftplusSqrtILi12ELi384ELi4ELi4ELi32ELb0El6__halfEEvPKT6_PKbPfiPT5_PiiiibdPKfPKS9_SF_,comdat
.Lfunc_end351:
	.size	_ZN4vllm3moe22topkGatingSoftplusSqrtILi12ELi384ELi4ELi4ELi32ELb0El6__halfEEvPKT6_PKbPfiPT5_PiiiibdPKfPKS9_SF_, .Lfunc_end351-_ZN4vllm3moe22topkGatingSoftplusSqrtILi12ELi384ELi4ELi4ELi32ELb0El6__halfEEvPKT6_PKbPfiPT5_PiiiibdPKfPKS9_SF_
                                        ; -- End function
	.section	.AMDGPU.csdata,"",@progbits
; Kernel info:
; codeLenInByte = 5592
; NumSgprs: 57
; NumVgprs: 44
; NumAgprs: 0
; TotalNumVgprs: 44
; ScratchSize: 0
; MemoryBound: 0
; FloatMode: 240
; IeeeMode: 1
; LDSByteSize: 0 bytes/workgroup (compile time only)
; SGPRBlocks: 7
; VGPRBlocks: 5
; NumSGPRsForWavesPerEU: 57
; NumVGPRsForWavesPerEU: 44
; AccumOffset: 44
; Occupancy: 8
; WaveLimiterHint : 1
; COMPUTE_PGM_RSRC2:SCRATCH_EN: 0
; COMPUTE_PGM_RSRC2:USER_SGPR: 2
; COMPUTE_PGM_RSRC2:TRAP_HANDLER: 0
; COMPUTE_PGM_RSRC2:TGID_X_EN: 1
; COMPUTE_PGM_RSRC2:TGID_Y_EN: 0
; COMPUTE_PGM_RSRC2:TGID_Z_EN: 0
; COMPUTE_PGM_RSRC2:TIDIG_COMP_CNT: 1
; COMPUTE_PGM_RSRC3_GFX90A:ACCUM_OFFSET: 10
; COMPUTE_PGM_RSRC3_GFX90A:TG_SPLIT: 0
	.section	.text._ZN4vllm3moe22topkGatingSoftplusSqrtILi7ELi448ELi4ELi2ELi64ELb1El6__halfEEvPKT6_PKbPfiPT5_PiiiibdPKfPKS9_SF_,"axG",@progbits,_ZN4vllm3moe22topkGatingSoftplusSqrtILi7ELi448ELi4ELi2ELi64ELb1El6__halfEEvPKT6_PKbPfiPT5_PiiiibdPKfPKS9_SF_,comdat
	.protected	_ZN4vllm3moe22topkGatingSoftplusSqrtILi7ELi448ELi4ELi2ELi64ELb1El6__halfEEvPKT6_PKbPfiPT5_PiiiibdPKfPKS9_SF_ ; -- Begin function _ZN4vllm3moe22topkGatingSoftplusSqrtILi7ELi448ELi4ELi2ELi64ELb1El6__halfEEvPKT6_PKbPfiPT5_PiiiibdPKfPKS9_SF_
	.globl	_ZN4vllm3moe22topkGatingSoftplusSqrtILi7ELi448ELi4ELi2ELi64ELb1El6__halfEEvPKT6_PKbPfiPT5_PiiiibdPKfPKS9_SF_
	.p2align	8
	.type	_ZN4vllm3moe22topkGatingSoftplusSqrtILi7ELi448ELi4ELi2ELi64ELb1El6__halfEEvPKT6_PKbPfiPT5_PiiiibdPKfPKS9_SF_,@function
_ZN4vllm3moe22topkGatingSoftplusSqrtILi7ELi448ELi4ELi2ELi64ELb1El6__halfEEvPKT6_PKbPfiPT5_PiiiibdPKfPKS9_SF_: ; @_ZN4vllm3moe22topkGatingSoftplusSqrtILi7ELi448ELi4ELi2ELi64ELb1El6__halfEEvPKT6_PKbPfiPT5_PiiiibdPKfPKS9_SF_
; %bb.0:
	s_load_dword s3, s[0:1], 0x18
	v_and_b32_e32 v1, 0x3ff, v0
	s_lshl_b32 s2, s2, 2
	v_lshrrev_b32_e32 v2, 6, v1
	v_bfe_u32 v0, v0, 10, 10
	v_add3_u32 v0, s2, v0, v2
	s_waitcnt lgkmcnt(0)
	v_cmp_gt_i32_e32 vcc, s3, v0
	s_and_saveexec_b64 s[2:3], vcc
	s_cbranch_execz .LBB352_31
; %bb.1:
	s_load_dwordx4 s[8:11], s[0:1], 0x50
	s_load_dwordx2 s[2:3], s[0:1], 0x0
	s_load_dword s12, s[0:1], 0x30
	s_movk_i32 s4, 0x1c0
	v_mul_lo_u32 v4, v0, s4
	v_ashrrev_i32_e32 v5, 31, v4
	v_and_b32_e32 v12, 63, v1
	s_waitcnt lgkmcnt(0)
	v_lshl_add_u64 v[6:7], v[4:5], 1, s[2:3]
	v_lshlrev_b32_e32 v4, 1, v12
	v_mov_b32_e32 v5, 0
	v_lshl_add_u64 v[6:7], v[6:7], 0, v[4:5]
	v_mov_b32_e32 v2, s8
	v_mov_b32_e32 v3, s9
	global_load_ushort v4, v[6:7], off
	global_load_ushort v8, v[6:7], off offset:128
	global_load_ushort v9, v[6:7], off offset:256
	;; [unrolled: 1-line block ×6, first 2 shown]
	v_ashrrev_i32_e32 v1, 31, v0
	v_lshl_add_u64 v[2:3], v[0:1], 3, v[2:3]
	global_load_dwordx2 v[2:3], v[2:3], off
	s_ashr_i32 s13, s12, 31
	s_mov_b32 s19, 0x800000
	v_mov_b32_e32 v1, 0x4f800000
	s_mov_b32 s18, 0x3f317217
	s_mov_b32 s20, 0x7f800000
	v_mov_b32_e32 v6, 0x41b17218
	s_movk_i32 s15, 0x4d00
	s_mov_b32 s21, 0xf800000
	v_mov_b32_e32 v7, 0x260
	v_cmp_lt_i64_e64 s[16:17], s[12:13], 1
	s_mov_b32 s14, 0
	v_cmp_gt_i64_e64 s[8:9], s[12:13], 0
	v_mul_lo_u32 v0, v0, s12
	s_waitcnt vmcnt(7)
	v_cvt_f32_f16_e32 v13, v4
	s_waitcnt vmcnt(6)
	v_cvt_f32_f16_e32 v14, v8
	;; [unrolled: 2-line block ×4, first 2 shown]
	v_mul_f32_e32 v24, 0x3fb8aa3b, v13
	v_mul_f32_e32 v25, 0x3fb8aa3b, v14
	v_exp_f32_e32 v24, v24
	v_exp_f32_e32 v25, v25
	v_mul_f32_e32 v26, 0x3fb8aa3b, v15
	s_waitcnt vmcnt(0)
	v_mul_lo_u32 v22, v3, s12
	v_mul_lo_u32 v23, v2, s13
	v_mad_u64_u32 v[2:3], s[2:3], v2, s12, 0
	v_exp_f32_e32 v26, v26
	v_add3_u32 v3, v3, v23, v22
	v_add_f32_e32 v22, 1.0, v24
	v_add_f32_e32 v23, 1.0, v25
	v_cmp_gt_f32_e32 vcc, s19, v22
	v_cmp_gt_f32_e64 s[2:3], s19, v23
	v_add_f32_e32 v24, 1.0, v26
	v_cndmask_b32_e32 v25, 1.0, v1, vcc
	v_cndmask_b32_e64 v26, 1.0, v1, s[2:3]
	v_mul_f32_e32 v22, v22, v25
	v_mul_f32_e32 v23, v23, v26
	v_log_f32_e32 v22, v22
	v_log_f32_e32 v23, v23
	v_cmp_gt_f32_e64 s[4:5], s19, v24
	v_cndmask_b32_e32 v25, 0, v6, vcc
	v_cmp_lt_f32_e64 vcc, |v22|, s20
	v_cndmask_b32_e64 v27, 1.0, v1, s[4:5]
	v_mul_f32_e32 v24, v24, v27
	v_mul_f32_e32 v27, 0x3f317217, v22
	;; [unrolled: 1-line block ×3, first 2 shown]
	v_fma_f32 v27, v22, s18, -v27
	v_fma_f32 v28, v23, s18, -v28
	v_fmac_f32_e32 v27, 0x3377d1cf, v22
	v_fmac_f32_e32 v28, 0x3377d1cf, v23
	;; [unrolled: 1-line block ×4, first 2 shown]
	v_cndmask_b32_e32 v22, v22, v27, vcc
	v_cmp_lt_f32_e64 vcc, |v23|, s20
	v_cndmask_b32_e64 v26, 0, v6, s[2:3]
	v_sub_f32_e32 v22, v22, v25
	v_cndmask_b32_e32 v23, v23, v28, vcc
	v_cmp_lt_f16_e32 vcc, s15, v4
	v_sub_f32_e32 v23, v23, v26
	v_log_f32_e32 v24, v24
	v_cndmask_b32_e32 v4, v22, v13, vcc
	v_cmp_lt_f16_e32 vcc, s15, v8
	v_mul_f32_e32 v13, 0x4f800000, v4
	v_mul_f32_e32 v29, 0x3f317217, v24
	v_cndmask_b32_e32 v8, v23, v14, vcc
	v_cmp_gt_f32_e32 vcc, s21, v4
	v_mul_f32_e32 v14, 0x4f800000, v8
	v_cmp_gt_f32_e64 s[2:3], s21, v8
	v_cndmask_b32_e32 v4, v4, v13, vcc
	v_sqrt_f32_e32 v13, v4
	v_cndmask_b32_e64 v8, v8, v14, s[2:3]
	v_sqrt_f32_e32 v14, v8
	v_fma_f32 v29, v24, s18, -v29
	v_fmac_f32_e32 v29, 0x3377d1cf, v24
	v_add_u32_e32 v23, -1, v13
	v_fmac_f32_e32 v29, 0x3f317217, v24
	v_cmp_lt_f32_e64 s[6:7], |v24|, s20
	v_add_u32_e32 v25, -1, v14
	v_fma_f32 v27, -v23, v13, v4
	v_cndmask_b32_e64 v22, v24, v29, s[6:7]
	v_add_u32_e32 v24, 1, v13
	v_fma_f32 v29, -v25, v14, v8
	v_cmp_ge_f32_e64 s[6:7], 0, v27
	v_add_u32_e32 v26, 1, v14
	v_fma_f32 v28, -v24, v13, v4
	v_cndmask_b32_e64 v13, v13, v23, s[6:7]
	v_cmp_ge_f32_e64 s[6:7], 0, v29
	v_fma_f32 v30, -v26, v14, v8
	v_cvt_f32_f16_e32 v19, v11
	v_cndmask_b32_e64 v14, v14, v25, s[6:7]
	v_cmp_lt_f32_e64 s[6:7], 0, v28
	v_cvt_f32_f16_e32 v20, v17
	v_cvt_f32_f16_e32 v21, v18
	v_cndmask_b32_e64 v13, v13, v24, s[6:7]
	v_mul_f32_e32 v23, 0x37800000, v13
	v_cndmask_b32_e32 v13, v13, v23, vcc
	v_cmp_class_f32_e32 vcc, v4, v7
	v_cmp_lt_f32_e64 s[6:7], 0, v30
	v_lshl_add_u64 v[2:3], v[2:3], 3, s[10:11]
	v_cndmask_b32_e32 v13, v13, v4, vcc
	v_cndmask_b32_e64 v4, 0, v6, s[4:5]
	v_sub_f32_e32 v4, v22, v4
	v_cmp_lt_f16_e32 vcc, s15, v9
	v_cndmask_b32_e64 v14, v14, v26, s[6:7]
	v_mul_f32_e32 v22, 0x3fb8aa3b, v16
	v_cndmask_b32_e32 v4, v4, v15, vcc
	v_mul_f32_e32 v9, 0x4f800000, v4
	v_cmp_gt_f32_e32 vcc, s21, v4
	v_mul_f32_e32 v24, 0x37800000, v14
	v_exp_f32_e32 v22, v22
	v_cndmask_b32_e32 v4, v4, v9, vcc
	v_sqrt_f32_e32 v9, v4
	v_cndmask_b32_e64 v14, v14, v24, s[2:3]
	v_cmp_class_f32_e64 s[2:3], v8, v7
	v_add_f32_e32 v22, 1.0, v22
	s_nop 0
	v_cndmask_b32_e64 v14, v14, v8, s[2:3]
	v_add_u32_e32 v8, -1, v9
	v_fma_f32 v15, -v8, v9, v4
	v_cmp_ge_f32_e64 s[2:3], 0, v15
	v_add_u32_e32 v15, 1, v9
	s_nop 0
	v_cndmask_b32_e64 v8, v9, v8, s[2:3]
	v_cmp_gt_f32_e64 s[2:3], s19, v22
	v_fma_f32 v9, -v15, v9, v4
	v_cmp_lt_f32_e64 s[4:5], 0, v9
	v_cndmask_b32_e64 v23, 1.0, v1, s[2:3]
	v_mul_f32_e32 v22, v22, v23
	v_log_f32_e32 v22, v22
	v_cndmask_b32_e64 v8, v8, v15, s[4:5]
	v_mul_f32_e32 v9, 0x37800000, v8
	v_cndmask_b32_e32 v8, v8, v9, vcc
	v_mul_f32_e32 v15, 0x3f317217, v22
	v_fma_f32 v15, v22, s18, -v15
	v_fmac_f32_e32 v15, 0x3377d1cf, v22
	v_fmac_f32_e32 v15, 0x3f317217, v22
	v_cmp_lt_f32_e64 s[4:5], |v22|, s20
	v_mul_f32_e32 v9, 0x3fb8aa3b, v19
	v_exp_f32_e32 v9, v9
	v_cndmask_b32_e64 v15, v22, v15, s[4:5]
	v_cndmask_b32_e64 v22, 0, v6, s[2:3]
	v_sub_f32_e32 v15, v15, v22
	v_cmp_lt_f16_e64 s[2:3], s15, v10
	v_cmp_class_f32_e32 vcc, v4, v7
	v_add_f32_e32 v9, 1.0, v9
	v_cndmask_b32_e64 v10, v15, v16, s[2:3]
	v_mul_f32_e32 v15, 0x4f800000, v10
	v_cmp_gt_f32_e64 s[2:3], s21, v10
	s_nop 1
	v_cndmask_b32_e64 v10, v10, v15, s[2:3]
	v_sqrt_f32_e32 v16, v10
	v_cndmask_b32_e32 v15, v8, v4, vcc
	v_add_u32_e32 v4, -1, v16
	v_fma_f32 v8, -v4, v16, v10
	v_cmp_ge_f32_e32 vcc, 0, v8
	v_add_u32_e32 v8, 1, v16
	s_nop 0
	v_cndmask_b32_e32 v4, v16, v4, vcc
	v_cmp_gt_f32_e32 vcc, s19, v9
	v_fma_f32 v16, -v8, v16, v10
	v_cmp_lt_f32_e64 s[4:5], 0, v16
	v_cndmask_b32_e32 v22, 1.0, v1, vcc
	v_mul_f32_e32 v9, v9, v22
	v_log_f32_e32 v9, v9
	v_cndmask_b32_e64 v4, v4, v8, s[4:5]
	v_mul_f32_e32 v8, 0x37800000, v4
	v_cndmask_b32_e64 v4, v4, v8, s[2:3]
	v_mul_f32_e32 v16, 0x3f317217, v9
	v_fma_f32 v16, v9, s18, -v16
	v_fmac_f32_e32 v16, 0x3377d1cf, v9
	v_fmac_f32_e32 v16, 0x3f317217, v9
	v_cmp_lt_f32_e64 s[4:5], |v9|, s20
	v_cmp_class_f32_e64 s[2:3], v10, v7
	s_nop 0
	v_cndmask_b32_e64 v9, v9, v16, s[4:5]
	v_cndmask_b32_e32 v16, 0, v6, vcc
	v_sub_f32_e32 v9, v9, v16
	v_cmp_lt_f16_e32 vcc, s15, v11
	v_cndmask_b32_e64 v16, v4, v10, s[2:3]
	v_mul_f32_e32 v10, 0x3fb8aa3b, v20
	v_cndmask_b32_e32 v9, v9, v19, vcc
	v_mul_f32_e32 v11, 0x4f800000, v9
	v_cmp_gt_f32_e32 vcc, s21, v9
	v_exp_f32_e32 v10, v10
	s_nop 0
	v_cndmask_b32_e32 v9, v9, v11, vcc
	v_sqrt_f32_e32 v11, v9
	v_add_f32_e32 v10, 1.0, v10
	v_add_u32_e32 v4, -1, v11
	v_fma_f32 v8, -v4, v11, v9
	v_cmp_ge_f32_e64 s[2:3], 0, v8
	v_add_u32_e32 v8, 1, v11
	s_nop 0
	v_cndmask_b32_e64 v4, v11, v4, s[2:3]
	v_cmp_gt_f32_e64 s[2:3], s19, v10
	v_fma_f32 v11, -v8, v11, v9
	v_cmp_lt_f32_e64 s[4:5], 0, v11
	v_cndmask_b32_e64 v19, 1.0, v1, s[2:3]
	v_mul_f32_e32 v10, v10, v19
	v_log_f32_e32 v10, v10
	v_cndmask_b32_e64 v4, v4, v8, s[4:5]
	v_mul_f32_e32 v8, 0x37800000, v4
	v_cndmask_b32_e32 v4, v4, v8, vcc
	v_mul_f32_e32 v11, 0x3f317217, v10
	v_fma_f32 v11, v10, s18, -v11
	v_fmac_f32_e32 v11, 0x3377d1cf, v10
	v_fmac_f32_e32 v11, 0x3f317217, v10
	v_cmp_lt_f32_e64 s[4:5], |v10|, s20
	v_cmp_class_f32_e32 vcc, v9, v7
	s_nop 0
	v_cndmask_b32_e64 v10, v10, v11, s[4:5]
	v_cndmask_b32_e64 v11, 0, v6, s[2:3]
	v_sub_f32_e32 v10, v10, v11
	v_cmp_lt_f16_e64 s[2:3], s15, v17
	v_cndmask_b32_e32 v17, v4, v9, vcc
	v_mul_f32_e32 v9, 0x3fb8aa3b, v21
	v_cndmask_b32_e64 v10, v10, v20, s[2:3]
	v_mul_f32_e32 v11, 0x4f800000, v10
	v_cmp_gt_f32_e64 s[2:3], s21, v10
	v_exp_f32_e32 v9, v9
	s_nop 0
	v_cndmask_b32_e64 v10, v10, v11, s[2:3]
	v_sqrt_f32_e32 v11, v10
	v_add_f32_e32 v9, 1.0, v9
	v_add_u32_e32 v4, -1, v11
	v_fma_f32 v8, -v4, v11, v10
	v_cmp_ge_f32_e32 vcc, 0, v8
	v_add_u32_e32 v8, 1, v11
	s_nop 0
	v_cndmask_b32_e32 v4, v11, v4, vcc
	v_cmp_gt_f32_e32 vcc, s19, v9
	v_fma_f32 v11, -v8, v11, v10
	v_cmp_lt_f32_e64 s[4:5], 0, v11
	v_cndmask_b32_e32 v1, 1.0, v1, vcc
	v_mul_f32_e32 v1, v9, v1
	v_log_f32_e32 v1, v1
	v_cndmask_b32_e64 v4, v4, v8, s[4:5]
	v_cndmask_b32_e32 v6, 0, v6, vcc
	v_cmp_lt_f16_e32 vcc, s15, v18
	v_mul_f32_e32 v9, 0x3f317217, v1
	v_fma_f32 v9, v1, s18, -v9
	v_fmac_f32_e32 v9, 0x3377d1cf, v1
	v_fmac_f32_e32 v9, 0x3f317217, v1
	v_cmp_lt_f32_e64 s[4:5], |v1|, s20
	v_mul_f32_e32 v8, 0x37800000, v4
	v_cndmask_b32_e64 v4, v4, v8, s[2:3]
	v_cndmask_b32_e64 v1, v1, v9, s[4:5]
	v_sub_f32_e32 v1, v1, v6
	v_cndmask_b32_e32 v1, v1, v21, vcc
	v_mul_f32_e32 v6, 0x4f800000, v1
	v_cmp_gt_f32_e32 vcc, s21, v1
	v_cmp_class_f32_e64 s[2:3], v10, v7
	s_nop 0
	v_cndmask_b32_e32 v1, v1, v6, vcc
	v_sqrt_f32_e32 v6, v1
	v_cndmask_b32_e64 v18, v4, v10, s[2:3]
	v_add_u32_e32 v4, -1, v6
	v_fma_f32 v8, -v4, v6, v1
	v_cmp_ge_f32_e64 s[2:3], 0, v8
	v_add_u32_e32 v8, 1, v6
	s_nop 0
	v_cndmask_b32_e64 v4, v6, v4, s[2:3]
	v_fma_f32 v6, -v8, v6, v1
	v_cmp_lt_f32_e64 s[2:3], 0, v6
	s_nop 1
	v_cndmask_b32_e64 v4, v4, v8, s[2:3]
	v_mul_f32_e32 v6, 0x37800000, v4
	v_cndmask_b32_e32 v4, v4, v6, vcc
	v_cmp_class_f32_e32 vcc, v1, v7
	s_nop 1
	v_cndmask_b32_e32 v19, v4, v1, vcc
	s_and_b64 vcc, exec, s[16:17]
	s_cbranch_vccnz .LBB352_28
; %bb.2:
	s_load_dwordx2 s[4:5], s[0:1], 0x20
	s_cmp_lt_u32 s12, 4
	v_sub_u32_e32 v4, 0, v12
	s_cbranch_scc1 .LBB352_21
; %bb.3:
	s_mov_b32 s7, 0
	s_and_b32 s14, s12, 0x7ffffffc
	v_ashrrev_i32_e32 v1, 31, v0
	v_mov_b32_e32 v5, 0
	s_mov_b32 s6, s7
	s_branch .LBB352_5
.LBB352_4:                              ;   in Loop: Header=BB352_5 Depth=1
	s_or_b64 exec, exec, s[10:11]
	s_add_i32 s6, s6, 4
	s_cmp_eq_u32 s6, s14
	s_cbranch_scc1 .LBB352_21
.LBB352_5:                              ; =>This Loop Header: Depth=1
                                        ;     Child Loop BB352_7 Depth 2
                                        ;     Child Loop BB352_11 Depth 2
	;; [unrolled: 1-line block ×4, first 2 shown]
	v_lshl_add_u64 v[6:7], s[6:7], 3, v[2:3]
	global_load_dwordx2 v[8:9], v[6:7], off
	v_add_u32_e32 v10, s6, v0
	v_ashrrev_i32_e32 v11, 31, v10
	s_mov_b64 s[10:11], 0
	s_waitcnt lgkmcnt(0)
	v_lshl_add_u64 v[10:11], v[10:11], 3, s[4:5]
	s_mov_b64 s[16:17], 0
	s_waitcnt vmcnt(0)
	v_ashrrev_i32_e32 v9, 31, v8
	v_add_u32_e32 v20, v4, v8
	s_branch .LBB352_7
.LBB352_6:                              ;   in Loop: Header=BB352_7 Depth=2
	s_or_b64 exec, exec, s[18:19]
	s_cmp_gt_u32 s16, 5
	s_cselect_b64 s[2:3], -1, 0
	s_xor_b64 s[18:19], vcc, -1
	s_or_b64 s[2:3], s[18:19], s[2:3]
	s_add_u32 s16, s16, 1
	s_addc_u32 s17, s17, 0
	s_and_b64 s[2:3], exec, s[2:3]
	s_or_b64 s[10:11], s[2:3], s[10:11]
	v_subrev_u32_e32 v20, 64, v20
	s_andn2_b64 exec, exec, s[10:11]
	s_cbranch_execz .LBB352_9
.LBB352_7:                              ;   Parent Loop BB352_5 Depth=1
                                        ; =>  This Inner Loop Header: Depth=2
	v_cmp_ne_u32_e32 vcc, 0, v20
	v_cmp_eq_u32_e64 s[2:3], 0, v20
	s_and_saveexec_b64 s[18:19], s[2:3]
	s_cbranch_execz .LBB352_6
; %bb.8:                                ;   in Loop: Header=BB352_7 Depth=2
	s_cmp_eq_u32 s16, 1
	s_cselect_b64 s[2:3], -1, 0
	s_cmp_eq_u32 s16, 2
	v_cndmask_b32_e64 v21, v13, v14, s[2:3]
	s_cselect_b64 s[2:3], -1, 0
	s_cmp_eq_u32 s16, 3
	v_cndmask_b32_e64 v21, v21, v15, s[2:3]
	;; [unrolled: 3-line block ×5, first 2 shown]
	s_cselect_b64 s[2:3], -1, 0
	v_cndmask_b32_e64 v21, v21, v19, s[2:3]
	v_add_f32_e32 v5, v5, v21
	global_store_dwordx2 v[10:11], v[8:9], off
	s_branch .LBB352_6
.LBB352_9:                              ;   in Loop: Header=BB352_5 Depth=1
	s_or_b64 exec, exec, s[10:11]
	global_load_dwordx2 v[10:11], v[6:7], off offset:8
	s_ashr_i32 s3, s6, 31
	s_mov_b32 s2, s6
	v_lshl_add_u64 v[8:9], s[2:3], 0, v[0:1]
	s_mov_b64 s[10:11], 0
	v_lshl_add_u64 v[8:9], v[8:9], 3, s[4:5]
	s_mov_b64 s[16:17], 0
	s_waitcnt vmcnt(0)
	v_ashrrev_i32_e32 v11, 31, v10
	v_add_u32_e32 v20, v4, v10
	s_branch .LBB352_11
.LBB352_10:                             ;   in Loop: Header=BB352_11 Depth=2
	s_or_b64 exec, exec, s[18:19]
	s_cmp_gt_u32 s16, 5
	s_cselect_b64 s[2:3], -1, 0
	s_xor_b64 s[18:19], vcc, -1
	s_or_b64 s[2:3], s[18:19], s[2:3]
	s_add_u32 s16, s16, 1
	s_addc_u32 s17, s17, 0
	s_and_b64 s[2:3], exec, s[2:3]
	s_or_b64 s[10:11], s[2:3], s[10:11]
	v_subrev_u32_e32 v20, 64, v20
	s_andn2_b64 exec, exec, s[10:11]
	s_cbranch_execz .LBB352_13
.LBB352_11:                             ;   Parent Loop BB352_5 Depth=1
                                        ; =>  This Inner Loop Header: Depth=2
	v_cmp_ne_u32_e32 vcc, 0, v20
	v_cmp_eq_u32_e64 s[2:3], 0, v20
	s_and_saveexec_b64 s[18:19], s[2:3]
	s_cbranch_execz .LBB352_10
; %bb.12:                               ;   in Loop: Header=BB352_11 Depth=2
	s_cmp_eq_u32 s16, 1
	s_cselect_b64 s[2:3], -1, 0
	s_cmp_eq_u32 s16, 2
	v_cndmask_b32_e64 v21, v13, v14, s[2:3]
	s_cselect_b64 s[2:3], -1, 0
	s_cmp_eq_u32 s16, 3
	v_cndmask_b32_e64 v21, v21, v15, s[2:3]
	;; [unrolled: 3-line block ×5, first 2 shown]
	s_cselect_b64 s[2:3], -1, 0
	v_cndmask_b32_e64 v21, v21, v19, s[2:3]
	v_add_f32_e32 v5, v5, v21
	global_store_dwordx2 v[8:9], v[10:11], off offset:8
	s_branch .LBB352_10
.LBB352_13:                             ;   in Loop: Header=BB352_5 Depth=1
	s_or_b64 exec, exec, s[10:11]
	global_load_dwordx2 v[10:11], v[6:7], off offset:16
	s_mov_b64 s[10:11], 0
	s_mov_b64 s[16:17], 0
	s_waitcnt vmcnt(0)
	v_ashrrev_i32_e32 v11, 31, v10
	v_add_u32_e32 v20, v4, v10
	s_branch .LBB352_15
.LBB352_14:                             ;   in Loop: Header=BB352_15 Depth=2
	s_or_b64 exec, exec, s[18:19]
	s_cmp_gt_u32 s16, 5
	s_cselect_b64 s[2:3], -1, 0
	s_xor_b64 s[18:19], vcc, -1
	s_or_b64 s[2:3], s[18:19], s[2:3]
	s_add_u32 s16, s16, 1
	s_addc_u32 s17, s17, 0
	s_and_b64 s[2:3], exec, s[2:3]
	s_or_b64 s[10:11], s[2:3], s[10:11]
	v_subrev_u32_e32 v20, 64, v20
	s_andn2_b64 exec, exec, s[10:11]
	s_cbranch_execz .LBB352_17
.LBB352_15:                             ;   Parent Loop BB352_5 Depth=1
                                        ; =>  This Inner Loop Header: Depth=2
	v_cmp_ne_u32_e32 vcc, 0, v20
	v_cmp_eq_u32_e64 s[2:3], 0, v20
	s_and_saveexec_b64 s[18:19], s[2:3]
	s_cbranch_execz .LBB352_14
; %bb.16:                               ;   in Loop: Header=BB352_15 Depth=2
	s_cmp_eq_u32 s16, 1
	s_cselect_b64 s[2:3], -1, 0
	s_cmp_eq_u32 s16, 2
	v_cndmask_b32_e64 v21, v13, v14, s[2:3]
	s_cselect_b64 s[2:3], -1, 0
	s_cmp_eq_u32 s16, 3
	v_cndmask_b32_e64 v21, v21, v15, s[2:3]
	;; [unrolled: 3-line block ×5, first 2 shown]
	s_cselect_b64 s[2:3], -1, 0
	v_cndmask_b32_e64 v21, v21, v19, s[2:3]
	v_add_f32_e32 v5, v5, v21
	global_store_dwordx2 v[8:9], v[10:11], off offset:16
	s_branch .LBB352_14
.LBB352_17:                             ;   in Loop: Header=BB352_5 Depth=1
	s_or_b64 exec, exec, s[10:11]
	global_load_dwordx2 v[6:7], v[6:7], off offset:24
	s_mov_b64 s[10:11], 0
	s_mov_b64 s[16:17], 0
	s_waitcnt vmcnt(0)
	v_ashrrev_i32_e32 v7, 31, v6
	v_add_u32_e32 v10, v4, v6
	s_branch .LBB352_19
.LBB352_18:                             ;   in Loop: Header=BB352_19 Depth=2
	s_or_b64 exec, exec, s[18:19]
	s_cmp_gt_u32 s16, 5
	s_cselect_b64 s[2:3], -1, 0
	s_xor_b64 s[18:19], vcc, -1
	s_or_b64 s[2:3], s[18:19], s[2:3]
	s_add_u32 s16, s16, 1
	s_addc_u32 s17, s17, 0
	s_and_b64 s[2:3], exec, s[2:3]
	s_or_b64 s[10:11], s[2:3], s[10:11]
	v_subrev_u32_e32 v10, 64, v10
	s_andn2_b64 exec, exec, s[10:11]
	s_cbranch_execz .LBB352_4
.LBB352_19:                             ;   Parent Loop BB352_5 Depth=1
                                        ; =>  This Inner Loop Header: Depth=2
	v_cmp_ne_u32_e32 vcc, 0, v10
	v_cmp_eq_u32_e64 s[2:3], 0, v10
	s_and_saveexec_b64 s[18:19], s[2:3]
	s_cbranch_execz .LBB352_18
; %bb.20:                               ;   in Loop: Header=BB352_19 Depth=2
	s_cmp_eq_u32 s16, 1
	s_cselect_b64 s[2:3], -1, 0
	s_cmp_eq_u32 s16, 2
	v_cndmask_b32_e64 v11, v13, v14, s[2:3]
	s_cselect_b64 s[2:3], -1, 0
	s_cmp_eq_u32 s16, 3
	v_cndmask_b32_e64 v11, v11, v15, s[2:3]
	;; [unrolled: 3-line block ×5, first 2 shown]
	s_cselect_b64 s[2:3], -1, 0
	v_cndmask_b32_e64 v11, v11, v19, s[2:3]
	v_add_f32_e32 v5, v5, v11
	global_store_dwordx2 v[8:9], v[6:7], off offset:24
	s_branch .LBB352_18
.LBB352_21:
	s_and_b32 s13, s12, 3
	s_cmp_eq_u32 s13, 0
	s_mov_b32 s15, 0
	s_cbranch_scc1 .LBB352_28
; %bb.22:
	s_mov_b32 s18, s15
	s_branch .LBB352_24
.LBB352_23:                             ;   in Loop: Header=BB352_24 Depth=1
	s_or_b64 exec, exec, s[6:7]
	s_add_i32 s14, s14, 1
	s_add_i32 s18, s18, 1
	s_cmp_lg_u32 s18, s13
	s_cbranch_scc0 .LBB352_28
.LBB352_24:                             ; =>This Loop Header: Depth=1
                                        ;     Child Loop BB352_26 Depth 2
	v_lshl_add_u64 v[6:7], s[14:15], 3, v[2:3]
	global_load_dwordx2 v[6:7], v[6:7], off
	v_add_u32_e32 v8, s14, v0
	v_ashrrev_i32_e32 v9, 31, v8
	s_mov_b64 s[6:7], 0
	s_waitcnt lgkmcnt(0)
	v_lshl_add_u64 v[8:9], v[8:9], 3, s[4:5]
	s_mov_b64 s[10:11], 0
	s_waitcnt vmcnt(0)
	v_ashrrev_i32_e32 v7, 31, v6
	v_add_u32_e32 v1, v4, v6
	s_branch .LBB352_26
.LBB352_25:                             ;   in Loop: Header=BB352_26 Depth=2
	s_or_b64 exec, exec, s[16:17]
	s_cmp_gt_u32 s10, 5
	s_cselect_b64 s[2:3], -1, 0
	s_xor_b64 s[16:17], vcc, -1
	s_or_b64 s[2:3], s[16:17], s[2:3]
	s_add_u32 s10, s10, 1
	s_addc_u32 s11, s11, 0
	s_and_b64 s[2:3], exec, s[2:3]
	s_or_b64 s[6:7], s[2:3], s[6:7]
	v_subrev_u32_e32 v1, 64, v1
	s_andn2_b64 exec, exec, s[6:7]
	s_cbranch_execz .LBB352_23
.LBB352_26:                             ;   Parent Loop BB352_24 Depth=1
                                        ; =>  This Inner Loop Header: Depth=2
	v_cmp_ne_u32_e32 vcc, 0, v1
	v_cmp_eq_u32_e64 s[2:3], 0, v1
	s_and_saveexec_b64 s[16:17], s[2:3]
	s_cbranch_execz .LBB352_25
; %bb.27:                               ;   in Loop: Header=BB352_26 Depth=2
	s_cmp_eq_u32 s10, 1
	s_cselect_b64 s[2:3], -1, 0
	s_cmp_eq_u32 s10, 2
	v_cndmask_b32_e64 v10, v13, v14, s[2:3]
	s_cselect_b64 s[2:3], -1, 0
	s_cmp_eq_u32 s10, 3
	v_cndmask_b32_e64 v10, v10, v15, s[2:3]
	;; [unrolled: 3-line block ×5, first 2 shown]
	s_cselect_b64 s[2:3], -1, 0
	v_cndmask_b32_e64 v10, v10, v19, s[2:3]
	v_add_f32_e32 v5, v5, v10
	global_store_dwordx2 v[8:9], v[6:7], off
	s_branch .LBB352_25
.LBB352_28:
	s_waitcnt lgkmcnt(0)
	s_load_dword s4, s[0:1], 0x3c
	s_waitcnt lgkmcnt(0)
	s_bitcmp1_b32 s4, 0
	s_cselect_b64 s[2:3], -1, 0
	s_bitcmp0_b32 s4, 0
	s_cbranch_scc0 .LBB352_32
; %bb.29:
	s_load_dwordx2 s[4:5], s[0:1], 0x40
	s_andn2_b64 vcc, exec, s[2:3]
	s_waitcnt lgkmcnt(0)
	v_cvt_f32_f64_e32 v10, s[4:5]
	s_cbranch_vccz .LBB352_33
.LBB352_30:
	s_andn2_b64 vcc, exec, s[8:9]
	s_cbranch_vccz .LBB352_34
.LBB352_31:
	s_endpgm
.LBB352_32:
	v_mbcnt_lo_u32_b32 v1, -1, 0
	v_mbcnt_hi_u32_b32 v1, -1, v1
	v_and_b32_e32 v4, 64, v1
	v_add_u32_e32 v4, 64, v4
	v_xor_b32_e32 v6, 32, v1
	v_cmp_lt_i32_e32 vcc, v6, v4
	v_xor_b32_e32 v7, 16, v1
	s_nop 0
	v_cndmask_b32_e32 v6, v1, v6, vcc
	v_lshlrev_b32_e32 v6, 2, v6
	ds_bpermute_b32 v6, v6, v5
	v_cmp_lt_i32_e32 vcc, v7, v4
	s_waitcnt lgkmcnt(0)
	v_add_f32_e32 v5, v5, v6
	v_cndmask_b32_e32 v6, v1, v7, vcc
	v_lshlrev_b32_e32 v6, 2, v6
	ds_bpermute_b32 v6, v6, v5
	v_xor_b32_e32 v7, 8, v1
	v_cmp_lt_i32_e32 vcc, v7, v4
	s_waitcnt lgkmcnt(0)
	v_add_f32_e32 v5, v5, v6
	v_cndmask_b32_e32 v6, v1, v7, vcc
	v_lshlrev_b32_e32 v6, 2, v6
	ds_bpermute_b32 v6, v6, v5
	v_xor_b32_e32 v7, 4, v1
	;; [unrolled: 7-line block ×4, first 2 shown]
	v_cmp_lt_i32_e32 vcc, v7, v4
	s_waitcnt lgkmcnt(0)
	v_add_f32_e32 v5, v5, v6
	v_cndmask_b32_e32 v1, v1, v7, vcc
	v_lshlrev_b32_e32 v1, 2, v1
	ds_bpermute_b32 v1, v1, v5
	s_waitcnt lgkmcnt(0)
	v_add_f32_e32 v5, v5, v1
	s_load_dwordx2 s[4:5], s[0:1], 0x40
	s_andn2_b64 vcc, exec, s[2:3]
	s_waitcnt lgkmcnt(0)
	v_cvt_f32_f64_e32 v10, s[4:5]
	s_cbranch_vccnz .LBB352_30
.LBB352_33:
	v_cmp_lt_f32_e32 vcc, 0, v5
	s_nop 1
	v_cndmask_b32_e32 v1, 1.0, v5, vcc
	v_div_scale_f32 v4, s[2:3], v1, v1, v10
	v_rcp_f32_e32 v5, v4
	s_nop 0
	v_fma_f32 v6, -v4, v5, 1.0
	v_fmac_f32_e32 v5, v6, v5
	v_div_scale_f32 v6, vcc, v10, v1, v10
	v_mul_f32_e32 v7, v6, v5
	v_fma_f32 v8, -v4, v7, v6
	v_fmac_f32_e32 v7, v8, v5
	v_fma_f32 v4, -v4, v7, v6
	v_div_fmas_f32 v4, v4, v5, v7
	v_div_fixup_f32 v10, v4, v1, v10
	s_andn2_b64 vcc, exec, s[8:9]
	s_cbranch_vccnz .LBB352_31
.LBB352_34:
	s_load_dwordx2 s[10:11], s[0:1], 0x10
	v_or_b32_e32 v24, 64, v12
	v_or_b32_e32 v23, 0x80, v12
	;; [unrolled: 1-line block ×6, first 2 shown]
	s_cmp_eq_u32 s12, 1
	s_mov_b32 s14, 0
	s_cbranch_scc1 .LBB352_65
; %bb.35:
	v_ashrrev_i32_e32 v1, 31, v0
	s_waitcnt lgkmcnt(0)
	v_lshl_add_u64 v[4:5], v[0:1], 2, s[10:11]
	s_and_b32 s14, s12, 0x7ffffffe
	v_lshl_add_u64 v[4:5], v[4:5], 0, 4
	v_lshl_add_u64 v[6:7], v[2:3], 0, 8
	s_mov_b32 s13, 0
	s_branch .LBB352_37
.LBB352_36:                             ;   in Loop: Header=BB352_37 Depth=1
	s_or_b64 exec, exec, s[0:1]
	s_add_i32 s13, s13, 2
	v_lshl_add_u64 v[4:5], v[4:5], 0, 8
	s_cmp_lg_u32 s14, s13
	v_lshl_add_u64 v[6:7], v[6:7], 0, 16
	s_cbranch_scc0 .LBB352_65
.LBB352_37:                             ; =>This Inner Loop Header: Depth=1
	global_load_dword v1, v[6:7], off offset:-8
	v_mov_b64_e32 v[8:9], 0
	s_waitcnt vmcnt(0)
	v_cmp_eq_u32_e32 vcc, v12, v1
	v_cmp_ne_u32_e64 s[0:1], v12, v1
	s_and_saveexec_b64 s[16:17], s[0:1]
	s_cbranch_execz .LBB352_49
; %bb.38:                               ;   in Loop: Header=BB352_37 Depth=1
	v_cmp_eq_u32_e64 s[0:1], v24, v1
	v_cmp_ne_u32_e64 s[2:3], v24, v1
	v_mov_b64_e32 v[8:9], 1
	s_and_saveexec_b64 s[18:19], s[2:3]
	s_cbranch_execz .LBB352_48
; %bb.39:                               ;   in Loop: Header=BB352_37 Depth=1
	v_cmp_eq_u32_e64 s[2:3], v23, v1
	v_cmp_ne_u32_e64 s[4:5], v23, v1
	v_mov_b64_e32 v[8:9], 2
	;; [unrolled: 6-line block ×5, first 2 shown]
	s_and_saveexec_b64 s[28:29], s[8:9]
	s_xor_b64 s[28:29], exec, s[28:29]
; %bb.43:                               ;   in Loop: Header=BB352_37 Depth=1
	v_cmp_eq_u32_e64 s[8:9], v11, v1
	s_andn2_b64 s[26:27], s[26:27], exec
	s_and_b64 s[8:9], s[8:9], exec
	v_mov_b64_e32 v[8:9], 6
	s_or_b64 s[26:27], s[26:27], s[8:9]
; %bb.44:                               ;   in Loop: Header=BB352_37 Depth=1
	s_or_b64 exec, exec, s[28:29]
	s_andn2_b64 s[6:7], s[6:7], exec
	s_and_b64 s[8:9], s[26:27], exec
	s_or_b64 s[6:7], s[6:7], s[8:9]
.LBB352_45:                             ;   in Loop: Header=BB352_37 Depth=1
	s_or_b64 exec, exec, s[24:25]
	s_andn2_b64 s[4:5], s[4:5], exec
	s_and_b64 s[6:7], s[6:7], exec
	s_or_b64 s[4:5], s[4:5], s[6:7]
.LBB352_46:                             ;   in Loop: Header=BB352_37 Depth=1
	s_or_b64 exec, exec, s[22:23]
	s_andn2_b64 s[2:3], s[2:3], exec
	s_and_b64 s[4:5], s[4:5], exec
	s_or_b64 s[2:3], s[2:3], s[4:5]
.LBB352_47:                             ;   in Loop: Header=BB352_37 Depth=1
	s_or_b64 exec, exec, s[20:21]
	s_andn2_b64 s[0:1], s[0:1], exec
	s_and_b64 s[2:3], s[2:3], exec
	s_or_b64 s[0:1], s[0:1], s[2:3]
.LBB352_48:                             ;   in Loop: Header=BB352_37 Depth=1
	s_or_b64 exec, exec, s[18:19]
	s_andn2_b64 s[2:3], vcc, exec
	s_and_b64 s[0:1], s[0:1], exec
	s_or_b64 vcc, s[2:3], s[0:1]
.LBB352_49:                             ;   in Loop: Header=BB352_37 Depth=1
	s_or_b64 exec, exec, s[16:17]
	s_and_saveexec_b64 s[0:1], vcc
	s_cbranch_execz .LBB352_51
; %bb.50:                               ;   in Loop: Header=BB352_37 Depth=1
	v_cmp_eq_u32_e32 vcc, 1, v8
	v_add_u32_e32 v26, s13, v0
	v_ashrrev_i32_e32 v27, 31, v26
	v_cndmask_b32_e32 v1, v13, v14, vcc
	v_cmp_eq_u32_e32 vcc, 2, v8
	s_nop 1
	v_cndmask_b32_e32 v1, v1, v15, vcc
	v_cmp_eq_u32_e32 vcc, 3, v8
	s_nop 1
	;; [unrolled: 3-line block ×4, first 2 shown]
	v_cndmask_b32_e32 v1, v1, v18, vcc
	v_cmp_eq_u32_e32 vcc, 6, v8
	v_lshl_add_u64 v[8:9], v[26:27], 2, s[10:11]
	s_nop 0
	v_cndmask_b32_e32 v1, v1, v19, vcc
	v_mul_f32_e32 v1, v10, v1
	global_store_dword v[8:9], v1, off
.LBB352_51:                             ;   in Loop: Header=BB352_37 Depth=1
	s_or_b64 exec, exec, s[0:1]
	global_load_dword v1, v[6:7], off
	v_mov_b64_e32 v[8:9], 0
	s_waitcnt vmcnt(0)
	v_cmp_eq_u32_e64 s[6:7], v12, v1
	v_cmp_ne_u32_e32 vcc, v12, v1
	s_and_saveexec_b64 s[8:9], vcc
	s_cbranch_execz .LBB352_63
; %bb.52:                               ;   in Loop: Header=BB352_37 Depth=1
	v_cmp_eq_u32_e32 vcc, v24, v1
	v_cmp_ne_u32_e64 s[0:1], v24, v1
	v_mov_b64_e32 v[8:9], 1
	s_and_saveexec_b64 s[16:17], s[0:1]
	s_cbranch_execz .LBB352_62
; %bb.53:                               ;   in Loop: Header=BB352_37 Depth=1
	v_cmp_eq_u32_e64 s[0:1], v23, v1
	v_cmp_ne_u32_e64 s[2:3], v23, v1
	v_mov_b64_e32 v[8:9], 2
	s_and_saveexec_b64 s[18:19], s[2:3]
	s_cbranch_execz .LBB352_61
; %bb.54:                               ;   in Loop: Header=BB352_37 Depth=1
	v_cmp_eq_u32_e64 s[2:3], v22, v1
	;; [unrolled: 6-line block ×4, first 2 shown]
	v_cmp_ne_u32_e64 s[4:5], v20, v1
	v_mov_b64_e32 v[8:9], 5
	s_and_saveexec_b64 s[28:29], s[4:5]
; %bb.57:                               ;   in Loop: Header=BB352_37 Depth=1
	v_cmp_eq_u32_e64 s[4:5], v11, v1
	s_andn2_b64 s[26:27], s[26:27], exec
	s_and_b64 s[4:5], s[4:5], exec
	v_mov_b64_e32 v[8:9], 6
	s_or_b64 s[26:27], s[26:27], s[4:5]
; %bb.58:                               ;   in Loop: Header=BB352_37 Depth=1
	s_or_b64 exec, exec, s[28:29]
	s_andn2_b64 s[4:5], s[22:23], exec
	s_and_b64 s[22:23], s[26:27], exec
	s_or_b64 s[22:23], s[4:5], s[22:23]
.LBB352_59:                             ;   in Loop: Header=BB352_37 Depth=1
	s_or_b64 exec, exec, s[24:25]
	s_andn2_b64 s[2:3], s[2:3], exec
	s_and_b64 s[4:5], s[22:23], exec
	s_or_b64 s[2:3], s[2:3], s[4:5]
.LBB352_60:                             ;   in Loop: Header=BB352_37 Depth=1
	s_or_b64 exec, exec, s[20:21]
	s_andn2_b64 s[0:1], s[0:1], exec
	s_and_b64 s[2:3], s[2:3], exec
	s_or_b64 s[0:1], s[0:1], s[2:3]
.LBB352_61:                             ;   in Loop: Header=BB352_37 Depth=1
	s_or_b64 exec, exec, s[18:19]
	s_andn2_b64 s[2:3], vcc, exec
	s_and_b64 s[0:1], s[0:1], exec
	s_or_b64 vcc, s[2:3], s[0:1]
.LBB352_62:                             ;   in Loop: Header=BB352_37 Depth=1
	s_or_b64 exec, exec, s[16:17]
	s_andn2_b64 s[0:1], s[6:7], exec
	s_and_b64 s[2:3], vcc, exec
	s_or_b64 s[6:7], s[0:1], s[2:3]
.LBB352_63:                             ;   in Loop: Header=BB352_37 Depth=1
	s_or_b64 exec, exec, s[8:9]
	s_and_saveexec_b64 s[0:1], s[6:7]
	s_cbranch_execz .LBB352_36
; %bb.64:                               ;   in Loop: Header=BB352_37 Depth=1
	v_cmp_eq_u32_e32 vcc, 1, v8
	s_nop 1
	v_cndmask_b32_e32 v1, v13, v14, vcc
	v_cmp_eq_u32_e32 vcc, 2, v8
	s_nop 1
	v_cndmask_b32_e32 v1, v1, v15, vcc
	;; [unrolled: 3-line block ×6, first 2 shown]
	v_mul_f32_e32 v1, v10, v1
	global_store_dword v[4:5], v1, off
	s_branch .LBB352_36
.LBB352_65:
	s_bitcmp0_b32 s12, 0
	s_mov_b32 s15, 0
	s_cbranch_scc1 .LBB352_31
; %bb.66:
	v_lshl_add_u64 v[2:3], s[14:15], 3, v[2:3]
	global_load_dword v1, v[2:3], off
	v_mov_b64_e32 v[2:3], 0
	s_waitcnt vmcnt(0)
	v_cmp_eq_u32_e64 s[6:7], v12, v1
	v_cmp_ne_u32_e32 vcc, v12, v1
	s_and_saveexec_b64 s[8:9], vcc
	s_cbranch_execz .LBB352_78
; %bb.67:
	v_cmp_eq_u32_e32 vcc, v24, v1
	v_cmp_ne_u32_e64 s[0:1], v24, v1
	v_mov_b64_e32 v[2:3], 1
	s_and_saveexec_b64 s[12:13], s[0:1]
	s_cbranch_execz .LBB352_77
; %bb.68:
	v_cmp_eq_u32_e64 s[0:1], v23, v1
	v_cmp_ne_u32_e64 s[2:3], v23, v1
	v_mov_b64_e32 v[2:3], 2
	s_and_saveexec_b64 s[16:17], s[2:3]
	s_cbranch_execz .LBB352_76
; %bb.69:
	v_cmp_eq_u32_e64 s[2:3], v22, v1
	;; [unrolled: 6-line block ×4, first 2 shown]
	v_cmp_ne_u32_e64 s[4:5], v20, v1
	v_mov_b64_e32 v[2:3], 5
	s_and_saveexec_b64 s[26:27], s[4:5]
; %bb.72:
	v_cmp_eq_u32_e64 s[4:5], v11, v1
	s_andn2_b64 s[24:25], s[24:25], exec
	s_and_b64 s[4:5], s[4:5], exec
	v_mov_b64_e32 v[2:3], 6
	s_or_b64 s[24:25], s[24:25], s[4:5]
; %bb.73:
	s_or_b64 exec, exec, s[26:27]
	s_andn2_b64 s[4:5], s[20:21], exec
	s_and_b64 s[20:21], s[24:25], exec
	s_or_b64 s[20:21], s[4:5], s[20:21]
.LBB352_74:
	s_or_b64 exec, exec, s[22:23]
	s_andn2_b64 s[2:3], s[2:3], exec
	s_and_b64 s[4:5], s[20:21], exec
	s_or_b64 s[2:3], s[2:3], s[4:5]
.LBB352_75:
	s_or_b64 exec, exec, s[18:19]
	s_andn2_b64 s[0:1], s[0:1], exec
	s_and_b64 s[2:3], s[2:3], exec
	s_or_b64 s[0:1], s[0:1], s[2:3]
.LBB352_76:
	s_or_b64 exec, exec, s[16:17]
	s_andn2_b64 s[2:3], vcc, exec
	s_and_b64 s[0:1], s[0:1], exec
	s_or_b64 vcc, s[2:3], s[0:1]
.LBB352_77:
	s_or_b64 exec, exec, s[12:13]
	s_andn2_b64 s[0:1], s[6:7], exec
	s_and_b64 s[2:3], vcc, exec
	s_or_b64 s[6:7], s[0:1], s[2:3]
.LBB352_78:
	s_or_b64 exec, exec, s[8:9]
	s_and_b64 exec, exec, s[6:7]
	s_cbranch_execz .LBB352_31
; %bb.79:
	v_cmp_eq_u32_e32 vcc, 1, v2
	v_add_u32_e32 v0, s14, v0
	s_nop 0
	v_cndmask_b32_e32 v1, v13, v14, vcc
	v_cmp_eq_u32_e32 vcc, 2, v2
	s_nop 1
	v_cndmask_b32_e32 v1, v1, v15, vcc
	v_cmp_eq_u32_e32 vcc, 3, v2
	;; [unrolled: 3-line block ×5, first 2 shown]
	s_nop 1
	v_cndmask_b32_e32 v1, v1, v19, vcc
	v_mul_f32_e32 v2, v10, v1
	v_ashrrev_i32_e32 v1, 31, v0
	s_waitcnt lgkmcnt(0)
	v_lshl_add_u64 v[0:1], v[0:1], 2, s[10:11]
	global_store_dword v[0:1], v2, off
	s_endpgm
	.section	.rodata,"a",@progbits
	.p2align	6, 0x0
	.amdhsa_kernel _ZN4vllm3moe22topkGatingSoftplusSqrtILi7ELi448ELi4ELi2ELi64ELb1El6__halfEEvPKT6_PKbPfiPT5_PiiiibdPKfPKS9_SF_
		.amdhsa_group_segment_fixed_size 0
		.amdhsa_private_segment_fixed_size 0
		.amdhsa_kernarg_size 96
		.amdhsa_user_sgpr_count 2
		.amdhsa_user_sgpr_dispatch_ptr 0
		.amdhsa_user_sgpr_queue_ptr 0
		.amdhsa_user_sgpr_kernarg_segment_ptr 1
		.amdhsa_user_sgpr_dispatch_id 0
		.amdhsa_user_sgpr_kernarg_preload_length 0
		.amdhsa_user_sgpr_kernarg_preload_offset 0
		.amdhsa_user_sgpr_private_segment_size 0
		.amdhsa_uses_dynamic_stack 0
		.amdhsa_enable_private_segment 0
		.amdhsa_system_sgpr_workgroup_id_x 1
		.amdhsa_system_sgpr_workgroup_id_y 0
		.amdhsa_system_sgpr_workgroup_id_z 0
		.amdhsa_system_sgpr_workgroup_info 0
		.amdhsa_system_vgpr_workitem_id 1
		.amdhsa_next_free_vgpr 31
		.amdhsa_next_free_sgpr 30
		.amdhsa_accum_offset 32
		.amdhsa_reserve_vcc 1
		.amdhsa_float_round_mode_32 0
		.amdhsa_float_round_mode_16_64 0
		.amdhsa_float_denorm_mode_32 3
		.amdhsa_float_denorm_mode_16_64 3
		.amdhsa_dx10_clamp 1
		.amdhsa_ieee_mode 1
		.amdhsa_fp16_overflow 0
		.amdhsa_tg_split 0
		.amdhsa_exception_fp_ieee_invalid_op 0
		.amdhsa_exception_fp_denorm_src 0
		.amdhsa_exception_fp_ieee_div_zero 0
		.amdhsa_exception_fp_ieee_overflow 0
		.amdhsa_exception_fp_ieee_underflow 0
		.amdhsa_exception_fp_ieee_inexact 0
		.amdhsa_exception_int_div_zero 0
	.end_amdhsa_kernel
	.section	.text._ZN4vllm3moe22topkGatingSoftplusSqrtILi7ELi448ELi4ELi2ELi64ELb1El6__halfEEvPKT6_PKbPfiPT5_PiiiibdPKfPKS9_SF_,"axG",@progbits,_ZN4vllm3moe22topkGatingSoftplusSqrtILi7ELi448ELi4ELi2ELi64ELb1El6__halfEEvPKT6_PKbPfiPT5_PiiiibdPKfPKS9_SF_,comdat
.Lfunc_end352:
	.size	_ZN4vllm3moe22topkGatingSoftplusSqrtILi7ELi448ELi4ELi2ELi64ELb1El6__halfEEvPKT6_PKbPfiPT5_PiiiibdPKfPKS9_SF_, .Lfunc_end352-_ZN4vllm3moe22topkGatingSoftplusSqrtILi7ELi448ELi4ELi2ELi64ELb1El6__halfEEvPKT6_PKbPfiPT5_PiiiibdPKfPKS9_SF_
                                        ; -- End function
	.section	.AMDGPU.csdata,"",@progbits
; Kernel info:
; codeLenInByte = 4888
; NumSgprs: 36
; NumVgprs: 31
; NumAgprs: 0
; TotalNumVgprs: 31
; ScratchSize: 0
; MemoryBound: 0
; FloatMode: 240
; IeeeMode: 1
; LDSByteSize: 0 bytes/workgroup (compile time only)
; SGPRBlocks: 4
; VGPRBlocks: 3
; NumSGPRsForWavesPerEU: 36
; NumVGPRsForWavesPerEU: 31
; AccumOffset: 32
; Occupancy: 8
; WaveLimiterHint : 1
; COMPUTE_PGM_RSRC2:SCRATCH_EN: 0
; COMPUTE_PGM_RSRC2:USER_SGPR: 2
; COMPUTE_PGM_RSRC2:TRAP_HANDLER: 0
; COMPUTE_PGM_RSRC2:TGID_X_EN: 1
; COMPUTE_PGM_RSRC2:TGID_Y_EN: 0
; COMPUTE_PGM_RSRC2:TGID_Z_EN: 0
; COMPUTE_PGM_RSRC2:TIDIG_COMP_CNT: 1
; COMPUTE_PGM_RSRC3_GFX90A:ACCUM_OFFSET: 7
; COMPUTE_PGM_RSRC3_GFX90A:TG_SPLIT: 0
	.section	.text._ZN4vllm3moe22topkGatingSoftplusSqrtILi7ELi448ELi4ELi2ELi64ELb0El6__halfEEvPKT6_PKbPfiPT5_PiiiibdPKfPKS9_SF_,"axG",@progbits,_ZN4vllm3moe22topkGatingSoftplusSqrtILi7ELi448ELi4ELi2ELi64ELb0El6__halfEEvPKT6_PKbPfiPT5_PiiiibdPKfPKS9_SF_,comdat
	.protected	_ZN4vllm3moe22topkGatingSoftplusSqrtILi7ELi448ELi4ELi2ELi64ELb0El6__halfEEvPKT6_PKbPfiPT5_PiiiibdPKfPKS9_SF_ ; -- Begin function _ZN4vllm3moe22topkGatingSoftplusSqrtILi7ELi448ELi4ELi2ELi64ELb0El6__halfEEvPKT6_PKbPfiPT5_PiiiibdPKfPKS9_SF_
	.globl	_ZN4vllm3moe22topkGatingSoftplusSqrtILi7ELi448ELi4ELi2ELi64ELb0El6__halfEEvPKT6_PKbPfiPT5_PiiiibdPKfPKS9_SF_
	.p2align	8
	.type	_ZN4vllm3moe22topkGatingSoftplusSqrtILi7ELi448ELi4ELi2ELi64ELb0El6__halfEEvPKT6_PKbPfiPT5_PiiiibdPKfPKS9_SF_,@function
_ZN4vllm3moe22topkGatingSoftplusSqrtILi7ELi448ELi4ELi2ELi64ELb0El6__halfEEvPKT6_PKbPfiPT5_PiiiibdPKfPKS9_SF_: ; @_ZN4vllm3moe22topkGatingSoftplusSqrtILi7ELi448ELi4ELi2ELi64ELb0El6__halfEEvPKT6_PKbPfiPT5_PiiiibdPKfPKS9_SF_
; %bb.0:
	s_load_dword s30, s[0:1], 0x18
	v_and_b32_e32 v1, 0x3ff, v0
	s_lshl_b32 s2, s2, 2
	v_lshrrev_b32_e32 v2, 6, v1
	v_bfe_u32 v0, v0, 10, 10
	v_add3_u32 v8, s2, v0, v2
	s_waitcnt lgkmcnt(0)
	v_cmp_gt_i32_e32 vcc, s30, v8
	s_and_saveexec_b64 s[2:3], vcc
	s_cbranch_execz .LBB353_63
; %bb.1:
	s_load_dwordx4 s[4:7], s[0:1], 0x0
	s_load_dwordx2 s[20:21], s[0:1], 0x10
	s_waitcnt lgkmcnt(0)
	s_cmp_eq_u64 s[6:7], 0
	s_cbranch_scc1 .LBB353_3
; %bb.2:
	v_ashrrev_i32_e32 v9, 31, v8
	v_lshl_add_u64 v[2:3], s[6:7], 0, v[8:9]
	global_load_ubyte v0, v[2:3], off
	s_waitcnt vmcnt(0)
	v_and_b32_e32 v0, 1, v0
	v_cmp_eq_u32_e32 vcc, 1, v0
	s_xor_b64 s[2:3], vcc, -1
	s_orn2_b64 s[22:23], s[2:3], exec
	s_branch .LBB353_4
.LBB353_3:
	s_mov_b64 s[22:23], -1
.LBB353_4:
	s_movk_i32 s2, 0x1c0
	v_mul_lo_u32 v4, v8, s2
	v_mov_b32_e32 v2, s4
	v_mov_b32_e32 v3, s5
	v_ashrrev_i32_e32 v5, 31, v4
	v_and_b32_e32 v10, 63, v1
	v_lshl_add_u64 v[2:3], v[4:5], 1, v[2:3]
	v_mov_b32_e32 v1, 0
	v_lshlrev_b32_e32 v0, 1, v10
	v_lshl_add_u64 v[12:13], v[2:3], 0, v[0:1]
	global_load_ushort v0, v[12:13], off
	global_load_ushort v1, v[12:13], off offset:128
	global_load_ushort v2, v[12:13], off offset:256
	;; [unrolled: 1-line block ×6, first 2 shown]
	s_mov_b32 s16, 0x800000
	v_mov_b32_e32 v11, 0x4f800000
	s_mov_b32 s13, 0x3f317217
	s_mov_b32 s14, 0x7f800000
	v_mov_b32_e32 v12, 0x41b17218
	s_movk_i32 s12, 0x4d00
	s_mov_b32 s15, 0xf800000
	s_load_dwordx4 s[8:11], s[0:1], 0x40
	s_waitcnt lgkmcnt(0)
	s_cmp_lg_u64 s[10:11], 0
	s_cselect_b64 s[6:7], -1, 0
	s_and_b64 s[2:3], exec, s[6:7]
	s_waitcnt vmcnt(6)
	v_cvt_f32_f16_e32 v13, v0
	v_mul_f32_e32 v7, 0x3fb8aa3b, v13
	v_exp_f32_e32 v7, v7
	s_nop 0
	v_add_f32_e32 v7, 1.0, v7
	v_cmp_gt_f32_e32 vcc, s16, v7
	s_nop 1
	v_cndmask_b32_e32 v9, 1.0, v11, vcc
	v_mul_f32_e32 v7, v7, v9
	v_log_f32_e32 v14, v7
	v_cndmask_b32_e32 v15, 0, v12, vcc
	v_mov_b32_e32 v9, 0x260
	v_lshlrev_b32_e32 v7, 2, v10
	v_mul_f32_e32 v16, 0x3f317217, v14
	v_fma_f32 v16, v14, s13, -v16
	v_fmac_f32_e32 v16, 0x3377d1cf, v14
	v_fmac_f32_e32 v16, 0x3f317217, v14
	v_cmp_lt_f32_e64 vcc, |v14|, s14
	s_nop 1
	v_cndmask_b32_e32 v14, v14, v16, vcc
	v_sub_f32_e32 v14, v14, v15
	v_cmp_lt_f16_e32 vcc, s12, v0
	s_nop 1
	v_cndmask_b32_e32 v0, v14, v13, vcc
	v_mul_f32_e32 v13, 0x4f800000, v0
	v_cmp_gt_f32_e32 vcc, s15, v0
	s_nop 1
	v_cndmask_b32_e32 v0, v0, v13, vcc
	v_sqrt_f32_e32 v13, v0
	s_nop 0
	v_add_u32_e32 v14, -1, v13
	v_add_u32_e32 v15, 1, v13
	v_fma_f32 v16, -v14, v13, v0
	v_fma_f32 v17, -v15, v13, v0
	v_cmp_ge_f32_e64 s[4:5], 0, v16
	s_nop 1
	v_cndmask_b32_e64 v13, v13, v14, s[4:5]
	v_cmp_lt_f32_e64 s[4:5], 0, v17
	s_nop 1
	v_cndmask_b32_e64 v13, v13, v15, s[4:5]
	v_mul_f32_e32 v14, 0x37800000, v13
	v_cndmask_b32_e32 v13, v13, v14, vcc
	v_cmp_class_f32_e32 vcc, v0, v9
	s_nop 1
	v_cndmask_b32_e32 v0, v13, v0, vcc
	s_mov_b64 vcc, s[2:3]
	s_cbranch_vccz .LBB353_6
; %bb.5:
	global_load_dword v13, v7, s[10:11]
	s_waitcnt vmcnt(0)
	v_add_f32_e32 v0, v0, v13
.LBB353_6:
	s_waitcnt vmcnt(5)
	v_cvt_f32_f16_e32 v13, v1
	v_mul_f32_e32 v14, 0x3fb8aa3b, v13
	v_exp_f32_e32 v14, v14
	s_nop 0
	v_add_f32_e32 v14, 1.0, v14
	v_cmp_gt_f32_e32 vcc, s16, v14
	s_nop 1
	v_cndmask_b32_e32 v11, 1.0, v11, vcc
	v_mul_f32_e32 v11, v14, v11
	v_log_f32_e32 v11, v11
	v_cndmask_b32_e32 v12, 0, v12, vcc
	v_mul_f32_e32 v14, 0x3f317217, v11
	v_fma_f32 v14, v11, s13, -v14
	v_fmac_f32_e32 v14, 0x3377d1cf, v11
	v_fmac_f32_e32 v14, 0x3f317217, v11
	v_cmp_lt_f32_e64 vcc, |v11|, s14
	s_nop 1
	v_cndmask_b32_e32 v11, v11, v14, vcc
	v_sub_f32_e32 v11, v11, v12
	v_cmp_lt_f16_e32 vcc, s12, v1
	v_cndmask_b32_e64 v12, 0, 1, s[6:7]
	v_cmp_ne_u32_e64 s[2:3], 1, v12
	v_cndmask_b32_e32 v1, v11, v13, vcc
	v_mul_f32_e32 v11, 0x4f800000, v1
	v_cmp_gt_f32_e64 s[4:5], s15, v1
	s_andn2_b64 vcc, exec, s[6:7]
	s_nop 0
	v_cndmask_b32_e64 v1, v1, v11, s[4:5]
	v_sqrt_f32_e32 v11, v1
	s_nop 0
	v_add_u32_e32 v12, -1, v11
	v_add_u32_e32 v13, 1, v11
	v_fma_f32 v14, -v12, v11, v1
	v_fma_f32 v15, -v13, v11, v1
	v_cmp_ge_f32_e64 s[6:7], 0, v14
	s_nop 1
	v_cndmask_b32_e64 v11, v11, v12, s[6:7]
	v_cmp_lt_f32_e64 s[6:7], 0, v15
	s_nop 1
	v_cndmask_b32_e64 v11, v11, v13, s[6:7]
	v_mul_f32_e32 v12, 0x37800000, v11
	v_cndmask_b32_e64 v11, v11, v12, s[4:5]
	v_cmp_class_f32_e64 s[4:5], v1, v9
	s_nop 1
	v_cndmask_b32_e64 v1, v11, v1, s[4:5]
	s_cbranch_vccnz .LBB353_8
; %bb.7:
	global_load_dword v9, v7, s[10:11] offset:256
	s_waitcnt vmcnt(0)
	v_add_f32_e32 v1, v1, v9
.LBB353_8:
	s_waitcnt vmcnt(4)
	v_cvt_f32_f16_e32 v9, v2
	s_mov_b32 s12, 0x800000
	s_mov_b32 s7, 0x3f317217
	;; [unrolled: 1-line block ×3, first 2 shown]
	v_mul_f32_e32 v11, 0x3fb8aa3b, v9
	v_exp_f32_e32 v12, v11
	v_mov_b32_e32 v11, 0x4f800000
	s_movk_i32 s6, 0x4d00
	s_mov_b32 s14, 0xf800000
	v_add_f32_e32 v12, 1.0, v12
	v_cmp_gt_f32_e32 vcc, s12, v12
	s_nop 1
	v_cndmask_b32_e32 v13, 1.0, v11, vcc
	v_mul_f32_e32 v12, v12, v13
	v_log_f32_e32 v13, v12
	v_mov_b32_e32 v12, 0x41b17218
	v_cndmask_b32_e32 v14, 0, v12, vcc
	v_mul_f32_e32 v15, 0x3f317217, v13
	v_fma_f32 v15, v13, s7, -v15
	v_fmac_f32_e32 v15, 0x3377d1cf, v13
	v_fmac_f32_e32 v15, 0x3f317217, v13
	v_cmp_lt_f32_e64 vcc, |v13|, s13
	s_nop 1
	v_cndmask_b32_e32 v13, v13, v15, vcc
	v_sub_f32_e32 v13, v13, v14
	v_cmp_lt_f16_e32 vcc, s6, v2
	s_nop 1
	v_cndmask_b32_e32 v2, v13, v9, vcc
	v_mul_f32_e32 v9, 0x4f800000, v2
	v_cmp_gt_f32_e32 vcc, s14, v2
	s_nop 1
	v_cndmask_b32_e32 v2, v2, v9, vcc
	v_sqrt_f32_e32 v9, v2
	s_nop 0
	v_add_u32_e32 v13, -1, v9
	v_fma_f32 v14, -v13, v9, v2
	v_cmp_ge_f32_e64 s[4:5], 0, v14
	v_add_u32_e32 v14, 1, v9
	s_nop 0
	v_cndmask_b32_e64 v13, v9, v13, s[4:5]
	v_fma_f32 v9, -v14, v9, v2
	v_cmp_lt_f32_e64 s[4:5], 0, v9
	s_nop 1
	v_cndmask_b32_e64 v9, v13, v14, s[4:5]
	v_mul_f32_e32 v13, 0x37800000, v9
	v_cndmask_b32_e32 v13, v9, v13, vcc
	v_mov_b32_e32 v9, 0x260
	v_cmp_class_f32_e64 s[4:5], v2, v9
	s_and_b64 vcc, exec, s[2:3]
	s_nop 0
	v_cndmask_b32_e64 v2, v13, v2, s[4:5]
	s_cbranch_vccnz .LBB353_10
; %bb.9:
	global_load_dword v13, v7, s[10:11] offset:512
	s_waitcnt vmcnt(0)
	v_add_f32_e32 v2, v2, v13
.LBB353_10:
	s_waitcnt vmcnt(3)
	v_cvt_f32_f16_e32 v13, v3
	v_mul_f32_e32 v14, 0x3fb8aa3b, v13
	v_exp_f32_e32 v14, v14
	s_nop 0
	v_add_f32_e32 v14, 1.0, v14
	v_cmp_gt_f32_e32 vcc, s12, v14
	s_nop 1
	v_cndmask_b32_e32 v11, 1.0, v11, vcc
	v_mul_f32_e32 v11, v14, v11
	v_log_f32_e32 v11, v11
	v_cndmask_b32_e32 v12, 0, v12, vcc
	v_mul_f32_e32 v14, 0x3f317217, v11
	v_fma_f32 v14, v11, s7, -v14
	v_fmac_f32_e32 v14, 0x3377d1cf, v11
	v_fmac_f32_e32 v14, 0x3f317217, v11
	v_cmp_lt_f32_e64 vcc, |v11|, s13
	s_nop 1
	v_cndmask_b32_e32 v11, v11, v14, vcc
	v_sub_f32_e32 v11, v11, v12
	v_cmp_lt_f16_e32 vcc, s6, v3
	s_nop 1
	v_cndmask_b32_e32 v3, v11, v13, vcc
	v_mul_f32_e32 v11, 0x4f800000, v3
	v_cmp_gt_f32_e64 s[4:5], s14, v3
	s_and_b64 vcc, exec, s[2:3]
	s_nop 0
	v_cndmask_b32_e64 v3, v3, v11, s[4:5]
	v_sqrt_f32_e32 v11, v3
	s_nop 0
	v_add_u32_e32 v12, -1, v11
	v_add_u32_e32 v13, 1, v11
	v_fma_f32 v14, -v12, v11, v3
	v_fma_f32 v15, -v13, v11, v3
	v_cmp_ge_f32_e64 s[6:7], 0, v14
	s_nop 1
	v_cndmask_b32_e64 v11, v11, v12, s[6:7]
	v_cmp_lt_f32_e64 s[6:7], 0, v15
	s_nop 1
	v_cndmask_b32_e64 v11, v11, v13, s[6:7]
	v_mul_f32_e32 v12, 0x37800000, v11
	v_cndmask_b32_e64 v11, v11, v12, s[4:5]
	v_cmp_class_f32_e64 s[4:5], v3, v9
	s_nop 1
	v_cndmask_b32_e64 v3, v11, v3, s[4:5]
	s_cbranch_vccnz .LBB353_12
; %bb.11:
	global_load_dword v9, v7, s[10:11] offset:768
	s_waitcnt vmcnt(0)
	v_add_f32_e32 v3, v3, v9
.LBB353_12:
	s_waitcnt vmcnt(2)
	v_cvt_f32_f16_e32 v9, v4
	s_mov_b32 s7, 0x3f317217
	s_movk_i32 s6, 0x4d00
	v_mul_f32_e32 v11, 0x3fb8aa3b, v9
	v_exp_f32_e32 v12, v11
	v_mov_b32_e32 v11, 0x4f800000
	v_add_f32_e32 v12, 1.0, v12
	v_cmp_gt_f32_e32 vcc, s12, v12
	s_nop 1
	v_cndmask_b32_e32 v13, 1.0, v11, vcc
	v_mul_f32_e32 v12, v12, v13
	v_log_f32_e32 v13, v12
	v_mov_b32_e32 v12, 0x41b17218
	v_cndmask_b32_e32 v14, 0, v12, vcc
	v_mul_f32_e32 v15, 0x3f317217, v13
	v_fma_f32 v15, v13, s7, -v15
	v_fmac_f32_e32 v15, 0x3377d1cf, v13
	v_fmac_f32_e32 v15, 0x3f317217, v13
	v_cmp_lt_f32_e64 vcc, |v13|, s13
	s_nop 1
	v_cndmask_b32_e32 v13, v13, v15, vcc
	v_sub_f32_e32 v13, v13, v14
	v_cmp_lt_f16_e32 vcc, s6, v4
	s_nop 1
	v_cndmask_b32_e32 v4, v13, v9, vcc
	v_mul_f32_e32 v9, 0x4f800000, v4
	v_cmp_gt_f32_e32 vcc, s14, v4
	s_nop 1
	v_cndmask_b32_e32 v4, v4, v9, vcc
	v_sqrt_f32_e32 v9, v4
	s_nop 0
	v_add_u32_e32 v13, -1, v9
	v_fma_f32 v14, -v13, v9, v4
	v_cmp_ge_f32_e64 s[4:5], 0, v14
	v_add_u32_e32 v14, 1, v9
	s_nop 0
	v_cndmask_b32_e64 v13, v9, v13, s[4:5]
	v_fma_f32 v9, -v14, v9, v4
	v_cmp_lt_f32_e64 s[4:5], 0, v9
	s_nop 1
	v_cndmask_b32_e64 v9, v13, v14, s[4:5]
	v_mul_f32_e32 v13, 0x37800000, v9
	v_cndmask_b32_e32 v13, v9, v13, vcc
	v_mov_b32_e32 v9, 0x260
	v_cmp_class_f32_e64 s[4:5], v4, v9
	s_and_b64 vcc, exec, s[2:3]
	s_nop 0
	v_cndmask_b32_e64 v4, v13, v4, s[4:5]
	s_cbranch_vccnz .LBB353_14
; %bb.13:
	global_load_dword v13, v7, s[10:11] offset:1024
	s_waitcnt vmcnt(0)
	v_add_f32_e32 v4, v4, v13
.LBB353_14:
	s_waitcnt vmcnt(1)
	v_cvt_f32_f16_e32 v13, v5
	v_mul_f32_e32 v14, 0x3fb8aa3b, v13
	v_exp_f32_e32 v14, v14
	s_nop 0
	v_add_f32_e32 v14, 1.0, v14
	v_cmp_gt_f32_e32 vcc, s12, v14
	s_nop 1
	v_cndmask_b32_e32 v11, 1.0, v11, vcc
	v_mul_f32_e32 v11, v14, v11
	v_log_f32_e32 v11, v11
	v_cndmask_b32_e32 v12, 0, v12, vcc
	v_mul_f32_e32 v14, 0x3f317217, v11
	v_fma_f32 v14, v11, s7, -v14
	v_fmac_f32_e32 v14, 0x3377d1cf, v11
	v_fmac_f32_e32 v14, 0x3f317217, v11
	v_cmp_lt_f32_e64 vcc, |v11|, s13
	s_nop 1
	v_cndmask_b32_e32 v11, v11, v14, vcc
	v_sub_f32_e32 v11, v11, v12
	v_cmp_lt_f16_e32 vcc, s6, v5
	s_nop 1
	v_cndmask_b32_e32 v5, v11, v13, vcc
	v_mul_f32_e32 v11, 0x4f800000, v5
	v_cmp_gt_f32_e64 s[4:5], s14, v5
	s_and_b64 vcc, exec, s[2:3]
	s_nop 0
	v_cndmask_b32_e64 v5, v5, v11, s[4:5]
	v_sqrt_f32_e32 v11, v5
	s_nop 0
	v_add_u32_e32 v12, -1, v11
	v_add_u32_e32 v13, 1, v11
	v_fma_f32 v14, -v12, v11, v5
	v_fma_f32 v15, -v13, v11, v5
	v_cmp_ge_f32_e64 s[6:7], 0, v14
	s_nop 1
	v_cndmask_b32_e64 v11, v11, v12, s[6:7]
	v_cmp_lt_f32_e64 s[6:7], 0, v15
	s_nop 1
	v_cndmask_b32_e64 v11, v11, v13, s[6:7]
	v_mul_f32_e32 v12, 0x37800000, v11
	v_cndmask_b32_e64 v11, v11, v12, s[4:5]
	v_cmp_class_f32_e64 s[4:5], v5, v9
	s_nop 1
	v_cndmask_b32_e64 v5, v11, v5, s[4:5]
	s_cbranch_vccnz .LBB353_16
; %bb.15:
	global_load_dword v9, v7, s[10:11] offset:1280
	s_waitcnt vmcnt(0)
	v_add_f32_e32 v5, v5, v9
.LBB353_16:
	s_waitcnt vmcnt(0)
	v_cvt_f32_f16_e32 v9, v6
	s_mov_b32 s5, 0x800000
	v_mov_b32_e32 v12, 0x4f800000
	s_mov_b32 s6, 0x3f317217
	v_mul_f32_e32 v11, 0x3fb8aa3b, v9
	v_exp_f32_e32 v11, v11
	s_movk_i32 s4, 0x4d00
	v_add_f32_e32 v11, 1.0, v11
	v_cmp_gt_f32_e32 vcc, s5, v11
	s_mov_b32 s5, 0x7f800000
	s_nop 0
	v_cndmask_b32_e32 v12, 1.0, v12, vcc
	v_mul_f32_e32 v11, v11, v12
	v_log_f32_e32 v11, v11
	v_mov_b32_e32 v12, 0x41b17218
	v_cndmask_b32_e32 v12, 0, v12, vcc
	v_mul_f32_e32 v13, 0x3f317217, v11
	v_fma_f32 v13, v11, s6, -v13
	v_fmamk_f32 v13, v11, 0x3377d1cf, v13
	v_fmac_f32_e32 v13, 0x3f317217, v11
	v_cmp_lt_f32_e64 vcc, |v11|, s5
	s_nop 1
	v_cndmask_b32_e32 v11, v11, v13, vcc
	v_sub_f32_e32 v11, v11, v12
	v_cmp_lt_f16_e32 vcc, s4, v6
	s_mov_b32 s4, 0xf800000
	s_nop 0
	v_cndmask_b32_e32 v6, v11, v9, vcc
	v_mul_f32_e32 v9, 0x4f800000, v6
	v_cmp_gt_f32_e32 vcc, s4, v6
	s_nop 1
	v_cndmask_b32_e32 v6, v6, v9, vcc
	v_sqrt_f32_e32 v9, v6
	s_nop 0
	v_add_u32_e32 v11, -1, v9
	v_fma_f32 v12, -v11, v9, v6
	v_cmp_ge_f32_e64 s[4:5], 0, v12
	v_add_u32_e32 v12, 1, v9
	s_nop 0
	v_cndmask_b32_e64 v11, v9, v11, s[4:5]
	v_fma_f32 v9, -v12, v9, v6
	v_cmp_lt_f32_e64 s[4:5], 0, v9
	s_nop 1
	v_cndmask_b32_e64 v9, v11, v12, s[4:5]
	v_mul_f32_e32 v11, 0x37800000, v9
	v_cndmask_b32_e32 v9, v9, v11, vcc
	v_mov_b32_e32 v11, 0x260
	v_cmp_class_f32_e64 s[4:5], v6, v11
	s_and_b64 vcc, exec, s[2:3]
	s_nop 0
	v_cndmask_b32_e64 v6, v9, v6, s[4:5]
	s_cbranch_vccnz .LBB353_18
; %bb.17:
	global_load_dword v7, v7, s[10:11] offset:1536
	s_waitcnt vmcnt(0)
	v_add_f32_e32 v6, v6, v7
.LBB353_18:
	s_load_dwordx4 s[12:15], s[0:1], 0x30
	v_cmp_eq_u32_e64 s[6:7], 0, v10
	s_waitcnt lgkmcnt(0)
	s_bitcmp1_b32 s15, 0
	s_cselect_b64 s[4:5], -1, 0
	s_cmp_gt_i32 s12, 0
	s_cselect_b64 s[24:25], -1, 0
	s_and_b64 vcc, exec, s[24:25]
	s_cbranch_vccz .LBB353_49
; %bb.19:
	v_mbcnt_lo_u32_b32 v7, -1, 0
	v_mbcnt_hi_u32_b32 v12, -1, v7
	v_and_b32_e32 v7, 64, v12
	v_add_u32_e32 v13, 64, v7
	v_xor_b32_e32 v14, 32, v12
	v_cmp_lt_i32_e32 vcc, v14, v13
	s_load_dwordx4 s[16:19], s[0:1], 0x20
	s_mov_b32 s15, 0
	v_cndmask_b32_e32 v14, v12, v14, vcc
	v_lshlrev_b32_e32 v19, 2, v14
	v_xor_b32_e32 v14, 16, v12
	v_cmp_lt_i32_e32 vcc, v14, v13
	v_mul_lo_u32 v7, v8, s12
	v_or_b32_e32 v9, 64, v10
	v_cndmask_b32_e32 v14, v12, v14, vcc
	v_lshlrev_b32_e32 v20, 2, v14
	v_xor_b32_e32 v14, 8, v12
	v_cmp_lt_i32_e32 vcc, v14, v13
	v_or_b32_e32 v11, 0x80, v10
	v_or_b32_e32 v15, 0xc0, v10
	v_cndmask_b32_e32 v14, v12, v14, vcc
	v_lshlrev_b32_e32 v21, 2, v14
	v_xor_b32_e32 v14, 4, v12
	v_cmp_lt_i32_e32 vcc, v14, v13
	v_or_b32_e32 v16, 0x100, v10
	v_or_b32_e32 v17, 0x140, v10
	v_cndmask_b32_e32 v14, v12, v14, vcc
	v_lshlrev_b32_e32 v22, 2, v14
	v_xor_b32_e32 v14, 2, v12
	v_cmp_lt_i32_e32 vcc, v14, v13
	v_or_b32_e32 v18, 0x180, v10
	v_mov_b32_e32 v25, 0x1c0
	v_cndmask_b32_e32 v14, v12, v14, vcc
	v_lshlrev_b32_e32 v23, 2, v14
	v_xor_b32_e32 v14, 1, v12
	v_cmp_lt_i32_e32 vcc, v14, v13
	v_mov_b32_e32 v26, 0xc61c4000
	v_mov_b32_e32 v27, v8
	v_cndmask_b32_e32 v12, v12, v14, vcc
	v_lshlrev_b32_e32 v24, 2, v12
	v_mov_b32_e32 v14, 0
	s_branch .LBB353_22
.LBB353_20:                             ;   in Loop: Header=BB353_22 Depth=1
	v_add_u32_e32 v30, s15, v7
	v_cmp_le_i32_e32 vcc, s13, v12
	v_cmp_gt_i32_e64 s[0:1], s14, v12
	v_ashrrev_i32_e32 v31, 31, v30
	s_and_b64 s[0:1], vcc, s[0:1]
	v_lshlrev_b64 v[32:33], 2, v[30:31]
	v_subrev_u32_e32 v13, s13, v12
	v_lshl_add_u64 v[34:35], s[20:21], 0, v[32:33]
	s_waitcnt lgkmcnt(0)
	v_ashrrev_i32_e32 v29, 31, v13
	s_and_b64 vcc, s[22:23], s[0:1]
	global_store_dword v[34:35], v28, off
	v_cndmask_b32_e32 v35, 0, v29, vcc
	v_cndmask_b32_e32 v34, v25, v13, vcc
	v_lshl_add_u64 v[30:31], v[30:31], 3, s[16:17]
	v_add_f32_e32 v13, v14, v28
	global_store_dwordx2 v[30:31], v[34:35], off
	v_lshl_add_u64 v[30:31], s[18:19], 0, v[32:33]
	v_cndmask_b32_e64 v14, v14, v13, s[4:5]
	global_store_dword v[30:31], v27, off
.LBB353_21:                             ;   in Loop: Header=BB353_22 Depth=1
	s_or_b64 exec, exec, s[26:27]
	v_ashrrev_i32_e32 v13, 31, v12
	v_lshrrev_b32_e32 v13, 26, v13
	v_add_u32_e32 v13, v12, v13
	v_ashrrev_i32_e32 v28, 6, v13
	v_and_b32_e32 v13, 0xffffffc0, v13
	v_sub_u32_e32 v12, v12, v13
	v_cmp_ne_u32_e64 s[0:1], 0, v28
	v_cmp_eq_u32_e32 vcc, v10, v12
	s_add_i32 s15, s15, 1
	v_cndmask_b32_e64 v12, v26, v0, s[0:1]
	v_cmp_ne_u32_e64 s[0:1], 1, v28
	s_cmp_lt_i32 s15, s12
	s_cselect_b64 s[26:27], -1, 0
	v_cndmask_b32_e64 v13, v26, v1, s[0:1]
	v_cmp_ne_u32_e64 s[0:1], 2, v28
	s_and_b64 vcc, s[26:27], vcc
	v_cndmask_b32_e32 v1, v1, v13, vcc
	s_waitcnt lgkmcnt(0)
	v_cndmask_b32_e64 v29, v26, v2, s[0:1]
	v_cmp_ne_u32_e64 s[0:1], 3, v28
	v_cndmask_b32_e32 v2, v2, v29, vcc
	v_cndmask_b32_e32 v0, v0, v12, vcc
	v_cndmask_b32_e64 v30, v26, v3, s[0:1]
	v_cmp_ne_u32_e64 s[0:1], 4, v28
	v_cndmask_b32_e32 v3, v3, v30, vcc
	s_cmp_eq_u32 s12, s15
	v_cndmask_b32_e64 v31, v26, v4, s[0:1]
	v_cmp_ne_u32_e64 s[0:1], 5, v28
	v_cndmask_b32_e32 v4, v4, v31, vcc
	v_add_u32_e32 v27, s30, v27
	v_cndmask_b32_e64 v32, v26, v5, s[0:1]
	v_cmp_ne_u32_e64 s[0:1], 6, v28
	v_cndmask_b32_e32 v5, v5, v32, vcc
	s_nop 0
	v_cndmask_b32_e64 v28, v26, v6, s[0:1]
	v_cndmask_b32_e32 v6, v6, v28, vcc
	s_cbranch_scc1 .LBB353_50
.LBB353_22:                             ; =>This Inner Loop Header: Depth=1
	v_cmp_gt_f32_e32 vcc, v1, v0
	s_nop 1
	v_cndmask_b32_e32 v13, v0, v1, vcc
	v_cndmask_b32_e32 v12, v10, v9, vcc
	v_cmp_gt_f32_e32 vcc, v2, v13
	s_nop 1
	v_cndmask_b32_e32 v13, v13, v2, vcc
	v_cndmask_b32_e32 v12, v12, v11, vcc
	;; [unrolled: 4-line block ×6, first 2 shown]
	ds_bpermute_b32 v13, v19, v28
	ds_bpermute_b32 v29, v19, v12
	s_waitcnt lgkmcnt(0)
	v_cmp_lt_f32_e64 s[26:27], v28, v13
	v_cmp_nlt_f32_e32 vcc, v28, v13
	s_and_saveexec_b64 s[28:29], vcc
; %bb.23:                               ;   in Loop: Header=BB353_22 Depth=1
	v_cmp_eq_f32_e32 vcc, v28, v13
	v_cmp_lt_i32_e64 s[0:1], v29, v12
	s_and_b64 s[0:1], vcc, s[0:1]
	s_andn2_b64 s[26:27], s[26:27], exec
	s_and_b64 s[0:1], s[0:1], exec
	s_or_b64 s[26:27], s[26:27], s[0:1]
; %bb.24:                               ;   in Loop: Header=BB353_22 Depth=1
	s_or_b64 exec, exec, s[28:29]
	s_and_saveexec_b64 s[0:1], s[26:27]
; %bb.25:                               ;   in Loop: Header=BB353_22 Depth=1
	v_mov_b32_e32 v28, v13
	v_mov_b32_e32 v12, v29
; %bb.26:                               ;   in Loop: Header=BB353_22 Depth=1
	s_or_b64 exec, exec, s[0:1]
	ds_bpermute_b32 v13, v20, v28
	ds_bpermute_b32 v29, v20, v12
	s_waitcnt lgkmcnt(1)
	v_cmp_lt_f32_e64 s[26:27], v28, v13
	v_cmp_nlt_f32_e32 vcc, v28, v13
	s_and_saveexec_b64 s[28:29], vcc
	s_cbranch_execz .LBB353_28
; %bb.27:                               ;   in Loop: Header=BB353_22 Depth=1
	v_cmp_eq_f32_e32 vcc, v28, v13
	s_waitcnt lgkmcnt(0)
	v_cmp_lt_i32_e64 s[0:1], v29, v12
	s_and_b64 s[0:1], vcc, s[0:1]
	s_andn2_b64 s[26:27], s[26:27], exec
	s_and_b64 s[0:1], s[0:1], exec
	s_or_b64 s[26:27], s[26:27], s[0:1]
.LBB353_28:                             ;   in Loop: Header=BB353_22 Depth=1
	s_or_b64 exec, exec, s[28:29]
	s_and_saveexec_b64 s[0:1], s[26:27]
	s_cbranch_execz .LBB353_30
; %bb.29:                               ;   in Loop: Header=BB353_22 Depth=1
	v_mov_b32_e32 v28, v13
	s_waitcnt lgkmcnt(0)
	v_mov_b32_e32 v12, v29
.LBB353_30:                             ;   in Loop: Header=BB353_22 Depth=1
	s_or_b64 exec, exec, s[0:1]
	ds_bpermute_b32 v13, v21, v28
	s_waitcnt lgkmcnt(1)
	ds_bpermute_b32 v29, v21, v12
	s_waitcnt lgkmcnt(1)
	v_cmp_lt_f32_e64 s[26:27], v28, v13
	v_cmp_nlt_f32_e32 vcc, v28, v13
	s_and_saveexec_b64 s[28:29], vcc
	s_cbranch_execz .LBB353_32
; %bb.31:                               ;   in Loop: Header=BB353_22 Depth=1
	v_cmp_eq_f32_e32 vcc, v28, v13
	s_waitcnt lgkmcnt(0)
	v_cmp_lt_i32_e64 s[0:1], v29, v12
	s_and_b64 s[0:1], vcc, s[0:1]
	s_andn2_b64 s[26:27], s[26:27], exec
	s_and_b64 s[0:1], s[0:1], exec
	s_or_b64 s[26:27], s[26:27], s[0:1]
.LBB353_32:                             ;   in Loop: Header=BB353_22 Depth=1
	s_or_b64 exec, exec, s[28:29]
	s_and_saveexec_b64 s[0:1], s[26:27]
	s_cbranch_execz .LBB353_34
; %bb.33:                               ;   in Loop: Header=BB353_22 Depth=1
	v_mov_b32_e32 v28, v13
	s_waitcnt lgkmcnt(0)
	v_mov_b32_e32 v12, v29
.LBB353_34:                             ;   in Loop: Header=BB353_22 Depth=1
	s_or_b64 exec, exec, s[0:1]
	ds_bpermute_b32 v13, v22, v28
	s_waitcnt lgkmcnt(1)
	ds_bpermute_b32 v29, v22, v12
	s_waitcnt lgkmcnt(1)
	v_cmp_lt_f32_e64 s[26:27], v28, v13
	v_cmp_nlt_f32_e32 vcc, v28, v13
	s_and_saveexec_b64 s[28:29], vcc
	s_cbranch_execz .LBB353_36
; %bb.35:                               ;   in Loop: Header=BB353_22 Depth=1
	v_cmp_eq_f32_e32 vcc, v28, v13
	s_waitcnt lgkmcnt(0)
	v_cmp_lt_i32_e64 s[0:1], v29, v12
	s_and_b64 s[0:1], vcc, s[0:1]
	s_andn2_b64 s[26:27], s[26:27], exec
	s_and_b64 s[0:1], s[0:1], exec
	s_or_b64 s[26:27], s[26:27], s[0:1]
.LBB353_36:                             ;   in Loop: Header=BB353_22 Depth=1
	s_or_b64 exec, exec, s[28:29]
	s_and_saveexec_b64 s[0:1], s[26:27]
	s_cbranch_execz .LBB353_38
; %bb.37:                               ;   in Loop: Header=BB353_22 Depth=1
	v_mov_b32_e32 v28, v13
	s_waitcnt lgkmcnt(0)
	v_mov_b32_e32 v12, v29
.LBB353_38:                             ;   in Loop: Header=BB353_22 Depth=1
	s_or_b64 exec, exec, s[0:1]
	ds_bpermute_b32 v13, v23, v28
	s_waitcnt lgkmcnt(1)
	ds_bpermute_b32 v29, v23, v12
	s_waitcnt lgkmcnt(1)
	v_cmp_lt_f32_e64 s[26:27], v28, v13
	v_cmp_nlt_f32_e32 vcc, v28, v13
	s_and_saveexec_b64 s[28:29], vcc
	s_cbranch_execz .LBB353_40
; %bb.39:                               ;   in Loop: Header=BB353_22 Depth=1
	v_cmp_eq_f32_e32 vcc, v28, v13
	s_waitcnt lgkmcnt(0)
	v_cmp_lt_i32_e64 s[0:1], v29, v12
	s_and_b64 s[0:1], vcc, s[0:1]
	s_andn2_b64 s[26:27], s[26:27], exec
	s_and_b64 s[0:1], s[0:1], exec
	s_or_b64 s[26:27], s[26:27], s[0:1]
.LBB353_40:                             ;   in Loop: Header=BB353_22 Depth=1
	s_or_b64 exec, exec, s[28:29]
	s_and_saveexec_b64 s[0:1], s[26:27]
	s_cbranch_execz .LBB353_42
; %bb.41:                               ;   in Loop: Header=BB353_22 Depth=1
	v_mov_b32_e32 v28, v13
	s_waitcnt lgkmcnt(0)
	v_mov_b32_e32 v12, v29
.LBB353_42:                             ;   in Loop: Header=BB353_22 Depth=1
	s_or_b64 exec, exec, s[0:1]
	ds_bpermute_b32 v13, v24, v28
	s_waitcnt lgkmcnt(1)
	ds_bpermute_b32 v29, v24, v12
	s_waitcnt lgkmcnt(1)
	v_cmp_lt_f32_e64 s[26:27], v28, v13
	v_cmp_nlt_f32_e32 vcc, v28, v13
	s_and_saveexec_b64 s[28:29], vcc
	s_cbranch_execnz .LBB353_45
; %bb.43:                               ;   in Loop: Header=BB353_22 Depth=1
	s_or_b64 exec, exec, s[28:29]
	s_and_saveexec_b64 s[0:1], s[26:27]
	s_cbranch_execnz .LBB353_46
.LBB353_44:                             ;   in Loop: Header=BB353_22 Depth=1
	s_or_b64 exec, exec, s[0:1]
	s_and_saveexec_b64 s[26:27], s[6:7]
	s_cbranch_execz .LBB353_21
	s_branch .LBB353_47
.LBB353_45:                             ;   in Loop: Header=BB353_22 Depth=1
	v_cmp_eq_f32_e32 vcc, v28, v13
	s_waitcnt lgkmcnt(0)
	v_cmp_lt_i32_e64 s[0:1], v29, v12
	s_and_b64 s[0:1], vcc, s[0:1]
	s_andn2_b64 s[26:27], s[26:27], exec
	s_and_b64 s[0:1], s[0:1], exec
	s_or_b64 s[26:27], s[26:27], s[0:1]
	s_or_b64 exec, exec, s[28:29]
	s_and_saveexec_b64 s[0:1], s[26:27]
	s_cbranch_execz .LBB353_44
.LBB353_46:                             ;   in Loop: Header=BB353_22 Depth=1
	s_waitcnt lgkmcnt(0)
	v_mov_b32_e32 v12, v29
	v_mov_b32_e32 v28, v13
	s_or_b64 exec, exec, s[0:1]
	s_and_saveexec_b64 s[26:27], s[6:7]
	s_cbranch_execz .LBB353_21
.LBB353_47:                             ;   in Loop: Header=BB353_22 Depth=1
	s_and_b64 vcc, exec, s[2:3]
	s_cbranch_vccnz .LBB353_20
; %bb.48:                               ;   in Loop: Header=BB353_22 Depth=1
	v_ashrrev_i32_e32 v13, 31, v12
	v_lshl_add_u64 v[30:31], v[12:13], 2, s[10:11]
	global_load_dword v13, v[30:31], off
	s_waitcnt vmcnt(0)
	v_sub_f32_e32 v28, v28, v13
	s_branch .LBB353_20
.LBB353_49:
	v_mov_b32_e32 v14, 0
.LBB353_50:
	v_cmp_eq_u32_e32 vcc, 0, v10
	s_and_b64 exec, exec, vcc
	s_cbranch_execz .LBB353_63
; %bb.51:
	s_andn2_b64 vcc, exec, s[4:5]
	v_cvt_f32_f64_e32 v0, s[8:9]
	s_cbranch_vccnz .LBB353_53
; %bb.52:
	v_cmp_lt_f32_e32 vcc, 0, v14
	s_nop 1
	v_cndmask_b32_e32 v1, 1.0, v14, vcc
	v_div_scale_f32 v2, s[0:1], v1, v1, v0
	v_rcp_f32_e32 v3, v2
	s_nop 0
	v_fma_f32 v4, -v2, v3, 1.0
	v_fmac_f32_e32 v3, v4, v3
	v_div_scale_f32 v4, vcc, v0, v1, v0
	v_mul_f32_e32 v5, v4, v3
	v_fma_f32 v6, -v2, v5, v4
	v_fmac_f32_e32 v5, v6, v3
	v_fma_f32 v2, -v2, v5, v4
	v_div_fmas_f32 v2, v2, v3, v5
	v_div_fixup_f32 v0, v2, v1, v0
.LBB353_53:
	s_andn2_b64 vcc, exec, s[24:25]
	s_cbranch_vccnz .LBB353_63
; %bb.54:
	v_mul_lo_u32 v2, v8, s12
	s_cmp_gt_u32 s12, 3
	v_ashrrev_i32_e32 v3, 31, v2
	s_cbranch_scc0 .LBB353_58
; %bb.55:
	s_and_b32 s0, s12, 0x7ffffffc
	v_lshl_add_u64 v[4:5], v[2:3], 2, s[20:21]
	v_mov_b32_e32 v1, v0
	v_lshl_add_u64 v[4:5], v[4:5], 0, 8
	s_mov_b32 s1, s0
.LBB353_56:                             ; =>This Inner Loop Header: Depth=1
	global_load_dwordx4 v[6:9], v[4:5], off offset:-8
	s_add_i32 s1, s1, -4
	s_cmp_lg_u32 s1, 0
	s_waitcnt vmcnt(0)
	v_pk_mul_f32 v[6:7], v[0:1], v[6:7]
	v_pk_mul_f32 v[8:9], v[0:1], v[8:9]
	global_store_dwordx4 v[4:5], v[6:9], off offset:-8
	v_lshl_add_u64 v[4:5], v[4:5], 0, 16
	s_cbranch_scc1 .LBB353_56
; %bb.57:
	s_cmp_lg_u32 s0, s12
	s_cselect_b64 s[2:3], -1, 0
	s_branch .LBB353_60
.LBB353_58:
	s_mov_b64 s[2:3], 0
                                        ; implicit-def: $sgpr0
	s_cbranch_execz .LBB353_60
; %bb.59:
	s_mov_b64 s[2:3], -1
	s_mov_b32 s0, 0
.LBB353_60:
	s_andn2_b64 vcc, exec, s[2:3]
	s_cbranch_vccnz .LBB353_63
; %bb.61:
	s_mov_b32 s1, 0
	v_lshl_add_u64 v[2:3], v[2:3], 0, s[0:1]
	s_sub_i32 s2, s12, s0
	v_lshl_add_u64 v[2:3], v[2:3], 2, s[20:21]
.LBB353_62:                             ; =>This Inner Loop Header: Depth=1
	global_load_dword v1, v[2:3], off
	s_add_i32 s2, s2, -1
	s_cmp_lg_u32 s2, 0
	s_waitcnt vmcnt(0)
	v_mul_f32_e32 v1, v0, v1
	global_store_dword v[2:3], v1, off
	v_lshl_add_u64 v[2:3], v[2:3], 0, 4
	s_cbranch_scc1 .LBB353_62
.LBB353_63:
	s_endpgm
	.section	.rodata,"a",@progbits
	.p2align	6, 0x0
	.amdhsa_kernel _ZN4vllm3moe22topkGatingSoftplusSqrtILi7ELi448ELi4ELi2ELi64ELb0El6__halfEEvPKT6_PKbPfiPT5_PiiiibdPKfPKS9_SF_
		.amdhsa_group_segment_fixed_size 0
		.amdhsa_private_segment_fixed_size 0
		.amdhsa_kernarg_size 96
		.amdhsa_user_sgpr_count 2
		.amdhsa_user_sgpr_dispatch_ptr 0
		.amdhsa_user_sgpr_queue_ptr 0
		.amdhsa_user_sgpr_kernarg_segment_ptr 1
		.amdhsa_user_sgpr_dispatch_id 0
		.amdhsa_user_sgpr_kernarg_preload_length 0
		.amdhsa_user_sgpr_kernarg_preload_offset 0
		.amdhsa_user_sgpr_private_segment_size 0
		.amdhsa_uses_dynamic_stack 0
		.amdhsa_enable_private_segment 0
		.amdhsa_system_sgpr_workgroup_id_x 1
		.amdhsa_system_sgpr_workgroup_id_y 0
		.amdhsa_system_sgpr_workgroup_id_z 0
		.amdhsa_system_sgpr_workgroup_info 0
		.amdhsa_system_vgpr_workitem_id 1
		.amdhsa_next_free_vgpr 36
		.amdhsa_next_free_sgpr 31
		.amdhsa_accum_offset 36
		.amdhsa_reserve_vcc 1
		.amdhsa_float_round_mode_32 0
		.amdhsa_float_round_mode_16_64 0
		.amdhsa_float_denorm_mode_32 3
		.amdhsa_float_denorm_mode_16_64 3
		.amdhsa_dx10_clamp 1
		.amdhsa_ieee_mode 1
		.amdhsa_fp16_overflow 0
		.amdhsa_tg_split 0
		.amdhsa_exception_fp_ieee_invalid_op 0
		.amdhsa_exception_fp_denorm_src 0
		.amdhsa_exception_fp_ieee_div_zero 0
		.amdhsa_exception_fp_ieee_overflow 0
		.amdhsa_exception_fp_ieee_underflow 0
		.amdhsa_exception_fp_ieee_inexact 0
		.amdhsa_exception_int_div_zero 0
	.end_amdhsa_kernel
	.section	.text._ZN4vllm3moe22topkGatingSoftplusSqrtILi7ELi448ELi4ELi2ELi64ELb0El6__halfEEvPKT6_PKbPfiPT5_PiiiibdPKfPKS9_SF_,"axG",@progbits,_ZN4vllm3moe22topkGatingSoftplusSqrtILi7ELi448ELi4ELi2ELi64ELb0El6__halfEEvPKT6_PKbPfiPT5_PiiiibdPKfPKS9_SF_,comdat
.Lfunc_end353:
	.size	_ZN4vllm3moe22topkGatingSoftplusSqrtILi7ELi448ELi4ELi2ELi64ELb0El6__halfEEvPKT6_PKbPfiPT5_PiiiibdPKfPKS9_SF_, .Lfunc_end353-_ZN4vllm3moe22topkGatingSoftplusSqrtILi7ELi448ELi4ELi2ELi64ELb0El6__halfEEvPKT6_PKbPfiPT5_PiiiibdPKfPKS9_SF_
                                        ; -- End function
	.section	.AMDGPU.csdata,"",@progbits
; Kernel info:
; codeLenInByte = 4056
; NumSgprs: 37
; NumVgprs: 36
; NumAgprs: 0
; TotalNumVgprs: 36
; ScratchSize: 0
; MemoryBound: 0
; FloatMode: 240
; IeeeMode: 1
; LDSByteSize: 0 bytes/workgroup (compile time only)
; SGPRBlocks: 4
; VGPRBlocks: 4
; NumSGPRsForWavesPerEU: 37
; NumVGPRsForWavesPerEU: 36
; AccumOffset: 36
; Occupancy: 8
; WaveLimiterHint : 1
; COMPUTE_PGM_RSRC2:SCRATCH_EN: 0
; COMPUTE_PGM_RSRC2:USER_SGPR: 2
; COMPUTE_PGM_RSRC2:TRAP_HANDLER: 0
; COMPUTE_PGM_RSRC2:TGID_X_EN: 1
; COMPUTE_PGM_RSRC2:TGID_Y_EN: 0
; COMPUTE_PGM_RSRC2:TGID_Z_EN: 0
; COMPUTE_PGM_RSRC2:TIDIG_COMP_CNT: 1
; COMPUTE_PGM_RSRC3_GFX90A:ACCUM_OFFSET: 8
; COMPUTE_PGM_RSRC3_GFX90A:TG_SPLIT: 0
	.section	.text._ZN4vllm3moe22topkGatingSoftplusSqrtILi14ELi448ELi4ELi2ELi32ELb1El6__halfEEvPKT6_PKbPfiPT5_PiiiibdPKfPKS9_SF_,"axG",@progbits,_ZN4vllm3moe22topkGatingSoftplusSqrtILi14ELi448ELi4ELi2ELi32ELb1El6__halfEEvPKT6_PKbPfiPT5_PiiiibdPKfPKS9_SF_,comdat
	.protected	_ZN4vllm3moe22topkGatingSoftplusSqrtILi14ELi448ELi4ELi2ELi32ELb1El6__halfEEvPKT6_PKbPfiPT5_PiiiibdPKfPKS9_SF_ ; -- Begin function _ZN4vllm3moe22topkGatingSoftplusSqrtILi14ELi448ELi4ELi2ELi32ELb1El6__halfEEvPKT6_PKbPfiPT5_PiiiibdPKfPKS9_SF_
	.globl	_ZN4vllm3moe22topkGatingSoftplusSqrtILi14ELi448ELi4ELi2ELi32ELb1El6__halfEEvPKT6_PKbPfiPT5_PiiiibdPKfPKS9_SF_
	.p2align	8
	.type	_ZN4vllm3moe22topkGatingSoftplusSqrtILi14ELi448ELi4ELi2ELi32ELb1El6__halfEEvPKT6_PKbPfiPT5_PiiiibdPKfPKS9_SF_,@function
_ZN4vllm3moe22topkGatingSoftplusSqrtILi14ELi448ELi4ELi2ELi32ELb1El6__halfEEvPKT6_PKbPfiPT5_PiiiibdPKfPKS9_SF_: ; @_ZN4vllm3moe22topkGatingSoftplusSqrtILi14ELi448ELi4ELi2ELi32ELb1El6__halfEEvPKT6_PKbPfiPT5_PiiiibdPKfPKS9_SF_
; %bb.0:
	s_load_dword s3, s[0:1], 0x18
	v_and_b32_e32 v1, 0x3ff, v0
	s_lshl_b32 s2, s2, 2
	v_lshrrev_b32_e32 v2, 5, v1
	v_bfe_u32 v0, v0, 10, 10
	v_add3_u32 v18, s2, v0, v2
	s_waitcnt lgkmcnt(0)
	v_cmp_gt_i32_e32 vcc, s3, v18
	s_and_saveexec_b64 s[2:3], vcc
	s_cbranch_execz .LBB354_63
; %bb.1:
	s_load_dwordx4 s[4:7], s[0:1], 0x50
	s_load_dwordx2 s[2:3], s[0:1], 0x0
	s_load_dword s24, s[0:1], 0x30
	s_movk_i32 s8, 0x1c0
	v_mul_lo_u32 v4, v18, s8
	v_ashrrev_i32_e32 v5, 31, v4
	v_and_b32_e32 v26, 31, v1
	s_waitcnt lgkmcnt(0)
	v_lshl_add_u64 v[4:5], v[4:5], 1, s[2:3]
	v_lshlrev_b32_e32 v14, 1, v26
	v_mov_b32_e32 v15, 0
	v_mov_b32_e32 v2, s4
	;; [unrolled: 1-line block ×3, first 2 shown]
	v_lshl_add_u64 v[0:1], v[4:5], 0, v[14:15]
	v_ashrrev_i32_e32 v19, 31, v18
	global_load_ushort v4, v[0:1], off
	global_load_ushort v5, v[0:1], off offset:64
	global_load_ushort v6, v[0:1], off offset:128
	;; [unrolled: 1-line block ×13, first 2 shown]
	v_lshl_add_u64 v[0:1], v[18:19], 3, v[2:3]
	global_load_dwordx2 v[0:1], v[0:1], off
	s_ashr_i32 s25, s24, 31
	s_mov_b32 s13, 0x800000
	v_mov_b32_e32 v14, 0x4f800000
	s_mov_b32 s12, 0x3f317217
	s_mov_b32 s14, 0x7f800000
	v_mov_b32_e32 v19, 0x41b17218
	s_movk_i32 s9, 0x4d00
	s_mov_b32 s15, 0xf800000
	v_mov_b32_e32 v13, 0x260
	v_mov_b32_e32 v16, s6
	v_mov_b32_e32 v17, s7
	v_cmp_lt_i64_e64 s[10:11], s[24:25], 1
	s_mov_b32 s8, 0
	v_cmp_gt_i64_e64 s[6:7], s[24:25], 0
	s_waitcnt vmcnt(14)
	v_cvt_f32_f16_e32 v2, v4
	s_waitcnt vmcnt(13)
	v_cvt_f32_f16_e32 v3, v5
	;; [unrolled: 2-line block ×5, first 2 shown]
	v_mul_f32_e32 v41, 0x3fb8aa3b, v3
	v_exp_f32_e32 v41, v41
	s_waitcnt vmcnt(9)
	v_cvt_f32_f16_e32 v34, v27
	s_waitcnt vmcnt(8)
	v_cvt_f32_f16_e32 v35, v28
	;; [unrolled: 2-line block ×8, first 2 shown]
	s_waitcnt vmcnt(0)
	v_mul_lo_u32 v40, v0, s25
	v_mad_u64_u32 v[20:21], s[2:3], v0, s24, 0
	v_mul_f32_e32 v0, 0x3fb8aa3b, v2
	v_exp_f32_e32 v0, v0
	v_mul_lo_u32 v1, v1, s24
	v_add3_u32 v21, v21, v40, v1
	v_add_f32_e32 v40, 1.0, v41
	v_add_f32_e32 v0, 1.0, v0
	v_cmp_gt_f32_e32 vcc, s13, v0
	v_cmp_gt_f32_e64 s[2:3], s13, v40
	v_mul_f32_e32 v1, 0x3fb8aa3b, v31
	v_cndmask_b32_e32 v41, 1.0, v14, vcc
	v_cndmask_b32_e64 v42, 1.0, v14, s[2:3]
	v_mul_f32_e32 v0, v0, v41
	v_mul_f32_e32 v40, v40, v42
	v_log_f32_e32 v0, v0
	v_log_f32_e32 v40, v40
	v_cndmask_b32_e32 v41, 0, v19, vcc
	v_cndmask_b32_e64 v42, 0, v19, s[2:3]
	v_mul_f32_e32 v43, 0x3f317217, v0
	v_mul_f32_e32 v44, 0x3f317217, v40
	v_fma_f32 v43, v0, s12, -v43
	v_fma_f32 v44, v40, s12, -v44
	v_fmac_f32_e32 v43, 0x3377d1cf, v0
	v_fmac_f32_e32 v44, 0x3377d1cf, v40
	;; [unrolled: 1-line block ×3, first 2 shown]
	v_cmp_lt_f32_e64 vcc, |v0|, s14
	v_fmac_f32_e32 v44, 0x3f317217, v40
	v_exp_f32_e32 v1, v1
	v_cndmask_b32_e32 v0, v0, v43, vcc
	v_cmp_lt_f32_e64 vcc, |v40|, s14
	v_sub_f32_e32 v0, v0, v41
	v_add_f32_e32 v1, 1.0, v1
	v_cndmask_b32_e32 v40, v40, v44, vcc
	v_cmp_lt_f16_e32 vcc, s9, v4
	v_sub_f32_e32 v40, v40, v42
	v_cvt_f32_f16_e32 v22, v12
	v_cndmask_b32_e32 v0, v0, v2, vcc
	v_cmp_lt_f16_e32 vcc, s9, v5
	v_lshl_add_u64 v[16:17], v[20:21], 3, v[16:17]
	s_nop 0
	v_cndmask_b32_e32 v2, v40, v3, vcc
	v_mul_f32_e32 v3, 0x4f800000, v0
	v_cmp_gt_f32_e32 vcc, s15, v0
	v_mul_f32_e32 v4, 0x4f800000, v2
	v_cmp_gt_f32_e64 s[2:3], s15, v2
	v_cndmask_b32_e32 v0, v0, v3, vcc
	v_sqrt_f32_e32 v3, v0
	v_cndmask_b32_e64 v2, v2, v4, s[2:3]
	v_sqrt_f32_e32 v4, v2
	v_add_u32_e32 v5, -1, v3
	v_fma_f32 v42, -v5, v3, v0
	v_add_u32_e32 v41, -1, v4
	v_add_u32_e32 v40, 1, v3
	v_fma_f32 v44, -v41, v4, v2
	v_cmp_ge_f32_e64 s[4:5], 0, v42
	v_fma_f32 v43, -v40, v3, v0
	s_nop 0
	v_cndmask_b32_e64 v3, v3, v5, s[4:5]
	v_cmp_ge_f32_e64 s[4:5], 0, v44
	s_nop 1
	v_cndmask_b32_e64 v5, v4, v41, s[4:5]
	v_cmp_lt_f32_e64 s[4:5], 0, v43
	s_nop 1
	v_cndmask_b32_e64 v3, v3, v40, s[4:5]
	v_mul_f32_e32 v40, 0x37800000, v3
	v_cndmask_b32_e32 v3, v3, v40, vcc
	v_cmp_class_f32_e32 vcc, v0, v13
	s_nop 1
	v_cndmask_b32_e32 v0, v3, v0, vcc
	v_cmp_gt_f32_e32 vcc, s13, v1
	v_add_u32_e32 v3, 1, v4
	v_fma_f32 v4, -v3, v4, v2
	v_cndmask_b32_e32 v40, 1.0, v14, vcc
	v_mul_f32_e32 v1, v1, v40
	v_log_f32_e32 v1, v1
	v_cmp_lt_f32_e64 s[4:5], 0, v4
	s_nop 1
	v_cndmask_b32_e64 v3, v5, v3, s[4:5]
	v_mul_f32_e32 v5, 0x3f317217, v1
	v_fma_f32 v5, v1, s12, -v5
	v_fmac_f32_e32 v5, 0x3377d1cf, v1
	v_fmac_f32_e32 v5, 0x3f317217, v1
	v_cmp_lt_f32_e64 s[4:5], |v1|, s14
	v_mul_f32_e32 v4, 0x37800000, v3
	s_nop 0
	v_cndmask_b32_e64 v1, v1, v5, s[4:5]
	v_cndmask_b32_e32 v5, 0, v19, vcc
	v_sub_f32_e32 v1, v1, v5
	v_cmp_lt_f16_e32 vcc, s9, v6
	s_nop 1
	v_cndmask_b32_e32 v1, v1, v31, vcc
	v_mul_f32_e32 v5, 0x4f800000, v1
	v_cmp_gt_f32_e32 vcc, s15, v1
	s_nop 1
	v_cndmask_b32_e32 v5, v1, v5, vcc
	v_sqrt_f32_e32 v6, v5
	v_cndmask_b32_e64 v1, v3, v4, s[2:3]
	v_mul_f32_e32 v4, 0x3fb8aa3b, v32
	v_exp_f32_e32 v4, v4
	v_cmp_class_f32_e64 s[2:3], v2, v13
	v_add_f32_e32 v4, 1.0, v4
	s_nop 0
	v_cndmask_b32_e64 v1, v1, v2, s[2:3]
	v_add_u32_e32 v2, -1, v6
	v_fma_f32 v3, -v2, v6, v5
	v_cmp_ge_f32_e64 s[2:3], 0, v3
	v_add_u32_e32 v3, 1, v6
	s_nop 0
	v_cndmask_b32_e64 v2, v6, v2, s[2:3]
	v_cmp_gt_f32_e64 s[2:3], s13, v4
	v_fma_f32 v6, -v3, v6, v5
	v_cmp_lt_f32_e64 s[4:5], 0, v6
	v_cndmask_b32_e64 v31, 1.0, v14, s[2:3]
	v_mul_f32_e32 v4, v4, v31
	v_log_f32_e32 v4, v4
	v_cndmask_b32_e64 v2, v2, v3, s[4:5]
	v_mul_f32_e32 v3, 0x37800000, v2
	v_cndmask_b32_e32 v2, v2, v3, vcc
	v_mul_f32_e32 v6, 0x3f317217, v4
	v_fma_f32 v6, v4, s12, -v6
	v_fmac_f32_e32 v6, 0x3377d1cf, v4
	v_fmac_f32_e32 v6, 0x3f317217, v4
	v_cmp_lt_f32_e64 s[4:5], |v4|, s14
	v_cmp_class_f32_e32 vcc, v5, v13
	s_nop 0
	v_cndmask_b32_e64 v4, v4, v6, s[4:5]
	v_cndmask_b32_e64 v6, 0, v19, s[2:3]
	v_sub_f32_e32 v4, v4, v6
	v_cmp_lt_f16_e64 s[2:3], s9, v7
	v_mul_f32_e32 v7, 0x3fb8aa3b, v33
	v_exp_f32_e32 v7, v7
	v_cndmask_b32_e64 v4, v4, v32, s[2:3]
	v_mul_f32_e32 v6, 0x4f800000, v4
	v_cmp_gt_f32_e64 s[2:3], s15, v4
	v_cndmask_b32_e32 v2, v2, v5, vcc
	v_add_f32_e32 v7, 1.0, v7
	v_cndmask_b32_e64 v4, v4, v6, s[2:3]
	v_sqrt_f32_e32 v6, v4
	s_nop 0
	v_add_u32_e32 v3, -1, v6
	v_fma_f32 v5, -v3, v6, v4
	v_cmp_ge_f32_e32 vcc, 0, v5
	v_add_u32_e32 v5, 1, v6
	s_nop 0
	v_cndmask_b32_e32 v3, v6, v3, vcc
	v_cmp_gt_f32_e32 vcc, s13, v7
	v_fma_f32 v6, -v5, v6, v4
	v_cmp_lt_f32_e64 s[4:5], 0, v6
	v_cndmask_b32_e32 v31, 1.0, v14, vcc
	v_mul_f32_e32 v7, v7, v31
	v_log_f32_e32 v7, v7
	v_cndmask_b32_e64 v3, v3, v5, s[4:5]
	v_mul_f32_e32 v5, 0x37800000, v3
	v_cndmask_b32_e64 v3, v3, v5, s[2:3]
	v_mul_f32_e32 v6, 0x3f317217, v7
	v_fma_f32 v6, v7, s12, -v6
	v_fmac_f32_e32 v6, 0x3377d1cf, v7
	v_fmac_f32_e32 v6, 0x3f317217, v7
	v_cmp_lt_f32_e64 s[4:5], |v7|, s14
	v_cmp_class_f32_e64 s[2:3], v4, v13
	s_nop 0
	v_cndmask_b32_e64 v6, v7, v6, s[4:5]
	v_cndmask_b32_e32 v7, 0, v19, vcc
	v_sub_f32_e32 v6, v6, v7
	v_cmp_lt_f16_e32 vcc, s9, v25
	v_mul_f32_e32 v25, 0x3fb8aa3b, v34
	v_exp_f32_e32 v25, v25
	v_cndmask_b32_e32 v6, v6, v33, vcc
	v_mul_f32_e32 v7, 0x4f800000, v6
	v_cmp_gt_f32_e32 vcc, s15, v6
	v_cndmask_b32_e64 v3, v3, v4, s[2:3]
	v_add_f32_e32 v25, 1.0, v25
	v_cndmask_b32_e32 v6, v6, v7, vcc
	v_sqrt_f32_e32 v7, v6
	s_nop 0
	v_add_u32_e32 v4, -1, v7
	v_fma_f32 v5, -v4, v7, v6
	v_cmp_ge_f32_e64 s[2:3], 0, v5
	v_add_u32_e32 v5, 1, v7
	s_nop 0
	v_cndmask_b32_e64 v4, v7, v4, s[2:3]
	v_cmp_gt_f32_e64 s[2:3], s13, v25
	v_fma_f32 v7, -v5, v7, v6
	v_cmp_lt_f32_e64 s[4:5], 0, v7
	v_cndmask_b32_e64 v31, 1.0, v14, s[2:3]
	v_mul_f32_e32 v25, v25, v31
	v_log_f32_e32 v25, v25
	v_cndmask_b32_e64 v4, v4, v5, s[4:5]
	v_mul_f32_e32 v5, 0x37800000, v4
	v_cndmask_b32_e32 v4, v4, v5, vcc
	v_mul_f32_e32 v7, 0x3f317217, v25
	v_fma_f32 v7, v25, s12, -v7
	v_fmac_f32_e32 v7, 0x3377d1cf, v25
	v_fmac_f32_e32 v7, 0x3f317217, v25
	v_cmp_lt_f32_e64 s[4:5], |v25|, s14
	v_cmp_class_f32_e32 vcc, v6, v13
	s_nop 0
	v_cndmask_b32_e64 v7, v25, v7, s[4:5]
	v_cndmask_b32_e64 v25, 0, v19, s[2:3]
	v_sub_f32_e32 v7, v7, v25
	v_cmp_lt_f16_e64 s[2:3], s9, v27
	v_mul_f32_e32 v27, 0x3fb8aa3b, v35
	v_exp_f32_e32 v27, v27
	v_cndmask_b32_e64 v7, v7, v34, s[2:3]
	v_mul_f32_e32 v25, 0x4f800000, v7
	v_cmp_gt_f32_e64 s[2:3], s15, v7
	v_cndmask_b32_e32 v4, v4, v6, vcc
	v_add_f32_e32 v27, 1.0, v27
	v_cndmask_b32_e64 v7, v7, v25, s[2:3]
	v_sqrt_f32_e32 v25, v7
	s_nop 0
	v_add_u32_e32 v5, -1, v25
	v_fma_f32 v6, -v5, v25, v7
	v_cmp_ge_f32_e32 vcc, 0, v6
	v_add_u32_e32 v6, 1, v25
	s_nop 0
	v_cndmask_b32_e32 v5, v25, v5, vcc
	v_cmp_gt_f32_e32 vcc, s13, v27
	v_fma_f32 v25, -v6, v25, v7
	v_cmp_lt_f32_e64 s[4:5], 0, v25
	v_cndmask_b32_e32 v31, 1.0, v14, vcc
	v_mul_f32_e32 v27, v27, v31
	v_log_f32_e32 v27, v27
	v_cndmask_b32_e64 v5, v5, v6, s[4:5]
	v_mul_f32_e32 v6, 0x37800000, v5
	v_cndmask_b32_e64 v5, v5, v6, s[2:3]
	v_mul_f32_e32 v25, 0x3f317217, v27
	v_fma_f32 v25, v27, s12, -v25
	v_fmac_f32_e32 v25, 0x3377d1cf, v27
	v_fmac_f32_e32 v25, 0x3f317217, v27
	v_cmp_lt_f32_e64 s[4:5], |v27|, s14
	v_cmp_class_f32_e64 s[2:3], v7, v13
	s_nop 0
	v_cndmask_b32_e64 v25, v27, v25, s[4:5]
	v_cndmask_b32_e32 v27, 0, v19, vcc
	v_sub_f32_e32 v25, v25, v27
	v_cmp_lt_f16_e32 vcc, s9, v28
	v_mul_f32_e32 v28, 0x3fb8aa3b, v36
	v_exp_f32_e32 v28, v28
	v_cndmask_b32_e32 v25, v25, v35, vcc
	v_mul_f32_e32 v27, 0x4f800000, v25
	v_cmp_gt_f32_e32 vcc, s15, v25
	v_cndmask_b32_e64 v5, v5, v7, s[2:3]
	v_add_f32_e32 v28, 1.0, v28
	v_cndmask_b32_e32 v25, v25, v27, vcc
	v_sqrt_f32_e32 v27, v25
	s_nop 0
	v_add_u32_e32 v6, -1, v27
	v_fma_f32 v7, -v6, v27, v25
	v_cmp_ge_f32_e64 s[2:3], 0, v7
	v_add_u32_e32 v7, 1, v27
	s_nop 0
	v_cndmask_b32_e64 v6, v27, v6, s[2:3]
	v_cmp_gt_f32_e64 s[2:3], s13, v28
	v_fma_f32 v27, -v7, v27, v25
	v_cmp_lt_f32_e64 s[4:5], 0, v27
	v_cndmask_b32_e64 v31, 1.0, v14, s[2:3]
	v_mul_f32_e32 v28, v28, v31
	v_log_f32_e32 v28, v28
	v_cndmask_b32_e64 v6, v6, v7, s[4:5]
	v_mul_f32_e32 v7, 0x37800000, v6
	v_cndmask_b32_e32 v6, v6, v7, vcc
	v_mul_f32_e32 v27, 0x3f317217, v28
	v_fma_f32 v27, v28, s12, -v27
	v_fmac_f32_e32 v27, 0x3377d1cf, v28
	v_fmac_f32_e32 v27, 0x3f317217, v28
	v_cmp_lt_f32_e64 s[4:5], |v28|, s14
	v_cmp_class_f32_e32 vcc, v25, v13
	s_nop 0
	v_cndmask_b32_e64 v27, v28, v27, s[4:5]
	v_cndmask_b32_e64 v28, 0, v19, s[2:3]
	v_sub_f32_e32 v27, v27, v28
	v_cmp_lt_f16_e64 s[2:3], s9, v29
	v_mul_f32_e32 v29, 0x3fb8aa3b, v37
	v_exp_f32_e32 v29, v29
	v_cndmask_b32_e64 v27, v27, v36, s[2:3]
	v_mul_f32_e32 v28, 0x4f800000, v27
	v_cmp_gt_f32_e64 s[2:3], s15, v27
	v_cndmask_b32_e32 v6, v6, v25, vcc
	v_add_f32_e32 v29, 1.0, v29
	v_cndmask_b32_e64 v27, v27, v28, s[2:3]
	v_sqrt_f32_e32 v28, v27
	s_nop 0
	v_add_u32_e32 v7, -1, v28
	v_fma_f32 v25, -v7, v28, v27
	v_cmp_ge_f32_e32 vcc, 0, v25
	v_add_u32_e32 v25, 1, v28
	s_nop 0
	v_cndmask_b32_e32 v7, v28, v7, vcc
	v_cmp_gt_f32_e32 vcc, s13, v29
	v_fma_f32 v28, -v25, v28, v27
	v_cmp_lt_f32_e64 s[4:5], 0, v28
	v_cndmask_b32_e32 v31, 1.0, v14, vcc
	v_mul_f32_e32 v29, v29, v31
	v_log_f32_e32 v29, v29
	v_cndmask_b32_e64 v7, v7, v25, s[4:5]
	v_mul_f32_e32 v25, 0x37800000, v7
	v_cndmask_b32_e64 v7, v7, v25, s[2:3]
	v_mul_f32_e32 v28, 0x3f317217, v29
	v_fma_f32 v28, v29, s12, -v28
	v_fmac_f32_e32 v28, 0x3377d1cf, v29
	v_fmac_f32_e32 v28, 0x3f317217, v29
	v_cmp_lt_f32_e64 s[4:5], |v29|, s14
	v_cmp_class_f32_e64 s[2:3], v27, v13
	s_nop 0
	v_cndmask_b32_e64 v28, v29, v28, s[4:5]
	v_cndmask_b32_e32 v29, 0, v19, vcc
	v_sub_f32_e32 v28, v28, v29
	v_cmp_lt_f16_e32 vcc, s9, v30
	v_mul_f32_e32 v30, 0x3fb8aa3b, v38
	v_exp_f32_e32 v30, v30
	v_cndmask_b32_e32 v28, v28, v37, vcc
	v_mul_f32_e32 v29, 0x4f800000, v28
	v_cmp_gt_f32_e32 vcc, s15, v28
	v_cndmask_b32_e64 v7, v7, v27, s[2:3]
	v_add_f32_e32 v30, 1.0, v30
	v_cndmask_b32_e32 v28, v28, v29, vcc
	v_sqrt_f32_e32 v29, v28
	s_nop 0
	v_add_u32_e32 v25, -1, v29
	v_fma_f32 v27, -v25, v29, v28
	v_cmp_ge_f32_e64 s[2:3], 0, v27
	v_add_u32_e32 v27, 1, v29
	s_nop 0
	v_cndmask_b32_e64 v25, v29, v25, s[2:3]
	v_cmp_gt_f32_e64 s[2:3], s13, v30
	v_fma_f32 v29, -v27, v29, v28
	v_cmp_lt_f32_e64 s[4:5], 0, v29
	v_cndmask_b32_e64 v31, 1.0, v14, s[2:3]
	v_mul_f32_e32 v30, v30, v31
	v_log_f32_e32 v30, v30
	v_cndmask_b32_e64 v25, v25, v27, s[4:5]
	v_mul_f32_e32 v27, 0x37800000, v25
	v_mul_f32_e32 v29, 0x3f317217, v30
	v_fma_f32 v29, v30, s12, -v29
	v_fmac_f32_e32 v29, 0x3377d1cf, v30
	v_fmac_f32_e32 v29, 0x3f317217, v30
	v_cmp_lt_f32_e64 s[4:5], |v30|, s14
	s_nop 1
	v_cndmask_b32_e64 v29, v30, v29, s[4:5]
	v_cndmask_b32_e64 v30, 0, v19, s[2:3]
	v_sub_f32_e32 v29, v29, v30
	v_cmp_lt_f16_e64 s[2:3], s9, v8
	s_nop 1
	v_cndmask_b32_e64 v8, v29, v38, s[2:3]
	v_mul_f32_e32 v29, 0x4f800000, v8
	v_cmp_gt_f32_e64 s[2:3], s15, v8
	s_nop 1
	v_cndmask_b32_e64 v29, v8, v29, s[2:3]
	v_sqrt_f32_e32 v30, v29
	v_cndmask_b32_e32 v8, v25, v27, vcc
	v_cmp_class_f32_e32 vcc, v28, v13
	v_add_u32_e32 v25, -1, v30
	s_nop 0
	v_cndmask_b32_e32 v8, v8, v28, vcc
	v_mul_f32_e32 v28, 0x3fb8aa3b, v39
	v_exp_f32_e32 v28, v28
	v_fma_f32 v27, -v25, v30, v29
	v_cmp_ge_f32_e32 vcc, 0, v27
	v_add_u32_e32 v27, 1, v30
	v_add_f32_e32 v28, 1.0, v28
	v_cndmask_b32_e32 v25, v30, v25, vcc
	v_cmp_gt_f32_e32 vcc, s13, v28
	v_fma_f32 v30, -v27, v30, v29
	v_cmp_lt_f32_e64 s[4:5], 0, v30
	v_cndmask_b32_e32 v31, 1.0, v14, vcc
	v_mul_f32_e32 v28, v28, v31
	v_log_f32_e32 v28, v28
	v_cndmask_b32_e64 v25, v25, v27, s[4:5]
	v_mul_f32_e32 v27, 0x37800000, v25
	v_mul_f32_e32 v30, 0x3f317217, v28
	v_fma_f32 v30, v28, s12, -v30
	v_fmac_f32_e32 v30, 0x3377d1cf, v28
	v_fmac_f32_e32 v30, 0x3f317217, v28
	v_cmp_lt_f32_e64 s[4:5], |v28|, s14
	s_nop 1
	v_cndmask_b32_e64 v28, v28, v30, s[4:5]
	v_cndmask_b32_e32 v30, 0, v19, vcc
	v_sub_f32_e32 v28, v28, v30
	v_cmp_lt_f16_e32 vcc, s9, v9
	s_nop 1
	v_cndmask_b32_e32 v9, v28, v39, vcc
	v_mul_f32_e32 v28, 0x4f800000, v9
	v_cmp_gt_f32_e32 vcc, s15, v9
	s_nop 1
	v_cndmask_b32_e32 v28, v9, v28, vcc
	v_sqrt_f32_e32 v30, v28
	v_cndmask_b32_e64 v9, v25, v27, s[2:3]
	v_cmp_class_f32_e64 s[2:3], v29, v13
	v_add_u32_e32 v25, -1, v30
	s_nop 0
	v_cndmask_b32_e64 v9, v9, v29, s[2:3]
	v_mul_f32_e32 v29, 0x3fb8aa3b, v24
	v_exp_f32_e32 v29, v29
	v_fma_f32 v27, -v25, v30, v28
	v_cmp_ge_f32_e64 s[2:3], 0, v27
	v_add_u32_e32 v27, 1, v30
	v_add_f32_e32 v29, 1.0, v29
	v_cndmask_b32_e64 v25, v30, v25, s[2:3]
	v_cmp_gt_f32_e64 s[2:3], s13, v29
	v_fma_f32 v30, -v27, v30, v28
	v_cmp_lt_f32_e64 s[4:5], 0, v30
	v_cndmask_b32_e64 v31, 1.0, v14, s[2:3]
	v_mul_f32_e32 v29, v29, v31
	v_log_f32_e32 v29, v29
	v_cndmask_b32_e64 v25, v25, v27, s[4:5]
	v_mul_f32_e32 v27, 0x37800000, v25
	v_mul_f32_e32 v30, 0x3f317217, v29
	v_fma_f32 v30, v29, s12, -v30
	v_fmac_f32_e32 v30, 0x3377d1cf, v29
	v_fmac_f32_e32 v30, 0x3f317217, v29
	v_cmp_lt_f32_e64 s[4:5], |v29|, s14
	s_nop 1
	v_cndmask_b32_e64 v29, v29, v30, s[4:5]
	v_cndmask_b32_e64 v30, 0, v19, s[2:3]
	v_sub_f32_e32 v29, v29, v30
	v_cmp_lt_f16_e64 s[2:3], s9, v10
	s_nop 1
	v_cndmask_b32_e64 v10, v29, v24, s[2:3]
	v_mul_f32_e32 v24, 0x4f800000, v10
	v_cmp_gt_f32_e64 s[2:3], s15, v10
	s_nop 1
	v_cndmask_b32_e64 v24, v10, v24, s[2:3]
	v_sqrt_f32_e32 v29, v24
	v_cndmask_b32_e32 v10, v25, v27, vcc
	v_cmp_class_f32_e32 vcc, v28, v13
	v_add_u32_e32 v25, -1, v29
	s_nop 0
	v_cndmask_b32_e32 v10, v10, v28, vcc
	v_mul_f32_e32 v28, 0x3fb8aa3b, v23
	v_exp_f32_e32 v28, v28
	v_fma_f32 v27, -v25, v29, v24
	v_cmp_ge_f32_e32 vcc, 0, v27
	v_add_u32_e32 v27, 1, v29
	v_add_f32_e32 v28, 1.0, v28
	v_cndmask_b32_e32 v25, v29, v25, vcc
	v_cmp_gt_f32_e32 vcc, s13, v28
	v_fma_f32 v29, -v27, v29, v24
	v_cmp_lt_f32_e64 s[4:5], 0, v29
	v_cndmask_b32_e32 v30, 1.0, v14, vcc
	v_mul_f32_e32 v28, v28, v30
	v_log_f32_e32 v28, v28
	v_cndmask_b32_e64 v25, v25, v27, s[4:5]
	v_mul_f32_e32 v27, 0x37800000, v25
	v_mul_f32_e32 v29, 0x3f317217, v28
	v_fma_f32 v29, v28, s12, -v29
	v_fmac_f32_e32 v29, 0x3377d1cf, v28
	v_fmac_f32_e32 v29, 0x3f317217, v28
	v_cmp_lt_f32_e64 s[4:5], |v28|, s14
	s_nop 1
	v_cndmask_b32_e64 v28, v28, v29, s[4:5]
	v_cndmask_b32_e32 v29, 0, v19, vcc
	v_sub_f32_e32 v28, v28, v29
	v_cmp_lt_f16_e32 vcc, s9, v11
	s_nop 1
	v_cndmask_b32_e32 v11, v28, v23, vcc
	v_mul_f32_e32 v23, 0x4f800000, v11
	v_cmp_gt_f32_e32 vcc, s15, v11
	s_nop 1
	v_cndmask_b32_e32 v23, v11, v23, vcc
	v_sqrt_f32_e32 v28, v23
	v_cndmask_b32_e64 v11, v25, v27, s[2:3]
	v_mul_f32_e32 v27, 0x3fb8aa3b, v22
	v_exp_f32_e32 v27, v27
	v_cmp_class_f32_e64 s[2:3], v24, v13
	v_add_f32_e32 v27, 1.0, v27
	s_nop 0
	v_cndmask_b32_e64 v11, v11, v24, s[2:3]
	v_add_u32_e32 v24, -1, v28
	v_fma_f32 v25, -v24, v28, v23
	v_cmp_ge_f32_e64 s[2:3], 0, v25
	v_add_u32_e32 v25, 1, v28
	s_nop 0
	v_cndmask_b32_e64 v24, v28, v24, s[2:3]
	v_cmp_gt_f32_e64 s[2:3], s13, v27
	v_fma_f32 v28, -v25, v28, v23
	v_cmp_lt_f32_e64 s[4:5], 0, v28
	v_cndmask_b32_e64 v14, 1.0, v14, s[2:3]
	v_mul_f32_e32 v14, v27, v14
	v_log_f32_e32 v14, v14
	v_cndmask_b32_e64 v24, v24, v25, s[4:5]
	v_cndmask_b32_e64 v19, 0, v19, s[2:3]
	v_cmp_lt_f16_e64 s[2:3], s9, v12
	v_mul_f32_e32 v27, 0x3f317217, v14
	v_fma_f32 v27, v14, s12, -v27
	v_fmac_f32_e32 v27, 0x3377d1cf, v14
	v_fmac_f32_e32 v27, 0x3f317217, v14
	v_cmp_lt_f32_e64 s[4:5], |v14|, s14
	v_mul_f32_e32 v25, 0x37800000, v24
	s_nop 0
	v_cndmask_b32_e64 v14, v14, v27, s[4:5]
	v_sub_f32_e32 v14, v14, v19
	v_cndmask_b32_e64 v12, v14, v22, s[2:3]
	v_mul_f32_e32 v14, 0x4f800000, v12
	v_cmp_gt_f32_e64 s[2:3], s15, v12
	s_nop 1
	v_cndmask_b32_e64 v14, v12, v14, s[2:3]
	v_sqrt_f32_e32 v19, v14
	v_cndmask_b32_e32 v12, v24, v25, vcc
	v_cmp_class_f32_e32 vcc, v23, v13
	v_add_u32_e32 v22, -1, v19
	s_nop 0
	v_cndmask_b32_e32 v12, v12, v23, vcc
	v_fma_f32 v23, -v22, v19, v14
	v_cmp_ge_f32_e32 vcc, 0, v23
	v_add_u32_e32 v23, 1, v19
	s_nop 0
	v_cndmask_b32_e32 v22, v19, v22, vcc
	v_fma_f32 v19, -v23, v19, v14
	v_cmp_lt_f32_e32 vcc, 0, v19
	s_nop 1
	v_cndmask_b32_e32 v19, v22, v23, vcc
	v_mul_f32_e32 v22, 0x37800000, v19
	v_cndmask_b32_e64 v19, v19, v22, s[2:3]
	v_cmp_class_f32_e32 vcc, v14, v13
	s_nop 1
	v_cndmask_b32_e32 v13, v19, v14, vcc
	s_and_b64 vcc, exec, s[10:11]
	v_mul_lo_u32 v14, v18, s24
	s_cbranch_vccnz .LBB354_28
; %bb.2:
	s_load_dwordx2 s[4:5], s[0:1], 0x20
	v_mul_lo_u32 v18, v18, s24
	s_cmp_lt_u32 s24, 4
	v_sub_u32_e32 v27, 0, v26
	s_cbranch_scc1 .LBB354_21
; %bb.3:
	s_mov_b32 s11, 0
	s_and_b32 s8, s24, 0x7ffffffc
	v_ashrrev_i32_e32 v19, 31, v18
	v_mov_b32_e32 v15, 0
	s_mov_b32 s10, s11
	s_branch .LBB354_5
.LBB354_4:                              ;   in Loop: Header=BB354_5 Depth=1
	s_or_b64 exec, exec, s[12:13]
	s_add_i32 s10, s10, 4
	s_cmp_eq_u32 s10, s8
	s_cbranch_scc1 .LBB354_21
.LBB354_5:                              ; =>This Loop Header: Depth=1
                                        ;     Child Loop BB354_7 Depth 2
                                        ;     Child Loop BB354_11 Depth 2
	;; [unrolled: 1-line block ×4, first 2 shown]
	v_lshl_add_u64 v[20:21], s[10:11], 3, v[16:17]
	global_load_dwordx2 v[22:23], v[20:21], off
	v_add_u32_e32 v24, s10, v18
	v_ashrrev_i32_e32 v25, 31, v24
	s_mov_b64 s[12:13], 0
	s_waitcnt lgkmcnt(0)
	v_lshl_add_u64 v[24:25], v[24:25], 3, s[4:5]
	s_mov_b64 s[14:15], 0
	s_waitcnt vmcnt(0)
	v_ashrrev_i32_e32 v23, 31, v22
	v_add_u32_e32 v28, v27, v22
	s_branch .LBB354_7
.LBB354_6:                              ;   in Loop: Header=BB354_7 Depth=2
	s_or_b64 exec, exec, s[16:17]
	s_cmp_gt_u32 s14, 12
	s_cselect_b64 s[2:3], -1, 0
	s_xor_b64 s[16:17], vcc, -1
	s_or_b64 s[2:3], s[16:17], s[2:3]
	s_add_u32 s14, s14, 1
	s_addc_u32 s15, s15, 0
	s_and_b64 s[2:3], exec, s[2:3]
	s_or_b64 s[12:13], s[2:3], s[12:13]
	v_subrev_u32_e32 v28, 32, v28
	s_andn2_b64 exec, exec, s[12:13]
	s_cbranch_execz .LBB354_9
.LBB354_7:                              ;   Parent Loop BB354_5 Depth=1
                                        ; =>  This Inner Loop Header: Depth=2
	v_cmp_ne_u32_e32 vcc, 0, v28
	v_cmp_eq_u32_e64 s[2:3], 0, v28
	s_and_saveexec_b64 s[16:17], s[2:3]
	s_cbranch_execz .LBB354_6
; %bb.8:                                ;   in Loop: Header=BB354_7 Depth=2
	s_set_gpr_idx_on s14, gpr_idx(SRC0)
	v_mov_b32_e32 v29, v0
	s_set_gpr_idx_off
	v_add_f32_e32 v15, v15, v29
	global_store_dwordx2 v[24:25], v[22:23], off
	s_branch .LBB354_6
.LBB354_9:                              ;   in Loop: Header=BB354_5 Depth=1
	s_or_b64 exec, exec, s[12:13]
	global_load_dwordx2 v[24:25], v[20:21], off offset:8
	s_ashr_i32 s3, s10, 31
	s_mov_b32 s2, s10
	v_lshl_add_u64 v[22:23], s[2:3], 0, v[18:19]
	s_mov_b64 s[12:13], 0
	v_lshl_add_u64 v[22:23], v[22:23], 3, s[4:5]
	s_mov_b64 s[14:15], 0
	s_waitcnt vmcnt(0)
	v_ashrrev_i32_e32 v25, 31, v24
	v_add_u32_e32 v28, v27, v24
	s_branch .LBB354_11
.LBB354_10:                             ;   in Loop: Header=BB354_11 Depth=2
	s_or_b64 exec, exec, s[16:17]
	s_cmp_gt_u32 s14, 12
	s_cselect_b64 s[2:3], -1, 0
	s_xor_b64 s[16:17], vcc, -1
	s_or_b64 s[2:3], s[16:17], s[2:3]
	s_add_u32 s14, s14, 1
	s_addc_u32 s15, s15, 0
	s_and_b64 s[2:3], exec, s[2:3]
	s_or_b64 s[12:13], s[2:3], s[12:13]
	v_subrev_u32_e32 v28, 32, v28
	s_andn2_b64 exec, exec, s[12:13]
	s_cbranch_execz .LBB354_13
.LBB354_11:                             ;   Parent Loop BB354_5 Depth=1
                                        ; =>  This Inner Loop Header: Depth=2
	v_cmp_ne_u32_e32 vcc, 0, v28
	v_cmp_eq_u32_e64 s[2:3], 0, v28
	s_and_saveexec_b64 s[16:17], s[2:3]
	s_cbranch_execz .LBB354_10
; %bb.12:                               ;   in Loop: Header=BB354_11 Depth=2
	s_set_gpr_idx_on s14, gpr_idx(SRC0)
	v_mov_b32_e32 v29, v0
	s_set_gpr_idx_off
	v_add_f32_e32 v15, v15, v29
	global_store_dwordx2 v[22:23], v[24:25], off offset:8
	s_branch .LBB354_10
.LBB354_13:                             ;   in Loop: Header=BB354_5 Depth=1
	s_or_b64 exec, exec, s[12:13]
	global_load_dwordx2 v[24:25], v[20:21], off offset:16
	s_mov_b64 s[12:13], 0
	s_mov_b64 s[14:15], 0
	s_waitcnt vmcnt(0)
	v_ashrrev_i32_e32 v25, 31, v24
	v_add_u32_e32 v28, v27, v24
	s_branch .LBB354_15
.LBB354_14:                             ;   in Loop: Header=BB354_15 Depth=2
	s_or_b64 exec, exec, s[16:17]
	s_cmp_gt_u32 s14, 12
	s_cselect_b64 s[2:3], -1, 0
	s_xor_b64 s[16:17], vcc, -1
	s_or_b64 s[2:3], s[16:17], s[2:3]
	s_add_u32 s14, s14, 1
	s_addc_u32 s15, s15, 0
	s_and_b64 s[2:3], exec, s[2:3]
	s_or_b64 s[12:13], s[2:3], s[12:13]
	v_subrev_u32_e32 v28, 32, v28
	s_andn2_b64 exec, exec, s[12:13]
	s_cbranch_execz .LBB354_17
.LBB354_15:                             ;   Parent Loop BB354_5 Depth=1
                                        ; =>  This Inner Loop Header: Depth=2
	v_cmp_ne_u32_e32 vcc, 0, v28
	v_cmp_eq_u32_e64 s[2:3], 0, v28
	s_and_saveexec_b64 s[16:17], s[2:3]
	s_cbranch_execz .LBB354_14
; %bb.16:                               ;   in Loop: Header=BB354_15 Depth=2
	s_set_gpr_idx_on s14, gpr_idx(SRC0)
	v_mov_b32_e32 v29, v0
	s_set_gpr_idx_off
	v_add_f32_e32 v15, v15, v29
	global_store_dwordx2 v[22:23], v[24:25], off offset:16
	s_branch .LBB354_14
.LBB354_17:                             ;   in Loop: Header=BB354_5 Depth=1
	s_or_b64 exec, exec, s[12:13]
	global_load_dwordx2 v[20:21], v[20:21], off offset:24
	s_mov_b64 s[12:13], 0
	s_mov_b64 s[14:15], 0
	s_waitcnt vmcnt(0)
	v_ashrrev_i32_e32 v21, 31, v20
	v_add_u32_e32 v24, v27, v20
	s_branch .LBB354_19
.LBB354_18:                             ;   in Loop: Header=BB354_19 Depth=2
	s_or_b64 exec, exec, s[16:17]
	s_cmp_gt_u32 s14, 12
	s_cselect_b64 s[2:3], -1, 0
	s_xor_b64 s[16:17], vcc, -1
	s_or_b64 s[2:3], s[16:17], s[2:3]
	s_add_u32 s14, s14, 1
	s_addc_u32 s15, s15, 0
	s_and_b64 s[2:3], exec, s[2:3]
	s_or_b64 s[12:13], s[2:3], s[12:13]
	v_subrev_u32_e32 v24, 32, v24
	s_andn2_b64 exec, exec, s[12:13]
	s_cbranch_execz .LBB354_4
.LBB354_19:                             ;   Parent Loop BB354_5 Depth=1
                                        ; =>  This Inner Loop Header: Depth=2
	v_cmp_ne_u32_e32 vcc, 0, v24
	v_cmp_eq_u32_e64 s[2:3], 0, v24
	s_and_saveexec_b64 s[16:17], s[2:3]
	s_cbranch_execz .LBB354_18
; %bb.20:                               ;   in Loop: Header=BB354_19 Depth=2
	s_set_gpr_idx_on s14, gpr_idx(SRC0)
	v_mov_b32_e32 v25, v0
	s_set_gpr_idx_off
	v_add_f32_e32 v15, v15, v25
	global_store_dwordx2 v[22:23], v[20:21], off offset:24
	s_branch .LBB354_18
.LBB354_21:
	s_and_b32 s16, s24, 3
	s_cmp_eq_u32 s16, 0
	s_mov_b32 s9, 0
	s_cbranch_scc1 .LBB354_28
; %bb.22:
	s_mov_b32 s17, s9
	s_branch .LBB354_24
.LBB354_23:                             ;   in Loop: Header=BB354_24 Depth=1
	s_or_b64 exec, exec, s[10:11]
	s_add_i32 s8, s8, 1
	s_add_i32 s17, s17, 1
	s_cmp_lg_u32 s17, s16
	s_cbranch_scc0 .LBB354_28
.LBB354_24:                             ; =>This Loop Header: Depth=1
                                        ;     Child Loop BB354_26 Depth 2
	v_lshl_add_u64 v[20:21], s[8:9], 3, v[16:17]
	global_load_dwordx2 v[20:21], v[20:21], off
	v_add_u32_e32 v22, s8, v18
	v_ashrrev_i32_e32 v23, 31, v22
	s_mov_b64 s[10:11], 0
	s_waitcnt lgkmcnt(0)
	v_lshl_add_u64 v[22:23], v[22:23], 3, s[4:5]
	s_mov_b64 s[12:13], 0
	s_waitcnt vmcnt(0)
	v_ashrrev_i32_e32 v21, 31, v20
	v_add_u32_e32 v19, v27, v20
	s_branch .LBB354_26
.LBB354_25:                             ;   in Loop: Header=BB354_26 Depth=2
	s_or_b64 exec, exec, s[14:15]
	s_cmp_gt_u32 s12, 12
	s_cselect_b64 s[2:3], -1, 0
	s_xor_b64 s[14:15], vcc, -1
	s_or_b64 s[2:3], s[14:15], s[2:3]
	s_add_u32 s12, s12, 1
	s_addc_u32 s13, s13, 0
	s_and_b64 s[2:3], exec, s[2:3]
	s_or_b64 s[10:11], s[2:3], s[10:11]
	v_subrev_u32_e32 v19, 32, v19
	s_andn2_b64 exec, exec, s[10:11]
	s_cbranch_execz .LBB354_23
.LBB354_26:                             ;   Parent Loop BB354_24 Depth=1
                                        ; =>  This Inner Loop Header: Depth=2
	v_cmp_ne_u32_e32 vcc, 0, v19
	v_cmp_eq_u32_e64 s[2:3], 0, v19
	s_and_saveexec_b64 s[14:15], s[2:3]
	s_cbranch_execz .LBB354_25
; %bb.27:                               ;   in Loop: Header=BB354_26 Depth=2
	s_set_gpr_idx_on s12, gpr_idx(SRC0)
	v_mov_b32_e32 v24, v0
	s_set_gpr_idx_off
	v_add_f32_e32 v15, v15, v24
	global_store_dwordx2 v[22:23], v[20:21], off
	s_branch .LBB354_25
.LBB354_28:
	s_waitcnt lgkmcnt(0)
	s_load_dword s4, s[0:1], 0x3c
	s_waitcnt lgkmcnt(0)
	s_bitcmp1_b32 s4, 0
	s_cselect_b64 s[2:3], -1, 0
	s_bitcmp0_b32 s4, 0
	s_cbranch_scc0 .LBB354_31
; %bb.29:
	s_load_dwordx2 s[4:5], s[0:1], 0x40
	s_andn2_b64 vcc, exec, s[2:3]
	s_waitcnt lgkmcnt(0)
	v_cvt_f32_f64_e32 v20, s[4:5]
	s_cbranch_vccz .LBB354_32
.LBB354_30:
	s_andn2_b64 vcc, exec, s[6:7]
	s_cbranch_vccz .LBB354_33
	s_branch .LBB354_63
.LBB354_31:
	v_mbcnt_lo_u32_b32 v18, -1, 0
	v_mbcnt_hi_u32_b32 v18, -1, v18
	v_and_b32_e32 v19, 0x60, v18
	v_add_u32_e32 v19, 32, v19
	v_xor_b32_e32 v20, 16, v18
	v_cmp_lt_i32_e32 vcc, v20, v19
	v_xor_b32_e32 v21, 8, v18
	s_nop 0
	v_cndmask_b32_e32 v20, v18, v20, vcc
	v_lshlrev_b32_e32 v20, 2, v20
	ds_bpermute_b32 v20, v20, v15
	v_cmp_lt_i32_e32 vcc, v21, v19
	s_waitcnt lgkmcnt(0)
	v_add_f32_e32 v15, v15, v20
	v_cndmask_b32_e32 v20, v18, v21, vcc
	v_lshlrev_b32_e32 v20, 2, v20
	ds_bpermute_b32 v20, v20, v15
	v_xor_b32_e32 v21, 4, v18
	v_cmp_lt_i32_e32 vcc, v21, v19
	s_waitcnt lgkmcnt(0)
	v_add_f32_e32 v15, v15, v20
	v_cndmask_b32_e32 v20, v18, v21, vcc
	v_lshlrev_b32_e32 v20, 2, v20
	ds_bpermute_b32 v20, v20, v15
	v_xor_b32_e32 v21, 2, v18
	;; [unrolled: 7-line block ×3, first 2 shown]
	v_cmp_lt_i32_e32 vcc, v21, v19
	s_waitcnt lgkmcnt(0)
	v_add_f32_e32 v15, v15, v20
	v_cndmask_b32_e32 v18, v18, v21, vcc
	v_lshlrev_b32_e32 v18, 2, v18
	ds_bpermute_b32 v18, v18, v15
	s_waitcnt lgkmcnt(0)
	v_add_f32_e32 v15, v15, v18
	s_load_dwordx2 s[4:5], s[0:1], 0x40
	s_andn2_b64 vcc, exec, s[2:3]
	s_waitcnt lgkmcnt(0)
	v_cvt_f32_f64_e32 v20, s[4:5]
	s_cbranch_vccnz .LBB354_30
.LBB354_32:
	v_cmp_lt_f32_e32 vcc, 0, v15
	s_nop 1
	v_cndmask_b32_e32 v15, 1.0, v15, vcc
	v_div_scale_f32 v18, s[2:3], v15, v15, v20
	v_rcp_f32_e32 v19, v18
	s_nop 0
	v_fma_f32 v21, -v18, v19, 1.0
	v_fmac_f32_e32 v19, v21, v19
	v_div_scale_f32 v21, vcc, v20, v15, v20
	v_mul_f32_e32 v22, v21, v19
	v_fma_f32 v23, -v18, v22, v21
	v_fmac_f32_e32 v22, v23, v19
	v_fma_f32 v18, -v18, v22, v21
	v_div_fmas_f32 v18, v18, v19, v22
	v_div_fixup_f32 v20, v18, v15, v20
	s_andn2_b64 vcc, exec, s[6:7]
	s_cbranch_vccnz .LBB354_63
.LBB354_33:
	s_load_dwordx2 s[26:27], s[0:1], 0x10
	v_or_b32_e32 v21, 32, v26
	v_or_b32_e32 v22, 64, v26
	;; [unrolled: 1-line block ×13, first 2 shown]
	s_branch .LBB354_35
.LBB354_34:                             ;   in Loop: Header=BB354_35 Depth=1
	s_or_b64 exec, exec, s[0:1]
	s_add_i32 s24, s24, -1
	v_add_u32_e32 v14, 1, v14
	s_cmp_lg_u32 s24, 0
	v_lshl_add_u64 v[16:17], v[16:17], 0, 8
	s_cbranch_scc0 .LBB354_63
.LBB354_35:                             ; =>This Inner Loop Header: Depth=1
	global_load_dword v15, v[16:17], off
	v_mov_b64_e32 v[18:19], 0
	s_waitcnt vmcnt(0)
	v_cmp_eq_u32_e32 vcc, v26, v15
	v_cmp_ne_u32_e64 s[0:1], v26, v15
	s_and_saveexec_b64 s[28:29], s[0:1]
	s_cbranch_execz .LBB354_61
; %bb.36:                               ;   in Loop: Header=BB354_35 Depth=1
	v_cmp_eq_u32_e64 s[0:1], v21, v15
	v_cmp_ne_u32_e64 s[2:3], v21, v15
	v_mov_b64_e32 v[18:19], 1
	s_and_saveexec_b64 s[30:31], s[2:3]
	s_cbranch_execz .LBB354_60
; %bb.37:                               ;   in Loop: Header=BB354_35 Depth=1
	v_cmp_eq_u32_e64 s[2:3], v22, v15
	v_cmp_ne_u32_e64 s[4:5], v22, v15
	v_mov_b64_e32 v[18:19], 2
	s_and_saveexec_b64 s[34:35], s[4:5]
	s_cbranch_execz .LBB354_59
; %bb.38:                               ;   in Loop: Header=BB354_35 Depth=1
	v_cmp_eq_u32_e64 s[4:5], v23, v15
	v_cmp_ne_u32_e64 s[6:7], v23, v15
	v_mov_b64_e32 v[18:19], 3
	s_and_saveexec_b64 s[36:37], s[6:7]
	s_cbranch_execz .LBB354_58
; %bb.39:                               ;   in Loop: Header=BB354_35 Depth=1
	v_cmp_eq_u32_e64 s[6:7], v24, v15
	v_cmp_ne_u32_e64 s[8:9], v24, v15
	v_mov_b64_e32 v[18:19], 4
	s_and_saveexec_b64 s[38:39], s[8:9]
	s_cbranch_execz .LBB354_57
; %bb.40:                               ;   in Loop: Header=BB354_35 Depth=1
	v_cmp_eq_u32_e64 s[8:9], v25, v15
	v_cmp_ne_u32_e64 s[10:11], v25, v15
	v_mov_b64_e32 v[18:19], 5
	s_and_saveexec_b64 s[40:41], s[10:11]
	s_cbranch_execz .LBB354_56
; %bb.41:                               ;   in Loop: Header=BB354_35 Depth=1
	v_cmp_eq_u32_e64 s[10:11], v27, v15
	v_cmp_ne_u32_e64 s[12:13], v27, v15
	v_mov_b64_e32 v[18:19], 6
	s_and_saveexec_b64 s[42:43], s[12:13]
	s_cbranch_execz .LBB354_55
; %bb.42:                               ;   in Loop: Header=BB354_35 Depth=1
	v_cmp_eq_u32_e64 s[12:13], v28, v15
	v_cmp_ne_u32_e64 s[14:15], v28, v15
	v_mov_b64_e32 v[18:19], 7
	s_and_saveexec_b64 s[44:45], s[14:15]
	s_cbranch_execz .LBB354_54
; %bb.43:                               ;   in Loop: Header=BB354_35 Depth=1
	v_cmp_eq_u32_e64 s[14:15], v29, v15
	v_cmp_ne_u32_e64 s[16:17], v29, v15
	v_mov_b64_e32 v[18:19], 8
	s_and_saveexec_b64 s[46:47], s[16:17]
	s_cbranch_execz .LBB354_53
; %bb.44:                               ;   in Loop: Header=BB354_35 Depth=1
	v_cmp_eq_u32_e64 s[16:17], v30, v15
	v_cmp_ne_u32_e64 s[18:19], v30, v15
	v_mov_b64_e32 v[18:19], 9
	s_and_saveexec_b64 s[48:49], s[18:19]
	s_cbranch_execz .LBB354_52
; %bb.45:                               ;   in Loop: Header=BB354_35 Depth=1
	v_cmp_eq_u32_e64 s[18:19], v31, v15
	v_cmp_ne_u32_e64 s[20:21], v31, v15
	v_mov_b64_e32 v[18:19], 10
	s_and_saveexec_b64 s[50:51], s[20:21]
	s_cbranch_execz .LBB354_51
; %bb.46:                               ;   in Loop: Header=BB354_35 Depth=1
	v_cmp_eq_u32_e64 s[20:21], v32, v15
	v_cmp_ne_u32_e64 s[22:23], v32, v15
	v_mov_b64_e32 v[18:19], 11
	s_and_saveexec_b64 s[52:53], s[22:23]
	s_cbranch_execz .LBB354_50
; %bb.47:                               ;   in Loop: Header=BB354_35 Depth=1
	v_cmp_eq_u32_e64 s[54:55], v33, v15
	v_cmp_ne_u32_e64 s[22:23], v33, v15
	v_mov_b64_e32 v[18:19], 12
	s_and_saveexec_b64 s[56:57], s[22:23]
	s_xor_b64 s[56:57], exec, s[56:57]
; %bb.48:                               ;   in Loop: Header=BB354_35 Depth=1
	v_cmp_eq_u32_e64 s[22:23], v34, v15
	s_andn2_b64 s[54:55], s[54:55], exec
	s_and_b64 s[22:23], s[22:23], exec
	v_mov_b64_e32 v[18:19], 13
	s_or_b64 s[54:55], s[54:55], s[22:23]
; %bb.49:                               ;   in Loop: Header=BB354_35 Depth=1
	s_or_b64 exec, exec, s[56:57]
	s_andn2_b64 s[20:21], s[20:21], exec
	s_and_b64 s[22:23], s[54:55], exec
	s_or_b64 s[20:21], s[20:21], s[22:23]
.LBB354_50:                             ;   in Loop: Header=BB354_35 Depth=1
	s_or_b64 exec, exec, s[52:53]
	s_andn2_b64 s[18:19], s[18:19], exec
	s_and_b64 s[20:21], s[20:21], exec
	s_or_b64 s[18:19], s[18:19], s[20:21]
.LBB354_51:                             ;   in Loop: Header=BB354_35 Depth=1
	s_or_b64 exec, exec, s[50:51]
	s_andn2_b64 s[16:17], s[16:17], exec
	s_and_b64 s[18:19], s[18:19], exec
	s_or_b64 s[16:17], s[16:17], s[18:19]
.LBB354_52:                             ;   in Loop: Header=BB354_35 Depth=1
	s_or_b64 exec, exec, s[48:49]
	s_andn2_b64 s[14:15], s[14:15], exec
	s_and_b64 s[16:17], s[16:17], exec
	s_or_b64 s[14:15], s[14:15], s[16:17]
.LBB354_53:                             ;   in Loop: Header=BB354_35 Depth=1
	s_or_b64 exec, exec, s[46:47]
	s_andn2_b64 s[12:13], s[12:13], exec
	s_and_b64 s[14:15], s[14:15], exec
	s_or_b64 s[12:13], s[12:13], s[14:15]
.LBB354_54:                             ;   in Loop: Header=BB354_35 Depth=1
	s_or_b64 exec, exec, s[44:45]
	s_andn2_b64 s[10:11], s[10:11], exec
	s_and_b64 s[12:13], s[12:13], exec
	s_or_b64 s[10:11], s[10:11], s[12:13]
.LBB354_55:                             ;   in Loop: Header=BB354_35 Depth=1
	s_or_b64 exec, exec, s[42:43]
	s_andn2_b64 s[8:9], s[8:9], exec
	s_and_b64 s[10:11], s[10:11], exec
	s_or_b64 s[8:9], s[8:9], s[10:11]
.LBB354_56:                             ;   in Loop: Header=BB354_35 Depth=1
	s_or_b64 exec, exec, s[40:41]
	s_andn2_b64 s[6:7], s[6:7], exec
	s_and_b64 s[8:9], s[8:9], exec
	s_or_b64 s[6:7], s[6:7], s[8:9]
.LBB354_57:                             ;   in Loop: Header=BB354_35 Depth=1
	s_or_b64 exec, exec, s[38:39]
	s_andn2_b64 s[4:5], s[4:5], exec
	s_and_b64 s[6:7], s[6:7], exec
	s_or_b64 s[4:5], s[4:5], s[6:7]
.LBB354_58:                             ;   in Loop: Header=BB354_35 Depth=1
	s_or_b64 exec, exec, s[36:37]
	s_andn2_b64 s[2:3], s[2:3], exec
	s_and_b64 s[4:5], s[4:5], exec
	s_or_b64 s[2:3], s[2:3], s[4:5]
.LBB354_59:                             ;   in Loop: Header=BB354_35 Depth=1
	s_or_b64 exec, exec, s[34:35]
	s_andn2_b64 s[0:1], s[0:1], exec
	s_and_b64 s[2:3], s[2:3], exec
	s_or_b64 s[0:1], s[0:1], s[2:3]
.LBB354_60:                             ;   in Loop: Header=BB354_35 Depth=1
	s_or_b64 exec, exec, s[30:31]
	s_andn2_b64 s[2:3], vcc, exec
	s_and_b64 s[0:1], s[0:1], exec
	s_or_b64 vcc, s[2:3], s[0:1]
.LBB354_61:                             ;   in Loop: Header=BB354_35 Depth=1
	s_or_b64 exec, exec, s[28:29]
	s_and_saveexec_b64 s[0:1], vcc
	s_cbranch_execz .LBB354_34
; %bb.62:                               ;   in Loop: Header=BB354_35 Depth=1
	v_cmp_eq_u32_e32 vcc, 1, v18
	s_nop 1
	v_cndmask_b32_e32 v15, v0, v1, vcc
	v_cmp_eq_u32_e32 vcc, 2, v18
	s_nop 1
	v_cndmask_b32_e32 v15, v15, v2, vcc
	;; [unrolled: 3-line block ×13, first 2 shown]
	v_mul_f32_e32 v35, v20, v15
	v_ashrrev_i32_e32 v15, 31, v14
	s_waitcnt lgkmcnt(0)
	v_lshl_add_u64 v[18:19], v[14:15], 2, s[26:27]
	global_store_dword v[18:19], v35, off
	s_branch .LBB354_34
.LBB354_63:
	s_endpgm
	.section	.rodata,"a",@progbits
	.p2align	6, 0x0
	.amdhsa_kernel _ZN4vllm3moe22topkGatingSoftplusSqrtILi14ELi448ELi4ELi2ELi32ELb1El6__halfEEvPKT6_PKbPfiPT5_PiiiibdPKfPKS9_SF_
		.amdhsa_group_segment_fixed_size 0
		.amdhsa_private_segment_fixed_size 0
		.amdhsa_kernarg_size 96
		.amdhsa_user_sgpr_count 2
		.amdhsa_user_sgpr_dispatch_ptr 0
		.amdhsa_user_sgpr_queue_ptr 0
		.amdhsa_user_sgpr_kernarg_segment_ptr 1
		.amdhsa_user_sgpr_dispatch_id 0
		.amdhsa_user_sgpr_kernarg_preload_length 0
		.amdhsa_user_sgpr_kernarg_preload_offset 0
		.amdhsa_user_sgpr_private_segment_size 0
		.amdhsa_uses_dynamic_stack 0
		.amdhsa_enable_private_segment 0
		.amdhsa_system_sgpr_workgroup_id_x 1
		.amdhsa_system_sgpr_workgroup_id_y 0
		.amdhsa_system_sgpr_workgroup_id_z 0
		.amdhsa_system_sgpr_workgroup_info 0
		.amdhsa_system_vgpr_workitem_id 1
		.amdhsa_next_free_vgpr 45
		.amdhsa_next_free_sgpr 58
		.amdhsa_accum_offset 48
		.amdhsa_reserve_vcc 1
		.amdhsa_float_round_mode_32 0
		.amdhsa_float_round_mode_16_64 0
		.amdhsa_float_denorm_mode_32 3
		.amdhsa_float_denorm_mode_16_64 3
		.amdhsa_dx10_clamp 1
		.amdhsa_ieee_mode 1
		.amdhsa_fp16_overflow 0
		.amdhsa_tg_split 0
		.amdhsa_exception_fp_ieee_invalid_op 0
		.amdhsa_exception_fp_denorm_src 0
		.amdhsa_exception_fp_ieee_div_zero 0
		.amdhsa_exception_fp_ieee_overflow 0
		.amdhsa_exception_fp_ieee_underflow 0
		.amdhsa_exception_fp_ieee_inexact 0
		.amdhsa_exception_int_div_zero 0
	.end_amdhsa_kernel
	.section	.text._ZN4vllm3moe22topkGatingSoftplusSqrtILi14ELi448ELi4ELi2ELi32ELb1El6__halfEEvPKT6_PKbPfiPT5_PiiiibdPKfPKS9_SF_,"axG",@progbits,_ZN4vllm3moe22topkGatingSoftplusSqrtILi14ELi448ELi4ELi2ELi32ELb1El6__halfEEvPKT6_PKbPfiPT5_PiiiibdPKfPKS9_SF_,comdat
.Lfunc_end354:
	.size	_ZN4vllm3moe22topkGatingSoftplusSqrtILi14ELi448ELi4ELi2ELi32ELb1El6__halfEEvPKT6_PKbPfiPT5_PiiiibdPKfPKS9_SF_, .Lfunc_end354-_ZN4vllm3moe22topkGatingSoftplusSqrtILi14ELi448ELi4ELi2ELi32ELb1El6__halfEEvPKT6_PKbPfiPT5_PiiiibdPKfPKS9_SF_
                                        ; -- End function
	.section	.AMDGPU.csdata,"",@progbits
; Kernel info:
; codeLenInByte = 5780
; NumSgprs: 64
; NumVgprs: 45
; NumAgprs: 0
; TotalNumVgprs: 45
; ScratchSize: 0
; MemoryBound: 0
; FloatMode: 240
; IeeeMode: 1
; LDSByteSize: 0 bytes/workgroup (compile time only)
; SGPRBlocks: 7
; VGPRBlocks: 5
; NumSGPRsForWavesPerEU: 64
; NumVGPRsForWavesPerEU: 45
; AccumOffset: 48
; Occupancy: 8
; WaveLimiterHint : 1
; COMPUTE_PGM_RSRC2:SCRATCH_EN: 0
; COMPUTE_PGM_RSRC2:USER_SGPR: 2
; COMPUTE_PGM_RSRC2:TRAP_HANDLER: 0
; COMPUTE_PGM_RSRC2:TGID_X_EN: 1
; COMPUTE_PGM_RSRC2:TGID_Y_EN: 0
; COMPUTE_PGM_RSRC2:TGID_Z_EN: 0
; COMPUTE_PGM_RSRC2:TIDIG_COMP_CNT: 1
; COMPUTE_PGM_RSRC3_GFX90A:ACCUM_OFFSET: 11
; COMPUTE_PGM_RSRC3_GFX90A:TG_SPLIT: 0
	.section	.text._ZN4vllm3moe22topkGatingSoftplusSqrtILi14ELi448ELi4ELi2ELi32ELb0El6__halfEEvPKT6_PKbPfiPT5_PiiiibdPKfPKS9_SF_,"axG",@progbits,_ZN4vllm3moe22topkGatingSoftplusSqrtILi14ELi448ELi4ELi2ELi32ELb0El6__halfEEvPKT6_PKbPfiPT5_PiiiibdPKfPKS9_SF_,comdat
	.protected	_ZN4vllm3moe22topkGatingSoftplusSqrtILi14ELi448ELi4ELi2ELi32ELb0El6__halfEEvPKT6_PKbPfiPT5_PiiiibdPKfPKS9_SF_ ; -- Begin function _ZN4vllm3moe22topkGatingSoftplusSqrtILi14ELi448ELi4ELi2ELi32ELb0El6__halfEEvPKT6_PKbPfiPT5_PiiiibdPKfPKS9_SF_
	.globl	_ZN4vllm3moe22topkGatingSoftplusSqrtILi14ELi448ELi4ELi2ELi32ELb0El6__halfEEvPKT6_PKbPfiPT5_PiiiibdPKfPKS9_SF_
	.p2align	8
	.type	_ZN4vllm3moe22topkGatingSoftplusSqrtILi14ELi448ELi4ELi2ELi32ELb0El6__halfEEvPKT6_PKbPfiPT5_PiiiibdPKfPKS9_SF_,@function
_ZN4vllm3moe22topkGatingSoftplusSqrtILi14ELi448ELi4ELi2ELi32ELb0El6__halfEEvPKT6_PKbPfiPT5_PiiiibdPKfPKS9_SF_: ; @_ZN4vllm3moe22topkGatingSoftplusSqrtILi14ELi448ELi4ELi2ELi32ELb0El6__halfEEvPKT6_PKbPfiPT5_PiiiibdPKfPKS9_SF_
; %bb.0:
	s_load_dword s30, s[0:1], 0x18
	v_and_b32_e32 v1, 0x3ff, v0
	s_lshl_b32 s2, s2, 2
	v_lshrrev_b32_e32 v2, 5, v1
	v_bfe_u32 v0, v0, 10, 10
	v_add3_u32 v14, s2, v0, v2
	s_waitcnt lgkmcnt(0)
	v_cmp_gt_i32_e32 vcc, s30, v14
	s_and_saveexec_b64 s[2:3], vcc
	s_cbranch_execz .LBB355_73
; %bb.1:
	s_load_dwordx4 s[4:7], s[0:1], 0x0
	s_load_dwordx2 s[20:21], s[0:1], 0x10
	s_waitcnt lgkmcnt(0)
	s_cmp_eq_u64 s[6:7], 0
	s_cbranch_scc1 .LBB355_3
; %bb.2:
	v_ashrrev_i32_e32 v15, 31, v14
	v_lshl_add_u64 v[2:3], s[6:7], 0, v[14:15]
	global_load_ubyte v0, v[2:3], off
	s_waitcnt vmcnt(0)
	v_and_b32_e32 v0, 1, v0
	v_cmp_eq_u32_e32 vcc, 1, v0
	s_xor_b64 s[2:3], vcc, -1
	s_orn2_b64 s[22:23], s[2:3], exec
	s_branch .LBB355_4
.LBB355_3:
	s_mov_b64 s[22:23], -1
.LBB355_4:
	s_movk_i32 s2, 0x1c0
	v_mul_lo_u32 v4, v14, s2
	v_mov_b32_e32 v2, s4
	v_mov_b32_e32 v3, s5
	v_ashrrev_i32_e32 v5, 31, v4
	v_and_b32_e32 v16, 31, v1
	v_lshl_add_u64 v[2:3], v[4:5], 1, v[2:3]
	v_mov_b32_e32 v1, 0
	v_lshlrev_b32_e32 v0, 1, v16
	v_lshl_add_u64 v[18:19], v[2:3], 0, v[0:1]
	global_load_ushort v0, v[18:19], off
	global_load_ushort v1, v[18:19], off offset:64
	global_load_ushort v2, v[18:19], off offset:128
	;; [unrolled: 1-line block ×13, first 2 shown]
	s_mov_b32 s16, 0x800000
	v_mov_b32_e32 v18, 0x4f800000
	s_mov_b32 s13, 0x3f317217
	s_mov_b32 s14, 0x7f800000
	v_mov_b32_e32 v19, 0x41b17218
	s_movk_i32 s12, 0x4d00
	s_mov_b32 s15, 0xf800000
	s_load_dwordx4 s[8:11], s[0:1], 0x40
	s_waitcnt lgkmcnt(0)
	s_cmp_lg_u64 s[10:11], 0
	s_cselect_b64 s[6:7], -1, 0
	s_and_b64 s[2:3], exec, s[6:7]
	s_waitcnt vmcnt(13)
	v_cvt_f32_f16_e32 v20, v0
	v_mul_f32_e32 v15, 0x3fb8aa3b, v20
	v_exp_f32_e32 v15, v15
	s_nop 0
	v_add_f32_e32 v15, 1.0, v15
	v_cmp_gt_f32_e32 vcc, s16, v15
	s_nop 1
	v_cndmask_b32_e32 v17, 1.0, v18, vcc
	v_mul_f32_e32 v15, v15, v17
	v_log_f32_e32 v21, v15
	v_cndmask_b32_e32 v22, 0, v19, vcc
	v_mov_b32_e32 v17, 0x260
	v_lshlrev_b32_e32 v15, 2, v16
	v_mul_f32_e32 v23, 0x3f317217, v21
	v_fma_f32 v23, v21, s13, -v23
	v_fmac_f32_e32 v23, 0x3377d1cf, v21
	v_fmac_f32_e32 v23, 0x3f317217, v21
	v_cmp_lt_f32_e64 vcc, |v21|, s14
	s_nop 1
	v_cndmask_b32_e32 v21, v21, v23, vcc
	v_sub_f32_e32 v21, v21, v22
	v_cmp_lt_f16_e32 vcc, s12, v0
	s_nop 1
	v_cndmask_b32_e32 v0, v21, v20, vcc
	v_mul_f32_e32 v20, 0x4f800000, v0
	v_cmp_gt_f32_e32 vcc, s15, v0
	s_nop 1
	v_cndmask_b32_e32 v0, v0, v20, vcc
	v_sqrt_f32_e32 v20, v0
	s_nop 0
	v_add_u32_e32 v21, -1, v20
	v_add_u32_e32 v22, 1, v20
	v_fma_f32 v23, -v21, v20, v0
	v_fma_f32 v24, -v22, v20, v0
	v_cmp_ge_f32_e64 s[4:5], 0, v23
	s_nop 1
	v_cndmask_b32_e64 v20, v20, v21, s[4:5]
	v_cmp_lt_f32_e64 s[4:5], 0, v24
	s_nop 1
	v_cndmask_b32_e64 v20, v20, v22, s[4:5]
	v_mul_f32_e32 v21, 0x37800000, v20
	v_cndmask_b32_e32 v20, v20, v21, vcc
	v_cmp_class_f32_e32 vcc, v0, v17
	s_nop 1
	v_cndmask_b32_e32 v0, v20, v0, vcc
	s_mov_b64 vcc, s[2:3]
	s_cbranch_vccz .LBB355_6
; %bb.5:
	global_load_dword v20, v15, s[10:11]
	s_waitcnt vmcnt(0)
	v_add_f32_e32 v0, v0, v20
.LBB355_6:
	s_waitcnt vmcnt(12)
	v_cvt_f32_f16_e32 v20, v1
	v_mul_f32_e32 v21, 0x3fb8aa3b, v20
	v_exp_f32_e32 v21, v21
	s_nop 0
	v_add_f32_e32 v21, 1.0, v21
	v_cmp_gt_f32_e32 vcc, s16, v21
	s_nop 1
	v_cndmask_b32_e32 v18, 1.0, v18, vcc
	v_mul_f32_e32 v18, v21, v18
	v_log_f32_e32 v18, v18
	v_cndmask_b32_e32 v19, 0, v19, vcc
	v_mul_f32_e32 v21, 0x3f317217, v18
	v_fma_f32 v21, v18, s13, -v21
	v_fmac_f32_e32 v21, 0x3377d1cf, v18
	v_fmac_f32_e32 v21, 0x3f317217, v18
	v_cmp_lt_f32_e64 vcc, |v18|, s14
	s_nop 1
	v_cndmask_b32_e32 v18, v18, v21, vcc
	v_sub_f32_e32 v18, v18, v19
	v_cmp_lt_f16_e32 vcc, s12, v1
	v_cndmask_b32_e64 v19, 0, 1, s[6:7]
	v_cmp_ne_u32_e64 s[2:3], 1, v19
	v_cndmask_b32_e32 v1, v18, v20, vcc
	v_mul_f32_e32 v18, 0x4f800000, v1
	v_cmp_gt_f32_e64 s[4:5], s15, v1
	s_andn2_b64 vcc, exec, s[6:7]
	s_nop 0
	v_cndmask_b32_e64 v1, v1, v18, s[4:5]
	v_sqrt_f32_e32 v18, v1
	s_nop 0
	v_add_u32_e32 v19, -1, v18
	v_add_u32_e32 v20, 1, v18
	v_fma_f32 v21, -v19, v18, v1
	v_fma_f32 v22, -v20, v18, v1
	v_cmp_ge_f32_e64 s[6:7], 0, v21
	s_nop 1
	v_cndmask_b32_e64 v18, v18, v19, s[6:7]
	v_cmp_lt_f32_e64 s[6:7], 0, v22
	s_nop 1
	v_cndmask_b32_e64 v18, v18, v20, s[6:7]
	v_mul_f32_e32 v19, 0x37800000, v18
	v_cndmask_b32_e64 v18, v18, v19, s[4:5]
	v_cmp_class_f32_e64 s[4:5], v1, v17
	s_nop 1
	v_cndmask_b32_e64 v1, v18, v1, s[4:5]
	s_cbranch_vccnz .LBB355_8
; %bb.7:
	global_load_dword v17, v15, s[10:11] offset:128
	s_waitcnt vmcnt(0)
	v_add_f32_e32 v1, v1, v17
.LBB355_8:
	s_waitcnt vmcnt(11)
	v_cvt_f32_f16_e32 v17, v2
	s_mov_b32 s12, 0x800000
	s_mov_b32 s7, 0x3f317217
	;; [unrolled: 1-line block ×3, first 2 shown]
	v_mul_f32_e32 v18, 0x3fb8aa3b, v17
	v_exp_f32_e32 v19, v18
	v_mov_b32_e32 v18, 0x4f800000
	s_movk_i32 s6, 0x4d00
	s_mov_b32 s14, 0xf800000
	v_add_f32_e32 v19, 1.0, v19
	v_cmp_gt_f32_e32 vcc, s12, v19
	s_nop 1
	v_cndmask_b32_e32 v20, 1.0, v18, vcc
	v_mul_f32_e32 v19, v19, v20
	v_log_f32_e32 v20, v19
	v_mov_b32_e32 v19, 0x41b17218
	v_cndmask_b32_e32 v21, 0, v19, vcc
	v_mul_f32_e32 v22, 0x3f317217, v20
	v_fma_f32 v22, v20, s7, -v22
	v_fmac_f32_e32 v22, 0x3377d1cf, v20
	v_fmac_f32_e32 v22, 0x3f317217, v20
	v_cmp_lt_f32_e64 vcc, |v20|, s13
	s_nop 1
	v_cndmask_b32_e32 v20, v20, v22, vcc
	v_sub_f32_e32 v20, v20, v21
	v_cmp_lt_f16_e32 vcc, s6, v2
	s_nop 1
	v_cndmask_b32_e32 v2, v20, v17, vcc
	v_mul_f32_e32 v17, 0x4f800000, v2
	v_cmp_gt_f32_e32 vcc, s14, v2
	s_nop 1
	v_cndmask_b32_e32 v2, v2, v17, vcc
	v_sqrt_f32_e32 v17, v2
	s_nop 0
	v_add_u32_e32 v20, -1, v17
	v_fma_f32 v21, -v20, v17, v2
	v_cmp_ge_f32_e64 s[4:5], 0, v21
	v_add_u32_e32 v21, 1, v17
	s_nop 0
	v_cndmask_b32_e64 v20, v17, v20, s[4:5]
	v_fma_f32 v17, -v21, v17, v2
	v_cmp_lt_f32_e64 s[4:5], 0, v17
	s_nop 1
	v_cndmask_b32_e64 v17, v20, v21, s[4:5]
	v_mul_f32_e32 v20, 0x37800000, v17
	v_cndmask_b32_e32 v20, v17, v20, vcc
	v_mov_b32_e32 v17, 0x260
	v_cmp_class_f32_e64 s[4:5], v2, v17
	s_and_b64 vcc, exec, s[2:3]
	s_nop 0
	v_cndmask_b32_e64 v2, v20, v2, s[4:5]
	s_cbranch_vccnz .LBB355_10
; %bb.9:
	global_load_dword v20, v15, s[10:11] offset:256
	s_waitcnt vmcnt(0)
	v_add_f32_e32 v2, v2, v20
.LBB355_10:
	s_waitcnt vmcnt(10)
	v_cvt_f32_f16_e32 v20, v3
	v_mul_f32_e32 v21, 0x3fb8aa3b, v20
	v_exp_f32_e32 v21, v21
	s_nop 0
	v_add_f32_e32 v21, 1.0, v21
	v_cmp_gt_f32_e32 vcc, s12, v21
	s_nop 1
	v_cndmask_b32_e32 v18, 1.0, v18, vcc
	v_mul_f32_e32 v18, v21, v18
	v_log_f32_e32 v18, v18
	v_cndmask_b32_e32 v19, 0, v19, vcc
	v_mul_f32_e32 v21, 0x3f317217, v18
	v_fma_f32 v21, v18, s7, -v21
	v_fmac_f32_e32 v21, 0x3377d1cf, v18
	v_fmac_f32_e32 v21, 0x3f317217, v18
	v_cmp_lt_f32_e64 vcc, |v18|, s13
	s_nop 1
	v_cndmask_b32_e32 v18, v18, v21, vcc
	v_sub_f32_e32 v18, v18, v19
	v_cmp_lt_f16_e32 vcc, s6, v3
	s_nop 1
	v_cndmask_b32_e32 v3, v18, v20, vcc
	v_mul_f32_e32 v18, 0x4f800000, v3
	v_cmp_gt_f32_e64 s[4:5], s14, v3
	s_and_b64 vcc, exec, s[2:3]
	s_nop 0
	v_cndmask_b32_e64 v3, v3, v18, s[4:5]
	v_sqrt_f32_e32 v18, v3
	s_nop 0
	v_add_u32_e32 v19, -1, v18
	v_add_u32_e32 v20, 1, v18
	v_fma_f32 v21, -v19, v18, v3
	v_fma_f32 v22, -v20, v18, v3
	v_cmp_ge_f32_e64 s[6:7], 0, v21
	s_nop 1
	v_cndmask_b32_e64 v18, v18, v19, s[6:7]
	v_cmp_lt_f32_e64 s[6:7], 0, v22
	s_nop 1
	v_cndmask_b32_e64 v18, v18, v20, s[6:7]
	v_mul_f32_e32 v19, 0x37800000, v18
	v_cndmask_b32_e64 v18, v18, v19, s[4:5]
	v_cmp_class_f32_e64 s[4:5], v3, v17
	s_nop 1
	v_cndmask_b32_e64 v3, v18, v3, s[4:5]
	s_cbranch_vccnz .LBB355_12
; %bb.11:
	global_load_dword v17, v15, s[10:11] offset:384
	s_waitcnt vmcnt(0)
	v_add_f32_e32 v3, v3, v17
.LBB355_12:
	s_waitcnt vmcnt(9)
	v_cvt_f32_f16_e32 v17, v4
	s_mov_b32 s7, 0x3f317217
	s_movk_i32 s6, 0x4d00
	v_mul_f32_e32 v18, 0x3fb8aa3b, v17
	v_exp_f32_e32 v19, v18
	v_mov_b32_e32 v18, 0x4f800000
	v_add_f32_e32 v19, 1.0, v19
	v_cmp_gt_f32_e32 vcc, s12, v19
	s_nop 1
	v_cndmask_b32_e32 v20, 1.0, v18, vcc
	v_mul_f32_e32 v19, v19, v20
	v_log_f32_e32 v20, v19
	v_mov_b32_e32 v19, 0x41b17218
	v_cndmask_b32_e32 v21, 0, v19, vcc
	v_mul_f32_e32 v22, 0x3f317217, v20
	v_fma_f32 v22, v20, s7, -v22
	v_fmac_f32_e32 v22, 0x3377d1cf, v20
	v_fmac_f32_e32 v22, 0x3f317217, v20
	v_cmp_lt_f32_e64 vcc, |v20|, s13
	s_nop 1
	v_cndmask_b32_e32 v20, v20, v22, vcc
	v_sub_f32_e32 v20, v20, v21
	v_cmp_lt_f16_e32 vcc, s6, v4
	s_nop 1
	v_cndmask_b32_e32 v4, v20, v17, vcc
	v_mul_f32_e32 v17, 0x4f800000, v4
	v_cmp_gt_f32_e32 vcc, s14, v4
	s_nop 1
	v_cndmask_b32_e32 v4, v4, v17, vcc
	v_sqrt_f32_e32 v17, v4
	s_nop 0
	v_add_u32_e32 v20, -1, v17
	v_fma_f32 v21, -v20, v17, v4
	v_cmp_ge_f32_e64 s[4:5], 0, v21
	v_add_u32_e32 v21, 1, v17
	s_nop 0
	v_cndmask_b32_e64 v20, v17, v20, s[4:5]
	v_fma_f32 v17, -v21, v17, v4
	v_cmp_lt_f32_e64 s[4:5], 0, v17
	s_nop 1
	v_cndmask_b32_e64 v17, v20, v21, s[4:5]
	v_mul_f32_e32 v20, 0x37800000, v17
	v_cndmask_b32_e32 v20, v17, v20, vcc
	v_mov_b32_e32 v17, 0x260
	v_cmp_class_f32_e64 s[4:5], v4, v17
	s_and_b64 vcc, exec, s[2:3]
	s_nop 0
	v_cndmask_b32_e64 v4, v20, v4, s[4:5]
	s_cbranch_vccnz .LBB355_14
; %bb.13:
	global_load_dword v20, v15, s[10:11] offset:512
	s_waitcnt vmcnt(0)
	v_add_f32_e32 v4, v4, v20
.LBB355_14:
	s_waitcnt vmcnt(8)
	v_cvt_f32_f16_e32 v20, v5
	v_mul_f32_e32 v21, 0x3fb8aa3b, v20
	v_exp_f32_e32 v21, v21
	s_nop 0
	v_add_f32_e32 v21, 1.0, v21
	v_cmp_gt_f32_e32 vcc, s12, v21
	s_nop 1
	v_cndmask_b32_e32 v18, 1.0, v18, vcc
	v_mul_f32_e32 v18, v21, v18
	v_log_f32_e32 v18, v18
	v_cndmask_b32_e32 v19, 0, v19, vcc
	v_mul_f32_e32 v21, 0x3f317217, v18
	v_fma_f32 v21, v18, s7, -v21
	v_fmac_f32_e32 v21, 0x3377d1cf, v18
	v_fmac_f32_e32 v21, 0x3f317217, v18
	v_cmp_lt_f32_e64 vcc, |v18|, s13
	s_nop 1
	v_cndmask_b32_e32 v18, v18, v21, vcc
	v_sub_f32_e32 v18, v18, v19
	v_cmp_lt_f16_e32 vcc, s6, v5
	s_nop 1
	v_cndmask_b32_e32 v5, v18, v20, vcc
	v_mul_f32_e32 v18, 0x4f800000, v5
	v_cmp_gt_f32_e64 s[4:5], s14, v5
	s_and_b64 vcc, exec, s[2:3]
	s_nop 0
	v_cndmask_b32_e64 v5, v5, v18, s[4:5]
	v_sqrt_f32_e32 v18, v5
	s_nop 0
	v_add_u32_e32 v19, -1, v18
	v_add_u32_e32 v20, 1, v18
	v_fma_f32 v21, -v19, v18, v5
	v_fma_f32 v22, -v20, v18, v5
	v_cmp_ge_f32_e64 s[6:7], 0, v21
	s_nop 1
	v_cndmask_b32_e64 v18, v18, v19, s[6:7]
	v_cmp_lt_f32_e64 s[6:7], 0, v22
	s_nop 1
	v_cndmask_b32_e64 v18, v18, v20, s[6:7]
	v_mul_f32_e32 v19, 0x37800000, v18
	v_cndmask_b32_e64 v18, v18, v19, s[4:5]
	v_cmp_class_f32_e64 s[4:5], v5, v17
	s_nop 1
	v_cndmask_b32_e64 v5, v18, v5, s[4:5]
	s_cbranch_vccnz .LBB355_16
; %bb.15:
	global_load_dword v17, v15, s[10:11] offset:640
	s_waitcnt vmcnt(0)
	v_add_f32_e32 v5, v5, v17
.LBB355_16:
	s_waitcnt vmcnt(7)
	v_cvt_f32_f16_e32 v17, v6
	s_mov_b32 s7, 0x3f317217
	s_movk_i32 s6, 0x4d00
	v_mul_f32_e32 v18, 0x3fb8aa3b, v17
	v_exp_f32_e32 v19, v18
	v_mov_b32_e32 v18, 0x4f800000
	v_add_f32_e32 v19, 1.0, v19
	v_cmp_gt_f32_e32 vcc, s12, v19
	s_nop 1
	v_cndmask_b32_e32 v20, 1.0, v18, vcc
	v_mul_f32_e32 v19, v19, v20
	v_log_f32_e32 v20, v19
	v_mov_b32_e32 v19, 0x41b17218
	v_cndmask_b32_e32 v21, 0, v19, vcc
	v_mul_f32_e32 v22, 0x3f317217, v20
	v_fma_f32 v22, v20, s7, -v22
	v_fmac_f32_e32 v22, 0x3377d1cf, v20
	v_fmac_f32_e32 v22, 0x3f317217, v20
	v_cmp_lt_f32_e64 vcc, |v20|, s13
	s_nop 1
	v_cndmask_b32_e32 v20, v20, v22, vcc
	v_sub_f32_e32 v20, v20, v21
	v_cmp_lt_f16_e32 vcc, s6, v6
	s_nop 1
	v_cndmask_b32_e32 v6, v20, v17, vcc
	v_mul_f32_e32 v17, 0x4f800000, v6
	v_cmp_gt_f32_e32 vcc, s14, v6
	s_nop 1
	v_cndmask_b32_e32 v6, v6, v17, vcc
	v_sqrt_f32_e32 v17, v6
	s_nop 0
	v_add_u32_e32 v20, -1, v17
	v_fma_f32 v21, -v20, v17, v6
	v_cmp_ge_f32_e64 s[4:5], 0, v21
	v_add_u32_e32 v21, 1, v17
	s_nop 0
	v_cndmask_b32_e64 v20, v17, v20, s[4:5]
	v_fma_f32 v17, -v21, v17, v6
	v_cmp_lt_f32_e64 s[4:5], 0, v17
	s_nop 1
	v_cndmask_b32_e64 v17, v20, v21, s[4:5]
	v_mul_f32_e32 v20, 0x37800000, v17
	v_cndmask_b32_e32 v20, v17, v20, vcc
	v_mov_b32_e32 v17, 0x260
	v_cmp_class_f32_e64 s[4:5], v6, v17
	s_and_b64 vcc, exec, s[2:3]
	s_nop 0
	v_cndmask_b32_e64 v6, v20, v6, s[4:5]
	s_cbranch_vccnz .LBB355_18
; %bb.17:
	global_load_dword v20, v15, s[10:11] offset:768
	s_waitcnt vmcnt(0)
	v_add_f32_e32 v6, v6, v20
.LBB355_18:
	s_waitcnt vmcnt(6)
	v_cvt_f32_f16_e32 v20, v7
	v_mul_f32_e32 v21, 0x3fb8aa3b, v20
	v_exp_f32_e32 v21, v21
	s_nop 0
	v_add_f32_e32 v21, 1.0, v21
	v_cmp_gt_f32_e32 vcc, s12, v21
	s_nop 1
	v_cndmask_b32_e32 v18, 1.0, v18, vcc
	v_mul_f32_e32 v18, v21, v18
	v_log_f32_e32 v18, v18
	v_cndmask_b32_e32 v19, 0, v19, vcc
	v_mul_f32_e32 v21, 0x3f317217, v18
	v_fma_f32 v21, v18, s7, -v21
	v_fmac_f32_e32 v21, 0x3377d1cf, v18
	v_fmac_f32_e32 v21, 0x3f317217, v18
	v_cmp_lt_f32_e64 vcc, |v18|, s13
	s_nop 1
	v_cndmask_b32_e32 v18, v18, v21, vcc
	v_sub_f32_e32 v18, v18, v19
	v_cmp_lt_f16_e32 vcc, s6, v7
	s_nop 1
	v_cndmask_b32_e32 v7, v18, v20, vcc
	v_mul_f32_e32 v18, 0x4f800000, v7
	v_cmp_gt_f32_e64 s[4:5], s14, v7
	s_and_b64 vcc, exec, s[2:3]
	s_nop 0
	v_cndmask_b32_e64 v7, v7, v18, s[4:5]
	v_sqrt_f32_e32 v18, v7
	s_nop 0
	v_add_u32_e32 v19, -1, v18
	v_add_u32_e32 v20, 1, v18
	v_fma_f32 v21, -v19, v18, v7
	v_fma_f32 v22, -v20, v18, v7
	v_cmp_ge_f32_e64 s[6:7], 0, v21
	s_nop 1
	v_cndmask_b32_e64 v18, v18, v19, s[6:7]
	v_cmp_lt_f32_e64 s[6:7], 0, v22
	s_nop 1
	v_cndmask_b32_e64 v18, v18, v20, s[6:7]
	v_mul_f32_e32 v19, 0x37800000, v18
	v_cndmask_b32_e64 v18, v18, v19, s[4:5]
	v_cmp_class_f32_e64 s[4:5], v7, v17
	s_nop 1
	v_cndmask_b32_e64 v7, v18, v7, s[4:5]
	s_cbranch_vccnz .LBB355_20
; %bb.19:
	global_load_dword v17, v15, s[10:11] offset:896
	s_waitcnt vmcnt(0)
	v_add_f32_e32 v7, v7, v17
.LBB355_20:
	s_waitcnt vmcnt(5)
	v_cvt_f32_f16_e32 v17, v8
	s_mov_b32 s7, 0x3f317217
	s_movk_i32 s6, 0x4d00
	v_mul_f32_e32 v18, 0x3fb8aa3b, v17
	v_exp_f32_e32 v19, v18
	v_mov_b32_e32 v18, 0x4f800000
	v_add_f32_e32 v19, 1.0, v19
	v_cmp_gt_f32_e32 vcc, s12, v19
	s_nop 1
	v_cndmask_b32_e32 v20, 1.0, v18, vcc
	v_mul_f32_e32 v19, v19, v20
	v_log_f32_e32 v20, v19
	v_mov_b32_e32 v19, 0x41b17218
	v_cndmask_b32_e32 v21, 0, v19, vcc
	v_mul_f32_e32 v22, 0x3f317217, v20
	v_fma_f32 v22, v20, s7, -v22
	v_fmac_f32_e32 v22, 0x3377d1cf, v20
	v_fmac_f32_e32 v22, 0x3f317217, v20
	v_cmp_lt_f32_e64 vcc, |v20|, s13
	s_nop 1
	v_cndmask_b32_e32 v20, v20, v22, vcc
	v_sub_f32_e32 v20, v20, v21
	v_cmp_lt_f16_e32 vcc, s6, v8
	s_nop 1
	v_cndmask_b32_e32 v8, v20, v17, vcc
	v_mul_f32_e32 v17, 0x4f800000, v8
	v_cmp_gt_f32_e32 vcc, s14, v8
	s_nop 1
	v_cndmask_b32_e32 v8, v8, v17, vcc
	v_sqrt_f32_e32 v17, v8
	s_nop 0
	v_add_u32_e32 v20, -1, v17
	v_fma_f32 v21, -v20, v17, v8
	v_cmp_ge_f32_e64 s[4:5], 0, v21
	v_add_u32_e32 v21, 1, v17
	s_nop 0
	v_cndmask_b32_e64 v20, v17, v20, s[4:5]
	v_fma_f32 v17, -v21, v17, v8
	v_cmp_lt_f32_e64 s[4:5], 0, v17
	s_nop 1
	v_cndmask_b32_e64 v17, v20, v21, s[4:5]
	v_mul_f32_e32 v20, 0x37800000, v17
	v_cndmask_b32_e32 v20, v17, v20, vcc
	v_mov_b32_e32 v17, 0x260
	v_cmp_class_f32_e64 s[4:5], v8, v17
	s_and_b64 vcc, exec, s[2:3]
	s_nop 0
	v_cndmask_b32_e64 v8, v20, v8, s[4:5]
	s_cbranch_vccnz .LBB355_22
; %bb.21:
	global_load_dword v20, v15, s[10:11] offset:1024
	s_waitcnt vmcnt(0)
	v_add_f32_e32 v8, v8, v20
.LBB355_22:
	s_waitcnt vmcnt(4)
	v_cvt_f32_f16_e32 v20, v9
	v_mul_f32_e32 v21, 0x3fb8aa3b, v20
	v_exp_f32_e32 v21, v21
	s_nop 0
	v_add_f32_e32 v21, 1.0, v21
	v_cmp_gt_f32_e32 vcc, s12, v21
	s_nop 1
	v_cndmask_b32_e32 v18, 1.0, v18, vcc
	v_mul_f32_e32 v18, v21, v18
	v_log_f32_e32 v18, v18
	v_cndmask_b32_e32 v19, 0, v19, vcc
	v_mul_f32_e32 v21, 0x3f317217, v18
	v_fma_f32 v21, v18, s7, -v21
	v_fmac_f32_e32 v21, 0x3377d1cf, v18
	v_fmac_f32_e32 v21, 0x3f317217, v18
	v_cmp_lt_f32_e64 vcc, |v18|, s13
	s_nop 1
	v_cndmask_b32_e32 v18, v18, v21, vcc
	v_sub_f32_e32 v18, v18, v19
	v_cmp_lt_f16_e32 vcc, s6, v9
	s_nop 1
	v_cndmask_b32_e32 v9, v18, v20, vcc
	v_mul_f32_e32 v18, 0x4f800000, v9
	v_cmp_gt_f32_e64 s[4:5], s14, v9
	s_and_b64 vcc, exec, s[2:3]
	s_nop 0
	v_cndmask_b32_e64 v9, v9, v18, s[4:5]
	v_sqrt_f32_e32 v18, v9
	s_nop 0
	v_add_u32_e32 v19, -1, v18
	v_add_u32_e32 v20, 1, v18
	v_fma_f32 v21, -v19, v18, v9
	v_fma_f32 v22, -v20, v18, v9
	v_cmp_ge_f32_e64 s[6:7], 0, v21
	s_nop 1
	v_cndmask_b32_e64 v18, v18, v19, s[6:7]
	v_cmp_lt_f32_e64 s[6:7], 0, v22
	s_nop 1
	v_cndmask_b32_e64 v18, v18, v20, s[6:7]
	v_mul_f32_e32 v19, 0x37800000, v18
	v_cndmask_b32_e64 v18, v18, v19, s[4:5]
	v_cmp_class_f32_e64 s[4:5], v9, v17
	s_nop 1
	v_cndmask_b32_e64 v9, v18, v9, s[4:5]
	s_cbranch_vccnz .LBB355_24
; %bb.23:
	global_load_dword v17, v15, s[10:11] offset:1152
	s_waitcnt vmcnt(0)
	v_add_f32_e32 v9, v9, v17
.LBB355_24:
	s_waitcnt vmcnt(3)
	v_cvt_f32_f16_e32 v17, v10
	s_mov_b32 s7, 0x3f317217
	s_movk_i32 s6, 0x4d00
	v_mul_f32_e32 v18, 0x3fb8aa3b, v17
	v_exp_f32_e32 v19, v18
	v_mov_b32_e32 v18, 0x4f800000
	v_add_f32_e32 v19, 1.0, v19
	v_cmp_gt_f32_e32 vcc, s12, v19
	s_nop 1
	v_cndmask_b32_e32 v20, 1.0, v18, vcc
	v_mul_f32_e32 v19, v19, v20
	v_log_f32_e32 v20, v19
	v_mov_b32_e32 v19, 0x41b17218
	v_cndmask_b32_e32 v21, 0, v19, vcc
	v_mul_f32_e32 v22, 0x3f317217, v20
	v_fma_f32 v22, v20, s7, -v22
	v_fmac_f32_e32 v22, 0x3377d1cf, v20
	v_fmac_f32_e32 v22, 0x3f317217, v20
	v_cmp_lt_f32_e64 vcc, |v20|, s13
	s_nop 1
	v_cndmask_b32_e32 v20, v20, v22, vcc
	v_sub_f32_e32 v20, v20, v21
	v_cmp_lt_f16_e32 vcc, s6, v10
	s_nop 1
	v_cndmask_b32_e32 v10, v20, v17, vcc
	v_mul_f32_e32 v17, 0x4f800000, v10
	v_cmp_gt_f32_e32 vcc, s14, v10
	s_nop 1
	v_cndmask_b32_e32 v10, v10, v17, vcc
	v_sqrt_f32_e32 v17, v10
	s_nop 0
	v_add_u32_e32 v20, -1, v17
	v_fma_f32 v21, -v20, v17, v10
	v_cmp_ge_f32_e64 s[4:5], 0, v21
	v_add_u32_e32 v21, 1, v17
	s_nop 0
	v_cndmask_b32_e64 v20, v17, v20, s[4:5]
	v_fma_f32 v17, -v21, v17, v10
	v_cmp_lt_f32_e64 s[4:5], 0, v17
	s_nop 1
	v_cndmask_b32_e64 v17, v20, v21, s[4:5]
	v_mul_f32_e32 v20, 0x37800000, v17
	v_cndmask_b32_e32 v20, v17, v20, vcc
	v_mov_b32_e32 v17, 0x260
	v_cmp_class_f32_e64 s[4:5], v10, v17
	s_and_b64 vcc, exec, s[2:3]
	s_nop 0
	v_cndmask_b32_e64 v10, v20, v10, s[4:5]
	s_cbranch_vccnz .LBB355_26
; %bb.25:
	global_load_dword v20, v15, s[10:11] offset:1280
	s_waitcnt vmcnt(0)
	v_add_f32_e32 v10, v10, v20
.LBB355_26:
	s_waitcnt vmcnt(2)
	v_cvt_f32_f16_e32 v20, v11
	v_mul_f32_e32 v21, 0x3fb8aa3b, v20
	v_exp_f32_e32 v21, v21
	s_nop 0
	v_add_f32_e32 v21, 1.0, v21
	v_cmp_gt_f32_e32 vcc, s12, v21
	s_nop 1
	v_cndmask_b32_e32 v18, 1.0, v18, vcc
	v_mul_f32_e32 v18, v21, v18
	v_log_f32_e32 v18, v18
	v_cndmask_b32_e32 v19, 0, v19, vcc
	v_mul_f32_e32 v21, 0x3f317217, v18
	v_fma_f32 v21, v18, s7, -v21
	v_fmac_f32_e32 v21, 0x3377d1cf, v18
	v_fmac_f32_e32 v21, 0x3f317217, v18
	v_cmp_lt_f32_e64 vcc, |v18|, s13
	s_nop 1
	v_cndmask_b32_e32 v18, v18, v21, vcc
	v_sub_f32_e32 v18, v18, v19
	v_cmp_lt_f16_e32 vcc, s6, v11
	s_nop 1
	v_cndmask_b32_e32 v11, v18, v20, vcc
	v_mul_f32_e32 v18, 0x4f800000, v11
	v_cmp_gt_f32_e64 s[4:5], s14, v11
	s_and_b64 vcc, exec, s[2:3]
	s_nop 0
	v_cndmask_b32_e64 v11, v11, v18, s[4:5]
	v_sqrt_f32_e32 v18, v11
	s_nop 0
	v_add_u32_e32 v19, -1, v18
	v_add_u32_e32 v20, 1, v18
	v_fma_f32 v21, -v19, v18, v11
	v_fma_f32 v22, -v20, v18, v11
	v_cmp_ge_f32_e64 s[6:7], 0, v21
	s_nop 1
	v_cndmask_b32_e64 v18, v18, v19, s[6:7]
	v_cmp_lt_f32_e64 s[6:7], 0, v22
	s_nop 1
	v_cndmask_b32_e64 v18, v18, v20, s[6:7]
	v_mul_f32_e32 v19, 0x37800000, v18
	v_cndmask_b32_e64 v18, v18, v19, s[4:5]
	v_cmp_class_f32_e64 s[4:5], v11, v17
	s_nop 1
	v_cndmask_b32_e64 v11, v18, v11, s[4:5]
	s_cbranch_vccnz .LBB355_28
; %bb.27:
	global_load_dword v17, v15, s[10:11] offset:1408
	s_waitcnt vmcnt(0)
	v_add_f32_e32 v11, v11, v17
.LBB355_28:
	s_waitcnt vmcnt(1)
	v_cvt_f32_f16_e32 v17, v12
	s_mov_b32 s7, 0x3f317217
	s_movk_i32 s6, 0x4d00
	v_mul_f32_e32 v18, 0x3fb8aa3b, v17
	v_exp_f32_e32 v19, v18
	v_mov_b32_e32 v18, 0x4f800000
	v_add_f32_e32 v19, 1.0, v19
	v_cmp_gt_f32_e32 vcc, s12, v19
	s_nop 1
	v_cndmask_b32_e32 v20, 1.0, v18, vcc
	v_mul_f32_e32 v19, v19, v20
	v_log_f32_e32 v20, v19
	v_mov_b32_e32 v19, 0x41b17218
	v_cndmask_b32_e32 v21, 0, v19, vcc
	v_mul_f32_e32 v22, 0x3f317217, v20
	v_fma_f32 v22, v20, s7, -v22
	v_fmac_f32_e32 v22, 0x3377d1cf, v20
	v_fmac_f32_e32 v22, 0x3f317217, v20
	v_cmp_lt_f32_e64 vcc, |v20|, s13
	s_nop 1
	v_cndmask_b32_e32 v20, v20, v22, vcc
	v_sub_f32_e32 v20, v20, v21
	v_cmp_lt_f16_e32 vcc, s6, v12
	s_nop 1
	v_cndmask_b32_e32 v12, v20, v17, vcc
	v_mul_f32_e32 v17, 0x4f800000, v12
	v_cmp_gt_f32_e32 vcc, s14, v12
	s_nop 1
	v_cndmask_b32_e32 v12, v12, v17, vcc
	v_sqrt_f32_e32 v17, v12
	s_nop 0
	v_add_u32_e32 v20, -1, v17
	v_fma_f32 v21, -v20, v17, v12
	v_cmp_ge_f32_e64 s[4:5], 0, v21
	v_add_u32_e32 v21, 1, v17
	s_nop 0
	v_cndmask_b32_e64 v20, v17, v20, s[4:5]
	v_fma_f32 v17, -v21, v17, v12
	v_cmp_lt_f32_e64 s[4:5], 0, v17
	s_nop 1
	v_cndmask_b32_e64 v17, v20, v21, s[4:5]
	v_mul_f32_e32 v20, 0x37800000, v17
	v_cndmask_b32_e32 v20, v17, v20, vcc
	v_mov_b32_e32 v17, 0x260
	v_cmp_class_f32_e64 s[4:5], v12, v17
	s_and_b64 vcc, exec, s[2:3]
	s_nop 0
	v_cndmask_b32_e64 v12, v20, v12, s[4:5]
	s_cbranch_vccnz .LBB355_30
; %bb.29:
	global_load_dword v20, v15, s[10:11] offset:1536
	s_waitcnt vmcnt(0)
	v_add_f32_e32 v12, v12, v20
.LBB355_30:
	s_waitcnt vmcnt(0)
	v_cvt_f32_f16_e32 v20, v13
	v_mul_f32_e32 v21, 0x3fb8aa3b, v20
	v_exp_f32_e32 v21, v21
	s_nop 0
	v_add_f32_e32 v21, 1.0, v21
	v_cmp_gt_f32_e32 vcc, s12, v21
	s_nop 1
	v_cndmask_b32_e32 v18, 1.0, v18, vcc
	v_mul_f32_e32 v18, v21, v18
	v_log_f32_e32 v18, v18
	v_cndmask_b32_e32 v19, 0, v19, vcc
	v_mul_f32_e32 v21, 0x3f317217, v18
	v_fma_f32 v21, v18, s7, -v21
	v_fmac_f32_e32 v21, 0x3377d1cf, v18
	v_fmac_f32_e32 v21, 0x3f317217, v18
	v_cmp_lt_f32_e64 vcc, |v18|, s13
	s_nop 1
	v_cndmask_b32_e32 v18, v18, v21, vcc
	v_sub_f32_e32 v18, v18, v19
	v_cmp_lt_f16_e32 vcc, s6, v13
	s_nop 1
	v_cndmask_b32_e32 v13, v18, v20, vcc
	v_mul_f32_e32 v18, 0x4f800000, v13
	v_cmp_gt_f32_e64 s[4:5], s14, v13
	s_and_b64 vcc, exec, s[2:3]
	s_nop 0
	v_cndmask_b32_e64 v13, v13, v18, s[4:5]
	v_sqrt_f32_e32 v18, v13
	s_nop 0
	v_add_u32_e32 v19, -1, v18
	v_add_u32_e32 v20, 1, v18
	v_fma_f32 v21, -v19, v18, v13
	v_fma_f32 v22, -v20, v18, v13
	v_cmp_ge_f32_e64 s[6:7], 0, v21
	s_nop 1
	v_cndmask_b32_e64 v18, v18, v19, s[6:7]
	v_cmp_lt_f32_e64 s[6:7], 0, v22
	s_nop 1
	v_cndmask_b32_e64 v18, v18, v20, s[6:7]
	v_mul_f32_e32 v19, 0x37800000, v18
	v_cndmask_b32_e64 v18, v18, v19, s[4:5]
	v_cmp_class_f32_e64 s[4:5], v13, v17
	s_nop 1
	v_cndmask_b32_e64 v13, v18, v13, s[4:5]
	s_cbranch_vccnz .LBB355_32
; %bb.31:
	global_load_dword v15, v15, s[10:11] offset:1664
	s_waitcnt vmcnt(0)
	v_add_f32_e32 v13, v13, v15
.LBB355_32:
	s_load_dwordx4 s[12:15], s[0:1], 0x30
	s_mov_b32 s31, 0
	v_cmp_eq_u32_e64 s[6:7], 0, v16
	s_waitcnt lgkmcnt(0)
	s_bitcmp1_b32 s15, 0
	s_cselect_b64 s[4:5], -1, 0
	s_cmp_gt_i32 s12, 0
	s_cselect_b64 s[24:25], -1, 0
	s_and_b64 vcc, exec, s[24:25]
	s_cbranch_vccz .LBB355_59
; %bb.33:
	v_mbcnt_lo_u32_b32 v15, -1, 0
	v_mbcnt_hi_u32_b32 v18, -1, v15
	v_and_b32_e32 v15, 0x60, v18
	v_add_u32_e32 v19, 32, v15
	v_xor_b32_e32 v24, 16, v18
	v_cmp_lt_i32_e32 vcc, v24, v19
	s_load_dwordx4 s[16:19], s[0:1], 0x20
	v_mul_lo_u32 v15, v14, s12
	v_cndmask_b32_e32 v24, v18, v24, vcc
	v_lshlrev_b32_e32 v33, 2, v24
	v_xor_b32_e32 v24, 8, v18
	v_cmp_lt_i32_e32 vcc, v24, v19
	v_or_b32_e32 v17, 32, v16
	v_or_b32_e32 v20, 64, v16
	v_cndmask_b32_e32 v24, v18, v24, vcc
	v_lshlrev_b32_e32 v34, 2, v24
	v_xor_b32_e32 v24, 4, v18
	v_cmp_lt_i32_e32 vcc, v24, v19
	v_or_b32_e32 v21, 0x60, v16
	v_or_b32_e32 v22, 0x80, v16
	;; [unrolled: 6-line block ×4, first 2 shown]
	v_cndmask_b32_e32 v18, v18, v24, vcc
	v_or_b32_e32 v28, 0x120, v16
	v_or_b32_e32 v29, 0x140, v16
	v_or_b32_e32 v30, 0x160, v16
	v_or_b32_e32 v31, 0x180, v16
	v_or_b32_e32 v32, 0x1a0, v16
	v_lshlrev_b32_e32 v37, 2, v18
	v_mov_b32_e32 v24, 0
	v_mov_b32_e32 v38, 0x1c0
	;; [unrolled: 1-line block ×4, first 2 shown]
	s_branch .LBB355_36
.LBB355_34:                             ;   in Loop: Header=BB355_36 Depth=1
	s_waitcnt lgkmcnt(0)
	v_add_u32_e32 v42, s31, v15
	v_ashrrev_i32_e32 v43, 31, v42
	v_cmp_le_i32_e32 vcc, s13, v18
	v_cmp_gt_i32_e64 s[0:1], s14, v18
	v_lshlrev_b64 v[44:45], 2, v[42:43]
	s_and_b64 s[0:1], vcc, s[0:1]
	v_lshl_add_u64 v[46:47], s[20:21], 0, v[44:45]
	v_subrev_u32_e32 v19, s13, v18
	global_store_dword v[46:47], v41, off
	v_ashrrev_i32_e32 v46, 31, v19
	s_and_b64 vcc, s[22:23], s[0:1]
	v_cndmask_b32_e32 v47, 0, v46, vcc
	v_cndmask_b32_e32 v46, v38, v19, vcc
	v_lshl_add_u64 v[42:43], v[42:43], 3, s[16:17]
	v_add_f32_e32 v19, v24, v41
	global_store_dwordx2 v[42:43], v[46:47], off
	v_lshl_add_u64 v[42:43], s[18:19], 0, v[44:45]
	v_cndmask_b32_e64 v24, v24, v19, s[4:5]
	global_store_dword v[42:43], v40, off
.LBB355_35:                             ;   in Loop: Header=BB355_36 Depth=1
	s_or_b64 exec, exec, s[26:27]
	v_ashrrev_i32_e32 v19, 31, v18
	v_lshrrev_b32_e32 v19, 27, v19
	v_add_u32_e32 v19, v18, v19
	v_and_b32_e32 v41, 0xffffffe0, v19
	v_sub_u32_e32 v18, v18, v41
	s_add_i32 s31, s31, 1
	v_cmp_eq_u32_e32 vcc, v16, v18
	s_cmp_lt_i32 s31, s12
	v_ashrrev_i32_e32 v18, 5, v19
	s_cselect_b64 s[26:27], -1, 0
	v_cmp_ne_u32_e64 s[0:1], 13, v18
	s_and_b64 vcc, s[26:27], vcc
	s_cmp_eq_u32 s12, s31
	v_cndmask_b32_e64 v19, v39, v13, s[0:1]
	v_cmp_ne_u32_e64 s[0:1], 12, v18
	v_cndmask_b32_e32 v13, v13, v19, vcc
	v_add_u32_e32 v40, s30, v40
	v_cndmask_b32_e64 v19, v39, v12, s[0:1]
	v_cmp_ne_u32_e64 s[0:1], 11, v18
	v_cndmask_b32_e32 v12, v12, v19, vcc
	s_nop 0
	v_cndmask_b32_e64 v19, v39, v11, s[0:1]
	v_cmp_ne_u32_e64 s[0:1], 10, v18
	v_cndmask_b32_e32 v11, v11, v19, vcc
	s_nop 0
	;; [unrolled: 4-line block ×12, first 2 shown]
	v_cndmask_b32_e64 v18, v39, v0, s[0:1]
	v_cndmask_b32_e32 v0, v0, v18, vcc
	s_cbranch_scc1 .LBB355_60
.LBB355_36:                             ; =>This Inner Loop Header: Depth=1
	v_cmp_gt_f32_e32 vcc, v1, v0
	s_nop 1
	v_cndmask_b32_e32 v19, v0, v1, vcc
	v_cndmask_b32_e32 v18, v16, v17, vcc
	v_cmp_gt_f32_e32 vcc, v2, v19
	s_nop 1
	v_cndmask_b32_e32 v19, v19, v2, vcc
	v_cndmask_b32_e32 v18, v18, v20, vcc
	v_cmp_gt_f32_e32 vcc, v3, v19
	s_nop 1
	v_cndmask_b32_e32 v19, v19, v3, vcc
	v_cndmask_b32_e32 v18, v18, v21, vcc
	v_cmp_gt_f32_e32 vcc, v4, v19
	s_nop 1
	v_cndmask_b32_e32 v19, v19, v4, vcc
	v_cndmask_b32_e32 v18, v18, v22, vcc
	v_cmp_gt_f32_e32 vcc, v5, v19
	s_nop 1
	v_cndmask_b32_e32 v19, v19, v5, vcc
	v_cndmask_b32_e32 v18, v18, v23, vcc
	v_cmp_gt_f32_e32 vcc, v6, v19
	s_nop 1
	v_cndmask_b32_e32 v19, v19, v6, vcc
	v_cndmask_b32_e32 v18, v18, v25, vcc
	v_cmp_gt_f32_e32 vcc, v7, v19
	s_nop 1
	v_cndmask_b32_e32 v19, v19, v7, vcc
	v_cndmask_b32_e32 v18, v18, v26, vcc
	v_cmp_gt_f32_e32 vcc, v8, v19
	s_nop 1
	v_cndmask_b32_e32 v19, v19, v8, vcc
	v_cndmask_b32_e32 v18, v18, v27, vcc
	v_cmp_gt_f32_e32 vcc, v9, v19
	s_nop 1
	v_cndmask_b32_e32 v19, v19, v9, vcc
	v_cndmask_b32_e32 v18, v18, v28, vcc
	v_cmp_gt_f32_e32 vcc, v10, v19
	s_nop 1
	v_cndmask_b32_e32 v19, v19, v10, vcc
	v_cndmask_b32_e32 v18, v18, v29, vcc
	v_cmp_gt_f32_e32 vcc, v11, v19
	s_nop 1
	v_cndmask_b32_e32 v19, v19, v11, vcc
	v_cndmask_b32_e32 v18, v18, v30, vcc
	v_cmp_gt_f32_e32 vcc, v12, v19
	s_nop 1
	v_cndmask_b32_e32 v19, v19, v12, vcc
	v_cndmask_b32_e32 v18, v18, v31, vcc
	v_cmp_gt_f32_e32 vcc, v13, v19
	s_nop 1
	v_cndmask_b32_e32 v41, v19, v13, vcc
	v_cndmask_b32_e32 v18, v18, v32, vcc
	ds_bpermute_b32 v19, v33, v41
	s_waitcnt lgkmcnt(0)
	ds_bpermute_b32 v42, v33, v18
	s_waitcnt lgkmcnt(0)
	v_cmp_lt_f32_e64 s[26:27], v41, v19
	v_cmp_nlt_f32_e32 vcc, v41, v19
	s_and_saveexec_b64 s[28:29], vcc
; %bb.37:                               ;   in Loop: Header=BB355_36 Depth=1
	v_cmp_eq_f32_e32 vcc, v41, v19
	v_cmp_lt_i32_e64 s[0:1], v42, v18
	s_and_b64 s[0:1], vcc, s[0:1]
	s_andn2_b64 s[26:27], s[26:27], exec
	s_and_b64 s[0:1], s[0:1], exec
	s_or_b64 s[26:27], s[26:27], s[0:1]
; %bb.38:                               ;   in Loop: Header=BB355_36 Depth=1
	s_or_b64 exec, exec, s[28:29]
	s_and_saveexec_b64 s[0:1], s[26:27]
; %bb.39:                               ;   in Loop: Header=BB355_36 Depth=1
	v_mov_b32_e32 v41, v19
	v_mov_b32_e32 v18, v42
; %bb.40:                               ;   in Loop: Header=BB355_36 Depth=1
	s_or_b64 exec, exec, s[0:1]
	ds_bpermute_b32 v19, v34, v41
	ds_bpermute_b32 v42, v34, v18
	s_waitcnt lgkmcnt(1)
	v_cmp_lt_f32_e64 s[26:27], v41, v19
	v_cmp_nlt_f32_e32 vcc, v41, v19
	s_and_saveexec_b64 s[28:29], vcc
	s_cbranch_execz .LBB355_42
; %bb.41:                               ;   in Loop: Header=BB355_36 Depth=1
	v_cmp_eq_f32_e32 vcc, v41, v19
	s_waitcnt lgkmcnt(0)
	v_cmp_lt_i32_e64 s[0:1], v42, v18
	s_and_b64 s[0:1], vcc, s[0:1]
	s_andn2_b64 s[26:27], s[26:27], exec
	s_and_b64 s[0:1], s[0:1], exec
	s_or_b64 s[26:27], s[26:27], s[0:1]
.LBB355_42:                             ;   in Loop: Header=BB355_36 Depth=1
	s_or_b64 exec, exec, s[28:29]
	s_and_saveexec_b64 s[0:1], s[26:27]
	s_cbranch_execz .LBB355_44
; %bb.43:                               ;   in Loop: Header=BB355_36 Depth=1
	v_mov_b32_e32 v41, v19
	s_waitcnt lgkmcnt(0)
	v_mov_b32_e32 v18, v42
.LBB355_44:                             ;   in Loop: Header=BB355_36 Depth=1
	s_or_b64 exec, exec, s[0:1]
	ds_bpermute_b32 v19, v35, v41
	s_waitcnt lgkmcnt(1)
	ds_bpermute_b32 v42, v35, v18
	s_waitcnt lgkmcnt(1)
	v_cmp_lt_f32_e64 s[26:27], v41, v19
	v_cmp_nlt_f32_e32 vcc, v41, v19
	s_and_saveexec_b64 s[28:29], vcc
	s_cbranch_execz .LBB355_46
; %bb.45:                               ;   in Loop: Header=BB355_36 Depth=1
	v_cmp_eq_f32_e32 vcc, v41, v19
	s_waitcnt lgkmcnt(0)
	v_cmp_lt_i32_e64 s[0:1], v42, v18
	s_and_b64 s[0:1], vcc, s[0:1]
	s_andn2_b64 s[26:27], s[26:27], exec
	s_and_b64 s[0:1], s[0:1], exec
	s_or_b64 s[26:27], s[26:27], s[0:1]
.LBB355_46:                             ;   in Loop: Header=BB355_36 Depth=1
	s_or_b64 exec, exec, s[28:29]
	s_and_saveexec_b64 s[0:1], s[26:27]
	s_cbranch_execz .LBB355_48
; %bb.47:                               ;   in Loop: Header=BB355_36 Depth=1
	v_mov_b32_e32 v41, v19
	s_waitcnt lgkmcnt(0)
	v_mov_b32_e32 v18, v42
.LBB355_48:                             ;   in Loop: Header=BB355_36 Depth=1
	s_or_b64 exec, exec, s[0:1]
	ds_bpermute_b32 v19, v36, v41
	s_waitcnt lgkmcnt(1)
	;; [unrolled: 26-line block ×3, first 2 shown]
	ds_bpermute_b32 v42, v37, v18
	s_waitcnt lgkmcnt(1)
	v_cmp_lt_f32_e64 s[26:27], v41, v19
	v_cmp_nlt_f32_e32 vcc, v41, v19
	s_and_saveexec_b64 s[28:29], vcc
	s_cbranch_execnz .LBB355_55
; %bb.53:                               ;   in Loop: Header=BB355_36 Depth=1
	s_or_b64 exec, exec, s[28:29]
	s_and_saveexec_b64 s[0:1], s[26:27]
	s_cbranch_execnz .LBB355_56
.LBB355_54:                             ;   in Loop: Header=BB355_36 Depth=1
	s_or_b64 exec, exec, s[0:1]
	s_and_saveexec_b64 s[26:27], s[6:7]
	s_cbranch_execz .LBB355_35
	s_branch .LBB355_57
.LBB355_55:                             ;   in Loop: Header=BB355_36 Depth=1
	v_cmp_eq_f32_e32 vcc, v41, v19
	s_waitcnt lgkmcnt(0)
	v_cmp_lt_i32_e64 s[0:1], v42, v18
	s_and_b64 s[0:1], vcc, s[0:1]
	s_andn2_b64 s[26:27], s[26:27], exec
	s_and_b64 s[0:1], s[0:1], exec
	s_or_b64 s[26:27], s[26:27], s[0:1]
	s_or_b64 exec, exec, s[28:29]
	s_and_saveexec_b64 s[0:1], s[26:27]
	s_cbranch_execz .LBB355_54
.LBB355_56:                             ;   in Loop: Header=BB355_36 Depth=1
	s_waitcnt lgkmcnt(0)
	v_mov_b32_e32 v18, v42
	v_mov_b32_e32 v41, v19
	s_or_b64 exec, exec, s[0:1]
	s_and_saveexec_b64 s[26:27], s[6:7]
	s_cbranch_execz .LBB355_35
.LBB355_57:                             ;   in Loop: Header=BB355_36 Depth=1
	s_and_b64 vcc, exec, s[2:3]
	s_cbranch_vccnz .LBB355_34
; %bb.58:                               ;   in Loop: Header=BB355_36 Depth=1
	v_ashrrev_i32_e32 v19, 31, v18
	s_waitcnt lgkmcnt(0)
	v_lshl_add_u64 v[42:43], v[18:19], 2, s[10:11]
	global_load_dword v19, v[42:43], off
	s_waitcnt vmcnt(0)
	v_sub_f32_e32 v41, v41, v19
	s_branch .LBB355_34
.LBB355_59:
	v_mov_b32_e32 v24, 0
.LBB355_60:
	v_cmp_eq_u32_e32 vcc, 0, v16
	s_and_b64 exec, exec, vcc
	s_cbranch_execz .LBB355_73
; %bb.61:
	s_andn2_b64 vcc, exec, s[4:5]
	v_cvt_f32_f64_e32 v0, s[8:9]
	s_cbranch_vccnz .LBB355_63
; %bb.62:
	v_cmp_lt_f32_e32 vcc, 0, v24
	s_nop 1
	v_cndmask_b32_e32 v1, 1.0, v24, vcc
	v_div_scale_f32 v2, s[0:1], v1, v1, v0
	v_rcp_f32_e32 v3, v2
	s_nop 0
	v_fma_f32 v4, -v2, v3, 1.0
	v_fmac_f32_e32 v3, v4, v3
	v_div_scale_f32 v4, vcc, v0, v1, v0
	v_mul_f32_e32 v5, v4, v3
	v_fma_f32 v6, -v2, v5, v4
	v_fmac_f32_e32 v5, v6, v3
	v_fma_f32 v2, -v2, v5, v4
	v_div_fmas_f32 v2, v2, v3, v5
	v_div_fixup_f32 v0, v2, v1, v0
.LBB355_63:
	s_andn2_b64 vcc, exec, s[24:25]
	s_cbranch_vccnz .LBB355_73
; %bb.64:
	v_mul_lo_u32 v2, v14, s12
	s_cmp_gt_u32 s12, 3
	v_ashrrev_i32_e32 v3, 31, v2
	s_cbranch_scc0 .LBB355_68
; %bb.65:
	s_and_b32 s0, s12, 0x7ffffffc
	v_lshl_add_u64 v[4:5], v[2:3], 2, s[20:21]
	v_mov_b32_e32 v1, v0
	v_lshl_add_u64 v[4:5], v[4:5], 0, 8
	s_mov_b32 s1, s0
.LBB355_66:                             ; =>This Inner Loop Header: Depth=1
	global_load_dwordx4 v[6:9], v[4:5], off offset:-8
	s_add_i32 s1, s1, -4
	s_cmp_lg_u32 s1, 0
	s_waitcnt vmcnt(0)
	v_pk_mul_f32 v[6:7], v[0:1], v[6:7]
	v_pk_mul_f32 v[8:9], v[0:1], v[8:9]
	global_store_dwordx4 v[4:5], v[6:9], off offset:-8
	v_lshl_add_u64 v[4:5], v[4:5], 0, 16
	s_cbranch_scc1 .LBB355_66
; %bb.67:
	s_cmp_lg_u32 s0, s12
	s_cselect_b64 s[2:3], -1, 0
	s_branch .LBB355_70
.LBB355_68:
	s_mov_b64 s[2:3], 0
                                        ; implicit-def: $sgpr0
	s_cbranch_execz .LBB355_70
; %bb.69:
	s_mov_b64 s[2:3], -1
	s_mov_b32 s0, 0
.LBB355_70:
	s_andn2_b64 vcc, exec, s[2:3]
	s_cbranch_vccnz .LBB355_73
; %bb.71:
	s_mov_b32 s1, 0
	v_lshl_add_u64 v[2:3], v[2:3], 0, s[0:1]
	s_sub_i32 s2, s12, s0
	v_lshl_add_u64 v[2:3], v[2:3], 2, s[20:21]
.LBB355_72:                             ; =>This Inner Loop Header: Depth=1
	global_load_dword v1, v[2:3], off
	s_add_i32 s2, s2, -1
	s_cmp_lg_u32 s2, 0
	s_waitcnt vmcnt(0)
	v_mul_f32_e32 v1, v0, v1
	global_store_dword v[2:3], v1, off
	v_lshl_add_u64 v[2:3], v[2:3], 0, 4
	s_cbranch_scc1 .LBB355_72
.LBB355_73:
	s_endpgm
	.section	.rodata,"a",@progbits
	.p2align	6, 0x0
	.amdhsa_kernel _ZN4vllm3moe22topkGatingSoftplusSqrtILi14ELi448ELi4ELi2ELi32ELb0El6__halfEEvPKT6_PKbPfiPT5_PiiiibdPKfPKS9_SF_
		.amdhsa_group_segment_fixed_size 0
		.amdhsa_private_segment_fixed_size 0
		.amdhsa_kernarg_size 96
		.amdhsa_user_sgpr_count 2
		.amdhsa_user_sgpr_dispatch_ptr 0
		.amdhsa_user_sgpr_queue_ptr 0
		.amdhsa_user_sgpr_kernarg_segment_ptr 1
		.amdhsa_user_sgpr_dispatch_id 0
		.amdhsa_user_sgpr_kernarg_preload_length 0
		.amdhsa_user_sgpr_kernarg_preload_offset 0
		.amdhsa_user_sgpr_private_segment_size 0
		.amdhsa_uses_dynamic_stack 0
		.amdhsa_enable_private_segment 0
		.amdhsa_system_sgpr_workgroup_id_x 1
		.amdhsa_system_sgpr_workgroup_id_y 0
		.amdhsa_system_sgpr_workgroup_id_z 0
		.amdhsa_system_sgpr_workgroup_info 0
		.amdhsa_system_vgpr_workitem_id 1
		.amdhsa_next_free_vgpr 48
		.amdhsa_next_free_sgpr 32
		.amdhsa_accum_offset 48
		.amdhsa_reserve_vcc 1
		.amdhsa_float_round_mode_32 0
		.amdhsa_float_round_mode_16_64 0
		.amdhsa_float_denorm_mode_32 3
		.amdhsa_float_denorm_mode_16_64 3
		.amdhsa_dx10_clamp 1
		.amdhsa_ieee_mode 1
		.amdhsa_fp16_overflow 0
		.amdhsa_tg_split 0
		.amdhsa_exception_fp_ieee_invalid_op 0
		.amdhsa_exception_fp_denorm_src 0
		.amdhsa_exception_fp_ieee_div_zero 0
		.amdhsa_exception_fp_ieee_overflow 0
		.amdhsa_exception_fp_ieee_underflow 0
		.amdhsa_exception_fp_ieee_inexact 0
		.amdhsa_exception_int_div_zero 0
	.end_amdhsa_kernel
	.section	.text._ZN4vllm3moe22topkGatingSoftplusSqrtILi14ELi448ELi4ELi2ELi32ELb0El6__halfEEvPKT6_PKbPfiPT5_PiiiibdPKfPKS9_SF_,"axG",@progbits,_ZN4vllm3moe22topkGatingSoftplusSqrtILi14ELi448ELi4ELi2ELi32ELb0El6__halfEEvPKT6_PKbPfiPT5_PiiiibdPKfPKS9_SF_,comdat
.Lfunc_end355:
	.size	_ZN4vllm3moe22topkGatingSoftplusSqrtILi14ELi448ELi4ELi2ELi32ELb0El6__halfEEvPKT6_PKbPfiPT5_PiiiibdPKfPKS9_SF_, .Lfunc_end355-_ZN4vllm3moe22topkGatingSoftplusSqrtILi14ELi448ELi4ELi2ELi32ELb0El6__halfEEvPKT6_PKbPfiPT5_PiiiibdPKfPKS9_SF_
                                        ; -- End function
	.section	.AMDGPU.csdata,"",@progbits
; Kernel info:
; codeLenInByte = 6316
; NumSgprs: 38
; NumVgprs: 48
; NumAgprs: 0
; TotalNumVgprs: 48
; ScratchSize: 0
; MemoryBound: 0
; FloatMode: 240
; IeeeMode: 1
; LDSByteSize: 0 bytes/workgroup (compile time only)
; SGPRBlocks: 4
; VGPRBlocks: 5
; NumSGPRsForWavesPerEU: 38
; NumVGPRsForWavesPerEU: 48
; AccumOffset: 48
; Occupancy: 8
; WaveLimiterHint : 0
; COMPUTE_PGM_RSRC2:SCRATCH_EN: 0
; COMPUTE_PGM_RSRC2:USER_SGPR: 2
; COMPUTE_PGM_RSRC2:TRAP_HANDLER: 0
; COMPUTE_PGM_RSRC2:TGID_X_EN: 1
; COMPUTE_PGM_RSRC2:TGID_Y_EN: 0
; COMPUTE_PGM_RSRC2:TGID_Z_EN: 0
; COMPUTE_PGM_RSRC2:TIDIG_COMP_CNT: 1
; COMPUTE_PGM_RSRC3_GFX90A:ACCUM_OFFSET: 11
; COMPUTE_PGM_RSRC3_GFX90A:TG_SPLIT: 0
	.section	.text._ZN4vllm3moe22topkGatingSoftplusSqrtILi9ELi576ELi4ELi2ELi64ELb1El6__halfEEvPKT6_PKbPfiPT5_PiiiibdPKfPKS9_SF_,"axG",@progbits,_ZN4vllm3moe22topkGatingSoftplusSqrtILi9ELi576ELi4ELi2ELi64ELb1El6__halfEEvPKT6_PKbPfiPT5_PiiiibdPKfPKS9_SF_,comdat
	.protected	_ZN4vllm3moe22topkGatingSoftplusSqrtILi9ELi576ELi4ELi2ELi64ELb1El6__halfEEvPKT6_PKbPfiPT5_PiiiibdPKfPKS9_SF_ ; -- Begin function _ZN4vllm3moe22topkGatingSoftplusSqrtILi9ELi576ELi4ELi2ELi64ELb1El6__halfEEvPKT6_PKbPfiPT5_PiiiibdPKfPKS9_SF_
	.globl	_ZN4vllm3moe22topkGatingSoftplusSqrtILi9ELi576ELi4ELi2ELi64ELb1El6__halfEEvPKT6_PKbPfiPT5_PiiiibdPKfPKS9_SF_
	.p2align	8
	.type	_ZN4vllm3moe22topkGatingSoftplusSqrtILi9ELi576ELi4ELi2ELi64ELb1El6__halfEEvPKT6_PKbPfiPT5_PiiiibdPKfPKS9_SF_,@function
_ZN4vllm3moe22topkGatingSoftplusSqrtILi9ELi576ELi4ELi2ELi64ELb1El6__halfEEvPKT6_PKbPfiPT5_PiiiibdPKfPKS9_SF_: ; @_ZN4vllm3moe22topkGatingSoftplusSqrtILi9ELi576ELi4ELi2ELi64ELb1El6__halfEEvPKT6_PKbPfiPT5_PiiiibdPKfPKS9_SF_
; %bb.0:
	s_load_dword s3, s[0:1], 0x18
	v_and_b32_e32 v1, 0x3ff, v0
	s_lshl_b32 s2, s2, 2
	v_lshrrev_b32_e32 v2, 6, v1
	v_bfe_u32 v0, v0, 10, 10
	v_add3_u32 v10, s2, v0, v2
	s_waitcnt lgkmcnt(0)
	v_cmp_gt_i32_e32 vcc, s3, v10
	s_and_saveexec_b64 s[2:3], vcc
	s_cbranch_execz .LBB356_31
; %bb.1:
	s_load_dwordx4 s[8:11], s[0:1], 0x50
	s_load_dwordx2 s[2:3], s[0:1], 0x0
	s_load_dword s14, s[0:1], 0x30
	s_movk_i32 s4, 0x240
	v_mul_lo_u32 v4, v10, s4
	v_ashrrev_i32_e32 v5, 31, v4
	v_and_b32_e32 v20, 63, v1
	s_waitcnt lgkmcnt(0)
	v_lshl_add_u64 v[4:5], v[4:5], 1, s[2:3]
	v_lshlrev_b32_e32 v8, 1, v20
	v_mov_b32_e32 v9, 0
	v_mov_b32_e32 v2, s8
	;; [unrolled: 1-line block ×3, first 2 shown]
	v_lshl_add_u64 v[0:1], v[4:5], 0, v[8:9]
	v_ashrrev_i32_e32 v11, 31, v10
	global_load_ushort v4, v[0:1], off
	global_load_ushort v5, v[0:1], off offset:128
	global_load_ushort v6, v[0:1], off offset:256
	;; [unrolled: 1-line block ×8, first 2 shown]
	v_lshl_add_u64 v[0:1], v[10:11], 3, v[2:3]
	global_load_dwordx2 v[0:1], v[0:1], off
	s_ashr_i32 s15, s14, 31
	s_mov_b32 s19, 0x800000
	v_mov_b32_e32 v11, 0x4f800000
	s_mov_b32 s18, 0x3f317217
	s_mov_b32 s20, 0x7f800000
	v_mov_b32_e32 v18, 0x41b17218
	s_movk_i32 s13, 0x4d00
	s_mov_b32 s21, 0xf800000
	v_mov_b32_e32 v19, 0x260
	v_cmp_lt_i64_e64 s[16:17], s[14:15], 1
	s_mov_b32 s12, 0
	v_cmp_gt_i64_e64 s[8:9], s[14:15], 0
	v_mul_lo_u32 v10, v10, s14
	s_waitcnt vmcnt(9)
	v_cvt_f32_f16_e32 v2, v4
	s_waitcnt vmcnt(8)
	v_cvt_f32_f16_e32 v3, v5
	;; [unrolled: 2-line block ×5, first 2 shown]
	v_mul_f32_e32 v29, 0x3fb8aa3b, v3
	v_exp_f32_e32 v29, v29
	v_mul_f32_e32 v30, 0x3fb8aa3b, v21
	v_exp_f32_e32 v30, v30
	s_waitcnt vmcnt(4)
	v_cvt_f32_f16_e32 v24, v14
	s_waitcnt vmcnt(0)
	v_mul_lo_u32 v28, v0, s15
	v_mad_u64_u32 v[12:13], s[2:3], v0, s14, 0
	v_mul_f32_e32 v0, 0x3fb8aa3b, v2
	v_exp_f32_e32 v0, v0
	v_mul_lo_u32 v1, v1, s14
	v_add3_u32 v13, v13, v28, v1
	v_add_f32_e32 v1, 1.0, v29
	v_add_f32_e32 v0, 1.0, v0
	v_cmp_gt_f32_e32 vcc, s19, v0
	v_cmp_gt_f32_e64 s[2:3], s19, v1
	v_add_f32_e32 v28, 1.0, v30
	v_cndmask_b32_e32 v29, 1.0, v11, vcc
	v_cndmask_b32_e64 v30, 1.0, v11, s[2:3]
	v_mul_f32_e32 v0, v0, v29
	v_mul_f32_e32 v1, v1, v30
	v_log_f32_e32 v0, v0
	v_log_f32_e32 v1, v1
	v_cmp_gt_f32_e64 s[4:5], s19, v28
	v_cndmask_b32_e32 v29, 0, v18, vcc
	v_cmp_lt_f32_e64 vcc, |v0|, s20
	v_cndmask_b32_e64 v31, 1.0, v11, s[4:5]
	v_mul_f32_e32 v28, v28, v31
	v_mul_f32_e32 v31, 0x3f317217, v0
	;; [unrolled: 1-line block ×3, first 2 shown]
	v_fma_f32 v31, v0, s18, -v31
	v_fma_f32 v32, v1, s18, -v32
	v_fmac_f32_e32 v31, 0x3377d1cf, v0
	v_fmac_f32_e32 v32, 0x3377d1cf, v1
	;; [unrolled: 1-line block ×4, first 2 shown]
	v_cndmask_b32_e32 v0, v0, v31, vcc
	v_cmp_lt_f32_e64 vcc, |v1|, s20
	v_cndmask_b32_e64 v30, 0, v18, s[2:3]
	v_sub_f32_e32 v0, v0, v29
	v_cndmask_b32_e32 v1, v1, v32, vcc
	v_cmp_lt_f16_e32 vcc, s13, v4
	v_sub_f32_e32 v1, v1, v30
	v_log_f32_e32 v28, v28
	v_cndmask_b32_e32 v0, v0, v2, vcc
	v_cmp_lt_f16_e32 vcc, s13, v5
	v_mul_f32_e32 v2, 0x4f800000, v0
	v_mul_f32_e32 v33, 0x3f317217, v28
	v_cndmask_b32_e32 v1, v1, v3, vcc
	v_cmp_gt_f32_e32 vcc, s21, v0
	v_mul_f32_e32 v3, 0x4f800000, v1
	v_cmp_gt_f32_e64 s[2:3], s21, v1
	v_cndmask_b32_e32 v0, v0, v2, vcc
	v_sqrt_f32_e32 v2, v0
	v_cndmask_b32_e64 v1, v1, v3, s[2:3]
	v_sqrt_f32_e32 v3, v1
	v_fma_f32 v4, v28, s18, -v33
	v_add_u32_e32 v5, -1, v2
	v_fma_f32 v32, -v5, v2, v0
	v_add_u32_e32 v30, -1, v3
	v_add_u32_e32 v29, 1, v2
	v_fma_f32 v34, -v30, v3, v1
	v_cmp_ge_f32_e64 s[6:7], 0, v32
	v_add_u32_e32 v31, 1, v3
	v_fma_f32 v33, -v29, v2, v0
	v_cndmask_b32_e64 v2, v2, v5, s[6:7]
	v_cmp_ge_f32_e64 s[6:7], 0, v34
	v_fma_f32 v35, -v31, v3, v1
	v_fmac_f32_e32 v4, 0x3377d1cf, v28
	v_cndmask_b32_e64 v3, v3, v30, s[6:7]
	v_cmp_lt_f32_e64 s[6:7], 0, v33
	v_fmac_f32_e32 v4, 0x3f317217, v28
	v_cvt_f32_f16_e32 v25, v15
	v_cndmask_b32_e64 v2, v2, v29, s[6:7]
	v_mul_f32_e32 v5, 0x37800000, v2
	v_cndmask_b32_e32 v2, v2, v5, vcc
	v_cmp_class_f32_e32 vcc, v0, v19
	v_cmp_lt_f32_e64 s[6:7], 0, v35
	v_cvt_f32_f16_e32 v26, v16
	v_cndmask_b32_e32 v0, v2, v0, vcc
	v_cmp_lt_f32_e64 vcc, |v28|, s20
	v_cndmask_b32_e64 v3, v3, v31, s[6:7]
	v_mul_f32_e32 v29, 0x37800000, v3
	v_cndmask_b32_e32 v2, v28, v4, vcc
	v_cndmask_b32_e64 v4, 0, v18, s[4:5]
	v_sub_f32_e32 v2, v2, v4
	v_cmp_lt_f16_e32 vcc, s13, v6
	v_mul_f32_e32 v6, 0x3fb8aa3b, v22
	v_exp_f32_e32 v6, v6
	v_cndmask_b32_e32 v2, v2, v21, vcc
	v_mul_f32_e32 v4, 0x4f800000, v2
	v_cmp_gt_f32_e32 vcc, s21, v2
	v_cndmask_b32_e64 v3, v3, v29, s[2:3]
	v_cmp_class_f32_e64 s[2:3], v1, v19
	v_cndmask_b32_e32 v2, v2, v4, vcc
	v_sqrt_f32_e32 v4, v2
	v_cndmask_b32_e64 v1, v3, v1, s[2:3]
	v_add_f32_e32 v6, 1.0, v6
	v_cvt_f32_f16_e32 v27, v17
	v_add_u32_e32 v3, -1, v4
	v_fma_f32 v5, -v3, v4, v2
	v_cmp_ge_f32_e64 s[2:3], 0, v5
	v_add_u32_e32 v5, 1, v4
	v_lshl_add_u64 v[12:13], v[12:13], 3, s[10:11]
	v_cndmask_b32_e64 v3, v4, v3, s[2:3]
	v_cmp_gt_f32_e64 s[2:3], s19, v6
	v_fma_f32 v4, -v5, v4, v2
	v_cmp_lt_f32_e64 s[4:5], 0, v4
	v_cndmask_b32_e64 v21, 1.0, v11, s[2:3]
	v_mul_f32_e32 v6, v6, v21
	v_log_f32_e32 v6, v6
	v_cndmask_b32_e64 v3, v3, v5, s[4:5]
	v_mul_f32_e32 v4, 0x37800000, v3
	v_cndmask_b32_e32 v3, v3, v4, vcc
	v_mul_f32_e32 v5, 0x3f317217, v6
	v_fma_f32 v5, v6, s18, -v5
	v_fmac_f32_e32 v5, 0x3377d1cf, v6
	v_fmac_f32_e32 v5, 0x3f317217, v6
	v_cmp_lt_f32_e64 s[4:5], |v6|, s20
	v_cmp_class_f32_e32 vcc, v2, v19
	s_nop 0
	v_cndmask_b32_e64 v5, v6, v5, s[4:5]
	v_cndmask_b32_e64 v6, 0, v18, s[2:3]
	v_sub_f32_e32 v5, v5, v6
	v_cmp_lt_f16_e64 s[2:3], s13, v7
	v_mul_f32_e32 v7, 0x3fb8aa3b, v23
	v_exp_f32_e32 v7, v7
	v_cndmask_b32_e64 v5, v5, v22, s[2:3]
	v_mul_f32_e32 v6, 0x4f800000, v5
	v_cmp_gt_f32_e64 s[2:3], s21, v5
	v_cndmask_b32_e32 v2, v3, v2, vcc
	v_add_f32_e32 v7, 1.0, v7
	v_cndmask_b32_e64 v5, v5, v6, s[2:3]
	v_sqrt_f32_e32 v6, v5
	s_nop 0
	v_add_u32_e32 v3, -1, v6
	v_fma_f32 v4, -v3, v6, v5
	v_cmp_ge_f32_e32 vcc, 0, v4
	v_add_u32_e32 v4, 1, v6
	s_nop 0
	v_cndmask_b32_e32 v3, v6, v3, vcc
	v_cmp_gt_f32_e32 vcc, s19, v7
	v_fma_f32 v6, -v4, v6, v5
	v_cmp_lt_f32_e64 s[4:5], 0, v6
	v_cndmask_b32_e32 v21, 1.0, v11, vcc
	v_mul_f32_e32 v7, v7, v21
	v_log_f32_e32 v7, v7
	v_cndmask_b32_e64 v3, v3, v4, s[4:5]
	v_mul_f32_e32 v4, 0x37800000, v3
	v_cndmask_b32_e64 v3, v3, v4, s[2:3]
	v_mul_f32_e32 v6, 0x3f317217, v7
	v_fma_f32 v6, v7, s18, -v6
	v_fmac_f32_e32 v6, 0x3377d1cf, v7
	v_fmac_f32_e32 v6, 0x3f317217, v7
	v_cmp_lt_f32_e64 s[4:5], |v7|, s20
	v_cmp_class_f32_e64 s[2:3], v5, v19
	s_nop 0
	v_cndmask_b32_e64 v6, v7, v6, s[4:5]
	v_cndmask_b32_e32 v7, 0, v18, vcc
	v_sub_f32_e32 v6, v6, v7
	v_cmp_lt_f16_e32 vcc, s13, v8
	v_mul_f32_e32 v8, 0x3fb8aa3b, v24
	v_exp_f32_e32 v8, v8
	v_cndmask_b32_e32 v6, v6, v23, vcc
	v_mul_f32_e32 v7, 0x4f800000, v6
	v_cmp_gt_f32_e32 vcc, s21, v6
	v_cndmask_b32_e64 v3, v3, v5, s[2:3]
	v_add_f32_e32 v8, 1.0, v8
	v_cndmask_b32_e32 v6, v6, v7, vcc
	v_sqrt_f32_e32 v7, v6
	s_nop 0
	v_add_u32_e32 v4, -1, v7
	v_fma_f32 v5, -v4, v7, v6
	v_cmp_ge_f32_e64 s[2:3], 0, v5
	v_add_u32_e32 v5, 1, v7
	s_nop 0
	v_cndmask_b32_e64 v4, v7, v4, s[2:3]
	v_cmp_gt_f32_e64 s[2:3], s19, v8
	v_fma_f32 v7, -v5, v7, v6
	v_cmp_lt_f32_e64 s[4:5], 0, v7
	v_cndmask_b32_e64 v21, 1.0, v11, s[2:3]
	v_mul_f32_e32 v8, v8, v21
	v_log_f32_e32 v8, v8
	v_cndmask_b32_e64 v4, v4, v5, s[4:5]
	v_mul_f32_e32 v5, 0x37800000, v4
	v_cndmask_b32_e32 v4, v4, v5, vcc
	v_mul_f32_e32 v7, 0x3f317217, v8
	v_fma_f32 v7, v8, s18, -v7
	v_fmac_f32_e32 v7, 0x3377d1cf, v8
	v_fmac_f32_e32 v7, 0x3f317217, v8
	v_cmp_lt_f32_e64 s[4:5], |v8|, s20
	v_cmp_class_f32_e32 vcc, v6, v19
	s_nop 0
	v_cndmask_b32_e64 v7, v8, v7, s[4:5]
	v_cndmask_b32_e64 v8, 0, v18, s[2:3]
	v_sub_f32_e32 v7, v7, v8
	v_cmp_lt_f16_e64 s[2:3], s13, v14
	v_mul_f32_e32 v14, 0x3fb8aa3b, v25
	v_exp_f32_e32 v14, v14
	v_cndmask_b32_e64 v7, v7, v24, s[2:3]
	v_mul_f32_e32 v8, 0x4f800000, v7
	v_cmp_gt_f32_e64 s[2:3], s21, v7
	v_cndmask_b32_e32 v4, v4, v6, vcc
	v_add_f32_e32 v14, 1.0, v14
	v_cndmask_b32_e64 v7, v7, v8, s[2:3]
	v_sqrt_f32_e32 v8, v7
	s_nop 0
	v_add_u32_e32 v5, -1, v8
	v_fma_f32 v6, -v5, v8, v7
	v_cmp_ge_f32_e32 vcc, 0, v6
	v_add_u32_e32 v6, 1, v8
	s_nop 0
	v_cndmask_b32_e32 v5, v8, v5, vcc
	v_cmp_gt_f32_e32 vcc, s19, v14
	v_fma_f32 v8, -v6, v8, v7
	v_cmp_lt_f32_e64 s[4:5], 0, v8
	v_cndmask_b32_e32 v21, 1.0, v11, vcc
	v_mul_f32_e32 v14, v14, v21
	v_log_f32_e32 v14, v14
	v_cndmask_b32_e64 v5, v5, v6, s[4:5]
	v_mul_f32_e32 v6, 0x37800000, v5
	v_cndmask_b32_e64 v5, v5, v6, s[2:3]
	v_mul_f32_e32 v8, 0x3f317217, v14
	v_fma_f32 v8, v14, s18, -v8
	v_fmac_f32_e32 v8, 0x3377d1cf, v14
	v_fmac_f32_e32 v8, 0x3f317217, v14
	v_cmp_lt_f32_e64 s[4:5], |v14|, s20
	v_cmp_class_f32_e64 s[2:3], v7, v19
	s_nop 0
	v_cndmask_b32_e64 v8, v14, v8, s[4:5]
	v_cndmask_b32_e32 v14, 0, v18, vcc
	v_sub_f32_e32 v8, v8, v14
	v_cmp_lt_f16_e32 vcc, s13, v15
	v_mul_f32_e32 v15, 0x3fb8aa3b, v26
	v_exp_f32_e32 v15, v15
	v_cndmask_b32_e32 v8, v8, v25, vcc
	v_mul_f32_e32 v14, 0x4f800000, v8
	v_cmp_gt_f32_e32 vcc, s21, v8
	v_cndmask_b32_e64 v5, v5, v7, s[2:3]
	v_add_f32_e32 v15, 1.0, v15
	v_cndmask_b32_e32 v8, v8, v14, vcc
	v_sqrt_f32_e32 v14, v8
	s_nop 0
	v_add_u32_e32 v6, -1, v14
	v_fma_f32 v7, -v6, v14, v8
	v_cmp_ge_f32_e64 s[2:3], 0, v7
	v_add_u32_e32 v7, 1, v14
	s_nop 0
	v_cndmask_b32_e64 v6, v14, v6, s[2:3]
	v_cmp_gt_f32_e64 s[2:3], s19, v15
	v_fma_f32 v14, -v7, v14, v8
	v_cmp_lt_f32_e64 s[4:5], 0, v14
	v_cndmask_b32_e64 v21, 1.0, v11, s[2:3]
	v_mul_f32_e32 v15, v15, v21
	v_log_f32_e32 v15, v15
	v_cndmask_b32_e64 v6, v6, v7, s[4:5]
	v_mul_f32_e32 v7, 0x37800000, v6
	v_cndmask_b32_e32 v6, v6, v7, vcc
	v_mul_f32_e32 v14, 0x3f317217, v15
	v_fma_f32 v14, v15, s18, -v14
	v_fmac_f32_e32 v14, 0x3377d1cf, v15
	v_fmac_f32_e32 v14, 0x3f317217, v15
	v_cmp_lt_f32_e64 s[4:5], |v15|, s20
	v_cmp_class_f32_e32 vcc, v8, v19
	s_nop 0
	v_cndmask_b32_e64 v14, v15, v14, s[4:5]
	v_cndmask_b32_e64 v15, 0, v18, s[2:3]
	v_sub_f32_e32 v14, v14, v15
	v_cmp_lt_f16_e64 s[2:3], s13, v16
	v_mul_f32_e32 v16, 0x3fb8aa3b, v27
	v_exp_f32_e32 v16, v16
	v_cndmask_b32_e64 v14, v14, v26, s[2:3]
	v_mul_f32_e32 v15, 0x4f800000, v14
	v_cmp_gt_f32_e64 s[2:3], s21, v14
	v_cndmask_b32_e32 v6, v6, v8, vcc
	v_add_f32_e32 v16, 1.0, v16
	v_cndmask_b32_e64 v14, v14, v15, s[2:3]
	v_sqrt_f32_e32 v15, v14
	s_nop 0
	v_add_u32_e32 v7, -1, v15
	v_fma_f32 v8, -v7, v15, v14
	v_cmp_ge_f32_e32 vcc, 0, v8
	v_add_u32_e32 v8, 1, v15
	s_nop 0
	v_cndmask_b32_e32 v7, v15, v7, vcc
	v_cmp_gt_f32_e32 vcc, s19, v16
	v_fma_f32 v15, -v8, v15, v14
	v_cmp_lt_f32_e64 s[4:5], 0, v15
	v_cndmask_b32_e32 v11, 1.0, v11, vcc
	v_mul_f32_e32 v11, v16, v11
	v_log_f32_e32 v11, v11
	v_cndmask_b32_e64 v7, v7, v8, s[4:5]
	v_mul_f32_e32 v8, 0x37800000, v7
	v_cndmask_b32_e64 v7, v7, v8, s[2:3]
	v_mul_f32_e32 v15, 0x3f317217, v11
	v_fma_f32 v15, v11, s18, -v15
	v_fmac_f32_e32 v15, 0x3377d1cf, v11
	v_fmac_f32_e32 v15, 0x3f317217, v11
	v_cmp_lt_f32_e64 s[4:5], |v11|, s20
	v_cmp_class_f32_e64 s[2:3], v14, v19
	s_nop 0
	v_cndmask_b32_e64 v11, v11, v15, s[4:5]
	v_cndmask_b32_e32 v15, 0, v18, vcc
	v_sub_f32_e32 v11, v11, v15
	v_cmp_lt_f16_e32 vcc, s13, v17
	v_cndmask_b32_e64 v7, v7, v14, s[2:3]
	s_nop 0
	v_cndmask_b32_e32 v11, v11, v27, vcc
	v_mul_f32_e32 v15, 0x4f800000, v11
	v_cmp_gt_f32_e32 vcc, s21, v11
	s_nop 1
	v_cndmask_b32_e32 v11, v11, v15, vcc
	v_sqrt_f32_e32 v15, v11
	s_nop 0
	v_add_u32_e32 v8, -1, v15
	v_fma_f32 v14, -v8, v15, v11
	v_cmp_ge_f32_e64 s[2:3], 0, v14
	v_add_u32_e32 v14, 1, v15
	s_nop 0
	v_cndmask_b32_e64 v8, v15, v8, s[2:3]
	v_fma_f32 v15, -v14, v15, v11
	v_cmp_lt_f32_e64 s[2:3], 0, v15
	s_nop 1
	v_cndmask_b32_e64 v8, v8, v14, s[2:3]
	v_mul_f32_e32 v14, 0x37800000, v8
	v_cndmask_b32_e32 v8, v8, v14, vcc
	v_cmp_class_f32_e32 vcc, v11, v19
	s_nop 1
	v_cndmask_b32_e32 v8, v8, v11, vcc
	s_and_b64 vcc, exec, s[16:17]
	s_cbranch_vccnz .LBB356_28
; %bb.2:
	s_load_dwordx2 s[4:5], s[0:1], 0x20
	s_cmp_lt_u32 s14, 4
	v_sub_u32_e32 v21, 0, v20
	s_cbranch_scc1 .LBB356_21
; %bb.3:
	s_mov_b32 s7, 0
	s_and_b32 s12, s14, 0x7ffffffc
	v_ashrrev_i32_e32 v11, 31, v10
	v_mov_b32_e32 v9, 0
	s_mov_b32 s6, s7
	s_branch .LBB356_5
.LBB356_4:                              ;   in Loop: Header=BB356_5 Depth=1
	s_or_b64 exec, exec, s[10:11]
	s_add_i32 s6, s6, 4
	s_cmp_eq_u32 s6, s12
	s_cbranch_scc1 .LBB356_21
.LBB356_5:                              ; =>This Loop Header: Depth=1
                                        ;     Child Loop BB356_7 Depth 2
                                        ;     Child Loop BB356_11 Depth 2
	;; [unrolled: 1-line block ×4, first 2 shown]
	v_lshl_add_u64 v[14:15], s[6:7], 3, v[12:13]
	global_load_dwordx2 v[16:17], v[14:15], off
	v_add_u32_e32 v18, s6, v10
	v_ashrrev_i32_e32 v19, 31, v18
	s_mov_b64 s[10:11], 0
	s_waitcnt lgkmcnt(0)
	v_lshl_add_u64 v[18:19], v[18:19], 3, s[4:5]
	s_mov_b64 s[16:17], 0
	s_waitcnt vmcnt(0)
	v_ashrrev_i32_e32 v17, 31, v16
	v_add_u32_e32 v22, v21, v16
	s_branch .LBB356_7
.LBB356_6:                              ;   in Loop: Header=BB356_7 Depth=2
	s_or_b64 exec, exec, s[18:19]
	s_cmp_gt_u32 s16, 7
	s_cselect_b64 s[2:3], -1, 0
	s_xor_b64 s[18:19], vcc, -1
	s_or_b64 s[2:3], s[18:19], s[2:3]
	s_add_u32 s16, s16, 1
	s_addc_u32 s17, s17, 0
	s_and_b64 s[2:3], exec, s[2:3]
	s_or_b64 s[10:11], s[2:3], s[10:11]
	v_subrev_u32_e32 v22, 64, v22
	s_andn2_b64 exec, exec, s[10:11]
	s_cbranch_execz .LBB356_9
.LBB356_7:                              ;   Parent Loop BB356_5 Depth=1
                                        ; =>  This Inner Loop Header: Depth=2
	v_cmp_ne_u32_e32 vcc, 0, v22
	v_cmp_eq_u32_e64 s[2:3], 0, v22
	s_and_saveexec_b64 s[18:19], s[2:3]
	s_cbranch_execz .LBB356_6
; %bb.8:                                ;   in Loop: Header=BB356_7 Depth=2
	s_set_gpr_idx_on s16, gpr_idx(SRC0)
	v_mov_b32_e32 v23, v0
	s_set_gpr_idx_off
	v_add_f32_e32 v9, v9, v23
	global_store_dwordx2 v[18:19], v[16:17], off
	s_branch .LBB356_6
.LBB356_9:                              ;   in Loop: Header=BB356_5 Depth=1
	s_or_b64 exec, exec, s[10:11]
	global_load_dwordx2 v[18:19], v[14:15], off offset:8
	s_ashr_i32 s3, s6, 31
	s_mov_b32 s2, s6
	v_lshl_add_u64 v[16:17], s[2:3], 0, v[10:11]
	s_mov_b64 s[10:11], 0
	v_lshl_add_u64 v[16:17], v[16:17], 3, s[4:5]
	s_mov_b64 s[16:17], 0
	s_waitcnt vmcnt(0)
	v_ashrrev_i32_e32 v19, 31, v18
	v_add_u32_e32 v22, v21, v18
	s_branch .LBB356_11
.LBB356_10:                             ;   in Loop: Header=BB356_11 Depth=2
	s_or_b64 exec, exec, s[18:19]
	s_cmp_gt_u32 s16, 7
	s_cselect_b64 s[2:3], -1, 0
	s_xor_b64 s[18:19], vcc, -1
	s_or_b64 s[2:3], s[18:19], s[2:3]
	s_add_u32 s16, s16, 1
	s_addc_u32 s17, s17, 0
	s_and_b64 s[2:3], exec, s[2:3]
	s_or_b64 s[10:11], s[2:3], s[10:11]
	v_subrev_u32_e32 v22, 64, v22
	s_andn2_b64 exec, exec, s[10:11]
	s_cbranch_execz .LBB356_13
.LBB356_11:                             ;   Parent Loop BB356_5 Depth=1
                                        ; =>  This Inner Loop Header: Depth=2
	v_cmp_ne_u32_e32 vcc, 0, v22
	v_cmp_eq_u32_e64 s[2:3], 0, v22
	s_and_saveexec_b64 s[18:19], s[2:3]
	s_cbranch_execz .LBB356_10
; %bb.12:                               ;   in Loop: Header=BB356_11 Depth=2
	s_set_gpr_idx_on s16, gpr_idx(SRC0)
	v_mov_b32_e32 v23, v0
	s_set_gpr_idx_off
	v_add_f32_e32 v9, v9, v23
	global_store_dwordx2 v[16:17], v[18:19], off offset:8
	s_branch .LBB356_10
.LBB356_13:                             ;   in Loop: Header=BB356_5 Depth=1
	s_or_b64 exec, exec, s[10:11]
	global_load_dwordx2 v[18:19], v[14:15], off offset:16
	s_mov_b64 s[10:11], 0
	s_mov_b64 s[16:17], 0
	s_waitcnt vmcnt(0)
	v_ashrrev_i32_e32 v19, 31, v18
	v_add_u32_e32 v22, v21, v18
	s_branch .LBB356_15
.LBB356_14:                             ;   in Loop: Header=BB356_15 Depth=2
	s_or_b64 exec, exec, s[18:19]
	s_cmp_gt_u32 s16, 7
	s_cselect_b64 s[2:3], -1, 0
	s_xor_b64 s[18:19], vcc, -1
	s_or_b64 s[2:3], s[18:19], s[2:3]
	s_add_u32 s16, s16, 1
	s_addc_u32 s17, s17, 0
	s_and_b64 s[2:3], exec, s[2:3]
	s_or_b64 s[10:11], s[2:3], s[10:11]
	v_subrev_u32_e32 v22, 64, v22
	s_andn2_b64 exec, exec, s[10:11]
	s_cbranch_execz .LBB356_17
.LBB356_15:                             ;   Parent Loop BB356_5 Depth=1
                                        ; =>  This Inner Loop Header: Depth=2
	v_cmp_ne_u32_e32 vcc, 0, v22
	v_cmp_eq_u32_e64 s[2:3], 0, v22
	s_and_saveexec_b64 s[18:19], s[2:3]
	s_cbranch_execz .LBB356_14
; %bb.16:                               ;   in Loop: Header=BB356_15 Depth=2
	s_set_gpr_idx_on s16, gpr_idx(SRC0)
	v_mov_b32_e32 v23, v0
	s_set_gpr_idx_off
	v_add_f32_e32 v9, v9, v23
	global_store_dwordx2 v[16:17], v[18:19], off offset:16
	s_branch .LBB356_14
.LBB356_17:                             ;   in Loop: Header=BB356_5 Depth=1
	s_or_b64 exec, exec, s[10:11]
	global_load_dwordx2 v[14:15], v[14:15], off offset:24
	s_mov_b64 s[10:11], 0
	s_mov_b64 s[16:17], 0
	s_waitcnt vmcnt(0)
	v_ashrrev_i32_e32 v15, 31, v14
	v_add_u32_e32 v18, v21, v14
	s_branch .LBB356_19
.LBB356_18:                             ;   in Loop: Header=BB356_19 Depth=2
	s_or_b64 exec, exec, s[18:19]
	s_cmp_gt_u32 s16, 7
	s_cselect_b64 s[2:3], -1, 0
	s_xor_b64 s[18:19], vcc, -1
	s_or_b64 s[2:3], s[18:19], s[2:3]
	s_add_u32 s16, s16, 1
	s_addc_u32 s17, s17, 0
	s_and_b64 s[2:3], exec, s[2:3]
	s_or_b64 s[10:11], s[2:3], s[10:11]
	v_subrev_u32_e32 v18, 64, v18
	s_andn2_b64 exec, exec, s[10:11]
	s_cbranch_execz .LBB356_4
.LBB356_19:                             ;   Parent Loop BB356_5 Depth=1
                                        ; =>  This Inner Loop Header: Depth=2
	v_cmp_ne_u32_e32 vcc, 0, v18
	v_cmp_eq_u32_e64 s[2:3], 0, v18
	s_and_saveexec_b64 s[18:19], s[2:3]
	s_cbranch_execz .LBB356_18
; %bb.20:                               ;   in Loop: Header=BB356_19 Depth=2
	s_set_gpr_idx_on s16, gpr_idx(SRC0)
	v_mov_b32_e32 v19, v0
	s_set_gpr_idx_off
	v_add_f32_e32 v9, v9, v19
	global_store_dwordx2 v[16:17], v[14:15], off offset:24
	s_branch .LBB356_18
.LBB356_21:
	s_and_b32 s15, s14, 3
	s_cmp_eq_u32 s15, 0
	s_mov_b32 s13, 0
	s_cbranch_scc1 .LBB356_28
; %bb.22:
	s_mov_b32 s18, s13
	s_branch .LBB356_24
.LBB356_23:                             ;   in Loop: Header=BB356_24 Depth=1
	s_or_b64 exec, exec, s[6:7]
	s_add_i32 s12, s12, 1
	s_add_i32 s18, s18, 1
	s_cmp_lg_u32 s18, s15
	s_cbranch_scc0 .LBB356_28
.LBB356_24:                             ; =>This Loop Header: Depth=1
                                        ;     Child Loop BB356_26 Depth 2
	v_lshl_add_u64 v[14:15], s[12:13], 3, v[12:13]
	global_load_dwordx2 v[14:15], v[14:15], off
	v_add_u32_e32 v16, s12, v10
	v_ashrrev_i32_e32 v17, 31, v16
	s_mov_b64 s[6:7], 0
	s_waitcnt lgkmcnt(0)
	v_lshl_add_u64 v[16:17], v[16:17], 3, s[4:5]
	s_mov_b64 s[10:11], 0
	s_waitcnt vmcnt(0)
	v_ashrrev_i32_e32 v15, 31, v14
	v_add_u32_e32 v11, v21, v14
	s_branch .LBB356_26
.LBB356_25:                             ;   in Loop: Header=BB356_26 Depth=2
	s_or_b64 exec, exec, s[16:17]
	s_cmp_gt_u32 s10, 7
	s_cselect_b64 s[2:3], -1, 0
	s_xor_b64 s[16:17], vcc, -1
	s_or_b64 s[2:3], s[16:17], s[2:3]
	s_add_u32 s10, s10, 1
	s_addc_u32 s11, s11, 0
	s_and_b64 s[2:3], exec, s[2:3]
	s_or_b64 s[6:7], s[2:3], s[6:7]
	v_subrev_u32_e32 v11, 64, v11
	s_andn2_b64 exec, exec, s[6:7]
	s_cbranch_execz .LBB356_23
.LBB356_26:                             ;   Parent Loop BB356_24 Depth=1
                                        ; =>  This Inner Loop Header: Depth=2
	v_cmp_ne_u32_e32 vcc, 0, v11
	v_cmp_eq_u32_e64 s[2:3], 0, v11
	s_and_saveexec_b64 s[16:17], s[2:3]
	s_cbranch_execz .LBB356_25
; %bb.27:                               ;   in Loop: Header=BB356_26 Depth=2
	s_set_gpr_idx_on s10, gpr_idx(SRC0)
	v_mov_b32_e32 v18, v0
	s_set_gpr_idx_off
	v_add_f32_e32 v9, v9, v18
	global_store_dwordx2 v[16:17], v[14:15], off
	s_branch .LBB356_25
.LBB356_28:
	s_waitcnt lgkmcnt(0)
	s_load_dword s4, s[0:1], 0x3c
	s_waitcnt lgkmcnt(0)
	s_bitcmp1_b32 s4, 0
	s_cselect_b64 s[2:3], -1, 0
	s_bitcmp0_b32 s4, 0
	s_cbranch_scc0 .LBB356_32
; %bb.29:
	s_load_dwordx2 s[4:5], s[0:1], 0x40
	s_andn2_b64 vcc, exec, s[2:3]
	s_waitcnt lgkmcnt(0)
	v_cvt_f32_f64_e32 v21, s[4:5]
	s_cbranch_vccz .LBB356_33
.LBB356_30:
	s_andn2_b64 vcc, exec, s[8:9]
	s_cbranch_vccz .LBB356_34
.LBB356_31:
	s_endpgm
.LBB356_32:
	v_mbcnt_lo_u32_b32 v11, -1, 0
	v_mbcnt_hi_u32_b32 v11, -1, v11
	v_and_b32_e32 v14, 64, v11
	v_add_u32_e32 v14, 64, v14
	v_xor_b32_e32 v15, 32, v11
	v_cmp_lt_i32_e32 vcc, v15, v14
	v_xor_b32_e32 v16, 16, v11
	s_nop 0
	v_cndmask_b32_e32 v15, v11, v15, vcc
	v_lshlrev_b32_e32 v15, 2, v15
	ds_bpermute_b32 v15, v15, v9
	v_cmp_lt_i32_e32 vcc, v16, v14
	s_waitcnt lgkmcnt(0)
	v_add_f32_e32 v9, v9, v15
	v_cndmask_b32_e32 v15, v11, v16, vcc
	v_lshlrev_b32_e32 v15, 2, v15
	ds_bpermute_b32 v15, v15, v9
	v_xor_b32_e32 v16, 8, v11
	v_cmp_lt_i32_e32 vcc, v16, v14
	s_waitcnt lgkmcnt(0)
	v_add_f32_e32 v9, v9, v15
	v_cndmask_b32_e32 v15, v11, v16, vcc
	v_lshlrev_b32_e32 v15, 2, v15
	ds_bpermute_b32 v15, v15, v9
	v_xor_b32_e32 v16, 4, v11
	;; [unrolled: 7-line block ×4, first 2 shown]
	v_cmp_lt_i32_e32 vcc, v16, v14
	s_waitcnt lgkmcnt(0)
	v_add_f32_e32 v9, v9, v15
	v_cndmask_b32_e32 v11, v11, v16, vcc
	v_lshlrev_b32_e32 v11, 2, v11
	ds_bpermute_b32 v11, v11, v9
	s_waitcnt lgkmcnt(0)
	v_add_f32_e32 v9, v9, v11
	s_load_dwordx2 s[4:5], s[0:1], 0x40
	s_andn2_b64 vcc, exec, s[2:3]
	s_waitcnt lgkmcnt(0)
	v_cvt_f32_f64_e32 v21, s[4:5]
	s_cbranch_vccnz .LBB356_30
.LBB356_33:
	v_cmp_lt_f32_e32 vcc, 0, v9
	s_nop 1
	v_cndmask_b32_e32 v9, 1.0, v9, vcc
	v_div_scale_f32 v11, s[2:3], v9, v9, v21
	v_rcp_f32_e32 v14, v11
	s_nop 0
	v_fma_f32 v15, -v11, v14, 1.0
	v_fmac_f32_e32 v14, v15, v14
	v_div_scale_f32 v15, vcc, v21, v9, v21
	v_mul_f32_e32 v16, v15, v14
	v_fma_f32 v17, -v11, v16, v15
	v_fmac_f32_e32 v16, v17, v14
	v_fma_f32 v11, -v11, v16, v15
	v_div_fmas_f32 v11, v11, v14, v16
	v_div_fixup_f32 v21, v11, v9, v21
	s_andn2_b64 vcc, exec, s[8:9]
	s_cbranch_vccnz .LBB356_31
.LBB356_34:
	s_load_dwordx2 s[16:17], s[0:1], 0x10
	v_or_b32_e32 v28, 64, v20
	v_or_b32_e32 v27, 0x80, v20
	;; [unrolled: 1-line block ×8, first 2 shown]
	s_cmp_eq_u32 s14, 1
	s_mov_b32 s18, 0
	s_cbranch_scc1 .LBB356_73
; %bb.35:
	v_ashrrev_i32_e32 v11, 31, v10
	s_waitcnt lgkmcnt(0)
	v_lshl_add_u64 v[14:15], v[10:11], 2, s[16:17]
	s_and_b32 s18, s14, 0x7ffffffe
	v_lshl_add_u64 v[14:15], v[14:15], 0, 4
	v_lshl_add_u64 v[16:17], v[12:13], 0, 8
	s_mov_b32 s15, 0
	s_branch .LBB356_37
.LBB356_36:                             ;   in Loop: Header=BB356_37 Depth=1
	s_or_b64 exec, exec, s[0:1]
	s_add_i32 s15, s15, 2
	v_lshl_add_u64 v[14:15], v[14:15], 0, 8
	s_cmp_lg_u32 s18, s15
	v_lshl_add_u64 v[16:17], v[16:17], 0, 16
	s_cbranch_scc0 .LBB356_73
.LBB356_37:                             ; =>This Inner Loop Header: Depth=1
	global_load_dword v11, v[16:17], off offset:-8
	v_mov_b64_e32 v[18:19], 0
	s_waitcnt vmcnt(0)
	v_cmp_eq_u32_e32 vcc, v20, v11
	v_cmp_ne_u32_e64 s[0:1], v20, v11
	s_and_saveexec_b64 s[20:21], s[0:1]
	s_cbranch_execz .LBB356_53
; %bb.38:                               ;   in Loop: Header=BB356_37 Depth=1
	v_cmp_eq_u32_e64 s[0:1], v28, v11
	v_cmp_ne_u32_e64 s[2:3], v28, v11
	v_mov_b64_e32 v[18:19], 1
	s_and_saveexec_b64 s[22:23], s[2:3]
	s_cbranch_execz .LBB356_52
; %bb.39:                               ;   in Loop: Header=BB356_37 Depth=1
	v_cmp_eq_u32_e64 s[2:3], v27, v11
	v_cmp_ne_u32_e64 s[4:5], v27, v11
	v_mov_b64_e32 v[18:19], 2
	;; [unrolled: 6-line block ×7, first 2 shown]
	s_and_saveexec_b64 s[38:39], s[12:13]
	s_xor_b64 s[38:39], exec, s[38:39]
; %bb.45:                               ;   in Loop: Header=BB356_37 Depth=1
	v_cmp_eq_u32_e64 s[12:13], v9, v11
	s_andn2_b64 s[36:37], s[36:37], exec
	s_and_b64 s[12:13], s[12:13], exec
	v_mov_b64_e32 v[18:19], 8
	s_or_b64 s[36:37], s[36:37], s[12:13]
; %bb.46:                               ;   in Loop: Header=BB356_37 Depth=1
	s_or_b64 exec, exec, s[38:39]
	s_andn2_b64 s[10:11], s[10:11], exec
	s_and_b64 s[12:13], s[36:37], exec
	s_or_b64 s[10:11], s[10:11], s[12:13]
.LBB356_47:                             ;   in Loop: Header=BB356_37 Depth=1
	s_or_b64 exec, exec, s[34:35]
	s_andn2_b64 s[8:9], s[8:9], exec
	s_and_b64 s[10:11], s[10:11], exec
	s_or_b64 s[8:9], s[8:9], s[10:11]
.LBB356_48:                             ;   in Loop: Header=BB356_37 Depth=1
	s_or_b64 exec, exec, s[30:31]
	s_andn2_b64 s[6:7], s[6:7], exec
	s_and_b64 s[8:9], s[8:9], exec
	s_or_b64 s[6:7], s[6:7], s[8:9]
.LBB356_49:                             ;   in Loop: Header=BB356_37 Depth=1
	s_or_b64 exec, exec, s[28:29]
	s_andn2_b64 s[4:5], s[4:5], exec
	s_and_b64 s[6:7], s[6:7], exec
	s_or_b64 s[4:5], s[4:5], s[6:7]
.LBB356_50:                             ;   in Loop: Header=BB356_37 Depth=1
	s_or_b64 exec, exec, s[26:27]
	s_andn2_b64 s[2:3], s[2:3], exec
	s_and_b64 s[4:5], s[4:5], exec
	s_or_b64 s[2:3], s[2:3], s[4:5]
.LBB356_51:                             ;   in Loop: Header=BB356_37 Depth=1
	s_or_b64 exec, exec, s[24:25]
	s_andn2_b64 s[0:1], s[0:1], exec
	s_and_b64 s[2:3], s[2:3], exec
	s_or_b64 s[0:1], s[0:1], s[2:3]
.LBB356_52:                             ;   in Loop: Header=BB356_37 Depth=1
	s_or_b64 exec, exec, s[22:23]
	s_andn2_b64 s[2:3], vcc, exec
	s_and_b64 s[0:1], s[0:1], exec
	s_or_b64 vcc, s[2:3], s[0:1]
.LBB356_53:                             ;   in Loop: Header=BB356_37 Depth=1
	s_or_b64 exec, exec, s[20:21]
	s_and_saveexec_b64 s[0:1], vcc
	s_cbranch_execz .LBB356_55
; %bb.54:                               ;   in Loop: Header=BB356_37 Depth=1
	v_cmp_eq_u32_e32 vcc, 1, v18
	v_add_u32_e32 v30, s15, v10
	v_ashrrev_i32_e32 v31, 31, v30
	v_cndmask_b32_e32 v11, v0, v1, vcc
	v_cmp_eq_u32_e32 vcc, 2, v18
	s_nop 1
	v_cndmask_b32_e32 v11, v11, v2, vcc
	v_cmp_eq_u32_e32 vcc, 3, v18
	s_nop 1
	;; [unrolled: 3-line block ×6, first 2 shown]
	v_cndmask_b32_e32 v11, v11, v7, vcc
	v_cmp_eq_u32_e32 vcc, 8, v18
	v_lshl_add_u64 v[18:19], v[30:31], 2, s[16:17]
	s_nop 0
	v_cndmask_b32_e32 v11, v11, v8, vcc
	v_mul_f32_e32 v11, v21, v11
	global_store_dword v[18:19], v11, off
.LBB356_55:                             ;   in Loop: Header=BB356_37 Depth=1
	s_or_b64 exec, exec, s[0:1]
	global_load_dword v11, v[16:17], off
	v_mov_b64_e32 v[18:19], 0
	s_waitcnt vmcnt(0)
	v_cmp_eq_u32_e64 s[10:11], v20, v11
	v_cmp_ne_u32_e32 vcc, v20, v11
	s_and_saveexec_b64 s[12:13], vcc
	s_cbranch_execz .LBB356_71
; %bb.56:                               ;   in Loop: Header=BB356_37 Depth=1
	v_cmp_eq_u32_e32 vcc, v28, v11
	v_cmp_ne_u32_e64 s[0:1], v28, v11
	v_mov_b64_e32 v[18:19], 1
	s_and_saveexec_b64 s[20:21], s[0:1]
	s_cbranch_execz .LBB356_70
; %bb.57:                               ;   in Loop: Header=BB356_37 Depth=1
	v_cmp_eq_u32_e64 s[0:1], v27, v11
	v_cmp_ne_u32_e64 s[2:3], v27, v11
	v_mov_b64_e32 v[18:19], 2
	s_and_saveexec_b64 s[22:23], s[2:3]
	s_cbranch_execz .LBB356_69
; %bb.58:                               ;   in Loop: Header=BB356_37 Depth=1
	v_cmp_eq_u32_e64 s[2:3], v26, v11
	;; [unrolled: 6-line block ×6, first 2 shown]
	v_cmp_ne_u32_e64 s[8:9], v22, v11
	v_mov_b64_e32 v[18:19], 7
	s_and_saveexec_b64 s[38:39], s[8:9]
; %bb.63:                               ;   in Loop: Header=BB356_37 Depth=1
	v_cmp_eq_u32_e64 s[8:9], v9, v11
	s_andn2_b64 s[36:37], s[36:37], exec
	s_and_b64 s[8:9], s[8:9], exec
	v_mov_b64_e32 v[18:19], 8
	s_or_b64 s[36:37], s[36:37], s[8:9]
; %bb.64:                               ;   in Loop: Header=BB356_37 Depth=1
	s_or_b64 exec, exec, s[38:39]
	s_andn2_b64 s[8:9], s[30:31], exec
	s_and_b64 s[30:31], s[36:37], exec
	s_or_b64 s[30:31], s[8:9], s[30:31]
.LBB356_65:                             ;   in Loop: Header=BB356_37 Depth=1
	s_or_b64 exec, exec, s[34:35]
	s_andn2_b64 s[6:7], s[6:7], exec
	s_and_b64 s[8:9], s[30:31], exec
	s_or_b64 s[6:7], s[6:7], s[8:9]
.LBB356_66:                             ;   in Loop: Header=BB356_37 Depth=1
	s_or_b64 exec, exec, s[28:29]
	s_andn2_b64 s[4:5], s[4:5], exec
	s_and_b64 s[6:7], s[6:7], exec
	s_or_b64 s[4:5], s[4:5], s[6:7]
.LBB356_67:                             ;   in Loop: Header=BB356_37 Depth=1
	s_or_b64 exec, exec, s[26:27]
	s_andn2_b64 s[2:3], s[2:3], exec
	s_and_b64 s[4:5], s[4:5], exec
	s_or_b64 s[2:3], s[2:3], s[4:5]
.LBB356_68:                             ;   in Loop: Header=BB356_37 Depth=1
	s_or_b64 exec, exec, s[24:25]
	s_andn2_b64 s[0:1], s[0:1], exec
	s_and_b64 s[2:3], s[2:3], exec
	s_or_b64 s[0:1], s[0:1], s[2:3]
.LBB356_69:                             ;   in Loop: Header=BB356_37 Depth=1
	s_or_b64 exec, exec, s[22:23]
	s_andn2_b64 s[2:3], vcc, exec
	s_and_b64 s[0:1], s[0:1], exec
	s_or_b64 vcc, s[2:3], s[0:1]
.LBB356_70:                             ;   in Loop: Header=BB356_37 Depth=1
	s_or_b64 exec, exec, s[20:21]
	s_andn2_b64 s[0:1], s[10:11], exec
	s_and_b64 s[2:3], vcc, exec
	s_or_b64 s[10:11], s[0:1], s[2:3]
.LBB356_71:                             ;   in Loop: Header=BB356_37 Depth=1
	s_or_b64 exec, exec, s[12:13]
	s_and_saveexec_b64 s[0:1], s[10:11]
	s_cbranch_execz .LBB356_36
; %bb.72:                               ;   in Loop: Header=BB356_37 Depth=1
	v_cmp_eq_u32_e32 vcc, 1, v18
	s_nop 1
	v_cndmask_b32_e32 v11, v0, v1, vcc
	v_cmp_eq_u32_e32 vcc, 2, v18
	s_nop 1
	v_cndmask_b32_e32 v11, v11, v2, vcc
	;; [unrolled: 3-line block ×8, first 2 shown]
	v_mul_f32_e32 v11, v21, v11
	global_store_dword v[14:15], v11, off
	s_branch .LBB356_36
.LBB356_73:
	s_bitcmp0_b32 s14, 0
	s_mov_b32 s19, 0
	s_cbranch_scc1 .LBB356_31
; %bb.74:
	v_lshl_add_u64 v[12:13], s[18:19], 3, v[12:13]
	global_load_dword v11, v[12:13], off
	v_mov_b64_e32 v[12:13], 0
	s_waitcnt vmcnt(0)
	v_cmp_eq_u32_e64 s[10:11], v20, v11
	v_cmp_ne_u32_e32 vcc, v20, v11
	s_and_saveexec_b64 s[12:13], vcc
	s_cbranch_execz .LBB356_90
; %bb.75:
	v_cmp_eq_u32_e32 vcc, v28, v11
	v_cmp_ne_u32_e64 s[0:1], v28, v11
	v_mov_b64_e32 v[12:13], 1
	s_and_saveexec_b64 s[14:15], s[0:1]
	s_cbranch_execz .LBB356_89
; %bb.76:
	v_cmp_eq_u32_e64 s[0:1], v27, v11
	v_cmp_ne_u32_e64 s[2:3], v27, v11
	v_mov_b64_e32 v[12:13], 2
	s_and_saveexec_b64 s[20:21], s[2:3]
	s_cbranch_execz .LBB356_88
; %bb.77:
	v_cmp_eq_u32_e64 s[2:3], v26, v11
	;; [unrolled: 6-line block ×6, first 2 shown]
	v_cmp_ne_u32_e64 s[8:9], v22, v11
	v_mov_b64_e32 v[12:13], 7
	s_and_saveexec_b64 s[36:37], s[8:9]
; %bb.82:
	v_cmp_eq_u32_e64 s[8:9], v9, v11
	s_andn2_b64 s[34:35], s[34:35], exec
	s_and_b64 s[8:9], s[8:9], exec
	v_mov_b64_e32 v[12:13], 8
	s_or_b64 s[34:35], s[34:35], s[8:9]
; %bb.83:
	s_or_b64 exec, exec, s[36:37]
	s_andn2_b64 s[8:9], s[28:29], exec
	s_and_b64 s[28:29], s[34:35], exec
	s_or_b64 s[28:29], s[8:9], s[28:29]
.LBB356_84:
	s_or_b64 exec, exec, s[30:31]
	s_andn2_b64 s[6:7], s[6:7], exec
	s_and_b64 s[8:9], s[28:29], exec
	s_or_b64 s[6:7], s[6:7], s[8:9]
.LBB356_85:
	s_or_b64 exec, exec, s[26:27]
	s_andn2_b64 s[4:5], s[4:5], exec
	s_and_b64 s[6:7], s[6:7], exec
	s_or_b64 s[4:5], s[4:5], s[6:7]
.LBB356_86:
	s_or_b64 exec, exec, s[24:25]
	s_andn2_b64 s[2:3], s[2:3], exec
	s_and_b64 s[4:5], s[4:5], exec
	s_or_b64 s[2:3], s[2:3], s[4:5]
.LBB356_87:
	s_or_b64 exec, exec, s[22:23]
	s_andn2_b64 s[0:1], s[0:1], exec
	s_and_b64 s[2:3], s[2:3], exec
	s_or_b64 s[0:1], s[0:1], s[2:3]
.LBB356_88:
	s_or_b64 exec, exec, s[20:21]
	s_andn2_b64 s[2:3], vcc, exec
	s_and_b64 s[0:1], s[0:1], exec
	s_or_b64 vcc, s[2:3], s[0:1]
.LBB356_89:
	s_or_b64 exec, exec, s[14:15]
	s_andn2_b64 s[0:1], s[10:11], exec
	s_and_b64 s[2:3], vcc, exec
	s_or_b64 s[10:11], s[0:1], s[2:3]
.LBB356_90:
	s_or_b64 exec, exec, s[12:13]
	s_and_b64 exec, exec, s[10:11]
	s_cbranch_execz .LBB356_31
; %bb.91:
	v_cmp_eq_u32_e32 vcc, 1, v12
	v_add_u32_e32 v10, s18, v10
	v_ashrrev_i32_e32 v11, 31, v10
	v_cndmask_b32_e32 v0, v0, v1, vcc
	v_cmp_eq_u32_e32 vcc, 2, v12
	s_nop 1
	v_cndmask_b32_e32 v0, v0, v2, vcc
	v_cmp_eq_u32_e32 vcc, 3, v12
	s_nop 1
	;; [unrolled: 3-line block ×7, first 2 shown]
	v_cndmask_b32_e32 v0, v0, v8, vcc
	v_mul_f32_e32 v2, v21, v0
	s_waitcnt lgkmcnt(0)
	v_lshl_add_u64 v[0:1], v[10:11], 2, s[16:17]
	global_store_dword v[0:1], v2, off
	s_endpgm
	.section	.rodata,"a",@progbits
	.p2align	6, 0x0
	.amdhsa_kernel _ZN4vllm3moe22topkGatingSoftplusSqrtILi9ELi576ELi4ELi2ELi64ELb1El6__halfEEvPKT6_PKbPfiPT5_PiiiibdPKfPKS9_SF_
		.amdhsa_group_segment_fixed_size 0
		.amdhsa_private_segment_fixed_size 0
		.amdhsa_kernarg_size 96
		.amdhsa_user_sgpr_count 2
		.amdhsa_user_sgpr_dispatch_ptr 0
		.amdhsa_user_sgpr_queue_ptr 0
		.amdhsa_user_sgpr_kernarg_segment_ptr 1
		.amdhsa_user_sgpr_dispatch_id 0
		.amdhsa_user_sgpr_kernarg_preload_length 0
		.amdhsa_user_sgpr_kernarg_preload_offset 0
		.amdhsa_user_sgpr_private_segment_size 0
		.amdhsa_uses_dynamic_stack 0
		.amdhsa_enable_private_segment 0
		.amdhsa_system_sgpr_workgroup_id_x 1
		.amdhsa_system_sgpr_workgroup_id_y 0
		.amdhsa_system_sgpr_workgroup_id_z 0
		.amdhsa_system_sgpr_workgroup_info 0
		.amdhsa_system_vgpr_workitem_id 1
		.amdhsa_next_free_vgpr 36
		.amdhsa_next_free_sgpr 40
		.amdhsa_accum_offset 36
		.amdhsa_reserve_vcc 1
		.amdhsa_float_round_mode_32 0
		.amdhsa_float_round_mode_16_64 0
		.amdhsa_float_denorm_mode_32 3
		.amdhsa_float_denorm_mode_16_64 3
		.amdhsa_dx10_clamp 1
		.amdhsa_ieee_mode 1
		.amdhsa_fp16_overflow 0
		.amdhsa_tg_split 0
		.amdhsa_exception_fp_ieee_invalid_op 0
		.amdhsa_exception_fp_denorm_src 0
		.amdhsa_exception_fp_ieee_div_zero 0
		.amdhsa_exception_fp_ieee_overflow 0
		.amdhsa_exception_fp_ieee_underflow 0
		.amdhsa_exception_fp_ieee_inexact 0
		.amdhsa_exception_int_div_zero 0
	.end_amdhsa_kernel
	.section	.text._ZN4vllm3moe22topkGatingSoftplusSqrtILi9ELi576ELi4ELi2ELi64ELb1El6__halfEEvPKT6_PKbPfiPT5_PiiiibdPKfPKS9_SF_,"axG",@progbits,_ZN4vllm3moe22topkGatingSoftplusSqrtILi9ELi576ELi4ELi2ELi64ELb1El6__halfEEvPKT6_PKbPfiPT5_PiiiibdPKfPKS9_SF_,comdat
.Lfunc_end356:
	.size	_ZN4vllm3moe22topkGatingSoftplusSqrtILi9ELi576ELi4ELi2ELi64ELb1El6__halfEEvPKT6_PKbPfiPT5_PiiiibdPKfPKS9_SF_, .Lfunc_end356-_ZN4vllm3moe22topkGatingSoftplusSqrtILi9ELi576ELi4ELi2ELi64ELb1El6__halfEEvPKT6_PKbPfiPT5_PiiiibdPKfPKS9_SF_
                                        ; -- End function
	.section	.AMDGPU.csdata,"",@progbits
; Kernel info:
; codeLenInByte = 5292
; NumSgprs: 46
; NumVgprs: 36
; NumAgprs: 0
; TotalNumVgprs: 36
; ScratchSize: 0
; MemoryBound: 0
; FloatMode: 240
; IeeeMode: 1
; LDSByteSize: 0 bytes/workgroup (compile time only)
; SGPRBlocks: 5
; VGPRBlocks: 4
; NumSGPRsForWavesPerEU: 46
; NumVGPRsForWavesPerEU: 36
; AccumOffset: 36
; Occupancy: 8
; WaveLimiterHint : 1
; COMPUTE_PGM_RSRC2:SCRATCH_EN: 0
; COMPUTE_PGM_RSRC2:USER_SGPR: 2
; COMPUTE_PGM_RSRC2:TRAP_HANDLER: 0
; COMPUTE_PGM_RSRC2:TGID_X_EN: 1
; COMPUTE_PGM_RSRC2:TGID_Y_EN: 0
; COMPUTE_PGM_RSRC2:TGID_Z_EN: 0
; COMPUTE_PGM_RSRC2:TIDIG_COMP_CNT: 1
; COMPUTE_PGM_RSRC3_GFX90A:ACCUM_OFFSET: 8
; COMPUTE_PGM_RSRC3_GFX90A:TG_SPLIT: 0
	.section	.text._ZN4vllm3moe22topkGatingSoftplusSqrtILi9ELi576ELi4ELi2ELi64ELb0El6__halfEEvPKT6_PKbPfiPT5_PiiiibdPKfPKS9_SF_,"axG",@progbits,_ZN4vllm3moe22topkGatingSoftplusSqrtILi9ELi576ELi4ELi2ELi64ELb0El6__halfEEvPKT6_PKbPfiPT5_PiiiibdPKfPKS9_SF_,comdat
	.protected	_ZN4vllm3moe22topkGatingSoftplusSqrtILi9ELi576ELi4ELi2ELi64ELb0El6__halfEEvPKT6_PKbPfiPT5_PiiiibdPKfPKS9_SF_ ; -- Begin function _ZN4vllm3moe22topkGatingSoftplusSqrtILi9ELi576ELi4ELi2ELi64ELb0El6__halfEEvPKT6_PKbPfiPT5_PiiiibdPKfPKS9_SF_
	.globl	_ZN4vllm3moe22topkGatingSoftplusSqrtILi9ELi576ELi4ELi2ELi64ELb0El6__halfEEvPKT6_PKbPfiPT5_PiiiibdPKfPKS9_SF_
	.p2align	8
	.type	_ZN4vllm3moe22topkGatingSoftplusSqrtILi9ELi576ELi4ELi2ELi64ELb0El6__halfEEvPKT6_PKbPfiPT5_PiiiibdPKfPKS9_SF_,@function
_ZN4vllm3moe22topkGatingSoftplusSqrtILi9ELi576ELi4ELi2ELi64ELb0El6__halfEEvPKT6_PKbPfiPT5_PiiiibdPKfPKS9_SF_: ; @_ZN4vllm3moe22topkGatingSoftplusSqrtILi9ELi576ELi4ELi2ELi64ELb0El6__halfEEvPKT6_PKbPfiPT5_PiiiibdPKfPKS9_SF_
; %bb.0:
	s_load_dword s30, s[0:1], 0x18
	v_and_b32_e32 v1, 0x3ff, v0
	s_lshl_b32 s2, s2, 2
	v_lshrrev_b32_e32 v2, 6, v1
	v_bfe_u32 v0, v0, 10, 10
	v_add3_u32 v10, s2, v0, v2
	s_waitcnt lgkmcnt(0)
	v_cmp_gt_i32_e32 vcc, s30, v10
	s_and_saveexec_b64 s[2:3], vcc
	s_cbranch_execz .LBB357_67
; %bb.1:
	s_load_dwordx4 s[4:7], s[0:1], 0x0
	s_load_dwordx2 s[20:21], s[0:1], 0x10
	s_waitcnt lgkmcnt(0)
	s_cmp_eq_u64 s[6:7], 0
	s_cbranch_scc1 .LBB357_3
; %bb.2:
	v_ashrrev_i32_e32 v11, 31, v10
	v_lshl_add_u64 v[2:3], s[6:7], 0, v[10:11]
	global_load_ubyte v0, v[2:3], off
	s_waitcnt vmcnt(0)
	v_and_b32_e32 v0, 1, v0
	v_cmp_eq_u32_e32 vcc, 1, v0
	s_xor_b64 s[2:3], vcc, -1
	s_orn2_b64 s[22:23], s[2:3], exec
	s_branch .LBB357_4
.LBB357_3:
	s_mov_b64 s[22:23], -1
.LBB357_4:
	s_movk_i32 s2, 0x240
	v_mul_lo_u32 v4, v10, s2
	v_mov_b32_e32 v2, s4
	v_mov_b32_e32 v3, s5
	v_ashrrev_i32_e32 v5, 31, v4
	v_and_b32_e32 v12, 63, v1
	v_lshl_add_u64 v[2:3], v[4:5], 1, v[2:3]
	v_mov_b32_e32 v1, 0
	v_lshlrev_b32_e32 v0, 1, v12
	v_lshl_add_u64 v[14:15], v[2:3], 0, v[0:1]
	global_load_ushort v0, v[14:15], off
	global_load_ushort v1, v[14:15], off offset:128
	global_load_ushort v2, v[14:15], off offset:256
	;; [unrolled: 1-line block ×8, first 2 shown]
	s_mov_b32 s16, 0x800000
	v_mov_b32_e32 v13, 0x4f800000
	s_mov_b32 s13, 0x3f317217
	s_mov_b32 s14, 0x7f800000
	v_mov_b32_e32 v14, 0x41b17218
	s_movk_i32 s12, 0x4d00
	s_mov_b32 s15, 0xf800000
	s_load_dwordx4 s[8:11], s[0:1], 0x40
	s_waitcnt lgkmcnt(0)
	s_cmp_lg_u64 s[10:11], 0
	s_cselect_b64 s[6:7], -1, 0
	s_and_b64 s[2:3], exec, s[6:7]
	s_waitcnt vmcnt(8)
	v_cvt_f32_f16_e32 v15, v0
	v_mul_f32_e32 v9, 0x3fb8aa3b, v15
	v_exp_f32_e32 v9, v9
	s_nop 0
	v_add_f32_e32 v9, 1.0, v9
	v_cmp_gt_f32_e32 vcc, s16, v9
	s_nop 1
	v_cndmask_b32_e32 v11, 1.0, v13, vcc
	v_mul_f32_e32 v9, v9, v11
	v_log_f32_e32 v16, v9
	v_cndmask_b32_e32 v17, 0, v14, vcc
	v_mov_b32_e32 v11, 0x260
	v_lshlrev_b32_e32 v9, 2, v12
	v_mul_f32_e32 v18, 0x3f317217, v16
	v_fma_f32 v18, v16, s13, -v18
	v_fmac_f32_e32 v18, 0x3377d1cf, v16
	v_fmac_f32_e32 v18, 0x3f317217, v16
	v_cmp_lt_f32_e64 vcc, |v16|, s14
	s_nop 1
	v_cndmask_b32_e32 v16, v16, v18, vcc
	v_sub_f32_e32 v16, v16, v17
	v_cmp_lt_f16_e32 vcc, s12, v0
	s_nop 1
	v_cndmask_b32_e32 v0, v16, v15, vcc
	v_mul_f32_e32 v15, 0x4f800000, v0
	v_cmp_gt_f32_e32 vcc, s15, v0
	s_nop 1
	v_cndmask_b32_e32 v0, v0, v15, vcc
	v_sqrt_f32_e32 v15, v0
	s_nop 0
	v_add_u32_e32 v16, -1, v15
	v_add_u32_e32 v17, 1, v15
	v_fma_f32 v18, -v16, v15, v0
	v_fma_f32 v19, -v17, v15, v0
	v_cmp_ge_f32_e64 s[4:5], 0, v18
	s_nop 1
	v_cndmask_b32_e64 v15, v15, v16, s[4:5]
	v_cmp_lt_f32_e64 s[4:5], 0, v19
	s_nop 1
	v_cndmask_b32_e64 v15, v15, v17, s[4:5]
	v_mul_f32_e32 v16, 0x37800000, v15
	v_cndmask_b32_e32 v15, v15, v16, vcc
	v_cmp_class_f32_e32 vcc, v0, v11
	s_nop 1
	v_cndmask_b32_e32 v0, v15, v0, vcc
	s_mov_b64 vcc, s[2:3]
	s_cbranch_vccz .LBB357_6
; %bb.5:
	global_load_dword v15, v9, s[10:11]
	s_waitcnt vmcnt(0)
	v_add_f32_e32 v0, v0, v15
.LBB357_6:
	s_waitcnt vmcnt(7)
	v_cvt_f32_f16_e32 v15, v1
	v_mul_f32_e32 v16, 0x3fb8aa3b, v15
	v_exp_f32_e32 v16, v16
	s_nop 0
	v_add_f32_e32 v16, 1.0, v16
	v_cmp_gt_f32_e32 vcc, s16, v16
	s_nop 1
	v_cndmask_b32_e32 v13, 1.0, v13, vcc
	v_mul_f32_e32 v13, v16, v13
	v_log_f32_e32 v13, v13
	v_cndmask_b32_e32 v14, 0, v14, vcc
	v_mul_f32_e32 v16, 0x3f317217, v13
	v_fma_f32 v16, v13, s13, -v16
	v_fmac_f32_e32 v16, 0x3377d1cf, v13
	v_fmac_f32_e32 v16, 0x3f317217, v13
	v_cmp_lt_f32_e64 vcc, |v13|, s14
	s_nop 1
	v_cndmask_b32_e32 v13, v13, v16, vcc
	v_sub_f32_e32 v13, v13, v14
	v_cmp_lt_f16_e32 vcc, s12, v1
	v_cndmask_b32_e64 v14, 0, 1, s[6:7]
	v_cmp_ne_u32_e64 s[2:3], 1, v14
	v_cndmask_b32_e32 v1, v13, v15, vcc
	v_mul_f32_e32 v13, 0x4f800000, v1
	v_cmp_gt_f32_e64 s[4:5], s15, v1
	s_andn2_b64 vcc, exec, s[6:7]
	s_nop 0
	v_cndmask_b32_e64 v1, v1, v13, s[4:5]
	v_sqrt_f32_e32 v13, v1
	s_nop 0
	v_add_u32_e32 v14, -1, v13
	v_add_u32_e32 v15, 1, v13
	v_fma_f32 v16, -v14, v13, v1
	v_fma_f32 v17, -v15, v13, v1
	v_cmp_ge_f32_e64 s[6:7], 0, v16
	s_nop 1
	v_cndmask_b32_e64 v13, v13, v14, s[6:7]
	v_cmp_lt_f32_e64 s[6:7], 0, v17
	s_nop 1
	v_cndmask_b32_e64 v13, v13, v15, s[6:7]
	v_mul_f32_e32 v14, 0x37800000, v13
	v_cndmask_b32_e64 v13, v13, v14, s[4:5]
	v_cmp_class_f32_e64 s[4:5], v1, v11
	s_nop 1
	v_cndmask_b32_e64 v1, v13, v1, s[4:5]
	s_cbranch_vccnz .LBB357_8
; %bb.7:
	global_load_dword v11, v9, s[10:11] offset:256
	s_waitcnt vmcnt(0)
	v_add_f32_e32 v1, v1, v11
.LBB357_8:
	s_waitcnt vmcnt(6)
	v_cvt_f32_f16_e32 v11, v2
	s_mov_b32 s12, 0x800000
	s_mov_b32 s7, 0x3f317217
	;; [unrolled: 1-line block ×3, first 2 shown]
	v_mul_f32_e32 v13, 0x3fb8aa3b, v11
	v_exp_f32_e32 v14, v13
	v_mov_b32_e32 v13, 0x4f800000
	s_movk_i32 s6, 0x4d00
	s_mov_b32 s14, 0xf800000
	v_add_f32_e32 v14, 1.0, v14
	v_cmp_gt_f32_e32 vcc, s12, v14
	s_nop 1
	v_cndmask_b32_e32 v15, 1.0, v13, vcc
	v_mul_f32_e32 v14, v14, v15
	v_log_f32_e32 v15, v14
	v_mov_b32_e32 v14, 0x41b17218
	v_cndmask_b32_e32 v16, 0, v14, vcc
	v_mul_f32_e32 v17, 0x3f317217, v15
	v_fma_f32 v17, v15, s7, -v17
	v_fmac_f32_e32 v17, 0x3377d1cf, v15
	v_fmac_f32_e32 v17, 0x3f317217, v15
	v_cmp_lt_f32_e64 vcc, |v15|, s13
	s_nop 1
	v_cndmask_b32_e32 v15, v15, v17, vcc
	v_sub_f32_e32 v15, v15, v16
	v_cmp_lt_f16_e32 vcc, s6, v2
	s_nop 1
	v_cndmask_b32_e32 v2, v15, v11, vcc
	v_mul_f32_e32 v11, 0x4f800000, v2
	v_cmp_gt_f32_e32 vcc, s14, v2
	s_nop 1
	v_cndmask_b32_e32 v2, v2, v11, vcc
	v_sqrt_f32_e32 v11, v2
	s_nop 0
	v_add_u32_e32 v15, -1, v11
	v_fma_f32 v16, -v15, v11, v2
	v_cmp_ge_f32_e64 s[4:5], 0, v16
	v_add_u32_e32 v16, 1, v11
	s_nop 0
	v_cndmask_b32_e64 v15, v11, v15, s[4:5]
	v_fma_f32 v11, -v16, v11, v2
	v_cmp_lt_f32_e64 s[4:5], 0, v11
	s_nop 1
	v_cndmask_b32_e64 v11, v15, v16, s[4:5]
	v_mul_f32_e32 v15, 0x37800000, v11
	v_cndmask_b32_e32 v15, v11, v15, vcc
	v_mov_b32_e32 v11, 0x260
	v_cmp_class_f32_e64 s[4:5], v2, v11
	s_and_b64 vcc, exec, s[2:3]
	s_nop 0
	v_cndmask_b32_e64 v2, v15, v2, s[4:5]
	s_cbranch_vccnz .LBB357_10
; %bb.9:
	global_load_dword v15, v9, s[10:11] offset:512
	s_waitcnt vmcnt(0)
	v_add_f32_e32 v2, v2, v15
.LBB357_10:
	s_waitcnt vmcnt(5)
	v_cvt_f32_f16_e32 v15, v3
	v_mul_f32_e32 v16, 0x3fb8aa3b, v15
	v_exp_f32_e32 v16, v16
	s_nop 0
	v_add_f32_e32 v16, 1.0, v16
	v_cmp_gt_f32_e32 vcc, s12, v16
	s_nop 1
	v_cndmask_b32_e32 v13, 1.0, v13, vcc
	v_mul_f32_e32 v13, v16, v13
	v_log_f32_e32 v13, v13
	v_cndmask_b32_e32 v14, 0, v14, vcc
	v_mul_f32_e32 v16, 0x3f317217, v13
	v_fma_f32 v16, v13, s7, -v16
	v_fmac_f32_e32 v16, 0x3377d1cf, v13
	v_fmac_f32_e32 v16, 0x3f317217, v13
	v_cmp_lt_f32_e64 vcc, |v13|, s13
	s_nop 1
	v_cndmask_b32_e32 v13, v13, v16, vcc
	v_sub_f32_e32 v13, v13, v14
	v_cmp_lt_f16_e32 vcc, s6, v3
	s_nop 1
	v_cndmask_b32_e32 v3, v13, v15, vcc
	v_mul_f32_e32 v13, 0x4f800000, v3
	v_cmp_gt_f32_e64 s[4:5], s14, v3
	s_and_b64 vcc, exec, s[2:3]
	s_nop 0
	v_cndmask_b32_e64 v3, v3, v13, s[4:5]
	v_sqrt_f32_e32 v13, v3
	s_nop 0
	v_add_u32_e32 v14, -1, v13
	v_add_u32_e32 v15, 1, v13
	v_fma_f32 v16, -v14, v13, v3
	v_fma_f32 v17, -v15, v13, v3
	v_cmp_ge_f32_e64 s[6:7], 0, v16
	s_nop 1
	v_cndmask_b32_e64 v13, v13, v14, s[6:7]
	v_cmp_lt_f32_e64 s[6:7], 0, v17
	s_nop 1
	v_cndmask_b32_e64 v13, v13, v15, s[6:7]
	v_mul_f32_e32 v14, 0x37800000, v13
	v_cndmask_b32_e64 v13, v13, v14, s[4:5]
	v_cmp_class_f32_e64 s[4:5], v3, v11
	s_nop 1
	v_cndmask_b32_e64 v3, v13, v3, s[4:5]
	s_cbranch_vccnz .LBB357_12
; %bb.11:
	global_load_dword v11, v9, s[10:11] offset:768
	s_waitcnt vmcnt(0)
	v_add_f32_e32 v3, v3, v11
.LBB357_12:
	s_waitcnt vmcnt(4)
	v_cvt_f32_f16_e32 v11, v4
	s_mov_b32 s7, 0x3f317217
	s_movk_i32 s6, 0x4d00
	v_mul_f32_e32 v13, 0x3fb8aa3b, v11
	v_exp_f32_e32 v14, v13
	v_mov_b32_e32 v13, 0x4f800000
	v_add_f32_e32 v14, 1.0, v14
	v_cmp_gt_f32_e32 vcc, s12, v14
	s_nop 1
	v_cndmask_b32_e32 v15, 1.0, v13, vcc
	v_mul_f32_e32 v14, v14, v15
	v_log_f32_e32 v15, v14
	v_mov_b32_e32 v14, 0x41b17218
	v_cndmask_b32_e32 v16, 0, v14, vcc
	v_mul_f32_e32 v17, 0x3f317217, v15
	v_fma_f32 v17, v15, s7, -v17
	v_fmac_f32_e32 v17, 0x3377d1cf, v15
	v_fmac_f32_e32 v17, 0x3f317217, v15
	v_cmp_lt_f32_e64 vcc, |v15|, s13
	s_nop 1
	v_cndmask_b32_e32 v15, v15, v17, vcc
	v_sub_f32_e32 v15, v15, v16
	v_cmp_lt_f16_e32 vcc, s6, v4
	s_nop 1
	v_cndmask_b32_e32 v4, v15, v11, vcc
	v_mul_f32_e32 v11, 0x4f800000, v4
	v_cmp_gt_f32_e32 vcc, s14, v4
	s_nop 1
	v_cndmask_b32_e32 v4, v4, v11, vcc
	v_sqrt_f32_e32 v11, v4
	s_nop 0
	v_add_u32_e32 v15, -1, v11
	v_fma_f32 v16, -v15, v11, v4
	v_cmp_ge_f32_e64 s[4:5], 0, v16
	v_add_u32_e32 v16, 1, v11
	s_nop 0
	v_cndmask_b32_e64 v15, v11, v15, s[4:5]
	v_fma_f32 v11, -v16, v11, v4
	v_cmp_lt_f32_e64 s[4:5], 0, v11
	s_nop 1
	v_cndmask_b32_e64 v11, v15, v16, s[4:5]
	v_mul_f32_e32 v15, 0x37800000, v11
	v_cndmask_b32_e32 v15, v11, v15, vcc
	v_mov_b32_e32 v11, 0x260
	v_cmp_class_f32_e64 s[4:5], v4, v11
	s_and_b64 vcc, exec, s[2:3]
	s_nop 0
	v_cndmask_b32_e64 v4, v15, v4, s[4:5]
	s_cbranch_vccnz .LBB357_14
; %bb.13:
	global_load_dword v15, v9, s[10:11] offset:1024
	s_waitcnt vmcnt(0)
	v_add_f32_e32 v4, v4, v15
.LBB357_14:
	s_waitcnt vmcnt(3)
	v_cvt_f32_f16_e32 v15, v5
	v_mul_f32_e32 v16, 0x3fb8aa3b, v15
	v_exp_f32_e32 v16, v16
	s_nop 0
	v_add_f32_e32 v16, 1.0, v16
	v_cmp_gt_f32_e32 vcc, s12, v16
	s_nop 1
	v_cndmask_b32_e32 v13, 1.0, v13, vcc
	v_mul_f32_e32 v13, v16, v13
	v_log_f32_e32 v13, v13
	v_cndmask_b32_e32 v14, 0, v14, vcc
	v_mul_f32_e32 v16, 0x3f317217, v13
	v_fma_f32 v16, v13, s7, -v16
	v_fmac_f32_e32 v16, 0x3377d1cf, v13
	v_fmac_f32_e32 v16, 0x3f317217, v13
	v_cmp_lt_f32_e64 vcc, |v13|, s13
	s_nop 1
	v_cndmask_b32_e32 v13, v13, v16, vcc
	v_sub_f32_e32 v13, v13, v14
	v_cmp_lt_f16_e32 vcc, s6, v5
	s_nop 1
	v_cndmask_b32_e32 v5, v13, v15, vcc
	v_mul_f32_e32 v13, 0x4f800000, v5
	v_cmp_gt_f32_e64 s[4:5], s14, v5
	s_and_b64 vcc, exec, s[2:3]
	s_nop 0
	v_cndmask_b32_e64 v5, v5, v13, s[4:5]
	v_sqrt_f32_e32 v13, v5
	s_nop 0
	v_add_u32_e32 v14, -1, v13
	v_add_u32_e32 v15, 1, v13
	v_fma_f32 v16, -v14, v13, v5
	v_fma_f32 v17, -v15, v13, v5
	v_cmp_ge_f32_e64 s[6:7], 0, v16
	s_nop 1
	v_cndmask_b32_e64 v13, v13, v14, s[6:7]
	v_cmp_lt_f32_e64 s[6:7], 0, v17
	s_nop 1
	v_cndmask_b32_e64 v13, v13, v15, s[6:7]
	v_mul_f32_e32 v14, 0x37800000, v13
	v_cndmask_b32_e64 v13, v13, v14, s[4:5]
	v_cmp_class_f32_e64 s[4:5], v5, v11
	s_nop 1
	v_cndmask_b32_e64 v5, v13, v5, s[4:5]
	s_cbranch_vccnz .LBB357_16
; %bb.15:
	global_load_dword v11, v9, s[10:11] offset:1280
	s_waitcnt vmcnt(0)
	v_add_f32_e32 v5, v5, v11
.LBB357_16:
	s_waitcnt vmcnt(2)
	v_cvt_f32_f16_e32 v11, v6
	s_mov_b32 s7, 0x3f317217
	s_movk_i32 s6, 0x4d00
	v_mul_f32_e32 v13, 0x3fb8aa3b, v11
	v_exp_f32_e32 v14, v13
	v_mov_b32_e32 v13, 0x4f800000
	v_add_f32_e32 v14, 1.0, v14
	v_cmp_gt_f32_e32 vcc, s12, v14
	s_nop 1
	v_cndmask_b32_e32 v15, 1.0, v13, vcc
	v_mul_f32_e32 v14, v14, v15
	v_log_f32_e32 v15, v14
	v_mov_b32_e32 v14, 0x41b17218
	v_cndmask_b32_e32 v16, 0, v14, vcc
	v_mul_f32_e32 v17, 0x3f317217, v15
	v_fma_f32 v17, v15, s7, -v17
	v_fmac_f32_e32 v17, 0x3377d1cf, v15
	v_fmac_f32_e32 v17, 0x3f317217, v15
	v_cmp_lt_f32_e64 vcc, |v15|, s13
	s_nop 1
	v_cndmask_b32_e32 v15, v15, v17, vcc
	v_sub_f32_e32 v15, v15, v16
	v_cmp_lt_f16_e32 vcc, s6, v6
	s_nop 1
	v_cndmask_b32_e32 v6, v15, v11, vcc
	v_mul_f32_e32 v11, 0x4f800000, v6
	v_cmp_gt_f32_e32 vcc, s14, v6
	s_nop 1
	v_cndmask_b32_e32 v6, v6, v11, vcc
	v_sqrt_f32_e32 v11, v6
	s_nop 0
	v_add_u32_e32 v15, -1, v11
	v_fma_f32 v16, -v15, v11, v6
	v_cmp_ge_f32_e64 s[4:5], 0, v16
	v_add_u32_e32 v16, 1, v11
	s_nop 0
	v_cndmask_b32_e64 v15, v11, v15, s[4:5]
	v_fma_f32 v11, -v16, v11, v6
	v_cmp_lt_f32_e64 s[4:5], 0, v11
	s_nop 1
	v_cndmask_b32_e64 v11, v15, v16, s[4:5]
	v_mul_f32_e32 v15, 0x37800000, v11
	v_cndmask_b32_e32 v15, v11, v15, vcc
	v_mov_b32_e32 v11, 0x260
	v_cmp_class_f32_e64 s[4:5], v6, v11
	s_and_b64 vcc, exec, s[2:3]
	s_nop 0
	v_cndmask_b32_e64 v6, v15, v6, s[4:5]
	s_cbranch_vccnz .LBB357_18
; %bb.17:
	global_load_dword v15, v9, s[10:11] offset:1536
	s_waitcnt vmcnt(0)
	v_add_f32_e32 v6, v6, v15
.LBB357_18:
	s_waitcnt vmcnt(1)
	v_cvt_f32_f16_e32 v15, v7
	v_mul_f32_e32 v16, 0x3fb8aa3b, v15
	v_exp_f32_e32 v16, v16
	s_nop 0
	v_add_f32_e32 v16, 1.0, v16
	v_cmp_gt_f32_e32 vcc, s12, v16
	s_nop 1
	v_cndmask_b32_e32 v13, 1.0, v13, vcc
	v_mul_f32_e32 v13, v16, v13
	v_log_f32_e32 v13, v13
	v_cndmask_b32_e32 v14, 0, v14, vcc
	v_mul_f32_e32 v16, 0x3f317217, v13
	v_fma_f32 v16, v13, s7, -v16
	v_fmac_f32_e32 v16, 0x3377d1cf, v13
	v_fmac_f32_e32 v16, 0x3f317217, v13
	v_cmp_lt_f32_e64 vcc, |v13|, s13
	s_nop 1
	v_cndmask_b32_e32 v13, v13, v16, vcc
	v_sub_f32_e32 v13, v13, v14
	v_cmp_lt_f16_e32 vcc, s6, v7
	s_nop 1
	v_cndmask_b32_e32 v7, v13, v15, vcc
	v_mul_f32_e32 v13, 0x4f800000, v7
	v_cmp_gt_f32_e64 s[4:5], s14, v7
	s_and_b64 vcc, exec, s[2:3]
	s_nop 0
	v_cndmask_b32_e64 v7, v7, v13, s[4:5]
	v_sqrt_f32_e32 v13, v7
	s_nop 0
	v_add_u32_e32 v14, -1, v13
	v_add_u32_e32 v15, 1, v13
	v_fma_f32 v16, -v14, v13, v7
	v_fma_f32 v17, -v15, v13, v7
	v_cmp_ge_f32_e64 s[6:7], 0, v16
	s_nop 1
	v_cndmask_b32_e64 v13, v13, v14, s[6:7]
	v_cmp_lt_f32_e64 s[6:7], 0, v17
	s_nop 1
	v_cndmask_b32_e64 v13, v13, v15, s[6:7]
	v_mul_f32_e32 v14, 0x37800000, v13
	v_cndmask_b32_e64 v13, v13, v14, s[4:5]
	v_cmp_class_f32_e64 s[4:5], v7, v11
	s_nop 1
	v_cndmask_b32_e64 v7, v13, v7, s[4:5]
	s_cbranch_vccnz .LBB357_20
; %bb.19:
	global_load_dword v11, v9, s[10:11] offset:1792
	s_waitcnt vmcnt(0)
	v_add_f32_e32 v7, v7, v11
.LBB357_20:
	s_waitcnt vmcnt(0)
	v_cvt_f32_f16_e32 v11, v8
	s_mov_b32 s5, 0x800000
	v_mov_b32_e32 v14, 0x4f800000
	s_mov_b32 s6, 0x3f317217
	v_mul_f32_e32 v13, 0x3fb8aa3b, v11
	v_exp_f32_e32 v13, v13
	s_movk_i32 s4, 0x4d00
	v_add_f32_e32 v13, 1.0, v13
	v_cmp_gt_f32_e32 vcc, s5, v13
	s_mov_b32 s5, 0x7f800000
	s_nop 0
	v_cndmask_b32_e32 v14, 1.0, v14, vcc
	v_mul_f32_e32 v13, v13, v14
	v_log_f32_e32 v13, v13
	v_mov_b32_e32 v14, 0x41b17218
	v_cndmask_b32_e32 v14, 0, v14, vcc
	v_mul_f32_e32 v15, 0x3f317217, v13
	v_fma_f32 v15, v13, s6, -v15
	v_fmamk_f32 v15, v13, 0x3377d1cf, v15
	v_fmac_f32_e32 v15, 0x3f317217, v13
	v_cmp_lt_f32_e64 vcc, |v13|, s5
	s_nop 1
	v_cndmask_b32_e32 v13, v13, v15, vcc
	v_sub_f32_e32 v13, v13, v14
	v_cmp_lt_f16_e32 vcc, s4, v8
	s_mov_b32 s4, 0xf800000
	s_nop 0
	v_cndmask_b32_e32 v8, v13, v11, vcc
	v_mul_f32_e32 v11, 0x4f800000, v8
	v_cmp_gt_f32_e32 vcc, s4, v8
	s_nop 1
	v_cndmask_b32_e32 v8, v8, v11, vcc
	v_sqrt_f32_e32 v11, v8
	s_nop 0
	v_add_u32_e32 v13, -1, v11
	v_fma_f32 v14, -v13, v11, v8
	v_cmp_ge_f32_e64 s[4:5], 0, v14
	v_add_u32_e32 v14, 1, v11
	s_nop 0
	v_cndmask_b32_e64 v13, v11, v13, s[4:5]
	v_fma_f32 v11, -v14, v11, v8
	v_cmp_lt_f32_e64 s[4:5], 0, v11
	s_nop 1
	v_cndmask_b32_e64 v11, v13, v14, s[4:5]
	v_mul_f32_e32 v13, 0x37800000, v11
	v_cndmask_b32_e32 v11, v11, v13, vcc
	v_mov_b32_e32 v13, 0x260
	v_cmp_class_f32_e64 s[4:5], v8, v13
	s_and_b64 vcc, exec, s[2:3]
	s_nop 0
	v_cndmask_b32_e64 v8, v11, v8, s[4:5]
	s_cbranch_vccnz .LBB357_22
; %bb.21:
	global_load_dword v9, v9, s[10:11] offset:2048
	s_waitcnt vmcnt(0)
	v_add_f32_e32 v8, v8, v9
.LBB357_22:
	s_load_dwordx4 s[12:15], s[0:1], 0x30
	v_cmp_eq_u32_e64 s[6:7], 0, v12
	s_waitcnt lgkmcnt(0)
	s_bitcmp1_b32 s15, 0
	s_cselect_b64 s[4:5], -1, 0
	s_cmp_gt_i32 s12, 0
	s_cselect_b64 s[24:25], -1, 0
	s_and_b64 vcc, exec, s[24:25]
	s_cbranch_vccz .LBB357_53
; %bb.23:
	v_mbcnt_lo_u32_b32 v9, -1, 0
	v_mbcnt_hi_u32_b32 v14, -1, v9
	v_and_b32_e32 v9, 64, v14
	v_add_u32_e32 v15, 64, v9
	v_xor_b32_e32 v18, 32, v14
	v_cmp_lt_i32_e32 vcc, v18, v15
	s_load_dwordx4 s[16:19], s[0:1], 0x20
	s_mov_b32 s15, 0
	v_cndmask_b32_e32 v18, v14, v18, vcc
	v_lshlrev_b32_e32 v23, 2, v18
	v_xor_b32_e32 v18, 16, v14
	v_cmp_lt_i32_e32 vcc, v18, v15
	v_mul_lo_u32 v9, v10, s12
	v_or_b32_e32 v11, 64, v12
	v_cndmask_b32_e32 v18, v14, v18, vcc
	v_lshlrev_b32_e32 v24, 2, v18
	v_xor_b32_e32 v18, 8, v14
	v_cmp_lt_i32_e32 vcc, v18, v15
	v_or_b32_e32 v13, 0x80, v12
	v_or_b32_e32 v16, 0xc0, v12
	v_cndmask_b32_e32 v18, v14, v18, vcc
	v_lshlrev_b32_e32 v25, 2, v18
	v_xor_b32_e32 v18, 4, v14
	v_cmp_lt_i32_e32 vcc, v18, v15
	v_or_b32_e32 v17, 0x100, v12
	v_or_b32_e32 v19, 0x140, v12
	v_cndmask_b32_e32 v18, v14, v18, vcc
	v_lshlrev_b32_e32 v26, 2, v18
	v_xor_b32_e32 v18, 2, v14
	v_cmp_lt_i32_e32 vcc, v18, v15
	v_or_b32_e32 v20, 0x180, v12
	v_or_b32_e32 v21, 0x1c0, v12
	v_cndmask_b32_e32 v18, v14, v18, vcc
	v_lshlrev_b32_e32 v27, 2, v18
	v_xor_b32_e32 v18, 1, v14
	v_cmp_lt_i32_e32 vcc, v18, v15
	v_or_b32_e32 v22, 0x200, v12
	v_mov_b32_e32 v29, 0x240
	v_cndmask_b32_e32 v14, v14, v18, vcc
	v_lshlrev_b32_e32 v28, 2, v14
	v_mov_b32_e32 v18, 0
	v_mov_b32_e32 v30, 0xc61c4000
	;; [unrolled: 1-line block ×3, first 2 shown]
	s_branch .LBB357_26
.LBB357_24:                             ;   in Loop: Header=BB357_26 Depth=1
	v_add_u32_e32 v34, s15, v9
	v_cmp_le_i32_e32 vcc, s13, v14
	v_cmp_gt_i32_e64 s[0:1], s14, v14
	v_ashrrev_i32_e32 v35, 31, v34
	s_and_b64 s[0:1], vcc, s[0:1]
	v_lshlrev_b64 v[36:37], 2, v[34:35]
	v_subrev_u32_e32 v15, s13, v14
	v_lshl_add_u64 v[38:39], s[20:21], 0, v[36:37]
	s_waitcnt lgkmcnt(0)
	v_ashrrev_i32_e32 v33, 31, v15
	s_and_b64 vcc, s[22:23], s[0:1]
	global_store_dword v[38:39], v32, off
	v_cndmask_b32_e32 v39, 0, v33, vcc
	v_cndmask_b32_e32 v38, v29, v15, vcc
	v_lshl_add_u64 v[34:35], v[34:35], 3, s[16:17]
	v_add_f32_e32 v15, v18, v32
	global_store_dwordx2 v[34:35], v[38:39], off
	v_lshl_add_u64 v[34:35], s[18:19], 0, v[36:37]
	v_cndmask_b32_e64 v18, v18, v15, s[4:5]
	global_store_dword v[34:35], v31, off
.LBB357_25:                             ;   in Loop: Header=BB357_26 Depth=1
	s_or_b64 exec, exec, s[26:27]
	v_ashrrev_i32_e32 v15, 31, v14
	v_lshrrev_b32_e32 v15, 26, v15
	v_add_u32_e32 v15, v14, v15
	v_and_b32_e32 v32, 0xffffffc0, v15
	v_sub_u32_e32 v14, v14, v32
	s_add_i32 s15, s15, 1
	v_cmp_eq_u32_e32 vcc, v12, v14
	s_cmp_lt_i32 s15, s12
	v_ashrrev_i32_e32 v14, 6, v15
	s_cselect_b64 s[26:27], -1, 0
	v_cmp_ne_u32_e64 s[0:1], 8, v14
	s_and_b64 vcc, s[26:27], vcc
	s_cmp_eq_u32 s12, s15
	v_cndmask_b32_e64 v15, v30, v8, s[0:1]
	v_cmp_ne_u32_e64 s[0:1], 7, v14
	v_cndmask_b32_e32 v8, v8, v15, vcc
	v_add_u32_e32 v31, s30, v31
	v_cndmask_b32_e64 v15, v30, v7, s[0:1]
	v_cmp_ne_u32_e64 s[0:1], 6, v14
	v_cndmask_b32_e32 v7, v7, v15, vcc
	s_nop 0
	v_cndmask_b32_e64 v15, v30, v6, s[0:1]
	v_cmp_ne_u32_e64 s[0:1], 5, v14
	v_cndmask_b32_e32 v6, v6, v15, vcc
	s_nop 0
	;; [unrolled: 4-line block ×7, first 2 shown]
	v_cndmask_b32_e64 v14, v30, v0, s[0:1]
	v_cndmask_b32_e32 v0, v0, v14, vcc
	s_cbranch_scc1 .LBB357_54
.LBB357_26:                             ; =>This Inner Loop Header: Depth=1
	v_cmp_gt_f32_e32 vcc, v1, v0
	s_nop 1
	v_cndmask_b32_e32 v15, v0, v1, vcc
	v_cndmask_b32_e32 v14, v12, v11, vcc
	v_cmp_gt_f32_e32 vcc, v2, v15
	s_nop 1
	v_cndmask_b32_e32 v15, v15, v2, vcc
	v_cndmask_b32_e32 v14, v14, v13, vcc
	;; [unrolled: 4-line block ×8, first 2 shown]
	ds_bpermute_b32 v15, v23, v32
	s_waitcnt lgkmcnt(0)
	ds_bpermute_b32 v33, v23, v14
	s_waitcnt lgkmcnt(0)
	v_cmp_lt_f32_e64 s[26:27], v32, v15
	v_cmp_nlt_f32_e32 vcc, v32, v15
	s_and_saveexec_b64 s[28:29], vcc
; %bb.27:                               ;   in Loop: Header=BB357_26 Depth=1
	v_cmp_eq_f32_e32 vcc, v32, v15
	v_cmp_lt_i32_e64 s[0:1], v33, v14
	s_and_b64 s[0:1], vcc, s[0:1]
	s_andn2_b64 s[26:27], s[26:27], exec
	s_and_b64 s[0:1], s[0:1], exec
	s_or_b64 s[26:27], s[26:27], s[0:1]
; %bb.28:                               ;   in Loop: Header=BB357_26 Depth=1
	s_or_b64 exec, exec, s[28:29]
	s_and_saveexec_b64 s[0:1], s[26:27]
; %bb.29:                               ;   in Loop: Header=BB357_26 Depth=1
	v_mov_b32_e32 v32, v15
	v_mov_b32_e32 v14, v33
; %bb.30:                               ;   in Loop: Header=BB357_26 Depth=1
	s_or_b64 exec, exec, s[0:1]
	ds_bpermute_b32 v15, v24, v32
	ds_bpermute_b32 v33, v24, v14
	s_waitcnt lgkmcnt(1)
	v_cmp_lt_f32_e64 s[26:27], v32, v15
	v_cmp_nlt_f32_e32 vcc, v32, v15
	s_and_saveexec_b64 s[28:29], vcc
	s_cbranch_execz .LBB357_32
; %bb.31:                               ;   in Loop: Header=BB357_26 Depth=1
	v_cmp_eq_f32_e32 vcc, v32, v15
	s_waitcnt lgkmcnt(0)
	v_cmp_lt_i32_e64 s[0:1], v33, v14
	s_and_b64 s[0:1], vcc, s[0:1]
	s_andn2_b64 s[26:27], s[26:27], exec
	s_and_b64 s[0:1], s[0:1], exec
	s_or_b64 s[26:27], s[26:27], s[0:1]
.LBB357_32:                             ;   in Loop: Header=BB357_26 Depth=1
	s_or_b64 exec, exec, s[28:29]
	s_and_saveexec_b64 s[0:1], s[26:27]
	s_cbranch_execz .LBB357_34
; %bb.33:                               ;   in Loop: Header=BB357_26 Depth=1
	v_mov_b32_e32 v32, v15
	s_waitcnt lgkmcnt(0)
	v_mov_b32_e32 v14, v33
.LBB357_34:                             ;   in Loop: Header=BB357_26 Depth=1
	s_or_b64 exec, exec, s[0:1]
	ds_bpermute_b32 v15, v25, v32
	s_waitcnt lgkmcnt(1)
	ds_bpermute_b32 v33, v25, v14
	s_waitcnt lgkmcnt(1)
	v_cmp_lt_f32_e64 s[26:27], v32, v15
	v_cmp_nlt_f32_e32 vcc, v32, v15
	s_and_saveexec_b64 s[28:29], vcc
	s_cbranch_execz .LBB357_36
; %bb.35:                               ;   in Loop: Header=BB357_26 Depth=1
	v_cmp_eq_f32_e32 vcc, v32, v15
	s_waitcnt lgkmcnt(0)
	v_cmp_lt_i32_e64 s[0:1], v33, v14
	s_and_b64 s[0:1], vcc, s[0:1]
	s_andn2_b64 s[26:27], s[26:27], exec
	s_and_b64 s[0:1], s[0:1], exec
	s_or_b64 s[26:27], s[26:27], s[0:1]
.LBB357_36:                             ;   in Loop: Header=BB357_26 Depth=1
	s_or_b64 exec, exec, s[28:29]
	s_and_saveexec_b64 s[0:1], s[26:27]
	s_cbranch_execz .LBB357_38
; %bb.37:                               ;   in Loop: Header=BB357_26 Depth=1
	v_mov_b32_e32 v32, v15
	s_waitcnt lgkmcnt(0)
	v_mov_b32_e32 v14, v33
.LBB357_38:                             ;   in Loop: Header=BB357_26 Depth=1
	s_or_b64 exec, exec, s[0:1]
	ds_bpermute_b32 v15, v26, v32
	s_waitcnt lgkmcnt(1)
	;; [unrolled: 26-line block ×4, first 2 shown]
	ds_bpermute_b32 v33, v28, v14
	s_waitcnt lgkmcnt(1)
	v_cmp_lt_f32_e64 s[26:27], v32, v15
	v_cmp_nlt_f32_e32 vcc, v32, v15
	s_and_saveexec_b64 s[28:29], vcc
	s_cbranch_execnz .LBB357_49
; %bb.47:                               ;   in Loop: Header=BB357_26 Depth=1
	s_or_b64 exec, exec, s[28:29]
	s_and_saveexec_b64 s[0:1], s[26:27]
	s_cbranch_execnz .LBB357_50
.LBB357_48:                             ;   in Loop: Header=BB357_26 Depth=1
	s_or_b64 exec, exec, s[0:1]
	s_and_saveexec_b64 s[26:27], s[6:7]
	s_cbranch_execz .LBB357_25
	s_branch .LBB357_51
.LBB357_49:                             ;   in Loop: Header=BB357_26 Depth=1
	v_cmp_eq_f32_e32 vcc, v32, v15
	s_waitcnt lgkmcnt(0)
	v_cmp_lt_i32_e64 s[0:1], v33, v14
	s_and_b64 s[0:1], vcc, s[0:1]
	s_andn2_b64 s[26:27], s[26:27], exec
	s_and_b64 s[0:1], s[0:1], exec
	s_or_b64 s[26:27], s[26:27], s[0:1]
	s_or_b64 exec, exec, s[28:29]
	s_and_saveexec_b64 s[0:1], s[26:27]
	s_cbranch_execz .LBB357_48
.LBB357_50:                             ;   in Loop: Header=BB357_26 Depth=1
	s_waitcnt lgkmcnt(0)
	v_mov_b32_e32 v14, v33
	v_mov_b32_e32 v32, v15
	s_or_b64 exec, exec, s[0:1]
	s_and_saveexec_b64 s[26:27], s[6:7]
	s_cbranch_execz .LBB357_25
.LBB357_51:                             ;   in Loop: Header=BB357_26 Depth=1
	s_and_b64 vcc, exec, s[2:3]
	s_cbranch_vccnz .LBB357_24
; %bb.52:                               ;   in Loop: Header=BB357_26 Depth=1
	v_ashrrev_i32_e32 v15, 31, v14
	v_lshl_add_u64 v[34:35], v[14:15], 2, s[10:11]
	global_load_dword v15, v[34:35], off
	s_waitcnt vmcnt(0)
	v_sub_f32_e32 v32, v32, v15
	s_branch .LBB357_24
.LBB357_53:
	v_mov_b32_e32 v18, 0
.LBB357_54:
	v_cmp_eq_u32_e32 vcc, 0, v12
	s_and_b64 exec, exec, vcc
	s_cbranch_execz .LBB357_67
; %bb.55:
	s_andn2_b64 vcc, exec, s[4:5]
	v_cvt_f32_f64_e32 v0, s[8:9]
	s_cbranch_vccnz .LBB357_57
; %bb.56:
	v_cmp_lt_f32_e32 vcc, 0, v18
	s_nop 1
	v_cndmask_b32_e32 v1, 1.0, v18, vcc
	v_div_scale_f32 v2, s[0:1], v1, v1, v0
	v_rcp_f32_e32 v3, v2
	s_nop 0
	v_fma_f32 v4, -v2, v3, 1.0
	v_fmac_f32_e32 v3, v4, v3
	v_div_scale_f32 v4, vcc, v0, v1, v0
	v_mul_f32_e32 v5, v4, v3
	v_fma_f32 v6, -v2, v5, v4
	v_fmac_f32_e32 v5, v6, v3
	v_fma_f32 v2, -v2, v5, v4
	v_div_fmas_f32 v2, v2, v3, v5
	v_div_fixup_f32 v0, v2, v1, v0
.LBB357_57:
	s_andn2_b64 vcc, exec, s[24:25]
	s_cbranch_vccnz .LBB357_67
; %bb.58:
	v_mul_lo_u32 v2, v10, s12
	s_cmp_gt_u32 s12, 3
	v_ashrrev_i32_e32 v3, 31, v2
	s_cbranch_scc0 .LBB357_62
; %bb.59:
	s_and_b32 s0, s12, 0x7ffffffc
	v_lshl_add_u64 v[4:5], v[2:3], 2, s[20:21]
	v_mov_b32_e32 v1, v0
	v_lshl_add_u64 v[4:5], v[4:5], 0, 8
	s_mov_b32 s1, s0
.LBB357_60:                             ; =>This Inner Loop Header: Depth=1
	global_load_dwordx4 v[6:9], v[4:5], off offset:-8
	s_add_i32 s1, s1, -4
	s_cmp_lg_u32 s1, 0
	s_waitcnt vmcnt(0)
	v_pk_mul_f32 v[6:7], v[0:1], v[6:7]
	v_pk_mul_f32 v[8:9], v[0:1], v[8:9]
	global_store_dwordx4 v[4:5], v[6:9], off offset:-8
	v_lshl_add_u64 v[4:5], v[4:5], 0, 16
	s_cbranch_scc1 .LBB357_60
; %bb.61:
	s_cmp_lg_u32 s0, s12
	s_cselect_b64 s[2:3], -1, 0
	s_branch .LBB357_64
.LBB357_62:
	s_mov_b64 s[2:3], 0
                                        ; implicit-def: $sgpr0
	s_cbranch_execz .LBB357_64
; %bb.63:
	s_mov_b64 s[2:3], -1
	s_mov_b32 s0, 0
.LBB357_64:
	s_andn2_b64 vcc, exec, s[2:3]
	s_cbranch_vccnz .LBB357_67
; %bb.65:
	s_mov_b32 s1, 0
	v_lshl_add_u64 v[2:3], v[2:3], 0, s[0:1]
	s_sub_i32 s2, s12, s0
	v_lshl_add_u64 v[2:3], v[2:3], 2, s[20:21]
.LBB357_66:                             ; =>This Inner Loop Header: Depth=1
	global_load_dword v1, v[2:3], off
	s_add_i32 s2, s2, -1
	s_cmp_lg_u32 s2, 0
	s_waitcnt vmcnt(0)
	v_mul_f32_e32 v1, v0, v1
	global_store_dword v[2:3], v1, off
	v_lshl_add_u64 v[2:3], v[2:3], 0, 4
	s_cbranch_scc1 .LBB357_66
.LBB357_67:
	s_endpgm
	.section	.rodata,"a",@progbits
	.p2align	6, 0x0
	.amdhsa_kernel _ZN4vllm3moe22topkGatingSoftplusSqrtILi9ELi576ELi4ELi2ELi64ELb0El6__halfEEvPKT6_PKbPfiPT5_PiiiibdPKfPKS9_SF_
		.amdhsa_group_segment_fixed_size 0
		.amdhsa_private_segment_fixed_size 0
		.amdhsa_kernarg_size 96
		.amdhsa_user_sgpr_count 2
		.amdhsa_user_sgpr_dispatch_ptr 0
		.amdhsa_user_sgpr_queue_ptr 0
		.amdhsa_user_sgpr_kernarg_segment_ptr 1
		.amdhsa_user_sgpr_dispatch_id 0
		.amdhsa_user_sgpr_kernarg_preload_length 0
		.amdhsa_user_sgpr_kernarg_preload_offset 0
		.amdhsa_user_sgpr_private_segment_size 0
		.amdhsa_uses_dynamic_stack 0
		.amdhsa_enable_private_segment 0
		.amdhsa_system_sgpr_workgroup_id_x 1
		.amdhsa_system_sgpr_workgroup_id_y 0
		.amdhsa_system_sgpr_workgroup_id_z 0
		.amdhsa_system_sgpr_workgroup_info 0
		.amdhsa_system_vgpr_workitem_id 1
		.amdhsa_next_free_vgpr 40
		.amdhsa_next_free_sgpr 31
		.amdhsa_accum_offset 40
		.amdhsa_reserve_vcc 1
		.amdhsa_float_round_mode_32 0
		.amdhsa_float_round_mode_16_64 0
		.amdhsa_float_denorm_mode_32 3
		.amdhsa_float_denorm_mode_16_64 3
		.amdhsa_dx10_clamp 1
		.amdhsa_ieee_mode 1
		.amdhsa_fp16_overflow 0
		.amdhsa_tg_split 0
		.amdhsa_exception_fp_ieee_invalid_op 0
		.amdhsa_exception_fp_denorm_src 0
		.amdhsa_exception_fp_ieee_div_zero 0
		.amdhsa_exception_fp_ieee_overflow 0
		.amdhsa_exception_fp_ieee_underflow 0
		.amdhsa_exception_fp_ieee_inexact 0
		.amdhsa_exception_int_div_zero 0
	.end_amdhsa_kernel
	.section	.text._ZN4vllm3moe22topkGatingSoftplusSqrtILi9ELi576ELi4ELi2ELi64ELb0El6__halfEEvPKT6_PKbPfiPT5_PiiiibdPKfPKS9_SF_,"axG",@progbits,_ZN4vllm3moe22topkGatingSoftplusSqrtILi9ELi576ELi4ELi2ELi64ELb0El6__halfEEvPKT6_PKbPfiPT5_PiiiibdPKfPKS9_SF_,comdat
.Lfunc_end357:
	.size	_ZN4vllm3moe22topkGatingSoftplusSqrtILi9ELi576ELi4ELi2ELi64ELb0El6__halfEEvPKT6_PKbPfiPT5_PiiiibdPKfPKS9_SF_, .Lfunc_end357-_ZN4vllm3moe22topkGatingSoftplusSqrtILi9ELi576ELi4ELi2ELi64ELb0El6__halfEEvPKT6_PKbPfiPT5_PiiiibdPKfPKS9_SF_
                                        ; -- End function
	.section	.AMDGPU.csdata,"",@progbits
; Kernel info:
; codeLenInByte = 4756
; NumSgprs: 37
; NumVgprs: 40
; NumAgprs: 0
; TotalNumVgprs: 40
; ScratchSize: 0
; MemoryBound: 0
; FloatMode: 240
; IeeeMode: 1
; LDSByteSize: 0 bytes/workgroup (compile time only)
; SGPRBlocks: 4
; VGPRBlocks: 4
; NumSGPRsForWavesPerEU: 37
; NumVGPRsForWavesPerEU: 40
; AccumOffset: 40
; Occupancy: 8
; WaveLimiterHint : 1
; COMPUTE_PGM_RSRC2:SCRATCH_EN: 0
; COMPUTE_PGM_RSRC2:USER_SGPR: 2
; COMPUTE_PGM_RSRC2:TRAP_HANDLER: 0
; COMPUTE_PGM_RSRC2:TGID_X_EN: 1
; COMPUTE_PGM_RSRC2:TGID_Y_EN: 0
; COMPUTE_PGM_RSRC2:TGID_Z_EN: 0
; COMPUTE_PGM_RSRC2:TIDIG_COMP_CNT: 1
; COMPUTE_PGM_RSRC3_GFX90A:ACCUM_OFFSET: 9
; COMPUTE_PGM_RSRC3_GFX90A:TG_SPLIT: 0
	.section	.text._ZN4vllm3moe22topkGatingSoftplusSqrtILi18ELi576ELi4ELi2ELi32ELb1El6__halfEEvPKT6_PKbPfiPT5_PiiiibdPKfPKS9_SF_,"axG",@progbits,_ZN4vllm3moe22topkGatingSoftplusSqrtILi18ELi576ELi4ELi2ELi32ELb1El6__halfEEvPKT6_PKbPfiPT5_PiiiibdPKfPKS9_SF_,comdat
	.protected	_ZN4vllm3moe22topkGatingSoftplusSqrtILi18ELi576ELi4ELi2ELi32ELb1El6__halfEEvPKT6_PKbPfiPT5_PiiiibdPKfPKS9_SF_ ; -- Begin function _ZN4vllm3moe22topkGatingSoftplusSqrtILi18ELi576ELi4ELi2ELi32ELb1El6__halfEEvPKT6_PKbPfiPT5_PiiiibdPKfPKS9_SF_
	.globl	_ZN4vllm3moe22topkGatingSoftplusSqrtILi18ELi576ELi4ELi2ELi32ELb1El6__halfEEvPKT6_PKbPfiPT5_PiiiibdPKfPKS9_SF_
	.p2align	8
	.type	_ZN4vllm3moe22topkGatingSoftplusSqrtILi18ELi576ELi4ELi2ELi32ELb1El6__halfEEvPKT6_PKbPfiPT5_PiiiibdPKfPKS9_SF_,@function
_ZN4vllm3moe22topkGatingSoftplusSqrtILi18ELi576ELi4ELi2ELi32ELb1El6__halfEEvPKT6_PKbPfiPT5_PiiiibdPKfPKS9_SF_: ; @_ZN4vllm3moe22topkGatingSoftplusSqrtILi18ELi576ELi4ELi2ELi32ELb1El6__halfEEvPKT6_PKbPfiPT5_PiiiibdPKfPKS9_SF_
; %bb.0:
	s_load_dword s3, s[0:1], 0x18
	v_and_b32_e32 v1, 0x3ff, v0
	s_lshl_b32 s2, s2, 2
	v_lshrrev_b32_e32 v2, 5, v1
	v_bfe_u32 v0, v0, 10, 10
	v_add3_u32 v10, s2, v0, v2
	s_waitcnt lgkmcnt(0)
	v_cmp_gt_i32_e32 vcc, s3, v10
	s_and_saveexec_b64 s[2:3], vcc
	s_cbranch_execz .LBB358_71
; %bb.1:
	s_load_dwordx4 s[4:7], s[0:1], 0x50
	s_load_dwordx2 s[2:3], s[0:1], 0x0
	s_load_dword s34, s[0:1], 0x30
	s_movk_i32 s8, 0x240
	v_mul_lo_u32 v4, v10, s8
	v_ashrrev_i32_e32 v5, 31, v4
	v_and_b32_e32 v16, 31, v1
	s_waitcnt lgkmcnt(0)
	v_lshl_add_u64 v[4:5], v[4:5], 1, s[2:3]
	v_lshlrev_b32_e32 v8, 1, v16
	v_mov_b32_e32 v9, 0
	v_mov_b32_e32 v2, s4
	;; [unrolled: 1-line block ×3, first 2 shown]
	v_lshl_add_u64 v[0:1], v[4:5], 0, v[8:9]
	v_ashrrev_i32_e32 v11, 31, v10
	global_load_ushort v20, v[0:1], off
	global_load_ushort v21, v[0:1], off offset:64
	global_load_ushort v23, v[0:1], off offset:128
	;; [unrolled: 1-line block ×17, first 2 shown]
	v_lshl_add_u64 v[0:1], v[10:11], 3, v[2:3]
	global_load_dwordx2 v[14:15], v[0:1], off
	s_ashr_i32 s35, s34, 31
	s_mov_b32 s12, 0x800000
	v_mov_b32_e32 v8, 0x4f800000
	s_mov_b32 s9, 0x3f317217
	s_mov_b32 s13, 0x7f800000
	v_mov_b32_e32 v11, 0x41b17218
	s_movk_i32 s15, 0x4d00
	s_mov_b32 s14, 0xf800000
	v_mov_b32_e32 v12, s6
	v_mov_b32_e32 v13, s7
	v_cmp_lt_i64_e64 s[10:11], s[34:35], 1
	s_mov_b32 s8, 0
	v_cmp_gt_i64_e64 s[6:7], s[34:35], 0
	s_waitcnt vmcnt(18)
	v_cvt_f32_f16_e32 v31, v20
	s_waitcnt vmcnt(17)
	v_cvt_f32_f16_e32 v32, v21
	;; [unrolled: 2-line block ×18, first 2 shown]
	scratch_store_dwordx4 off, v[4:7], off offset:28
	scratch_store_dwordx4 off, v[0:3], off offset:44
	s_waitcnt vmcnt(2)
	v_mul_lo_u32 v22, v15, s34
	v_mul_lo_u32 v28, v14, s35
	v_mad_u64_u32 v[14:15], s[2:3], v14, s34, 0
	v_add3_u32 v15, v15, v28, v22
	v_mul_f32_e32 v22, 0x3fb8aa3b, v31
	v_mul_f32_e32 v28, 0x3fb8aa3b, v32
	v_exp_f32_e32 v22, v22
	v_exp_f32_e32 v28, v28
	v_add_f32_e32 v22, 1.0, v22
	v_add_f32_e32 v28, 1.0, v28
	v_cmp_gt_f32_e32 vcc, s12, v22
	v_cmp_gt_f32_e64 s[2:3], s12, v28
	s_nop 0
	v_cndmask_b32_e32 v29, 1.0, v8, vcc
	v_cndmask_b32_e64 v30, 1.0, v8, s[2:3]
	v_mul_f32_e32 v22, v22, v29
	v_mul_f32_e32 v28, v28, v30
	v_log_f32_e32 v22, v22
	v_log_f32_e32 v28, v28
	v_cndmask_b32_e32 v29, 0, v11, vcc
	v_cndmask_b32_e64 v30, 0, v11, s[2:3]
	v_mul_f32_e32 v38, 0x3f317217, v22
	v_mul_f32_e32 v39, 0x3f317217, v28
	v_fma_f32 v38, v22, s9, -v38
	v_fma_f32 v39, v28, s9, -v39
	v_fmac_f32_e32 v38, 0x3377d1cf, v22
	v_fmac_f32_e32 v39, 0x3377d1cf, v28
	;; [unrolled: 1-line block ×3, first 2 shown]
	v_cmp_lt_f32_e64 vcc, |v22|, s13
	v_fmac_f32_e32 v39, 0x3f317217, v28
	v_cmp_lt_f16_e64 s[2:3], s15, v21
	v_cndmask_b32_e32 v22, v22, v38, vcc
	v_cmp_lt_f32_e64 vcc, |v28|, s13
	v_sub_f32_e32 v22, v22, v29
	s_nop 0
	v_cndmask_b32_e32 v28, v28, v39, vcc
	v_cmp_lt_f16_e32 vcc, s15, v20
	v_sub_f32_e32 v28, v28, v30
	v_cndmask_b32_e64 v21, v28, v32, s[2:3]
	v_cndmask_b32_e32 v20, v22, v31, vcc
	v_mul_f32_e32 v22, 0x4f800000, v20
	v_cmp_gt_f32_e32 vcc, s14, v20
	v_mul_f32_e32 v28, 0x4f800000, v21
	s_nop 0
	v_cndmask_b32_e32 v22, v20, v22, vcc
	v_sqrt_f32_e32 v20, v22
	s_nop 0
	v_add_u32_e32 v29, -1, v20
	v_add_u32_e32 v30, 1, v20
	v_fma_f32 v31, -v29, v20, v22
	v_fma_f32 v32, -v30, v20, v22
	v_cmp_ge_f32_e64 s[2:3], 0, v31
	v_mul_f32_e32 v31, 0x3fb8aa3b, v33
	v_exp_f32_e32 v31, v31
	v_cndmask_b32_e64 v20, v20, v29, s[2:3]
	v_cmp_lt_f32_e64 s[2:3], 0, v32
	v_add_f32_e32 v31, 1.0, v31
	s_nop 0
	v_cndmask_b32_e64 v20, v20, v30, s[2:3]
	v_mul_f32_e32 v29, 0x37800000, v20
	v_cndmask_b32_e32 v29, v20, v29, vcc
	v_cmp_gt_f32_e32 vcc, s14, v21
	v_mov_b32_e32 v20, 0x260
	v_cmp_class_f32_e64 s[2:3], v22, v20
	v_cndmask_b32_e32 v21, v21, v28, vcc
	v_sqrt_f32_e32 v28, v21
	v_cndmask_b32_e64 v22, v29, v22, s[2:3]
	v_add_u32_e32 v29, -1, v28
	v_fma_f32 v30, -v29, v28, v21
	v_cmp_ge_f32_e64 s[2:3], 0, v30
	v_add_u32_e32 v30, 1, v28
	s_nop 0
	v_cndmask_b32_e64 v29, v28, v29, s[2:3]
	v_cmp_gt_f32_e64 s[2:3], s12, v31
	v_fma_f32 v28, -v30, v28, v21
	v_cmp_lt_f32_e64 s[4:5], 0, v28
	v_cndmask_b32_e64 v32, 1.0, v8, s[2:3]
	v_mul_f32_e32 v31, v31, v32
	v_log_f32_e32 v31, v31
	v_cndmask_b32_e64 v28, v29, v30, s[4:5]
	v_mul_f32_e32 v29, 0x37800000, v28
	v_mul_f32_e32 v30, 0x3f317217, v31
	v_fma_f32 v30, v31, s9, -v30
	v_fmac_f32_e32 v30, 0x3377d1cf, v31
	v_fmac_f32_e32 v30, 0x3f317217, v31
	v_cmp_lt_f32_e64 s[4:5], |v31|, s13
	s_nop 1
	v_cndmask_b32_e64 v30, v31, v30, s[4:5]
	v_cndmask_b32_e64 v31, 0, v11, s[2:3]
	v_sub_f32_e32 v30, v30, v31
	v_cmp_lt_f16_e64 s[2:3], s15, v23
	s_nop 1
	v_cndmask_b32_e64 v23, v30, v33, s[2:3]
	v_mul_f32_e32 v30, 0x4f800000, v23
	v_cmp_gt_f32_e64 s[2:3], s14, v23
	s_nop 1
	v_cndmask_b32_e64 v30, v23, v30, s[2:3]
	v_sqrt_f32_e32 v31, v30
	v_cndmask_b32_e32 v23, v28, v29, vcc
	v_mul_f32_e32 v29, 0x3fb8aa3b, v34
	v_exp_f32_e32 v29, v29
	v_cmp_class_f32_e32 vcc, v21, v20
	v_add_f32_e32 v29, 1.0, v29
	s_nop 0
	v_cndmask_b32_e32 v23, v23, v21, vcc
	v_add_u32_e32 v21, -1, v31
	v_fma_f32 v28, -v21, v31, v30
	v_cmp_ge_f32_e32 vcc, 0, v28
	v_add_u32_e32 v28, 1, v31
	s_nop 0
	v_cndmask_b32_e32 v21, v31, v21, vcc
	v_cmp_gt_f32_e32 vcc, s12, v29
	v_fma_f32 v31, -v28, v31, v30
	v_cmp_lt_f32_e64 s[4:5], 0, v31
	v_cndmask_b32_e32 v32, 1.0, v8, vcc
	v_mul_f32_e32 v29, v29, v32
	v_log_f32_e32 v29, v29
	v_cndmask_b32_e64 v21, v21, v28, s[4:5]
	v_mul_f32_e32 v28, 0x37800000, v21
	v_cndmask_b32_e64 v21, v21, v28, s[2:3]
	v_mul_f32_e32 v31, 0x3f317217, v29
	v_fma_f32 v31, v29, s9, -v31
	v_fmac_f32_e32 v31, 0x3377d1cf, v29
	v_fmac_f32_e32 v31, 0x3f317217, v29
	v_cmp_lt_f32_e64 s[4:5], |v29|, s13
	v_cmp_class_f32_e64 s[2:3], v30, v20
	s_nop 0
	v_cndmask_b32_e64 v29, v29, v31, s[4:5]
	v_cndmask_b32_e32 v31, 0, v11, vcc
	v_sub_f32_e32 v29, v29, v31
	v_cmp_lt_f16_e32 vcc, s15, v24
	s_nop 1
	v_cndmask_b32_e32 v24, v29, v34, vcc
	v_mul_f32_e32 v29, 0x4f800000, v24
	v_cmp_gt_f32_e32 vcc, s14, v24
	s_nop 1
	v_cndmask_b32_e32 v29, v24, v29, vcc
	v_sqrt_f32_e32 v31, v29
	v_cndmask_b32_e64 v24, v21, v30, s[2:3]
	v_mul_f32_e32 v30, 0x3fb8aa3b, v35
	v_exp_f32_e32 v30, v30
	v_add_u32_e32 v21, -1, v31
	v_fma_f32 v28, -v21, v31, v29
	v_cmp_ge_f32_e64 s[2:3], 0, v28
	v_add_f32_e32 v30, 1.0, v30
	v_add_u32_e32 v28, 1, v31
	v_cndmask_b32_e64 v21, v31, v21, s[2:3]
	v_cmp_gt_f32_e64 s[2:3], s12, v30
	v_fma_f32 v31, -v28, v31, v29
	v_cmp_lt_f32_e64 s[4:5], 0, v31
	v_cndmask_b32_e64 v32, 1.0, v8, s[2:3]
	v_mul_f32_e32 v30, v30, v32
	v_log_f32_e32 v30, v30
	v_cndmask_b32_e64 v21, v21, v28, s[4:5]
	v_mul_f32_e32 v28, 0x37800000, v21
	v_cndmask_b32_e32 v21, v21, v28, vcc
	v_mul_f32_e32 v28, 0x3f317217, v30
	v_fma_f32 v28, v30, s9, -v28
	v_fmac_f32_e32 v28, 0x3377d1cf, v30
	v_fmac_f32_e32 v28, 0x3f317217, v30
	v_cmp_lt_f32_e64 vcc, |v30|, s13
	s_nop 1
	v_cndmask_b32_e32 v28, v30, v28, vcc
	v_cndmask_b32_e64 v30, 0, v11, s[2:3]
	v_sub_f32_e32 v28, v28, v30
	v_cmp_lt_f16_e32 vcc, s15, v25
	v_cmp_class_f32_e64 s[2:3], v29, v20
	s_nop 0
	v_cndmask_b32_e32 v25, v28, v35, vcc
	v_mul_f32_e32 v28, 0x4f800000, v25
	v_cmp_gt_f32_e32 vcc, s14, v25
	s_nop 1
	v_cndmask_b32_e32 v28, v25, v28, vcc
	v_sqrt_f32_e32 v30, v28
	v_cndmask_b32_e64 v25, v21, v29, s[2:3]
	scratch_store_dwordx4 off, v[22:25], off
	v_add_u32_e32 v21, -1, v30
	s_nop 0
	v_mul_f32_e32 v23, 0x3fb8aa3b, v36
	v_exp_f32_e32 v23, v23
	v_fma_f32 v22, -v21, v30, v28
	v_cmp_ge_f32_e64 s[2:3], 0, v22
	v_add_u32_e32 v22, 1, v30
	v_add_f32_e32 v23, 1.0, v23
	v_cndmask_b32_e64 v21, v30, v21, s[2:3]
	v_cmp_gt_f32_e64 s[2:3], s12, v23
	v_fma_f32 v24, -v22, v30, v28
	v_cmp_lt_f32_e64 s[4:5], 0, v24
	v_cndmask_b32_e64 v25, 1.0, v8, s[2:3]
	v_mul_f32_e32 v23, v23, v25
	v_log_f32_e32 v23, v23
	v_cndmask_b32_e64 v21, v21, v22, s[4:5]
	v_mul_f32_e32 v22, 0x37800000, v21
	v_cndmask_b32_e32 v21, v21, v22, vcc
	v_mul_f32_e32 v24, 0x3f317217, v23
	v_fma_f32 v24, v23, s9, -v24
	v_fmac_f32_e32 v24, 0x3377d1cf, v23
	v_fmac_f32_e32 v24, 0x3f317217, v23
	v_cmp_lt_f32_e64 s[4:5], |v23|, s13
	v_cmp_class_f32_e32 vcc, v28, v20
	s_nop 0
	v_cndmask_b32_e64 v23, v23, v24, s[4:5]
	v_cndmask_b32_e64 v24, 0, v11, s[2:3]
	v_sub_f32_e32 v23, v23, v24
	v_cmp_lt_f16_e64 s[2:3], s15, v26
	v_mul_f32_e32 v26, 0x3fb8aa3b, v37
	v_exp_f32_e32 v26, v26
	v_cndmask_b32_e64 v23, v23, v36, s[2:3]
	v_mul_f32_e32 v24, 0x4f800000, v23
	v_cmp_gt_f32_e64 s[2:3], s14, v23
	v_cndmask_b32_e32 v22, v21, v28, vcc
	v_add_f32_e32 v26, 1.0, v26
	v_cndmask_b32_e64 v23, v23, v24, s[2:3]
	v_sqrt_f32_e32 v24, v23
	s_nop 0
	v_add_u32_e32 v21, -1, v24
	v_fma_f32 v25, -v21, v24, v23
	v_cmp_ge_f32_e32 vcc, 0, v25
	v_add_u32_e32 v25, 1, v24
	s_nop 0
	v_cndmask_b32_e32 v21, v24, v21, vcc
	v_cmp_gt_f32_e32 vcc, s12, v26
	v_fma_f32 v24, -v25, v24, v23
	v_cmp_lt_f32_e64 s[4:5], 0, v24
	v_cndmask_b32_e32 v28, 1.0, v8, vcc
	v_mul_f32_e32 v26, v26, v28
	v_log_f32_e32 v26, v26
	v_cndmask_b32_e64 v21, v21, v25, s[4:5]
	v_mul_f32_e32 v24, 0x37800000, v21
	v_cndmask_b32_e64 v21, v21, v24, s[2:3]
	v_mul_f32_e32 v25, 0x3f317217, v26
	v_fma_f32 v25, v26, s9, -v25
	v_fmac_f32_e32 v25, 0x3377d1cf, v26
	v_fmac_f32_e32 v25, 0x3f317217, v26
	v_cmp_lt_f32_e64 s[4:5], |v26|, s13
	v_cmp_class_f32_e64 s[2:3], v23, v20
	s_nop 0
	v_cndmask_b32_e64 v25, v26, v25, s[4:5]
	v_cndmask_b32_e32 v26, 0, v11, vcc
	v_sub_f32_e32 v25, v25, v26
	v_cmp_lt_f16_e32 vcc, s15, v27
	v_cndmask_b32_e64 v23, v21, v23, s[2:3]
	s_mov_b32 s15, 0x41a00000
	v_cndmask_b32_e32 v25, v25, v37, vcc
	v_mul_f32_e32 v26, 0x4f800000, v25
	v_cmp_gt_f32_e32 vcc, s14, v25
	s_nop 1
	v_cndmask_b32_e32 v28, v25, v26, vcc
	v_sqrt_f32_e32 v25, v28
	s_nop 0
	v_add_u32_e32 v21, -1, v25
	v_fma_f32 v24, -v21, v25, v28
	v_cmp_ge_f32_e64 s[2:3], 0, v24
	v_add_u32_e32 v26, 1, v25
	v_fma_f32 v27, -v26, v25, v28
	v_cndmask_b32_e64 v21, v25, v21, s[2:3]
	v_mul_f32_e32 v24, 0x3fb8aa3b, v4
	v_mul_f32_e32 v25, 0x3fb8aa3b, v5
	v_exp_f32_e32 v24, v24
	v_exp_f32_e32 v25, v25
	v_cmp_lt_f32_e64 s[2:3], 0, v27
	s_nop 1
	v_cndmask_b32_e64 v21, v21, v26, s[2:3]
	v_mul_f32_e32 v26, 0x37800000, v21
	v_cndmask_b32_e32 v21, v21, v26, vcc
	v_pk_add_f32 v[26:27], v[24:25], 1.0 op_sel_hi:[1,0]
	v_cmp_class_f32_e64 s[2:3], v28, v20
	v_cmp_gt_f32_e32 vcc, s12, v27
	s_nop 1
	v_cndmask_b32_e32 v24, 1.0, v8, vcc
	v_mul_f32_e32 v24, v27, v24
	v_log_f32_e32 v25, v24
	v_cndmask_b32_e64 v24, v21, v28, s[2:3]
	v_cmp_gt_f32_e64 s[2:3], s12, v26
	scratch_store_dwordx3 off, v[22:24], off offset:16
	v_mul_f32_e32 v21, 0x3f317217, v25
	v_fma_f32 v21, v25, s9, -v21
	v_cndmask_b32_e64 v22, 1.0, v8, s[2:3]
	v_mul_f32_e32 v22, v26, v22
	v_log_f32_e32 v22, v22
	v_fmac_f32_e32 v21, 0x3377d1cf, v25
	v_fmac_f32_e32 v21, 0x3f317217, v25
	v_cmp_lt_f32_e64 s[4:5], |v25|, s13
	v_cndmask_b32_e32 v23, 0, v11, vcc
	v_cmp_lt_f32_e64 vcc, |v22|, s13
	v_cndmask_b32_e64 v21, v25, v21, s[4:5]
	v_sub_f32_e32 v21, v21, v23
	v_mul_f32_e32 v23, 0x3f317217, v22
	v_fma_f32 v23, v22, s9, -v23
	v_fmac_f32_e32 v23, 0x3377d1cf, v22
	v_fmac_f32_e32 v23, 0x3f317217, v22
	v_cndmask_b32_e32 v22, v22, v23, vcc
	v_cmp_lt_f32_e32 vcc, s15, v5
	v_cndmask_b32_e64 v23, 0, v11, s[2:3]
	v_sub_f32_e32 v22, v22, v23
	v_cndmask_b32_e32 v5, v21, v5, vcc
	v_mul_f32_e32 v21, 0x4f800000, v5
	v_cmp_gt_f32_e32 vcc, s14, v5
	v_cmp_lt_f32_e64 s[2:3], s15, v4
	s_nop 0
	v_cndmask_b32_e32 v5, v5, v21, vcc
	v_sqrt_f32_e32 v21, v5
	v_cndmask_b32_e64 v4, v22, v4, s[2:3]
	v_add_u32_e32 v22, -1, v21
	v_fma_f32 v23, -v22, v21, v5
	v_cmp_ge_f32_e64 s[2:3], 0, v23
	v_add_u32_e32 v23, 1, v21
	s_nop 0
	v_cndmask_b32_e64 v22, v21, v22, s[2:3]
	v_fma_f32 v21, -v23, v21, v5
	v_cmp_lt_f32_e64 s[2:3], 0, v21
	s_nop 1
	v_cndmask_b32_e64 v21, v22, v23, s[2:3]
	v_mul_f32_e32 v23, 0x4f800000, v4
	v_cmp_gt_f32_e64 s[2:3], s14, v4
	v_mul_f32_e32 v22, 0x37800000, v21
	v_cndmask_b32_e32 v21, v21, v22, vcc
	v_cndmask_b32_e64 v4, v4, v23, s[2:3]
	v_sqrt_f32_e32 v23, v4
	v_cmp_class_f32_e32 vcc, v5, v20
	v_add_u32_e32 v24, 1, v23
	s_nop 0
	v_cndmask_b32_e32 v5, v21, v5, vcc
	v_add_u32_e32 v21, -1, v23
	v_fma_f32 v22, -v21, v23, v4
	v_cmp_ge_f32_e32 vcc, 0, v22
	v_fma_f32 v25, -v24, v23, v4
	v_mul_f32_e32 v22, 0x3fb8aa3b, v6
	v_cndmask_b32_e32 v21, v23, v21, vcc
	v_mul_f32_e32 v23, 0x3fb8aa3b, v7
	v_exp_f32_e32 v22, v22
	v_exp_f32_e32 v23, v23
	v_cmp_lt_f32_e32 vcc, 0, v25
	v_pk_add_f32 v[22:23], v[22:23], 1.0 op_sel_hi:[1,0]
	s_nop 0
	v_cndmask_b32_e32 v21, v21, v24, vcc
	v_cmp_gt_f32_e32 vcc, s12, v23
	v_mul_f32_e32 v24, 0x37800000, v21
	v_cndmask_b32_e64 v21, v21, v24, s[2:3]
	v_cndmask_b32_e32 v25, 1.0, v8, vcc
	v_mul_f32_e32 v23, v23, v25
	v_log_f32_e32 v23, v23
	v_cmp_class_f32_e64 s[2:3], v4, v20
	v_cmp_lt_f32_e64 s[4:5], |v23|, s13
	s_nop 0
	v_cndmask_b32_e64 v4, v21, v4, s[2:3]
	v_cmp_gt_f32_e64 s[2:3], s12, v22
	v_mul_f32_e32 v21, 0x3f317217, v23
	v_fma_f32 v21, v23, s9, -v21
	v_cndmask_b32_e64 v24, 1.0, v8, s[2:3]
	v_mul_f32_e32 v22, v22, v24
	v_log_f32_e32 v22, v22
	v_fmac_f32_e32 v21, 0x3377d1cf, v23
	v_fmac_f32_e32 v21, 0x3f317217, v23
	v_cndmask_b32_e64 v21, v23, v21, s[4:5]
	v_cndmask_b32_e32 v23, 0, v11, vcc
	v_sub_f32_e32 v21, v21, v23
	v_mul_f32_e32 v23, 0x3f317217, v22
	v_fma_f32 v23, v22, s9, -v23
	v_fmac_f32_e32 v23, 0x3377d1cf, v22
	v_fmac_f32_e32 v23, 0x3f317217, v22
	v_cmp_lt_f32_e64 vcc, |v22|, s13
	s_nop 1
	v_cndmask_b32_e32 v22, v22, v23, vcc
	v_cmp_lt_f32_e32 vcc, s15, v7
	v_cndmask_b32_e64 v23, 0, v11, s[2:3]
	v_sub_f32_e32 v22, v22, v23
	v_cndmask_b32_e32 v7, v21, v7, vcc
	v_mul_f32_e32 v21, 0x4f800000, v7
	v_cmp_gt_f32_e32 vcc, s14, v7
	v_cmp_lt_f32_e64 s[2:3], s15, v6
	s_nop 0
	v_cndmask_b32_e32 v7, v7, v21, vcc
	v_sqrt_f32_e32 v21, v7
	v_cndmask_b32_e64 v6, v22, v6, s[2:3]
	v_add_u32_e32 v22, -1, v21
	v_fma_f32 v23, -v22, v21, v7
	v_cmp_ge_f32_e64 s[2:3], 0, v23
	v_add_u32_e32 v23, 1, v21
	s_nop 0
	v_cndmask_b32_e64 v22, v21, v22, s[2:3]
	v_fma_f32 v21, -v23, v21, v7
	v_cmp_lt_f32_e64 s[2:3], 0, v21
	s_nop 1
	v_cndmask_b32_e64 v21, v22, v23, s[2:3]
	v_mul_f32_e32 v23, 0x4f800000, v6
	v_cmp_gt_f32_e64 s[2:3], s14, v6
	v_mul_f32_e32 v22, 0x37800000, v21
	v_cndmask_b32_e32 v21, v21, v22, vcc
	v_cndmask_b32_e64 v6, v6, v23, s[2:3]
	v_sqrt_f32_e32 v23, v6
	v_cmp_class_f32_e32 vcc, v7, v20
	v_add_u32_e32 v24, 1, v23
	s_nop 0
	v_cndmask_b32_e32 v7, v21, v7, vcc
	v_add_u32_e32 v21, -1, v23
	v_fma_f32 v22, -v21, v23, v6
	v_cmp_ge_f32_e32 vcc, 0, v22
	v_fma_f32 v25, -v24, v23, v6
	v_mul_f32_e32 v22, 0x3fb8aa3b, v0
	v_cndmask_b32_e32 v21, v23, v21, vcc
	v_mul_f32_e32 v23, 0x3fb8aa3b, v1
	v_exp_f32_e32 v22, v22
	v_exp_f32_e32 v23, v23
	v_cmp_lt_f32_e32 vcc, 0, v25
	v_pk_add_f32 v[22:23], v[22:23], 1.0 op_sel_hi:[1,0]
	s_nop 0
	v_cndmask_b32_e32 v21, v21, v24, vcc
	v_mul_f32_e32 v24, 0x37800000, v21
	v_cmp_gt_f32_e32 vcc, s12, v23
	v_cndmask_b32_e64 v21, v21, v24, s[2:3]
	v_cmp_class_f32_e64 s[2:3], v6, v20
	v_cndmask_b32_e32 v24, 1.0, v8, vcc
	v_mul_f32_e32 v23, v23, v24
	v_log_f32_e32 v23, v23
	v_cndmask_b32_e64 v6, v21, v6, s[2:3]
	v_cmp_gt_f32_e64 s[2:3], s12, v22
	scratch_store_dwordx4 off, v[4:7], off offset:28
	v_cmp_lt_f32_e64 s[4:5], |v23|, s13
	s_nop 0
	v_cndmask_b32_e64 v5, 1.0, v8, s[2:3]
	v_mul_f32_e32 v4, 0x3f317217, v23
	v_mul_f32_e32 v5, v22, v5
	v_fma_f32 v4, v23, s9, -v4
	v_log_f32_e32 v5, v5
	v_fmac_f32_e32 v4, 0x3377d1cf, v23
	v_fmac_f32_e32 v4, 0x3f317217, v23
	v_cndmask_b32_e64 v4, v23, v4, s[4:5]
	v_cndmask_b32_e32 v6, 0, v11, vcc
	v_sub_f32_e32 v4, v4, v6
	v_mul_f32_e32 v6, 0x3f317217, v5
	v_fma_f32 v6, v5, s9, -v6
	v_fmac_f32_e32 v6, 0x3377d1cf, v5
	v_fmac_f32_e32 v6, 0x3f317217, v5
	v_cmp_lt_f32_e64 vcc, |v5|, s13
	s_nop 1
	v_cndmask_b32_e32 v5, v5, v6, vcc
	v_cmp_lt_f32_e32 vcc, s15, v1
	v_cndmask_b32_e64 v6, 0, v11, s[2:3]
	v_sub_f32_e32 v5, v5, v6
	v_cndmask_b32_e32 v1, v4, v1, vcc
	v_mul_f32_e32 v4, 0x4f800000, v1
	v_cmp_gt_f32_e32 vcc, s14, v1
	v_cmp_lt_f32_e64 s[2:3], s15, v0
	s_nop 0
	v_cndmask_b32_e32 v1, v1, v4, vcc
	v_sqrt_f32_e32 v4, v1
	v_cndmask_b32_e64 v0, v5, v0, s[2:3]
	v_add_u32_e32 v5, -1, v4
	v_fma_f32 v6, -v5, v4, v1
	v_cmp_ge_f32_e64 s[2:3], 0, v6
	v_add_u32_e32 v6, 1, v4
	s_nop 0
	v_cndmask_b32_e64 v5, v4, v5, s[2:3]
	v_fma_f32 v4, -v6, v4, v1
	v_cmp_lt_f32_e64 s[2:3], 0, v4
	s_nop 1
	v_cndmask_b32_e64 v4, v5, v6, s[2:3]
	v_mul_f32_e32 v6, 0x4f800000, v0
	v_cmp_gt_f32_e64 s[2:3], s14, v0
	v_mul_f32_e32 v5, 0x37800000, v4
	v_cndmask_b32_e32 v4, v4, v5, vcc
	v_cndmask_b32_e64 v0, v0, v6, s[2:3]
	v_sqrt_f32_e32 v6, v0
	v_cmp_class_f32_e32 vcc, v1, v20
	v_add_u32_e32 v21, 1, v6
	s_nop 0
	v_cndmask_b32_e32 v1, v4, v1, vcc
	v_add_u32_e32 v4, -1, v6
	v_fma_f32 v5, -v4, v6, v0
	v_cmp_ge_f32_e32 vcc, 0, v5
	v_mul_f32_e32 v5, 0x3fb8aa3b, v3
	v_exp_f32_e32 v5, v5
	v_cndmask_b32_e32 v7, v6, v4, vcc
	v_mul_f32_e32 v4, 0x3fb8aa3b, v2
	v_exp_f32_e32 v4, v4
	v_fma_f32 v6, -v21, v6, v0
	v_cmp_lt_f32_e32 vcc, 0, v6
	v_pk_add_f32 v[4:5], v[4:5], 1.0 op_sel_hi:[1,0]
	s_nop 0
	v_cndmask_b32_e32 v6, v7, v21, vcc
	v_cmp_gt_f32_e32 vcc, s12, v5
	v_mul_f32_e32 v7, 0x37800000, v6
	v_cndmask_b32_e64 v6, v6, v7, s[2:3]
	v_cndmask_b32_e32 v21, 1.0, v8, vcc
	v_mul_f32_e32 v5, v5, v21
	v_log_f32_e32 v5, v5
	v_cmp_class_f32_e64 s[2:3], v0, v20
	v_cmp_lt_f32_e64 s[4:5], |v5|, s13
	s_nop 0
	v_cndmask_b32_e64 v0, v6, v0, s[2:3]
	v_cmp_gt_f32_e64 s[2:3], s12, v4
	v_mul_f32_e32 v6, 0x3f317217, v5
	v_fma_f32 v6, v5, s9, -v6
	v_cndmask_b32_e64 v7, 1.0, v8, s[2:3]
	v_mul_f32_e32 v4, v4, v7
	v_log_f32_e32 v4, v4
	v_fmac_f32_e32 v6, 0x3377d1cf, v5
	v_fmac_f32_e32 v6, 0x3f317217, v5
	v_cndmask_b32_e64 v5, v5, v6, s[4:5]
	v_cndmask_b32_e32 v6, 0, v11, vcc
	v_sub_f32_e32 v5, v5, v6
	v_mul_f32_e32 v6, 0x3f317217, v4
	v_fma_f32 v6, v4, s9, -v6
	v_fmac_f32_e32 v6, 0x3377d1cf, v4
	v_fmac_f32_e32 v6, 0x3f317217, v4
	v_cmp_lt_f32_e64 vcc, |v4|, s13
	s_nop 1
	v_cndmask_b32_e32 v4, v4, v6, vcc
	v_cmp_lt_f32_e32 vcc, s15, v3
	v_cndmask_b32_e64 v6, 0, v11, s[2:3]
	v_sub_f32_e32 v4, v4, v6
	v_cndmask_b32_e32 v3, v5, v3, vcc
	v_mul_f32_e32 v5, 0x4f800000, v3
	v_cmp_gt_f32_e32 vcc, s14, v3
	v_cmp_lt_f32_e64 s[2:3], s15, v2
	s_nop 0
	v_cndmask_b32_e32 v3, v3, v5, vcc
	v_sqrt_f32_e32 v5, v3
	v_cndmask_b32_e64 v2, v4, v2, s[2:3]
	v_add_u32_e32 v4, -1, v5
	v_fma_f32 v6, -v4, v5, v3
	v_cmp_ge_f32_e64 s[2:3], 0, v6
	v_add_u32_e32 v6, 1, v5
	s_nop 0
	v_cndmask_b32_e64 v4, v5, v4, s[2:3]
	v_fma_f32 v5, -v6, v5, v3
	v_cmp_lt_f32_e64 s[2:3], 0, v5
	s_nop 1
	v_cndmask_b32_e64 v4, v4, v6, s[2:3]
	v_mul_f32_e32 v6, 0x4f800000, v2
	v_cmp_gt_f32_e64 s[2:3], s14, v2
	v_mul_f32_e32 v5, 0x37800000, v4
	v_cndmask_b32_e32 v4, v4, v5, vcc
	v_cndmask_b32_e64 v2, v2, v6, s[2:3]
	v_sqrt_f32_e32 v6, v2
	v_cmp_class_f32_e32 vcc, v3, v20
	v_add_u32_e32 v21, 1, v6
	s_nop 0
	v_cndmask_b32_e32 v3, v4, v3, vcc
	v_add_u32_e32 v4, -1, v6
	v_fma_f32 v5, -v4, v6, v2
	v_cmp_ge_f32_e32 vcc, 0, v5
	v_mul_f32_e32 v5, 0x3fb8aa3b, v19
	v_exp_f32_e32 v5, v5
	v_cndmask_b32_e32 v7, v6, v4, vcc
	v_mul_f32_e32 v4, 0x3fb8aa3b, v18
	v_exp_f32_e32 v4, v4
	v_fma_f32 v6, -v21, v6, v2
	v_cmp_lt_f32_e32 vcc, 0, v6
	v_pk_add_f32 v[4:5], v[4:5], 1.0 op_sel_hi:[1,0]
	s_nop 0
	v_cndmask_b32_e32 v6, v7, v21, vcc
	v_mul_f32_e32 v7, 0x37800000, v6
	v_cmp_gt_f32_e32 vcc, s12, v5
	v_cndmask_b32_e64 v6, v6, v7, s[2:3]
	v_cmp_class_f32_e64 s[2:3], v2, v20
	v_cndmask_b32_e32 v7, 1.0, v8, vcc
	v_mul_f32_e32 v5, v5, v7
	v_log_f32_e32 v5, v5
	v_cndmask_b32_e64 v2, v6, v2, s[2:3]
	v_cmp_gt_f32_e64 s[2:3], s12, v4
	scratch_store_dwordx4 off, v[0:3], off offset:44
	v_cmp_lt_f32_e64 s[4:5], |v5|, s13
	s_nop 0
	v_cndmask_b32_e64 v1, 1.0, v8, s[2:3]
	v_mul_f32_e32 v0, 0x3f317217, v5
	v_mul_f32_e32 v1, v4, v1
	v_fma_f32 v0, v5, s9, -v0
	v_log_f32_e32 v1, v1
	v_fmac_f32_e32 v0, 0x3377d1cf, v5
	v_fmac_f32_e32 v0, 0x3f317217, v5
	v_cndmask_b32_e64 v0, v5, v0, s[4:5]
	v_cndmask_b32_e32 v2, 0, v11, vcc
	v_sub_f32_e32 v0, v0, v2
	v_mul_f32_e32 v2, 0x3f317217, v1
	v_fma_f32 v2, v1, s9, -v2
	v_fmac_f32_e32 v2, 0x3377d1cf, v1
	v_fmac_f32_e32 v2, 0x3f317217, v1
	v_cmp_lt_f32_e64 vcc, |v1|, s13
	s_nop 1
	v_cndmask_b32_e32 v1, v1, v2, vcc
	v_cmp_lt_f32_e32 vcc, s15, v19
	v_cndmask_b32_e64 v2, 0, v11, s[2:3]
	v_sub_f32_e32 v1, v1, v2
	v_cndmask_b32_e32 v0, v0, v19, vcc
	v_mul_f32_e32 v3, 0x4f800000, v0
	v_cmp_gt_f32_e32 vcc, s14, v0
	v_cmp_lt_f32_e64 s[2:3], s15, v18
	s_nop 0
	v_cndmask_b32_e32 v0, v0, v3, vcc
	v_sqrt_f32_e32 v3, v0
	v_cndmask_b32_e64 v1, v1, v18, s[2:3]
	v_add_u32_e32 v2, -1, v3
	v_fma_f32 v4, -v2, v3, v0
	v_cmp_ge_f32_e64 s[2:3], 0, v4
	v_add_u32_e32 v4, 1, v3
	s_nop 0
	v_cndmask_b32_e64 v2, v3, v2, s[2:3]
	v_fma_f32 v3, -v4, v3, v0
	v_cmp_lt_f32_e64 s[2:3], 0, v3
	s_nop 1
	v_cndmask_b32_e64 v2, v2, v4, s[2:3]
	v_mul_f32_e32 v4, 0x4f800000, v1
	v_cmp_gt_f32_e64 s[2:3], s14, v1
	v_mul_f32_e32 v3, 0x37800000, v2
	s_nop 0
	v_cndmask_b32_e64 v4, v1, v4, s[2:3]
	v_sqrt_f32_e32 v5, v4
	v_cndmask_b32_e32 v1, v2, v3, vcc
	v_mul_f32_e32 v3, 0x3fb8aa3b, v17
	v_exp_f32_e32 v3, v3
	v_cmp_class_f32_e32 vcc, v0, v20
	v_add_f32_e32 v3, 1.0, v3
	s_nop 0
	v_cndmask_b32_e32 v1, v1, v0, vcc
	v_add_u32_e32 v0, -1, v5
	v_fma_f32 v2, -v0, v5, v4
	v_cmp_ge_f32_e32 vcc, 0, v2
	v_add_u32_e32 v2, 1, v5
	s_nop 0
	v_cndmask_b32_e32 v0, v5, v0, vcc
	v_cmp_gt_f32_e32 vcc, s12, v3
	v_fma_f32 v5, -v2, v5, v4
	v_cmp_lt_f32_e64 s[4:5], 0, v5
	v_cndmask_b32_e32 v6, 1.0, v8, vcc
	v_mul_f32_e32 v3, v3, v6
	v_log_f32_e32 v3, v3
	v_cndmask_b32_e64 v0, v0, v2, s[4:5]
	v_mul_f32_e32 v2, 0x37800000, v0
	v_cndmask_b32_e64 v0, v0, v2, s[2:3]
	v_mul_f32_e32 v5, 0x3f317217, v3
	v_fma_f32 v5, v3, s9, -v5
	v_fmac_f32_e32 v5, 0x3377d1cf, v3
	v_fmac_f32_e32 v5, 0x3f317217, v3
	v_cmp_lt_f32_e64 s[4:5], |v3|, s13
	v_cmp_class_f32_e64 s[2:3], v4, v20
	s_nop 0
	v_cndmask_b32_e64 v3, v3, v5, s[4:5]
	v_cndmask_b32_e32 v5, 0, v11, vcc
	v_sub_f32_e32 v3, v3, v5
	v_cmp_lt_f32_e32 vcc, s15, v17
	v_cndmask_b32_e64 v0, v0, v4, s[2:3]
	s_nop 0
	v_cndmask_b32_e32 v3, v3, v17, vcc
	v_mul_f32_e32 v5, 0x4f800000, v3
	v_cmp_gt_f32_e32 vcc, s14, v3
	s_nop 1
	v_cndmask_b32_e32 v3, v3, v5, vcc
	v_sqrt_f32_e32 v5, v3
	s_nop 0
	v_add_u32_e32 v2, -1, v5
	v_fma_f32 v4, -v2, v5, v3
	v_cmp_ge_f32_e64 s[2:3], 0, v4
	v_add_u32_e32 v4, 1, v5
	s_nop 0
	v_cndmask_b32_e64 v2, v5, v2, s[2:3]
	v_fma_f32 v5, -v4, v5, v3
	v_cmp_lt_f32_e64 s[2:3], 0, v5
	s_nop 1
	v_cndmask_b32_e64 v2, v2, v4, s[2:3]
	v_mul_f32_e32 v4, 0x37800000, v2
	v_cndmask_b32_e32 v2, v2, v4, vcc
	v_cmp_class_f32_e32 vcc, v3, v20
	s_nop 1
	v_cndmask_b32_e32 v2, v2, v3, vcc
	scratch_store_dwordx3 off, v[0:2], off offset:60
	s_and_b64 vcc, exec, s[10:11]
	s_nop 0
	v_lshl_add_u64 v[0:1], v[14:15], 3, v[12:13]
	v_mul_lo_u32 v2, v10, s34
	s_cbranch_vccnz .LBB358_28
; %bb.2:
	s_load_dwordx2 s[4:5], s[0:1], 0x20
	v_mul_lo_u32 v4, v10, s34
	s_cmp_lt_u32 s34, 4
	v_sub_u32_e32 v3, 0, v16
	s_cbranch_scc1 .LBB358_21
; %bb.3:
	s_mov_b32 s11, 0
	s_and_b32 s8, s34, 0x7ffffffc
	v_ashrrev_i32_e32 v5, 31, v4
	v_mov_b32_e32 v9, 0
	s_mov_b32 s10, s11
	s_branch .LBB358_5
.LBB358_4:                              ;   in Loop: Header=BB358_5 Depth=1
	s_or_b64 exec, exec, s[12:13]
	s_add_i32 s10, s10, 4
	s_cmp_eq_u32 s10, s8
	s_cbranch_scc1 .LBB358_21
.LBB358_5:                              ; =>This Loop Header: Depth=1
                                        ;     Child Loop BB358_7 Depth 2
                                        ;     Child Loop BB358_11 Depth 2
	;; [unrolled: 1-line block ×4, first 2 shown]
	v_lshl_add_u64 v[6:7], s[10:11], 3, v[0:1]
	global_load_dwordx2 v[10:11], v[6:7], off
	v_add_u32_e32 v12, s10, v4
	v_ashrrev_i32_e32 v13, 31, v12
	v_mov_b32_e32 v8, 0
	s_mov_b64 s[12:13], 0
	s_waitcnt lgkmcnt(0)
	v_lshl_add_u64 v[12:13], v[12:13], 3, s[4:5]
	s_mov_b32 s9, 0
	s_waitcnt vmcnt(0)
	v_ashrrev_i32_e32 v11, 31, v10
	v_add_u32_e32 v14, v3, v10
	s_branch .LBB358_7
.LBB358_6:                              ;   in Loop: Header=BB358_7 Depth=2
	s_or_b64 exec, exec, s[14:15]
	s_add_i32 s16, s9, 1
	s_cmp_gt_u32 s9, 16
	s_cselect_b64 s[2:3], -1, 0
	s_xor_b64 s[14:15], vcc, -1
	s_or_b64 s[2:3], s[14:15], s[2:3]
	s_and_b64 s[2:3], exec, s[2:3]
	v_subrev_u32_e32 v14, 32, v14
	v_add_u32_e32 v8, 4, v8
	s_or_b64 s[12:13], s[2:3], s[12:13]
	s_mov_b32 s9, s16
	s_andn2_b64 exec, exec, s[12:13]
	s_cbranch_execz .LBB358_9
.LBB358_7:                              ;   Parent Loop BB358_5 Depth=1
                                        ; =>  This Inner Loop Header: Depth=2
	v_cmp_ne_u32_e32 vcc, 0, v14
	v_cmp_eq_u32_e64 s[2:3], 0, v14
	s_and_saveexec_b64 s[14:15], s[2:3]
	s_cbranch_execz .LBB358_6
; %bb.8:                                ;   in Loop: Header=BB358_7 Depth=2
	scratch_load_dword v15, v8, off
	s_waitcnt vmcnt(0)
	v_add_f32_e32 v9, v9, v15
	global_store_dwordx2 v[12:13], v[10:11], off
	s_branch .LBB358_6
.LBB358_9:                              ;   in Loop: Header=BB358_5 Depth=1
	s_or_b64 exec, exec, s[12:13]
	global_load_dwordx2 v[12:13], v[6:7], off offset:8
	s_ashr_i32 s3, s10, 31
	s_mov_b32 s2, s10
	v_lshl_add_u64 v[10:11], s[2:3], 0, v[4:5]
	v_mov_b32_e32 v8, 0
	s_mov_b32 s9, 0
	v_lshl_add_u64 v[10:11], v[10:11], 3, s[4:5]
	s_mov_b64 s[12:13], 0
	s_waitcnt vmcnt(0)
	v_ashrrev_i32_e32 v13, 31, v12
	v_add_u32_e32 v14, v3, v12
	s_branch .LBB358_11
.LBB358_10:                             ;   in Loop: Header=BB358_11 Depth=2
	s_or_b64 exec, exec, s[14:15]
	s_add_i32 s16, s9, 1
	s_cmp_gt_u32 s9, 16
	s_cselect_b64 s[2:3], -1, 0
	s_xor_b64 s[14:15], vcc, -1
	s_or_b64 s[2:3], s[14:15], s[2:3]
	s_and_b64 s[2:3], exec, s[2:3]
	v_add_u32_e32 v8, 4, v8
	v_subrev_u32_e32 v14, 32, v14
	s_or_b64 s[12:13], s[2:3], s[12:13]
	s_mov_b32 s9, s16
	s_andn2_b64 exec, exec, s[12:13]
	s_cbranch_execz .LBB358_13
.LBB358_11:                             ;   Parent Loop BB358_5 Depth=1
                                        ; =>  This Inner Loop Header: Depth=2
	v_cmp_ne_u32_e32 vcc, 0, v14
	v_cmp_eq_u32_e64 s[2:3], 0, v14
	s_and_saveexec_b64 s[14:15], s[2:3]
	s_cbranch_execz .LBB358_10
; %bb.12:                               ;   in Loop: Header=BB358_11 Depth=2
	scratch_load_dword v15, v8, off
	s_waitcnt vmcnt(0)
	v_add_f32_e32 v9, v9, v15
	global_store_dwordx2 v[10:11], v[12:13], off offset:8
	s_branch .LBB358_10
.LBB358_13:                             ;   in Loop: Header=BB358_5 Depth=1
	s_or_b64 exec, exec, s[12:13]
	global_load_dwordx2 v[12:13], v[6:7], off offset:16
	v_mov_b32_e32 v8, 0
	s_mov_b32 s9, 0
	s_mov_b64 s[12:13], 0
	s_waitcnt vmcnt(0)
	v_ashrrev_i32_e32 v13, 31, v12
	v_add_u32_e32 v14, v3, v12
	s_branch .LBB358_15
.LBB358_14:                             ;   in Loop: Header=BB358_15 Depth=2
	s_or_b64 exec, exec, s[14:15]
	s_add_i32 s16, s9, 1
	s_cmp_gt_u32 s9, 16
	s_cselect_b64 s[2:3], -1, 0
	s_xor_b64 s[14:15], vcc, -1
	s_or_b64 s[2:3], s[14:15], s[2:3]
	s_and_b64 s[2:3], exec, s[2:3]
	v_add_u32_e32 v8, 4, v8
	v_subrev_u32_e32 v14, 32, v14
	s_or_b64 s[12:13], s[2:3], s[12:13]
	s_mov_b32 s9, s16
	s_andn2_b64 exec, exec, s[12:13]
	s_cbranch_execz .LBB358_17
.LBB358_15:                             ;   Parent Loop BB358_5 Depth=1
                                        ; =>  This Inner Loop Header: Depth=2
	v_cmp_ne_u32_e32 vcc, 0, v14
	v_cmp_eq_u32_e64 s[2:3], 0, v14
	s_and_saveexec_b64 s[14:15], s[2:3]
	s_cbranch_execz .LBB358_14
; %bb.16:                               ;   in Loop: Header=BB358_15 Depth=2
	scratch_load_dword v15, v8, off
	s_waitcnt vmcnt(0)
	v_add_f32_e32 v9, v9, v15
	global_store_dwordx2 v[10:11], v[12:13], off offset:16
	s_branch .LBB358_14
.LBB358_17:                             ;   in Loop: Header=BB358_5 Depth=1
	s_or_b64 exec, exec, s[12:13]
	global_load_dwordx2 v[6:7], v[6:7], off offset:24
	v_mov_b32_e32 v8, 0
	s_mov_b32 s9, 0
	s_mov_b64 s[12:13], 0
	s_waitcnt vmcnt(0)
	v_ashrrev_i32_e32 v7, 31, v6
	v_add_u32_e32 v12, v3, v6
	s_branch .LBB358_19
.LBB358_18:                             ;   in Loop: Header=BB358_19 Depth=2
	s_or_b64 exec, exec, s[14:15]
	s_add_i32 s16, s9, 1
	s_cmp_gt_u32 s9, 16
	s_cselect_b64 s[2:3], -1, 0
	s_xor_b64 s[14:15], vcc, -1
	s_or_b64 s[2:3], s[14:15], s[2:3]
	s_and_b64 s[2:3], exec, s[2:3]
	v_add_u32_e32 v8, 4, v8
	v_subrev_u32_e32 v12, 32, v12
	s_or_b64 s[12:13], s[2:3], s[12:13]
	s_mov_b32 s9, s16
	s_andn2_b64 exec, exec, s[12:13]
	s_cbranch_execz .LBB358_4
.LBB358_19:                             ;   Parent Loop BB358_5 Depth=1
                                        ; =>  This Inner Loop Header: Depth=2
	v_cmp_ne_u32_e32 vcc, 0, v12
	v_cmp_eq_u32_e64 s[2:3], 0, v12
	s_and_saveexec_b64 s[14:15], s[2:3]
	s_cbranch_execz .LBB358_18
; %bb.20:                               ;   in Loop: Header=BB358_19 Depth=2
	scratch_load_dword v13, v8, off
	s_waitcnt vmcnt(0)
	v_add_f32_e32 v9, v9, v13
	global_store_dwordx2 v[10:11], v[6:7], off offset:24
	s_branch .LBB358_18
.LBB358_21:
	s_and_b32 s14, s34, 3
	s_cmp_eq_u32 s14, 0
	s_mov_b32 s9, 0
	s_cbranch_scc1 .LBB358_28
; %bb.22:
	s_mov_b32 s15, s9
	s_branch .LBB358_24
.LBB358_23:                             ;   in Loop: Header=BB358_24 Depth=1
	s_or_b64 exec, exec, s[10:11]
	s_add_i32 s8, s8, 1
	s_add_i32 s15, s15, 1
	s_cmp_lg_u32 s15, s14
	s_cbranch_scc0 .LBB358_28
.LBB358_24:                             ; =>This Loop Header: Depth=1
                                        ;     Child Loop BB358_26 Depth 2
	v_lshl_add_u64 v[6:7], s[8:9], 3, v[0:1]
	global_load_dwordx2 v[6:7], v[6:7], off
	v_add_u32_e32 v10, s8, v4
	v_ashrrev_i32_e32 v11, 31, v10
	v_mov_b32_e32 v5, 0
	s_mov_b32 s16, 0
	s_waitcnt lgkmcnt(0)
	v_lshl_add_u64 v[10:11], v[10:11], 3, s[4:5]
	s_mov_b64 s[10:11], 0
	s_waitcnt vmcnt(0)
	v_ashrrev_i32_e32 v7, 31, v6
	v_add_u32_e32 v8, v3, v6
	s_branch .LBB358_26
.LBB358_25:                             ;   in Loop: Header=BB358_26 Depth=2
	s_or_b64 exec, exec, s[12:13]
	s_add_i32 s17, s16, 1
	s_cmp_gt_u32 s16, 16
	s_cselect_b64 s[2:3], -1, 0
	s_xor_b64 s[12:13], vcc, -1
	s_or_b64 s[2:3], s[12:13], s[2:3]
	s_and_b64 s[2:3], exec, s[2:3]
	v_add_u32_e32 v5, 4, v5
	v_subrev_u32_e32 v8, 32, v8
	s_or_b64 s[10:11], s[2:3], s[10:11]
	s_mov_b32 s16, s17
	s_andn2_b64 exec, exec, s[10:11]
	s_cbranch_execz .LBB358_23
.LBB358_26:                             ;   Parent Loop BB358_24 Depth=1
                                        ; =>  This Inner Loop Header: Depth=2
	v_cmp_ne_u32_e32 vcc, 0, v8
	v_cmp_eq_u32_e64 s[2:3], 0, v8
	s_and_saveexec_b64 s[12:13], s[2:3]
	s_cbranch_execz .LBB358_25
; %bb.27:                               ;   in Loop: Header=BB358_26 Depth=2
	scratch_load_dword v12, v5, off
	s_waitcnt vmcnt(0)
	v_add_f32_e32 v9, v9, v12
	global_store_dwordx2 v[10:11], v[6:7], off
	s_branch .LBB358_25
.LBB358_28:
	s_waitcnt lgkmcnt(0)
	s_load_dword s4, s[0:1], 0x3c
	s_waitcnt lgkmcnt(0)
	s_bitcmp1_b32 s4, 0
	s_cselect_b64 s[2:3], -1, 0
	s_bitcmp0_b32 s4, 0
	s_cbranch_scc0 .LBB358_31
; %bb.29:
	s_load_dwordx2 s[4:5], s[0:1], 0x40
	s_andn2_b64 vcc, exec, s[2:3]
	s_waitcnt lgkmcnt(0)
	v_cvt_f32_f64_e32 v4, s[4:5]
	s_cbranch_vccz .LBB358_32
.LBB358_30:
	s_andn2_b64 vcc, exec, s[6:7]
	s_cbranch_vccz .LBB358_33
	s_branch .LBB358_71
.LBB358_31:
	v_mbcnt_lo_u32_b32 v3, -1, 0
	v_mbcnt_hi_u32_b32 v3, -1, v3
	v_and_b32_e32 v4, 0x60, v3
	v_add_u32_e32 v4, 32, v4
	v_xor_b32_e32 v5, 16, v3
	v_cmp_lt_i32_e32 vcc, v5, v4
	v_xor_b32_e32 v6, 8, v3
	v_xor_b32_e32 v7, 4, v3
	v_cndmask_b32_e32 v5, v3, v5, vcc
	v_lshlrev_b32_e32 v5, 2, v5
	ds_bpermute_b32 v5, v5, v9
	v_cmp_lt_i32_e32 vcc, v6, v4
	s_waitcnt lgkmcnt(0)
	v_add_f32_e32 v5, v9, v5
	v_cndmask_b32_e32 v6, v3, v6, vcc
	v_lshlrev_b32_e32 v6, 2, v6
	ds_bpermute_b32 v6, v6, v5
	v_cmp_lt_i32_e32 vcc, v7, v4
	s_waitcnt lgkmcnt(0)
	v_add_f32_e32 v5, v5, v6
	v_cndmask_b32_e32 v6, v3, v7, vcc
	v_lshlrev_b32_e32 v6, 2, v6
	ds_bpermute_b32 v6, v6, v5
	v_xor_b32_e32 v7, 2, v3
	v_cmp_lt_i32_e32 vcc, v7, v4
	s_waitcnt lgkmcnt(0)
	v_add_f32_e32 v5, v5, v6
	v_cndmask_b32_e32 v6, v3, v7, vcc
	v_lshlrev_b32_e32 v6, 2, v6
	ds_bpermute_b32 v6, v6, v5
	v_xor_b32_e32 v7, 1, v3
	v_cmp_lt_i32_e32 vcc, v7, v4
	s_waitcnt lgkmcnt(0)
	v_add_f32_e32 v5, v5, v6
	v_cndmask_b32_e32 v3, v3, v7, vcc
	v_lshlrev_b32_e32 v3, 2, v3
	ds_bpermute_b32 v3, v3, v5
	s_waitcnt lgkmcnt(0)
	v_add_f32_e32 v9, v5, v3
	s_load_dwordx2 s[4:5], s[0:1], 0x40
	s_andn2_b64 vcc, exec, s[2:3]
	s_waitcnt lgkmcnt(0)
	v_cvt_f32_f64_e32 v4, s[4:5]
	s_cbranch_vccnz .LBB358_30
.LBB358_32:
	v_cmp_lt_f32_e32 vcc, 0, v9
	s_nop 1
	v_cndmask_b32_e32 v3, 1.0, v9, vcc
	v_div_scale_f32 v5, s[2:3], v3, v3, v4
	v_rcp_f32_e32 v6, v5
	s_nop 0
	v_fma_f32 v7, -v5, v6, 1.0
	v_fmac_f32_e32 v6, v7, v6
	v_div_scale_f32 v7, vcc, v4, v3, v4
	v_mul_f32_e32 v8, v7, v6
	v_fma_f32 v9, -v5, v8, v7
	v_fmac_f32_e32 v8, v9, v6
	v_fma_f32 v5, -v5, v8, v7
	v_div_fmas_f32 v5, v5, v6, v8
	v_div_fixup_f32 v4, v5, v3, v4
	s_andn2_b64 vcc, exec, s[6:7]
	s_cbranch_vccnz .LBB358_71
.LBB358_33:
	s_load_dwordx2 s[36:37], s[0:1], 0x10
	v_mov_b32_e32 v3, 0
	v_or_b32_e32 v5, 4, v3
	v_or_b32_e32 v6, 8, v3
	;; [unrolled: 1-line block ×3, first 2 shown]
	v_add_u32_e32 v8, 16, v3
	v_add_u32_e32 v9, 20, v3
	;; [unrolled: 1-line block ×14, first 2 shown]
	v_or_b32_e32 v23, 32, v16
	v_or_b32_e32 v24, 64, v16
	;; [unrolled: 1-line block ×17, first 2 shown]
	s_branch .LBB358_35
.LBB358_34:                             ;   in Loop: Header=BB358_35 Depth=1
	s_or_b64 exec, exec, s[0:1]
	s_add_i32 s34, s34, -1
	v_add_u32_e32 v2, 1, v2
	s_cmp_eq_u32 s34, 0
	v_lshl_add_u64 v[0:1], v[0:1], 0, 8
	s_cbranch_scc1 .LBB358_71
.LBB358_35:                             ; =>This Inner Loop Header: Depth=1
	global_load_dword v40, v[0:1], off
	v_mov_b32_e32 v3, 0
	s_waitcnt vmcnt(0)
	v_cmp_eq_u32_e32 vcc, v16, v40
	v_cmp_ne_u32_e64 s[0:1], v16, v40
	s_and_saveexec_b64 s[38:39], s[0:1]
	s_cbranch_execz .LBB358_69
; %bb.36:                               ;   in Loop: Header=BB358_35 Depth=1
	v_cmp_eq_u32_e64 s[0:1], v23, v40
	v_cmp_ne_u32_e64 s[2:3], v23, v40
	v_mov_b32_e32 v3, v5
	s_and_saveexec_b64 s[40:41], s[2:3]
	s_cbranch_execz .LBB358_68
; %bb.37:                               ;   in Loop: Header=BB358_35 Depth=1
	v_cmp_eq_u32_e64 s[2:3], v24, v40
	v_cmp_ne_u32_e64 s[4:5], v24, v40
	v_mov_b32_e32 v3, v6
	;; [unrolled: 6-line block ×16, first 2 shown]
	s_and_saveexec_b64 s[72:73], s[30:31]
	s_xor_b64 s[72:73], exec, s[72:73]
; %bb.52:                               ;   in Loop: Header=BB358_35 Depth=1
	v_cmp_eq_u32_e64 s[30:31], v39, v40
	s_andn2_b64 s[70:71], s[70:71], exec
	s_and_b64 s[30:31], s[30:31], exec
	s_or_b64 s[70:71], s[70:71], s[30:31]
	v_mov_b32_e32 v3, v22
; %bb.53:                               ;   in Loop: Header=BB358_35 Depth=1
	s_or_b64 exec, exec, s[72:73]
	s_andn2_b64 s[28:29], s[28:29], exec
	s_and_b64 s[30:31], s[70:71], exec
	s_or_b64 s[28:29], s[28:29], s[30:31]
.LBB358_54:                             ;   in Loop: Header=BB358_35 Depth=1
	s_or_b64 exec, exec, s[68:69]
	s_andn2_b64 s[26:27], s[26:27], exec
	s_and_b64 s[28:29], s[28:29], exec
	s_or_b64 s[26:27], s[26:27], s[28:29]
.LBB358_55:                             ;   in Loop: Header=BB358_35 Depth=1
	s_or_b64 exec, exec, s[66:67]
	s_andn2_b64 s[24:25], s[24:25], exec
	s_and_b64 s[26:27], s[26:27], exec
	s_or_b64 s[24:25], s[24:25], s[26:27]
.LBB358_56:                             ;   in Loop: Header=BB358_35 Depth=1
	s_or_b64 exec, exec, s[64:65]
	s_andn2_b64 s[22:23], s[22:23], exec
	s_and_b64 s[24:25], s[24:25], exec
	s_or_b64 s[22:23], s[22:23], s[24:25]
.LBB358_57:                             ;   in Loop: Header=BB358_35 Depth=1
	s_or_b64 exec, exec, s[62:63]
	s_andn2_b64 s[20:21], s[20:21], exec
	s_and_b64 s[22:23], s[22:23], exec
	s_or_b64 s[20:21], s[20:21], s[22:23]
.LBB358_58:                             ;   in Loop: Header=BB358_35 Depth=1
	s_or_b64 exec, exec, s[60:61]
	s_andn2_b64 s[18:19], s[18:19], exec
	s_and_b64 s[20:21], s[20:21], exec
	s_or_b64 s[18:19], s[18:19], s[20:21]
.LBB358_59:                             ;   in Loop: Header=BB358_35 Depth=1
	s_or_b64 exec, exec, s[58:59]
	s_andn2_b64 s[16:17], s[16:17], exec
	s_and_b64 s[18:19], s[18:19], exec
	s_or_b64 s[16:17], s[16:17], s[18:19]
.LBB358_60:                             ;   in Loop: Header=BB358_35 Depth=1
	s_or_b64 exec, exec, s[56:57]
	s_andn2_b64 s[14:15], s[14:15], exec
	s_and_b64 s[16:17], s[16:17], exec
	s_or_b64 s[14:15], s[14:15], s[16:17]
.LBB358_61:                             ;   in Loop: Header=BB358_35 Depth=1
	s_or_b64 exec, exec, s[54:55]
	s_andn2_b64 s[12:13], s[12:13], exec
	s_and_b64 s[14:15], s[14:15], exec
	s_or_b64 s[12:13], s[12:13], s[14:15]
.LBB358_62:                             ;   in Loop: Header=BB358_35 Depth=1
	s_or_b64 exec, exec, s[52:53]
	s_andn2_b64 s[10:11], s[10:11], exec
	s_and_b64 s[12:13], s[12:13], exec
	s_or_b64 s[10:11], s[10:11], s[12:13]
.LBB358_63:                             ;   in Loop: Header=BB358_35 Depth=1
	s_or_b64 exec, exec, s[50:51]
	s_andn2_b64 s[8:9], s[8:9], exec
	s_and_b64 s[10:11], s[10:11], exec
	s_or_b64 s[8:9], s[8:9], s[10:11]
.LBB358_64:                             ;   in Loop: Header=BB358_35 Depth=1
	s_or_b64 exec, exec, s[48:49]
	s_andn2_b64 s[6:7], s[6:7], exec
	s_and_b64 s[8:9], s[8:9], exec
	s_or_b64 s[6:7], s[6:7], s[8:9]
.LBB358_65:                             ;   in Loop: Header=BB358_35 Depth=1
	s_or_b64 exec, exec, s[46:47]
	s_andn2_b64 s[4:5], s[4:5], exec
	s_and_b64 s[6:7], s[6:7], exec
	s_or_b64 s[4:5], s[4:5], s[6:7]
.LBB358_66:                             ;   in Loop: Header=BB358_35 Depth=1
	s_or_b64 exec, exec, s[44:45]
	s_andn2_b64 s[2:3], s[2:3], exec
	s_and_b64 s[4:5], s[4:5], exec
	s_or_b64 s[2:3], s[2:3], s[4:5]
.LBB358_67:                             ;   in Loop: Header=BB358_35 Depth=1
	s_or_b64 exec, exec, s[42:43]
	s_andn2_b64 s[0:1], s[0:1], exec
	s_and_b64 s[2:3], s[2:3], exec
	s_or_b64 s[0:1], s[0:1], s[2:3]
.LBB358_68:                             ;   in Loop: Header=BB358_35 Depth=1
	s_or_b64 exec, exec, s[40:41]
	s_andn2_b64 s[2:3], vcc, exec
	s_and_b64 s[0:1], s[0:1], exec
	s_or_b64 vcc, s[2:3], s[0:1]
.LBB358_69:                             ;   in Loop: Header=BB358_35 Depth=1
	s_or_b64 exec, exec, s[38:39]
	s_and_saveexec_b64 s[0:1], vcc
	s_cbranch_execz .LBB358_34
; %bb.70:                               ;   in Loop: Header=BB358_35 Depth=1
	scratch_load_dword v40, v3, off
	v_ashrrev_i32_e32 v3, 31, v2
	s_waitcnt vmcnt(0)
	v_mul_f32_e32 v42, v4, v40
	s_waitcnt lgkmcnt(0)
	v_lshl_add_u64 v[40:41], v[2:3], 2, s[36:37]
	global_store_dword v[40:41], v42, off
	s_branch .LBB358_34
.LBB358_71:
	s_endpgm
	.section	.rodata,"a",@progbits
	.p2align	6, 0x0
	.amdhsa_kernel _ZN4vllm3moe22topkGatingSoftplusSqrtILi18ELi576ELi4ELi2ELi32ELb1El6__halfEEvPKT6_PKbPfiPT5_PiiiibdPKfPKS9_SF_
		.amdhsa_group_segment_fixed_size 0
		.amdhsa_private_segment_fixed_size 80
		.amdhsa_kernarg_size 96
		.amdhsa_user_sgpr_count 2
		.amdhsa_user_sgpr_dispatch_ptr 0
		.amdhsa_user_sgpr_queue_ptr 0
		.amdhsa_user_sgpr_kernarg_segment_ptr 1
		.amdhsa_user_sgpr_dispatch_id 0
		.amdhsa_user_sgpr_kernarg_preload_length 0
		.amdhsa_user_sgpr_kernarg_preload_offset 0
		.amdhsa_user_sgpr_private_segment_size 0
		.amdhsa_uses_dynamic_stack 0
		.amdhsa_enable_private_segment 1
		.amdhsa_system_sgpr_workgroup_id_x 1
		.amdhsa_system_sgpr_workgroup_id_y 0
		.amdhsa_system_sgpr_workgroup_id_z 0
		.amdhsa_system_sgpr_workgroup_info 0
		.amdhsa_system_vgpr_workitem_id 1
		.amdhsa_next_free_vgpr 43
		.amdhsa_next_free_sgpr 74
		.amdhsa_accum_offset 44
		.amdhsa_reserve_vcc 1
		.amdhsa_float_round_mode_32 0
		.amdhsa_float_round_mode_16_64 0
		.amdhsa_float_denorm_mode_32 3
		.amdhsa_float_denorm_mode_16_64 3
		.amdhsa_dx10_clamp 1
		.amdhsa_ieee_mode 1
		.amdhsa_fp16_overflow 0
		.amdhsa_tg_split 0
		.amdhsa_exception_fp_ieee_invalid_op 0
		.amdhsa_exception_fp_denorm_src 0
		.amdhsa_exception_fp_ieee_div_zero 0
		.amdhsa_exception_fp_ieee_overflow 0
		.amdhsa_exception_fp_ieee_underflow 0
		.amdhsa_exception_fp_ieee_inexact 0
		.amdhsa_exception_int_div_zero 0
	.end_amdhsa_kernel
	.section	.text._ZN4vllm3moe22topkGatingSoftplusSqrtILi18ELi576ELi4ELi2ELi32ELb1El6__halfEEvPKT6_PKbPfiPT5_PiiiibdPKfPKS9_SF_,"axG",@progbits,_ZN4vllm3moe22topkGatingSoftplusSqrtILi18ELi576ELi4ELi2ELi32ELb1El6__halfEEvPKT6_PKbPfiPT5_PiiiibdPKfPKS9_SF_,comdat
.Lfunc_end358:
	.size	_ZN4vllm3moe22topkGatingSoftplusSqrtILi18ELi576ELi4ELi2ELi32ELb1El6__halfEEvPKT6_PKbPfiPT5_PiiiibdPKfPKS9_SF_, .Lfunc_end358-_ZN4vllm3moe22topkGatingSoftplusSqrtILi18ELi576ELi4ELi2ELi32ELb1El6__halfEEvPKT6_PKbPfiPT5_PiiiibdPKfPKS9_SF_
                                        ; -- End function
	.section	.AMDGPU.csdata,"",@progbits
; Kernel info:
; codeLenInByte = 6936
; NumSgprs: 80
; NumVgprs: 43
; NumAgprs: 0
; TotalNumVgprs: 43
; ScratchSize: 80
; MemoryBound: 0
; FloatMode: 240
; IeeeMode: 1
; LDSByteSize: 0 bytes/workgroup (compile time only)
; SGPRBlocks: 9
; VGPRBlocks: 5
; NumSGPRsForWavesPerEU: 80
; NumVGPRsForWavesPerEU: 43
; AccumOffset: 44
; Occupancy: 8
; WaveLimiterHint : 1
; COMPUTE_PGM_RSRC2:SCRATCH_EN: 1
; COMPUTE_PGM_RSRC2:USER_SGPR: 2
; COMPUTE_PGM_RSRC2:TRAP_HANDLER: 0
; COMPUTE_PGM_RSRC2:TGID_X_EN: 1
; COMPUTE_PGM_RSRC2:TGID_Y_EN: 0
; COMPUTE_PGM_RSRC2:TGID_Z_EN: 0
; COMPUTE_PGM_RSRC2:TIDIG_COMP_CNT: 1
; COMPUTE_PGM_RSRC3_GFX90A:ACCUM_OFFSET: 10
; COMPUTE_PGM_RSRC3_GFX90A:TG_SPLIT: 0
	.section	.text._ZN4vllm3moe22topkGatingSoftplusSqrtILi18ELi576ELi4ELi2ELi32ELb0El6__halfEEvPKT6_PKbPfiPT5_PiiiibdPKfPKS9_SF_,"axG",@progbits,_ZN4vllm3moe22topkGatingSoftplusSqrtILi18ELi576ELi4ELi2ELi32ELb0El6__halfEEvPKT6_PKbPfiPT5_PiiiibdPKfPKS9_SF_,comdat
	.protected	_ZN4vllm3moe22topkGatingSoftplusSqrtILi18ELi576ELi4ELi2ELi32ELb0El6__halfEEvPKT6_PKbPfiPT5_PiiiibdPKfPKS9_SF_ ; -- Begin function _ZN4vllm3moe22topkGatingSoftplusSqrtILi18ELi576ELi4ELi2ELi32ELb0El6__halfEEvPKT6_PKbPfiPT5_PiiiibdPKfPKS9_SF_
	.globl	_ZN4vllm3moe22topkGatingSoftplusSqrtILi18ELi576ELi4ELi2ELi32ELb0El6__halfEEvPKT6_PKbPfiPT5_PiiiibdPKfPKS9_SF_
	.p2align	8
	.type	_ZN4vllm3moe22topkGatingSoftplusSqrtILi18ELi576ELi4ELi2ELi32ELb0El6__halfEEvPKT6_PKbPfiPT5_PiiiibdPKfPKS9_SF_,@function
_ZN4vllm3moe22topkGatingSoftplusSqrtILi18ELi576ELi4ELi2ELi32ELb0El6__halfEEvPKT6_PKbPfiPT5_PiiiibdPKfPKS9_SF_: ; @_ZN4vllm3moe22topkGatingSoftplusSqrtILi18ELi576ELi4ELi2ELi32ELb0El6__halfEEvPKT6_PKbPfiPT5_PiiiibdPKfPKS9_SF_
; %bb.0:
	s_load_dword s30, s[0:1], 0x18
	v_and_b32_e32 v1, 0x3ff, v0
	s_lshl_b32 s2, s2, 2
	v_lshrrev_b32_e32 v2, 5, v1
	v_bfe_u32 v0, v0, 10, 10
	v_add3_u32 v16, s2, v0, v2
	s_waitcnt lgkmcnt(0)
	v_cmp_gt_i32_e32 vcc, s30, v16
	s_and_saveexec_b64 s[2:3], vcc
	s_cbranch_execz .LBB359_83
; %bb.1:
	s_load_dwordx4 s[4:7], s[0:1], 0x0
	s_load_dwordx2 s[20:21], s[0:1], 0x10
	s_waitcnt lgkmcnt(0)
	s_cmp_eq_u64 s[6:7], 0
	s_cbranch_scc1 .LBB359_3
; %bb.2:
	v_ashrrev_i32_e32 v17, 31, v16
	v_lshl_add_u64 v[2:3], s[6:7], 0, v[16:17]
	global_load_ubyte v0, v[2:3], off
	s_waitcnt vmcnt(0)
	v_and_b32_e32 v0, 1, v0
	v_cmp_eq_u32_e32 vcc, 1, v0
	s_xor_b64 s[2:3], vcc, -1
	s_orn2_b64 s[22:23], s[2:3], exec
	s_branch .LBB359_4
.LBB359_3:
	s_mov_b64 s[22:23], -1
.LBB359_4:
	s_movk_i32 s2, 0x240
	v_mul_lo_u32 v4, v16, s2
	v_mov_b32_e32 v2, s4
	v_mov_b32_e32 v3, s5
	v_ashrrev_i32_e32 v5, 31, v4
	v_and_b32_e32 v18, 31, v1
	v_lshl_add_u64 v[2:3], v[4:5], 1, v[2:3]
	v_mov_b32_e32 v1, 0
	v_lshlrev_b32_e32 v0, 1, v18
	v_lshl_add_u64 v[0:1], v[2:3], 0, v[0:1]
	global_load_ushort v41, v[0:1], off
	global_load_ushort v37, v[0:1], off offset:64
	global_load_ushort v36, v[0:1], off offset:128
	;; [unrolled: 1-line block ×17, first 2 shown]
	s_mov_b32 s16, 0x800000
	v_mov_b32_e32 v39, 0x4f800000
	s_mov_b32 s13, 0x3f317217
	s_mov_b32 s14, 0x7f800000
	v_mov_b32_e32 v40, 0x41b17218
	s_movk_i32 s12, 0x4d00
	s_mov_b32 s15, 0xf800000
	s_load_dwordx4 s[8:11], s[0:1], 0x40
	v_mov_b32_e32 v38, 0x260
	v_lshlrev_b32_e32 v19, 2, v18
	s_waitcnt lgkmcnt(0)
	s_cmp_lg_u64 s[10:11], 0
	s_cselect_b64 s[6:7], -1, 0
	s_and_b64 vcc, exec, s[6:7]
	s_waitcnt vmcnt(17)
	v_cvt_f32_f16_e32 v12, v41
	s_waitcnt vmcnt(16)
	v_cvt_f32_f16_e32 v13, v37
	;; [unrolled: 2-line block ×4, first 2 shown]
	v_mul_f32_e32 v3, 0x3fb8aa3b, v12
	v_exp_f32_e32 v42, v3
	s_waitcnt vmcnt(13)
	v_cvt_f32_f16_e32 v8, v34
	s_waitcnt vmcnt(12)
	v_cvt_f32_f16_e32 v9, v33
	;; [unrolled: 2-line block ×3, first 2 shown]
	v_add_f32_e32 v42, 1.0, v42
	v_cmp_gt_f32_e64 s[2:3], s16, v42
	s_waitcnt vmcnt(10)
	v_cvt_f32_f16_e32 v11, v31
	scratch_store_dwordx4 off, v[12:15], off
	scratch_store_dwordx4 off, v[8:11], off offset:16
	v_cndmask_b32_e64 v43, 1.0, v39, s[2:3]
	v_mul_f32_e32 v42, v42, v43
	v_log_f32_e32 v42, v42
	v_cndmask_b32_e64 v43, 0, v40, s[2:3]
	s_waitcnt vmcnt(11)
	v_cvt_f32_f16_e32 v4, v30
	s_waitcnt vmcnt(10)
	v_cvt_f32_f16_e32 v5, v29
	v_mul_f32_e32 v44, 0x3f317217, v42
	v_fma_f32 v44, v42, s13, -v44
	v_fmac_f32_e32 v44, 0x3377d1cf, v42
	v_fmac_f32_e32 v44, 0x3f317217, v42
	v_cmp_lt_f32_e64 s[2:3], |v42|, s14
	s_waitcnt vmcnt(9)
	v_cvt_f32_f16_e32 v6, v28
	s_waitcnt vmcnt(8)
	v_cvt_f32_f16_e32 v7, v27
	v_cndmask_b32_e64 v42, v42, v44, s[2:3]
	v_sub_f32_e32 v42, v42, v43
	v_cmp_lt_f16_e64 s[2:3], s12, v41
	s_waitcnt vmcnt(7)
	v_cvt_f32_f16_e32 v0, v26
	s_waitcnt vmcnt(6)
	v_cvt_f32_f16_e32 v1, v25
	v_cndmask_b32_e64 v12, v42, v12, s[2:3]
	v_mul_f32_e32 v41, 0x4f800000, v12
	v_cmp_gt_f32_e64 s[2:3], s15, v12
	s_waitcnt vmcnt(5)
	v_cvt_f32_f16_e32 v2, v24
	s_waitcnt vmcnt(4)
	v_cvt_f32_f16_e32 v3, v23
	v_cndmask_b32_e64 v12, v12, v41, s[2:3]
	v_sqrt_f32_e32 v41, v12
	s_waitcnt vmcnt(3)
	v_cvt_f32_f16_e32 v20, v22
	s_waitcnt vmcnt(2)
	v_cvt_f32_f16_e32 v21, v17
	scratch_store_dwordx4 off, v[4:7], off offset:32
	scratch_store_dwordx4 off, v[0:3], off offset:48
	scratch_store_dwordx2 off, v[20:21], off offset:64
	v_add_u32_e32 v42, -1, v41
	v_add_u32_e32 v43, 1, v41
	v_fma_f32 v44, -v42, v41, v12
	v_fma_f32 v45, -v43, v41, v12
	v_cmp_ge_f32_e64 s[4:5], 0, v44
	s_nop 1
	v_cndmask_b32_e64 v41, v41, v42, s[4:5]
	v_cmp_lt_f32_e64 s[4:5], 0, v45
	s_nop 1
	v_cndmask_b32_e64 v41, v41, v43, s[4:5]
	v_mul_f32_e32 v42, 0x37800000, v41
	v_cndmask_b32_e64 v41, v41, v42, s[2:3]
	v_cmp_class_f32_e64 s[2:3], v12, v38
	s_nop 1
	v_cndmask_b32_e64 v12, v41, v12, s[2:3]
	s_cbranch_vccz .LBB359_6
; %bb.5:
	global_load_dword v41, v19, s[10:11]
	s_waitcnt vmcnt(0)
	v_add_f32_e32 v12, v12, v41
.LBB359_6:
	v_mul_f32_e32 v41, 0x3fb8aa3b, v13
	v_exp_f32_e32 v41, v41
	scratch_store_dword off, v12, off
	v_add_f32_e32 v41, 1.0, v41
	v_cmp_gt_f32_e32 vcc, s16, v41
	s_nop 1
	v_cndmask_b32_e32 v39, 1.0, v39, vcc
	v_mul_f32_e32 v39, v41, v39
	v_log_f32_e32 v39, v39
	v_cndmask_b32_e32 v40, 0, v40, vcc
	v_mul_f32_e32 v41, 0x3f317217, v39
	v_fma_f32 v41, v39, s13, -v41
	v_fmac_f32_e32 v41, 0x3377d1cf, v39
	v_fmac_f32_e32 v41, 0x3f317217, v39
	v_cmp_lt_f32_e64 vcc, |v39|, s14
	s_nop 1
	v_cndmask_b32_e32 v39, v39, v41, vcc
	v_sub_f32_e32 v39, v39, v40
	v_cmp_lt_f16_e32 vcc, s12, v37
	s_nop 1
	v_cndmask_b32_e32 v13, v39, v13, vcc
	v_mul_f32_e32 v37, 0x4f800000, v13
	v_cmp_gt_f32_e32 vcc, s15, v13
	s_nop 1
	v_cndmask_b32_e32 v13, v13, v37, vcc
	v_sqrt_f32_e32 v37, v13
	v_cmp_class_f32_e64 s[4:5], v13, v38
	v_add_u32_e32 v12, -1, v37
	v_add_u32_e32 v39, 1, v37
	v_fma_f32 v40, -v12, v37, v13
	v_fma_f32 v41, -v39, v37, v13
	v_cmp_ge_f32_e64 s[2:3], 0, v40
	s_nop 1
	v_cndmask_b32_e64 v12, v37, v12, s[2:3]
	v_cmp_lt_f32_e64 s[2:3], 0, v41
	s_nop 1
	v_cndmask_b32_e64 v12, v12, v39, s[2:3]
	v_mul_f32_e32 v37, 0x37800000, v12
	v_cndmask_b32_e32 v12, v12, v37, vcc
	v_cndmask_b32_e64 v37, 0, 1, s[6:7]
	v_cmp_ne_u32_e64 s[2:3], 1, v37
	s_andn2_b64 vcc, exec, s[6:7]
	v_cndmask_b32_e64 v13, v12, v13, s[4:5]
	s_cbranch_vccnz .LBB359_8
; %bb.7:
	global_load_dword v12, v19, s[10:11] offset:128
	s_waitcnt vmcnt(0)
	v_add_f32_e32 v13, v13, v12
.LBB359_8:
	v_mul_f32_e32 v12, 0x3fb8aa3b, v14
	v_exp_f32_e32 v37, v12
	s_mov_b32 s13, 0x800000
	v_mov_b32_e32 v12, 0x4f800000
	s_mov_b32 s7, 0x3f317217
	v_add_f32_e32 v37, 1.0, v37
	v_cmp_gt_f32_e32 vcc, s13, v37
	s_mov_b32 s12, 0x7f800000
	s_movk_i32 s6, 0x4d00
	v_cndmask_b32_e32 v38, 1.0, v12, vcc
	v_mul_f32_e32 v37, v37, v38
	v_log_f32_e32 v37, v37
	s_mov_b32 s14, 0xf800000
	scratch_store_dword off, v13, off offset:4
	v_mul_f32_e32 v38, 0x3f317217, v37
	v_fma_f32 v38, v37, s7, -v38
	v_fmac_f32_e32 v38, 0x3377d1cf, v37
	v_fmac_f32_e32 v38, 0x3f317217, v37
	v_cmp_lt_f32_e64 s[4:5], |v37|, s12
	s_nop 1
	v_cndmask_b32_e64 v38, v37, v38, s[4:5]
	v_mov_b32_e32 v37, 0x41b17218
	v_cndmask_b32_e32 v39, 0, v37, vcc
	v_sub_f32_e32 v38, v38, v39
	v_cmp_lt_f16_e32 vcc, s6, v36
	s_nop 1
	v_cndmask_b32_e32 v14, v38, v14, vcc
	v_mul_f32_e32 v36, 0x4f800000, v14
	v_cmp_gt_f32_e32 vcc, s14, v14
	s_nop 1
	v_cndmask_b32_e32 v14, v14, v36, vcc
	v_sqrt_f32_e32 v36, v14
	s_nop 0
	v_add_u32_e32 v13, -1, v36
	v_fma_f32 v38, -v13, v36, v14
	v_cmp_ge_f32_e64 s[4:5], 0, v38
	v_add_u32_e32 v38, 1, v36
	s_nop 0
	v_cndmask_b32_e64 v13, v36, v13, s[4:5]
	v_fma_f32 v36, -v38, v36, v14
	v_cmp_lt_f32_e64 s[4:5], 0, v36
	s_nop 1
	v_cndmask_b32_e64 v13, v13, v38, s[4:5]
	v_mul_f32_e32 v36, 0x37800000, v13
	v_cndmask_b32_e32 v36, v13, v36, vcc
	v_mov_b32_e32 v13, 0x260
	v_cmp_class_f32_e64 s[4:5], v14, v13
	s_and_b64 vcc, exec, s[2:3]
	s_nop 0
	v_cndmask_b32_e64 v14, v36, v14, s[4:5]
	s_cbranch_vccnz .LBB359_10
; %bb.9:
	global_load_dword v36, v19, s[10:11] offset:256
	s_waitcnt vmcnt(0)
	v_add_f32_e32 v14, v14, v36
.LBB359_10:
	v_mul_f32_e32 v36, 0x3fb8aa3b, v15
	v_exp_f32_e32 v36, v36
	scratch_store_dword off, v14, off offset:8
	v_add_f32_e32 v36, 1.0, v36
	v_cmp_gt_f32_e32 vcc, s13, v36
	s_nop 1
	v_cndmask_b32_e32 v12, 1.0, v12, vcc
	v_mul_f32_e32 v12, v36, v12
	v_log_f32_e32 v12, v12
	v_cndmask_b32_e32 v36, 0, v37, vcc
	v_mul_f32_e32 v37, 0x3f317217, v12
	v_fma_f32 v37, v12, s7, -v37
	v_fmac_f32_e32 v37, 0x3377d1cf, v12
	v_fmac_f32_e32 v37, 0x3f317217, v12
	v_cmp_lt_f32_e64 vcc, |v12|, s12
	s_nop 1
	v_cndmask_b32_e32 v12, v12, v37, vcc
	v_sub_f32_e32 v12, v12, v36
	v_cmp_lt_f16_e32 vcc, s6, v35
	s_nop 1
	v_cndmask_b32_e32 v12, v12, v15, vcc
	v_mul_f32_e32 v15, 0x4f800000, v12
	v_cmp_gt_f32_e32 vcc, s14, v12
	s_nop 1
	v_cndmask_b32_e32 v12, v12, v15, vcc
	v_sqrt_f32_e32 v15, v12
	s_nop 0
	v_add_u32_e32 v14, -1, v15
	v_add_u32_e32 v35, 1, v15
	v_fma_f32 v36, -v14, v15, v12
	v_fma_f32 v37, -v35, v15, v12
	v_cmp_ge_f32_e64 s[4:5], 0, v36
	s_nop 1
	v_cndmask_b32_e64 v14, v15, v14, s[4:5]
	v_cmp_lt_f32_e64 s[4:5], 0, v37
	s_nop 1
	v_cndmask_b32_e64 v14, v14, v35, s[4:5]
	v_mul_f32_e32 v15, 0x37800000, v14
	v_cndmask_b32_e32 v14, v14, v15, vcc
	v_cmp_class_f32_e64 s[4:5], v12, v13
	s_and_b64 vcc, exec, s[2:3]
	s_nop 0
	v_cndmask_b32_e64 v14, v14, v12, s[4:5]
	s_cbranch_vccnz .LBB359_12
; %bb.11:
	global_load_dword v12, v19, s[10:11] offset:384
	s_waitcnt vmcnt(0)
	v_add_f32_e32 v14, v14, v12
.LBB359_12:
	v_mul_f32_e32 v12, 0x3fb8aa3b, v8
	v_exp_f32_e32 v13, v12
	v_mov_b32_e32 v12, 0x4f800000
	scratch_store_dword off, v14, off offset:12
	v_add_f32_e32 v13, 1.0, v13
	v_cmp_gt_f32_e32 vcc, s13, v13
	s_nop 1
	v_cndmask_b32_e32 v15, 1.0, v12, vcc
	v_mul_f32_e32 v13, v13, v15
	v_log_f32_e32 v13, v13
	s_nop 0
	v_mul_f32_e32 v15, 0x3f317217, v13
	v_fma_f32 v15, v13, s7, -v15
	v_fmac_f32_e32 v15, 0x3377d1cf, v13
	v_fmac_f32_e32 v15, 0x3f317217, v13
	v_cmp_lt_f32_e64 s[4:5], |v13|, s12
	s_nop 1
	v_cndmask_b32_e64 v15, v13, v15, s[4:5]
	v_mov_b32_e32 v13, 0x41b17218
	v_cndmask_b32_e32 v35, 0, v13, vcc
	v_sub_f32_e32 v15, v15, v35
	v_cmp_lt_f16_e32 vcc, s6, v34
	s_nop 1
	v_cndmask_b32_e32 v8, v15, v8, vcc
	v_mul_f32_e32 v15, 0x4f800000, v8
	v_cmp_gt_f32_e32 vcc, s14, v8
	s_nop 1
	v_cndmask_b32_e32 v15, v8, v15, vcc
	v_sqrt_f32_e32 v8, v15
	s_nop 0
	v_add_u32_e32 v14, -1, v8
	v_fma_f32 v34, -v14, v8, v15
	v_cmp_ge_f32_e64 s[4:5], 0, v34
	v_add_u32_e32 v34, 1, v8
	s_nop 0
	v_cndmask_b32_e64 v14, v8, v14, s[4:5]
	v_fma_f32 v8, -v34, v8, v15
	v_cmp_lt_f32_e64 s[4:5], 0, v8
	s_nop 1
	v_cndmask_b32_e64 v8, v14, v34, s[4:5]
	v_mul_f32_e32 v14, 0x37800000, v8
	v_cndmask_b32_e32 v14, v8, v14, vcc
	v_mov_b32_e32 v8, 0x260
	v_cmp_class_f32_e64 s[4:5], v15, v8
	s_and_b64 vcc, exec, s[2:3]
	s_nop 0
	v_cndmask_b32_e64 v14, v14, v15, s[4:5]
	s_cbranch_vccnz .LBB359_14
; %bb.13:
	global_load_dword v15, v19, s[10:11] offset:512
	s_waitcnt vmcnt(0)
	v_add_f32_e32 v14, v14, v15
.LBB359_14:
	v_mul_f32_e32 v15, 0x3fb8aa3b, v9
	v_exp_f32_e32 v15, v15
	scratch_store_dword off, v14, off offset:16
	v_add_f32_e32 v15, 1.0, v15
	v_cmp_gt_f32_e32 vcc, s13, v15
	s_nop 1
	v_cndmask_b32_e32 v12, 1.0, v12, vcc
	v_mul_f32_e32 v12, v15, v12
	v_log_f32_e32 v12, v12
	v_cndmask_b32_e32 v13, 0, v13, vcc
	v_mul_f32_e32 v15, 0x3f317217, v12
	v_fma_f32 v15, v12, s7, -v15
	v_fmac_f32_e32 v15, 0x3377d1cf, v12
	v_fmac_f32_e32 v15, 0x3f317217, v12
	v_cmp_lt_f32_e64 vcc, |v12|, s12
	s_nop 1
	v_cndmask_b32_e32 v12, v12, v15, vcc
	v_sub_f32_e32 v12, v12, v13
	v_cmp_lt_f16_e32 vcc, s6, v33
	s_nop 1
	v_cndmask_b32_e32 v9, v12, v9, vcc
	v_mul_f32_e32 v12, 0x4f800000, v9
	v_cmp_gt_f32_e32 vcc, s14, v9
	s_nop 1
	v_cndmask_b32_e32 v9, v9, v12, vcc
	v_sqrt_f32_e32 v12, v9
	s_nop 0
	v_add_u32_e32 v13, -1, v12
	v_add_u32_e32 v14, 1, v12
	v_fma_f32 v15, -v13, v12, v9
	v_fma_f32 v33, -v14, v12, v9
	v_cmp_ge_f32_e64 s[4:5], 0, v15
	s_nop 1
	v_cndmask_b32_e64 v12, v12, v13, s[4:5]
	v_cmp_lt_f32_e64 s[4:5], 0, v33
	s_nop 1
	v_cndmask_b32_e64 v12, v12, v14, s[4:5]
	v_mul_f32_e32 v13, 0x37800000, v12
	v_cndmask_b32_e32 v12, v12, v13, vcc
	v_cmp_class_f32_e64 s[4:5], v9, v8
	s_and_b64 vcc, exec, s[2:3]
	s_nop 0
	v_cndmask_b32_e64 v9, v12, v9, s[4:5]
	s_cbranch_vccnz .LBB359_16
; %bb.15:
	global_load_dword v8, v19, s[10:11] offset:640
	s_waitcnt vmcnt(0)
	v_add_f32_e32 v9, v9, v8
.LBB359_16:
	v_mul_f32_e32 v8, 0x3fb8aa3b, v10
	v_exp_f32_e32 v12, v8
	v_mov_b32_e32 v8, 0x4f800000
	scratch_store_dword off, v9, off offset:20
	v_add_f32_e32 v12, 1.0, v12
	v_cmp_gt_f32_e32 vcc, s13, v12
	s_nop 1
	v_cndmask_b32_e32 v13, 1.0, v8, vcc
	v_mul_f32_e32 v12, v12, v13
	v_log_f32_e32 v12, v12
	s_nop 0
	v_mul_f32_e32 v13, 0x3f317217, v12
	v_fma_f32 v13, v12, s7, -v13
	v_fmac_f32_e32 v13, 0x3377d1cf, v12
	v_fmac_f32_e32 v13, 0x3f317217, v12
	v_cmp_lt_f32_e64 s[4:5], |v12|, s12
	s_nop 1
	v_cndmask_b32_e64 v13, v12, v13, s[4:5]
	v_mov_b32_e32 v12, 0x41b17218
	v_cndmask_b32_e32 v14, 0, v12, vcc
	v_sub_f32_e32 v13, v13, v14
	v_cmp_lt_f16_e32 vcc, s6, v32
	s_nop 1
	v_cndmask_b32_e32 v10, v13, v10, vcc
	v_mul_f32_e32 v13, 0x4f800000, v10
	v_cmp_gt_f32_e32 vcc, s14, v10
	s_nop 1
	v_cndmask_b32_e32 v10, v10, v13, vcc
	v_sqrt_f32_e32 v13, v10
	s_nop 0
	v_add_u32_e32 v9, -1, v13
	v_fma_f32 v14, -v9, v13, v10
	v_cmp_ge_f32_e64 s[4:5], 0, v14
	v_add_u32_e32 v14, 1, v13
	s_nop 0
	v_cndmask_b32_e64 v9, v13, v9, s[4:5]
	v_fma_f32 v13, -v14, v13, v10
	v_cmp_lt_f32_e64 s[4:5], 0, v13
	s_nop 1
	v_cndmask_b32_e64 v9, v9, v14, s[4:5]
	v_mul_f32_e32 v13, 0x37800000, v9
	v_cndmask_b32_e32 v13, v9, v13, vcc
	v_mov_b32_e32 v9, 0x260
	v_cmp_class_f32_e64 s[4:5], v10, v9
	s_and_b64 vcc, exec, s[2:3]
	s_nop 0
	v_cndmask_b32_e64 v10, v13, v10, s[4:5]
	s_cbranch_vccnz .LBB359_18
; %bb.17:
	global_load_dword v13, v19, s[10:11] offset:768
	s_waitcnt vmcnt(0)
	v_add_f32_e32 v10, v10, v13
.LBB359_18:
	v_mul_f32_e32 v13, 0x3fb8aa3b, v11
	v_exp_f32_e32 v13, v13
	scratch_store_dword off, v10, off offset:24
	v_add_f32_e32 v13, 1.0, v13
	v_cmp_gt_f32_e32 vcc, s13, v13
	s_nop 1
	v_cndmask_b32_e32 v8, 1.0, v8, vcc
	v_mul_f32_e32 v8, v13, v8
	v_log_f32_e32 v8, v8
	v_cndmask_b32_e32 v12, 0, v12, vcc
	v_mul_f32_e32 v13, 0x3f317217, v8
	v_fma_f32 v13, v8, s7, -v13
	v_fmac_f32_e32 v13, 0x3377d1cf, v8
	v_fmac_f32_e32 v13, 0x3f317217, v8
	v_cmp_lt_f32_e64 vcc, |v8|, s12
	s_nop 1
	v_cndmask_b32_e32 v8, v8, v13, vcc
	v_sub_f32_e32 v8, v8, v12
	v_cmp_lt_f16_e32 vcc, s6, v31
	s_nop 1
	v_cndmask_b32_e32 v8, v8, v11, vcc
	v_mul_f32_e32 v11, 0x4f800000, v8
	v_cmp_gt_f32_e32 vcc, s14, v8
	s_nop 1
	v_cndmask_b32_e32 v8, v8, v11, vcc
	v_sqrt_f32_e32 v11, v8
	s_nop 0
	v_add_u32_e32 v10, -1, v11
	v_add_u32_e32 v12, 1, v11
	v_fma_f32 v13, -v10, v11, v8
	v_fma_f32 v14, -v12, v11, v8
	v_cmp_ge_f32_e64 s[4:5], 0, v13
	s_nop 1
	v_cndmask_b32_e64 v10, v11, v10, s[4:5]
	v_cmp_lt_f32_e64 s[4:5], 0, v14
	s_nop 1
	v_cndmask_b32_e64 v10, v10, v12, s[4:5]
	v_mul_f32_e32 v11, 0x37800000, v10
	v_cndmask_b32_e32 v10, v10, v11, vcc
	v_cmp_class_f32_e64 s[4:5], v8, v9
	s_and_b64 vcc, exec, s[2:3]
	s_nop 0
	v_cndmask_b32_e64 v10, v10, v8, s[4:5]
	s_cbranch_vccnz .LBB359_20
; %bb.19:
	global_load_dword v8, v19, s[10:11] offset:896
	s_waitcnt vmcnt(0)
	v_add_f32_e32 v10, v10, v8
.LBB359_20:
	v_mul_f32_e32 v8, 0x3fb8aa3b, v4
	v_exp_f32_e32 v9, v8
	v_mov_b32_e32 v8, 0x4f800000
	scratch_store_dword off, v10, off offset:28
	v_add_f32_e32 v9, 1.0, v9
	v_cmp_gt_f32_e32 vcc, s13, v9
	s_nop 1
	v_cndmask_b32_e32 v11, 1.0, v8, vcc
	v_mul_f32_e32 v9, v9, v11
	v_log_f32_e32 v9, v9
	s_nop 0
	v_mul_f32_e32 v11, 0x3f317217, v9
	v_fma_f32 v11, v9, s7, -v11
	v_fmac_f32_e32 v11, 0x3377d1cf, v9
	v_fmac_f32_e32 v11, 0x3f317217, v9
	v_cmp_lt_f32_e64 s[4:5], |v9|, s12
	s_nop 1
	v_cndmask_b32_e64 v11, v9, v11, s[4:5]
	v_mov_b32_e32 v9, 0x41b17218
	v_cndmask_b32_e32 v12, 0, v9, vcc
	v_sub_f32_e32 v11, v11, v12
	v_cmp_lt_f16_e32 vcc, s6, v30
	s_nop 1
	v_cndmask_b32_e32 v4, v11, v4, vcc
	v_mul_f32_e32 v11, 0x4f800000, v4
	v_cmp_gt_f32_e32 vcc, s14, v4
	s_nop 1
	v_cndmask_b32_e32 v11, v4, v11, vcc
	v_sqrt_f32_e32 v4, v11
	s_nop 0
	v_add_u32_e32 v10, -1, v4
	v_fma_f32 v12, -v10, v4, v11
	v_cmp_ge_f32_e64 s[4:5], 0, v12
	v_add_u32_e32 v12, 1, v4
	s_nop 0
	v_cndmask_b32_e64 v10, v4, v10, s[4:5]
	v_fma_f32 v4, -v12, v4, v11
	v_cmp_lt_f32_e64 s[4:5], 0, v4
	s_nop 1
	v_cndmask_b32_e64 v4, v10, v12, s[4:5]
	v_mul_f32_e32 v10, 0x37800000, v4
	v_cndmask_b32_e32 v10, v4, v10, vcc
	v_mov_b32_e32 v4, 0x260
	v_cmp_class_f32_e64 s[4:5], v11, v4
	s_and_b64 vcc, exec, s[2:3]
	s_nop 0
	v_cndmask_b32_e64 v10, v10, v11, s[4:5]
	s_cbranch_vccnz .LBB359_22
; %bb.21:
	global_load_dword v11, v19, s[10:11] offset:1024
	s_waitcnt vmcnt(0)
	v_add_f32_e32 v10, v10, v11
.LBB359_22:
	v_mul_f32_e32 v11, 0x3fb8aa3b, v5
	v_exp_f32_e32 v11, v11
	scratch_store_dword off, v10, off offset:32
	v_add_f32_e32 v11, 1.0, v11
	v_cmp_gt_f32_e32 vcc, s13, v11
	s_nop 1
	v_cndmask_b32_e32 v8, 1.0, v8, vcc
	v_mul_f32_e32 v8, v11, v8
	v_log_f32_e32 v8, v8
	v_cndmask_b32_e32 v9, 0, v9, vcc
	v_mul_f32_e32 v11, 0x3f317217, v8
	v_fma_f32 v11, v8, s7, -v11
	v_fmac_f32_e32 v11, 0x3377d1cf, v8
	v_fmac_f32_e32 v11, 0x3f317217, v8
	v_cmp_lt_f32_e64 vcc, |v8|, s12
	s_nop 1
	v_cndmask_b32_e32 v8, v8, v11, vcc
	v_sub_f32_e32 v8, v8, v9
	v_cmp_lt_f16_e32 vcc, s6, v29
	s_nop 1
	v_cndmask_b32_e32 v5, v8, v5, vcc
	v_mul_f32_e32 v8, 0x4f800000, v5
	v_cmp_gt_f32_e32 vcc, s14, v5
	s_nop 1
	v_cndmask_b32_e32 v5, v5, v8, vcc
	v_sqrt_f32_e32 v8, v5
	s_nop 0
	v_add_u32_e32 v9, -1, v8
	v_add_u32_e32 v10, 1, v8
	v_fma_f32 v11, -v9, v8, v5
	v_fma_f32 v12, -v10, v8, v5
	v_cmp_ge_f32_e64 s[4:5], 0, v11
	s_nop 1
	v_cndmask_b32_e64 v8, v8, v9, s[4:5]
	v_cmp_lt_f32_e64 s[4:5], 0, v12
	s_nop 1
	v_cndmask_b32_e64 v8, v8, v10, s[4:5]
	v_mul_f32_e32 v9, 0x37800000, v8
	v_cndmask_b32_e32 v8, v8, v9, vcc
	v_cmp_class_f32_e64 s[4:5], v5, v4
	s_and_b64 vcc, exec, s[2:3]
	s_nop 0
	v_cndmask_b32_e64 v5, v8, v5, s[4:5]
	s_cbranch_vccnz .LBB359_24
; %bb.23:
	global_load_dword v4, v19, s[10:11] offset:1152
	s_waitcnt vmcnt(0)
	v_add_f32_e32 v5, v5, v4
.LBB359_24:
	v_mul_f32_e32 v4, 0x3fb8aa3b, v6
	v_exp_f32_e32 v8, v4
	v_mov_b32_e32 v4, 0x4f800000
	scratch_store_dword off, v5, off offset:36
	v_add_f32_e32 v8, 1.0, v8
	v_cmp_gt_f32_e32 vcc, s13, v8
	s_nop 1
	v_cndmask_b32_e32 v9, 1.0, v4, vcc
	v_mul_f32_e32 v8, v8, v9
	v_log_f32_e32 v8, v8
	s_nop 0
	v_mul_f32_e32 v9, 0x3f317217, v8
	v_fma_f32 v9, v8, s7, -v9
	v_fmac_f32_e32 v9, 0x3377d1cf, v8
	v_fmac_f32_e32 v9, 0x3f317217, v8
	v_cmp_lt_f32_e64 s[4:5], |v8|, s12
	s_nop 1
	v_cndmask_b32_e64 v9, v8, v9, s[4:5]
	v_mov_b32_e32 v8, 0x41b17218
	v_cndmask_b32_e32 v10, 0, v8, vcc
	v_sub_f32_e32 v9, v9, v10
	v_cmp_lt_f16_e32 vcc, s6, v28
	s_nop 1
	v_cndmask_b32_e32 v6, v9, v6, vcc
	v_mul_f32_e32 v9, 0x4f800000, v6
	v_cmp_gt_f32_e32 vcc, s14, v6
	s_nop 1
	v_cndmask_b32_e32 v6, v6, v9, vcc
	v_sqrt_f32_e32 v9, v6
	s_nop 0
	v_add_u32_e32 v5, -1, v9
	v_fma_f32 v10, -v5, v9, v6
	v_cmp_ge_f32_e64 s[4:5], 0, v10
	v_add_u32_e32 v10, 1, v9
	s_nop 0
	v_cndmask_b32_e64 v5, v9, v5, s[4:5]
	v_fma_f32 v9, -v10, v9, v6
	v_cmp_lt_f32_e64 s[4:5], 0, v9
	s_nop 1
	v_cndmask_b32_e64 v5, v5, v10, s[4:5]
	v_mul_f32_e32 v9, 0x37800000, v5
	v_cndmask_b32_e32 v9, v5, v9, vcc
	v_mov_b32_e32 v5, 0x260
	v_cmp_class_f32_e64 s[4:5], v6, v5
	s_and_b64 vcc, exec, s[2:3]
	s_nop 0
	v_cndmask_b32_e64 v6, v9, v6, s[4:5]
	s_cbranch_vccnz .LBB359_26
; %bb.25:
	global_load_dword v9, v19, s[10:11] offset:1280
	s_waitcnt vmcnt(0)
	v_add_f32_e32 v6, v6, v9
.LBB359_26:
	v_mul_f32_e32 v9, 0x3fb8aa3b, v7
	v_exp_f32_e32 v9, v9
	scratch_store_dword off, v6, off offset:40
	v_add_f32_e32 v9, 1.0, v9
	v_cmp_gt_f32_e32 vcc, s13, v9
	s_nop 1
	v_cndmask_b32_e32 v4, 1.0, v4, vcc
	v_mul_f32_e32 v4, v9, v4
	v_log_f32_e32 v4, v4
	v_cndmask_b32_e32 v8, 0, v8, vcc
	v_mul_f32_e32 v9, 0x3f317217, v4
	v_fma_f32 v9, v4, s7, -v9
	v_fmac_f32_e32 v9, 0x3377d1cf, v4
	v_fmac_f32_e32 v9, 0x3f317217, v4
	v_cmp_lt_f32_e64 vcc, |v4|, s12
	s_nop 1
	v_cndmask_b32_e32 v4, v4, v9, vcc
	v_sub_f32_e32 v4, v4, v8
	v_cmp_lt_f16_e32 vcc, s6, v27
	s_nop 1
	v_cndmask_b32_e32 v4, v4, v7, vcc
	v_mul_f32_e32 v7, 0x4f800000, v4
	v_cmp_gt_f32_e32 vcc, s14, v4
	s_nop 1
	v_cndmask_b32_e32 v4, v4, v7, vcc
	v_sqrt_f32_e32 v7, v4
	s_nop 0
	v_add_u32_e32 v6, -1, v7
	v_add_u32_e32 v8, 1, v7
	v_fma_f32 v9, -v6, v7, v4
	v_fma_f32 v10, -v8, v7, v4
	v_cmp_ge_f32_e64 s[4:5], 0, v9
	s_nop 1
	v_cndmask_b32_e64 v6, v7, v6, s[4:5]
	v_cmp_lt_f32_e64 s[4:5], 0, v10
	s_nop 1
	v_cndmask_b32_e64 v6, v6, v8, s[4:5]
	v_mul_f32_e32 v7, 0x37800000, v6
	v_cndmask_b32_e32 v6, v6, v7, vcc
	v_cmp_class_f32_e64 s[4:5], v4, v5
	s_and_b64 vcc, exec, s[2:3]
	s_nop 0
	v_cndmask_b32_e64 v6, v6, v4, s[4:5]
	s_cbranch_vccnz .LBB359_28
; %bb.27:
	global_load_dword v4, v19, s[10:11] offset:1408
	s_waitcnt vmcnt(0)
	v_add_f32_e32 v6, v6, v4
.LBB359_28:
	v_mul_f32_e32 v4, 0x3fb8aa3b, v0
	v_exp_f32_e32 v5, v4
	v_mov_b32_e32 v4, 0x4f800000
	scratch_store_dword off, v6, off offset:44
	v_add_f32_e32 v5, 1.0, v5
	v_cmp_gt_f32_e32 vcc, s13, v5
	s_nop 1
	v_cndmask_b32_e32 v7, 1.0, v4, vcc
	v_mul_f32_e32 v5, v5, v7
	v_log_f32_e32 v5, v5
	s_nop 0
	v_mul_f32_e32 v7, 0x3f317217, v5
	v_fma_f32 v7, v5, s7, -v7
	v_fmac_f32_e32 v7, 0x3377d1cf, v5
	v_fmac_f32_e32 v7, 0x3f317217, v5
	v_cmp_lt_f32_e64 s[4:5], |v5|, s12
	s_nop 1
	v_cndmask_b32_e64 v7, v5, v7, s[4:5]
	v_mov_b32_e32 v5, 0x41b17218
	v_cndmask_b32_e32 v8, 0, v5, vcc
	v_sub_f32_e32 v7, v7, v8
	v_cmp_lt_f16_e32 vcc, s6, v26
	s_nop 1
	v_cndmask_b32_e32 v0, v7, v0, vcc
	v_mul_f32_e32 v7, 0x4f800000, v0
	v_cmp_gt_f32_e32 vcc, s14, v0
	s_nop 1
	v_cndmask_b32_e32 v7, v0, v7, vcc
	v_sqrt_f32_e32 v0, v7
	s_nop 0
	v_add_u32_e32 v6, -1, v0
	v_fma_f32 v8, -v6, v0, v7
	v_cmp_ge_f32_e64 s[4:5], 0, v8
	v_add_u32_e32 v8, 1, v0
	s_nop 0
	v_cndmask_b32_e64 v6, v0, v6, s[4:5]
	v_fma_f32 v0, -v8, v0, v7
	v_cmp_lt_f32_e64 s[4:5], 0, v0
	s_nop 1
	v_cndmask_b32_e64 v0, v6, v8, s[4:5]
	v_mul_f32_e32 v6, 0x37800000, v0
	v_cndmask_b32_e32 v6, v0, v6, vcc
	v_mov_b32_e32 v0, 0x260
	v_cmp_class_f32_e64 s[4:5], v7, v0
	s_and_b64 vcc, exec, s[2:3]
	s_nop 0
	v_cndmask_b32_e64 v6, v6, v7, s[4:5]
	s_cbranch_vccnz .LBB359_30
; %bb.29:
	global_load_dword v7, v19, s[10:11] offset:1536
	s_waitcnt vmcnt(0)
	v_add_f32_e32 v6, v6, v7
.LBB359_30:
	v_mul_f32_e32 v7, 0x3fb8aa3b, v1
	v_exp_f32_e32 v7, v7
	scratch_store_dword off, v6, off offset:48
	v_add_f32_e32 v7, 1.0, v7
	v_cmp_gt_f32_e32 vcc, s13, v7
	s_nop 1
	v_cndmask_b32_e32 v4, 1.0, v4, vcc
	v_mul_f32_e32 v4, v7, v4
	v_log_f32_e32 v4, v4
	v_cndmask_b32_e32 v5, 0, v5, vcc
	v_mul_f32_e32 v7, 0x3f317217, v4
	v_fma_f32 v7, v4, s7, -v7
	v_fmac_f32_e32 v7, 0x3377d1cf, v4
	v_fmac_f32_e32 v7, 0x3f317217, v4
	v_cmp_lt_f32_e64 vcc, |v4|, s12
	s_nop 1
	v_cndmask_b32_e32 v4, v4, v7, vcc
	v_sub_f32_e32 v4, v4, v5
	v_cmp_lt_f16_e32 vcc, s6, v25
	s_nop 1
	v_cndmask_b32_e32 v1, v4, v1, vcc
	v_mul_f32_e32 v4, 0x4f800000, v1
	v_cmp_gt_f32_e32 vcc, s14, v1
	s_nop 1
	v_cndmask_b32_e32 v1, v1, v4, vcc
	v_sqrt_f32_e32 v4, v1
	s_nop 0
	v_add_u32_e32 v5, -1, v4
	v_add_u32_e32 v6, 1, v4
	v_fma_f32 v7, -v5, v4, v1
	v_fma_f32 v8, -v6, v4, v1
	v_cmp_ge_f32_e64 s[4:5], 0, v7
	s_nop 1
	v_cndmask_b32_e64 v4, v4, v5, s[4:5]
	v_cmp_lt_f32_e64 s[4:5], 0, v8
	s_nop 1
	v_cndmask_b32_e64 v4, v4, v6, s[4:5]
	v_mul_f32_e32 v5, 0x37800000, v4
	v_cndmask_b32_e32 v4, v4, v5, vcc
	v_cmp_class_f32_e64 s[4:5], v1, v0
	s_and_b64 vcc, exec, s[2:3]
	s_nop 0
	v_cndmask_b32_e64 v1, v4, v1, s[4:5]
	s_cbranch_vccnz .LBB359_32
; %bb.31:
	global_load_dword v0, v19, s[10:11] offset:1664
	s_waitcnt vmcnt(0)
	v_add_f32_e32 v1, v1, v0
.LBB359_32:
	v_mul_f32_e32 v0, 0x3fb8aa3b, v2
	v_exp_f32_e32 v4, v0
	v_mov_b32_e32 v0, 0x4f800000
	scratch_store_dword off, v1, off offset:52
	v_add_f32_e32 v4, 1.0, v4
	v_cmp_gt_f32_e32 vcc, s13, v4
	s_nop 1
	v_cndmask_b32_e32 v5, 1.0, v0, vcc
	v_mul_f32_e32 v4, v4, v5
	v_log_f32_e32 v4, v4
	s_nop 0
	v_mul_f32_e32 v5, 0x3f317217, v4
	v_fma_f32 v5, v4, s7, -v5
	v_fmac_f32_e32 v5, 0x3377d1cf, v4
	v_fmac_f32_e32 v5, 0x3f317217, v4
	v_cmp_lt_f32_e64 s[4:5], |v4|, s12
	s_nop 1
	v_cndmask_b32_e64 v5, v4, v5, s[4:5]
	v_mov_b32_e32 v4, 0x41b17218
	v_cndmask_b32_e32 v6, 0, v4, vcc
	v_sub_f32_e32 v5, v5, v6
	v_cmp_lt_f16_e32 vcc, s6, v24
	s_nop 1
	v_cndmask_b32_e32 v2, v5, v2, vcc
	v_mul_f32_e32 v5, 0x4f800000, v2
	v_cmp_gt_f32_e32 vcc, s14, v2
	s_nop 1
	v_cndmask_b32_e32 v2, v2, v5, vcc
	v_sqrt_f32_e32 v5, v2
	s_nop 0
	v_add_u32_e32 v1, -1, v5
	v_fma_f32 v6, -v1, v5, v2
	v_cmp_ge_f32_e64 s[4:5], 0, v6
	v_add_u32_e32 v6, 1, v5
	s_nop 0
	v_cndmask_b32_e64 v1, v5, v1, s[4:5]
	v_fma_f32 v5, -v6, v5, v2
	v_cmp_lt_f32_e64 s[4:5], 0, v5
	s_nop 1
	v_cndmask_b32_e64 v1, v1, v6, s[4:5]
	v_mul_f32_e32 v5, 0x37800000, v1
	v_cndmask_b32_e32 v5, v1, v5, vcc
	v_mov_b32_e32 v1, 0x260
	v_cmp_class_f32_e64 s[4:5], v2, v1
	s_and_b64 vcc, exec, s[2:3]
	s_nop 0
	v_cndmask_b32_e64 v2, v5, v2, s[4:5]
	s_cbranch_vccnz .LBB359_34
; %bb.33:
	global_load_dword v5, v19, s[10:11] offset:1792
	s_waitcnt vmcnt(0)
	v_add_f32_e32 v2, v2, v5
.LBB359_34:
	v_mul_f32_e32 v5, 0x3fb8aa3b, v3
	v_exp_f32_e32 v5, v5
	scratch_store_dword off, v2, off offset:56
	v_add_f32_e32 v5, 1.0, v5
	v_cmp_gt_f32_e32 vcc, s13, v5
	s_nop 1
	v_cndmask_b32_e32 v0, 1.0, v0, vcc
	v_mul_f32_e32 v0, v5, v0
	v_log_f32_e32 v0, v0
	v_cndmask_b32_e32 v4, 0, v4, vcc
	v_mul_f32_e32 v5, 0x3f317217, v0
	v_fma_f32 v5, v0, s7, -v5
	v_fmac_f32_e32 v5, 0x3377d1cf, v0
	v_fmac_f32_e32 v5, 0x3f317217, v0
	v_cmp_lt_f32_e64 vcc, |v0|, s12
	s_nop 1
	v_cndmask_b32_e32 v0, v0, v5, vcc
	v_sub_f32_e32 v0, v0, v4
	v_cmp_lt_f16_e32 vcc, s6, v23
	s_nop 1
	v_cndmask_b32_e32 v0, v0, v3, vcc
	v_mul_f32_e32 v3, 0x4f800000, v0
	v_cmp_gt_f32_e32 vcc, s14, v0
	s_nop 1
	v_cndmask_b32_e32 v0, v0, v3, vcc
	v_sqrt_f32_e32 v3, v0
	s_nop 0
	v_add_u32_e32 v2, -1, v3
	v_add_u32_e32 v4, 1, v3
	v_fma_f32 v5, -v2, v3, v0
	v_fma_f32 v6, -v4, v3, v0
	v_cmp_ge_f32_e64 s[4:5], 0, v5
	s_nop 1
	v_cndmask_b32_e64 v2, v3, v2, s[4:5]
	v_cmp_lt_f32_e64 s[4:5], 0, v6
	s_nop 1
	v_cndmask_b32_e64 v2, v2, v4, s[4:5]
	v_mul_f32_e32 v3, 0x37800000, v2
	v_cndmask_b32_e32 v2, v2, v3, vcc
	v_cmp_class_f32_e64 s[4:5], v0, v1
	s_and_b64 vcc, exec, s[2:3]
	s_nop 0
	v_cndmask_b32_e64 v1, v2, v0, s[4:5]
	s_cbranch_vccnz .LBB359_36
; %bb.35:
	global_load_dword v0, v19, s[10:11] offset:1920
	s_waitcnt vmcnt(0)
	v_add_f32_e32 v1, v1, v0
.LBB359_36:
	v_mul_f32_e32 v0, 0x3fb8aa3b, v20
	v_exp_f32_e32 v2, v0
	v_mov_b32_e32 v0, 0x4f800000
	scratch_store_dword off, v1, off offset:60
	v_add_f32_e32 v2, 1.0, v2
	v_cmp_gt_f32_e32 vcc, s13, v2
	s_nop 1
	v_cndmask_b32_e32 v3, 1.0, v0, vcc
	v_mul_f32_e32 v2, v2, v3
	v_log_f32_e32 v2, v2
	s_nop 0
	v_mul_f32_e32 v3, 0x3f317217, v2
	v_fma_f32 v3, v2, s7, -v3
	v_fmac_f32_e32 v3, 0x3377d1cf, v2
	v_fmac_f32_e32 v3, 0x3f317217, v2
	v_cmp_lt_f32_e64 s[4:5], |v2|, s12
	s_nop 1
	v_cndmask_b32_e64 v3, v2, v3, s[4:5]
	v_mov_b32_e32 v2, 0x41b17218
	v_cndmask_b32_e32 v4, 0, v2, vcc
	v_sub_f32_e32 v3, v3, v4
	v_cmp_lt_f16_e32 vcc, s6, v22
	s_nop 1
	v_cndmask_b32_e32 v3, v3, v20, vcc
	v_mul_f32_e32 v4, 0x4f800000, v3
	v_cmp_gt_f32_e32 vcc, s14, v3
	s_nop 1
	v_cndmask_b32_e32 v3, v3, v4, vcc
	v_sqrt_f32_e32 v4, v3
	s_nop 0
	v_add_u32_e32 v1, -1, v4
	v_fma_f32 v5, -v1, v4, v3
	v_cmp_ge_f32_e64 s[4:5], 0, v5
	v_add_u32_e32 v5, 1, v4
	s_nop 0
	v_cndmask_b32_e64 v1, v4, v1, s[4:5]
	v_fma_f32 v4, -v5, v4, v3
	v_cmp_lt_f32_e64 s[4:5], 0, v4
	s_nop 1
	v_cndmask_b32_e64 v1, v1, v5, s[4:5]
	v_mul_f32_e32 v4, 0x37800000, v1
	v_cndmask_b32_e32 v4, v1, v4, vcc
	v_mov_b32_e32 v1, 0x260
	v_cmp_class_f32_e64 s[4:5], v3, v1
	s_and_b64 vcc, exec, s[2:3]
	s_nop 0
	v_cndmask_b32_e64 v3, v4, v3, s[4:5]
	s_cbranch_vccnz .LBB359_38
; %bb.37:
	global_load_dword v4, v19, s[10:11] offset:2048
	s_waitcnt vmcnt(0)
	v_add_f32_e32 v3, v3, v4
.LBB359_38:
	v_mul_f32_e32 v4, 0x3fb8aa3b, v21
	v_exp_f32_e32 v4, v4
	scratch_store_dword off, v3, off offset:64
	v_add_f32_e32 v4, 1.0, v4
	v_cmp_gt_f32_e32 vcc, s13, v4
	s_nop 1
	v_cndmask_b32_e32 v0, 1.0, v0, vcc
	v_mul_f32_e32 v0, v4, v0
	v_log_f32_e32 v0, v0
	v_cndmask_b32_e32 v2, 0, v2, vcc
	v_mul_f32_e32 v4, 0x3f317217, v0
	v_fma_f32 v4, v0, s7, -v4
	v_fmac_f32_e32 v4, 0x3377d1cf, v0
	v_fmac_f32_e32 v4, 0x3f317217, v0
	v_cmp_lt_f32_e64 vcc, |v0|, s12
	s_nop 1
	v_cndmask_b32_e32 v0, v0, v4, vcc
	v_sub_f32_e32 v0, v0, v2
	v_cmp_lt_f16_e32 vcc, s6, v17
	s_nop 1
	v_cndmask_b32_e32 v0, v0, v21, vcc
	v_mul_f32_e32 v2, 0x4f800000, v0
	v_cmp_gt_f32_e32 vcc, s14, v0
	s_nop 1
	v_cndmask_b32_e32 v0, v0, v2, vcc
	v_sqrt_f32_e32 v2, v0
	s_nop 0
	v_add_u32_e32 v3, -1, v2
	v_add_u32_e32 v4, 1, v2
	v_fma_f32 v5, -v3, v2, v0
	v_fma_f32 v6, -v4, v2, v0
	v_cmp_ge_f32_e64 s[4:5], 0, v5
	s_nop 1
	v_cndmask_b32_e64 v2, v2, v3, s[4:5]
	v_cmp_lt_f32_e64 s[4:5], 0, v6
	s_nop 1
	v_cndmask_b32_e64 v2, v2, v4, s[4:5]
	v_mul_f32_e32 v3, 0x37800000, v2
	v_cndmask_b32_e32 v2, v2, v3, vcc
	v_cmp_class_f32_e64 s[4:5], v0, v1
	s_and_b64 vcc, exec, s[2:3]
	s_nop 0
	v_cndmask_b32_e64 v0, v2, v0, s[4:5]
	s_cbranch_vccnz .LBB359_40
; %bb.39:
	global_load_dword v1, v19, s[10:11] offset:2176
	s_waitcnt vmcnt(0)
	v_add_f32_e32 v0, v0, v1
.LBB359_40:
	s_load_dwordx4 s[12:15], s[0:1], 0x30
	s_mov_b32 s31, 0
	v_cmp_eq_u32_e64 s[6:7], 0, v18
	scratch_store_dword off, v0, off offset:68
	s_waitcnt lgkmcnt(0)
	s_bitcmp1_b32 s15, 0
	s_cselect_b64 s[4:5], -1, 0
	s_cmp_gt_i32 s12, 0
	s_cselect_b64 s[24:25], -1, 0
	s_and_b64 vcc, exec, s[24:25]
	s_cbranch_vccz .LBB359_69
; %bb.41:
	v_mbcnt_lo_u32_b32 v0, -1, 0
	v_mbcnt_hi_u32_b32 v0, -1, v0
	v_and_b32_e32 v1, 0x60, v0
	v_add_u32_e32 v1, 32, v1
	v_xor_b32_e32 v12, 16, v0
	v_cmp_lt_i32_e32 vcc, v12, v1
	s_load_dwordx4 s[16:19], s[0:1], 0x20
	v_mul_lo_u32 v2, v16, s12
	v_cndmask_b32_e32 v12, v0, v12, vcc
	v_lshlrev_b32_e32 v23, 2, v12
	v_xor_b32_e32 v12, 8, v0
	v_cmp_lt_i32_e32 vcc, v12, v1
	v_or_b32_e32 v3, 32, v18
	v_or_b32_e32 v4, 64, v18
	v_cndmask_b32_e32 v12, v0, v12, vcc
	v_lshlrev_b32_e32 v24, 2, v12
	v_xor_b32_e32 v12, 4, v0
	v_cmp_lt_i32_e32 vcc, v12, v1
	v_or_b32_e32 v5, 0x60, v18
	v_or_b32_e32 v6, 0x80, v18
	;; [unrolled: 6-line block ×4, first 2 shown]
	v_cndmask_b32_e32 v0, v0, v12, vcc
	v_or_b32_e32 v11, 0x120, v18
	v_or_b32_e32 v13, 0x140, v18
	;; [unrolled: 1-line block ×9, first 2 shown]
	v_lshlrev_b32_e32 v27, 2, v0
	v_mov_b32_e32 v12, 0
	v_mov_b32_e32 v28, 0
	;; [unrolled: 1-line block ×5, first 2 shown]
	s_branch .LBB359_43
.LBB359_42:                             ;   in Loop: Header=BB359_43 Depth=1
	s_or_b64 exec, exec, s[0:1]
	s_cmp_eq_u32 s12, s31
	v_add_u32_e32 v31, s30, v31
	s_cbranch_scc1 .LBB359_70
.LBB359_43:                             ; =>This Inner Loop Header: Depth=1
	s_waitcnt lgkmcnt(0)
	scratch_load_dwordx4 v[32:35], off, off
	scratch_load_dwordx4 v[36:39], off, off offset:16
	scratch_load_dwordx4 v[40:43], off, off offset:32
	;; [unrolled: 1-line block ×3, first 2 shown]
	scratch_load_dwordx2 v[0:1], off, off offset:64
	s_waitcnt vmcnt(4)
	v_cmp_gt_f32_e32 vcc, v33, v32
	s_nop 1
	v_cndmask_b32_e32 v32, v32, v33, vcc
	v_cndmask_b32_e32 v48, v18, v3, vcc
	v_cmp_gt_f32_e32 vcc, v34, v32
	s_nop 1
	v_cndmask_b32_e32 v32, v32, v34, vcc
	v_cndmask_b32_e32 v33, v48, v4, vcc
	v_cmp_gt_f32_e32 vcc, v35, v32
	s_nop 1
	v_cndmask_b32_e32 v32, v32, v35, vcc
	v_cndmask_b32_e32 v33, v33, v5, vcc
	s_waitcnt vmcnt(3)
	v_cmp_gt_f32_e32 vcc, v36, v32
	s_nop 1
	v_cndmask_b32_e32 v32, v32, v36, vcc
	v_cndmask_b32_e32 v33, v33, v6, vcc
	v_cmp_gt_f32_e32 vcc, v37, v32
	s_nop 1
	v_cndmask_b32_e32 v32, v32, v37, vcc
	v_cndmask_b32_e32 v33, v33, v7, vcc
	v_cmp_gt_f32_e32 vcc, v38, v32
	s_nop 1
	v_cndmask_b32_e32 v32, v32, v38, vcc
	v_cndmask_b32_e32 v33, v33, v8, vcc
	v_cmp_gt_f32_e32 vcc, v39, v32
	s_nop 1
	v_cndmask_b32_e32 v32, v32, v39, vcc
	v_cndmask_b32_e32 v33, v33, v9, vcc
	s_waitcnt vmcnt(2)
	v_cmp_gt_f32_e32 vcc, v40, v32
	s_nop 1
	v_cndmask_b32_e32 v32, v32, v40, vcc
	v_cndmask_b32_e32 v33, v33, v10, vcc
	;; [unrolled: 17-line block ×4, first 2 shown]
	v_cmp_gt_f32_e32 vcc, v1, v32
	s_nop 1
	v_cndmask_b32_e32 v32, v32, v1, vcc
	v_cndmask_b32_e32 v0, v33, v22, vcc
	ds_bpermute_b32 v1, v23, v32
	ds_bpermute_b32 v33, v23, v0
	s_waitcnt lgkmcnt(0)
	v_cmp_lt_f32_e64 s[26:27], v32, v1
	v_cmp_nlt_f32_e32 vcc, v32, v1
	s_and_saveexec_b64 s[28:29], vcc
; %bb.44:                               ;   in Loop: Header=BB359_43 Depth=1
	v_cmp_eq_f32_e32 vcc, v32, v1
	v_cmp_lt_i32_e64 s[0:1], v33, v0
	s_and_b64 s[0:1], vcc, s[0:1]
	s_andn2_b64 s[26:27], s[26:27], exec
	s_and_b64 s[0:1], s[0:1], exec
	s_or_b64 s[26:27], s[26:27], s[0:1]
; %bb.45:                               ;   in Loop: Header=BB359_43 Depth=1
	s_or_b64 exec, exec, s[28:29]
	s_and_saveexec_b64 s[0:1], s[26:27]
; %bb.46:                               ;   in Loop: Header=BB359_43 Depth=1
	v_mov_b32_e32 v32, v1
	v_mov_b32_e32 v0, v33
; %bb.47:                               ;   in Loop: Header=BB359_43 Depth=1
	s_or_b64 exec, exec, s[0:1]
	ds_bpermute_b32 v1, v24, v32
	ds_bpermute_b32 v33, v24, v0
	s_waitcnt lgkmcnt(1)
	v_cmp_lt_f32_e64 s[26:27], v32, v1
	v_cmp_nlt_f32_e32 vcc, v32, v1
	s_and_saveexec_b64 s[28:29], vcc
	s_cbranch_execz .LBB359_49
; %bb.48:                               ;   in Loop: Header=BB359_43 Depth=1
	v_cmp_eq_f32_e32 vcc, v32, v1
	s_waitcnt lgkmcnt(0)
	v_cmp_lt_i32_e64 s[0:1], v33, v0
	s_and_b64 s[0:1], vcc, s[0:1]
	s_andn2_b64 s[26:27], s[26:27], exec
	s_and_b64 s[0:1], s[0:1], exec
	s_or_b64 s[26:27], s[26:27], s[0:1]
.LBB359_49:                             ;   in Loop: Header=BB359_43 Depth=1
	s_or_b64 exec, exec, s[28:29]
	s_and_saveexec_b64 s[0:1], s[26:27]
	s_cbranch_execz .LBB359_51
; %bb.50:                               ;   in Loop: Header=BB359_43 Depth=1
	v_mov_b32_e32 v32, v1
	s_waitcnt lgkmcnt(0)
	v_mov_b32_e32 v0, v33
.LBB359_51:                             ;   in Loop: Header=BB359_43 Depth=1
	s_or_b64 exec, exec, s[0:1]
	ds_bpermute_b32 v1, v25, v32
	s_waitcnt lgkmcnt(1)
	ds_bpermute_b32 v33, v25, v0
	s_waitcnt lgkmcnt(1)
	v_cmp_lt_f32_e64 s[26:27], v32, v1
	v_cmp_nlt_f32_e32 vcc, v32, v1
	s_and_saveexec_b64 s[28:29], vcc
	s_cbranch_execz .LBB359_53
; %bb.52:                               ;   in Loop: Header=BB359_43 Depth=1
	v_cmp_eq_f32_e32 vcc, v32, v1
	s_waitcnt lgkmcnt(0)
	v_cmp_lt_i32_e64 s[0:1], v33, v0
	s_and_b64 s[0:1], vcc, s[0:1]
	s_andn2_b64 s[26:27], s[26:27], exec
	s_and_b64 s[0:1], s[0:1], exec
	s_or_b64 s[26:27], s[26:27], s[0:1]
.LBB359_53:                             ;   in Loop: Header=BB359_43 Depth=1
	s_or_b64 exec, exec, s[28:29]
	s_and_saveexec_b64 s[0:1], s[26:27]
	s_cbranch_execz .LBB359_55
; %bb.54:                               ;   in Loop: Header=BB359_43 Depth=1
	v_mov_b32_e32 v32, v1
	s_waitcnt lgkmcnt(0)
	v_mov_b32_e32 v0, v33
.LBB359_55:                             ;   in Loop: Header=BB359_43 Depth=1
	s_or_b64 exec, exec, s[0:1]
	ds_bpermute_b32 v1, v26, v32
	s_waitcnt lgkmcnt(1)
	;; [unrolled: 26-line block ×3, first 2 shown]
	ds_bpermute_b32 v33, v27, v0
	s_waitcnt lgkmcnt(1)
	v_cmp_lt_f32_e64 s[26:27], v32, v1
	v_cmp_nlt_f32_e32 vcc, v32, v1
	s_and_saveexec_b64 s[28:29], vcc
	s_cbranch_execnz .LBB359_62
; %bb.60:                               ;   in Loop: Header=BB359_43 Depth=1
	s_or_b64 exec, exec, s[28:29]
	s_and_saveexec_b64 s[0:1], s[26:27]
	s_cbranch_execnz .LBB359_63
.LBB359_61:                             ;   in Loop: Header=BB359_43 Depth=1
	s_or_b64 exec, exec, s[0:1]
	s_and_saveexec_b64 s[26:27], s[6:7]
	s_cbranch_execnz .LBB359_64
	s_branch .LBB359_67
.LBB359_62:                             ;   in Loop: Header=BB359_43 Depth=1
	v_cmp_eq_f32_e32 vcc, v32, v1
	s_waitcnt lgkmcnt(0)
	v_cmp_lt_i32_e64 s[0:1], v33, v0
	s_and_b64 s[0:1], vcc, s[0:1]
	s_andn2_b64 s[26:27], s[26:27], exec
	s_and_b64 s[0:1], s[0:1], exec
	s_or_b64 s[26:27], s[26:27], s[0:1]
	s_or_b64 exec, exec, s[28:29]
	s_and_saveexec_b64 s[0:1], s[26:27]
	s_cbranch_execz .LBB359_61
.LBB359_63:                             ;   in Loop: Header=BB359_43 Depth=1
	s_waitcnt lgkmcnt(0)
	v_mov_b32_e32 v0, v33
	v_mov_b32_e32 v32, v1
	s_or_b64 exec, exec, s[0:1]
	s_and_saveexec_b64 s[26:27], s[6:7]
	s_cbranch_execz .LBB359_67
.LBB359_64:                             ;   in Loop: Header=BB359_43 Depth=1
	s_and_b64 vcc, exec, s[2:3]
	s_cbranch_vccnz .LBB359_66
; %bb.65:                               ;   in Loop: Header=BB359_43 Depth=1
	v_ashrrev_i32_e32 v1, 31, v0
	v_lshl_add_u64 v[34:35], v[0:1], 2, s[10:11]
	global_load_dword v1, v[34:35], off
	s_waitcnt vmcnt(0)
	v_sub_f32_e32 v32, v32, v1
.LBB359_66:                             ;   in Loop: Header=BB359_43 Depth=1
	v_add_u32_e32 v34, s31, v2
	v_cmp_le_i32_e32 vcc, s13, v0
	v_cmp_gt_i32_e64 s[0:1], s14, v0
	v_ashrrev_i32_e32 v35, 31, v34
	s_and_b64 s[0:1], vcc, s[0:1]
	v_lshlrev_b64 v[36:37], 2, v[34:35]
	v_subrev_u32_e32 v1, s13, v0
	v_lshl_add_u64 v[38:39], s[20:21], 0, v[36:37]
	s_waitcnt lgkmcnt(0)
	v_ashrrev_i32_e32 v33, 31, v1
	s_and_b64 vcc, s[22:23], s[0:1]
	global_store_dword v[38:39], v32, off
	v_cndmask_b32_e32 v39, 0, v33, vcc
	v_cndmask_b32_e32 v38, v30, v1, vcc
	v_lshl_add_u64 v[34:35], v[34:35], 3, s[16:17]
	v_add_f32_e32 v1, v12, v32
	global_store_dwordx2 v[34:35], v[38:39], off
	v_lshl_add_u64 v[34:35], s[18:19], 0, v[36:37]
	v_cndmask_b32_e64 v12, v12, v1, s[4:5]
	global_store_dword v[34:35], v31, off
.LBB359_67:                             ;   in Loop: Header=BB359_43 Depth=1
	s_or_b64 exec, exec, s[26:27]
	v_ashrrev_i32_e32 v1, 31, v0
	v_lshrrev_b32_e32 v1, 27, v1
	v_add_u32_e32 v1, v0, v1
	s_add_i32 s31, s31, 1
	v_and_b32_e32 v32, 0xffffffe0, v1
	s_cmp_lt_i32 s31, s12
	v_sub_u32_e32 v0, v0, v32
	s_cselect_b64 s[0:1], -1, 0
	v_cmp_eq_u32_e32 vcc, v18, v0
	s_and_b64 s[26:27], s[0:1], vcc
	s_and_saveexec_b64 s[0:1], s[26:27]
	s_cbranch_execz .LBB359_42
; %bb.68:                               ;   in Loop: Header=BB359_43 Depth=1
	v_ashrrev_i32_e32 v0, 5, v1
	v_lshl_add_u32 v0, v0, 2, v28
	scratch_store_dword v0, v29, off
	s_branch .LBB359_42
.LBB359_69:
	v_mov_b32_e32 v12, 0
.LBB359_70:
	v_cmp_eq_u32_e32 vcc, 0, v18
	s_and_b64 exec, exec, vcc
	s_cbranch_execz .LBB359_83
; %bb.71:
	s_andn2_b64 vcc, exec, s[4:5]
	v_cvt_f32_f64_e32 v0, s[8:9]
	s_cbranch_vccnz .LBB359_73
; %bb.72:
	v_cmp_lt_f32_e32 vcc, 0, v12
	s_nop 1
	v_cndmask_b32_e32 v1, 1.0, v12, vcc
	v_div_scale_f32 v2, s[0:1], v1, v1, v0
	v_rcp_f32_e32 v3, v2
	s_nop 0
	v_fma_f32 v4, -v2, v3, 1.0
	v_fmac_f32_e32 v3, v4, v3
	v_div_scale_f32 v4, vcc, v0, v1, v0
	v_mul_f32_e32 v5, v4, v3
	v_fma_f32 v6, -v2, v5, v4
	v_fmac_f32_e32 v5, v6, v3
	v_fma_f32 v2, -v2, v5, v4
	v_div_fmas_f32 v2, v2, v3, v5
	v_div_fixup_f32 v0, v2, v1, v0
.LBB359_73:
	s_andn2_b64 vcc, exec, s[24:25]
	s_cbranch_vccnz .LBB359_83
; %bb.74:
	v_mul_lo_u32 v2, v16, s12
	s_cmp_gt_u32 s12, 3
	v_ashrrev_i32_e32 v3, 31, v2
	s_cbranch_scc0 .LBB359_78
; %bb.75:
	s_and_b32 s0, s12, 0x7ffffffc
	v_lshl_add_u64 v[4:5], v[2:3], 2, s[20:21]
	v_mov_b32_e32 v1, v0
	v_lshl_add_u64 v[4:5], v[4:5], 0, 8
	s_mov_b32 s1, s0
.LBB359_76:                             ; =>This Inner Loop Header: Depth=1
	global_load_dwordx4 v[6:9], v[4:5], off offset:-8
	s_add_i32 s1, s1, -4
	s_cmp_lg_u32 s1, 0
	s_waitcnt vmcnt(0)
	v_pk_mul_f32 v[6:7], v[0:1], v[6:7]
	v_pk_mul_f32 v[8:9], v[0:1], v[8:9]
	global_store_dwordx4 v[4:5], v[6:9], off offset:-8
	v_lshl_add_u64 v[4:5], v[4:5], 0, 16
	s_cbranch_scc1 .LBB359_76
; %bb.77:
	s_cmp_lg_u32 s0, s12
	s_cselect_b64 s[2:3], -1, 0
	s_branch .LBB359_80
.LBB359_78:
	s_mov_b64 s[2:3], 0
                                        ; implicit-def: $sgpr0
	s_cbranch_execz .LBB359_80
; %bb.79:
	s_mov_b64 s[2:3], -1
	s_mov_b32 s0, 0
.LBB359_80:
	s_andn2_b64 vcc, exec, s[2:3]
	s_cbranch_vccnz .LBB359_83
; %bb.81:
	s_mov_b32 s1, 0
	v_lshl_add_u64 v[2:3], v[2:3], 0, s[0:1]
	s_sub_i32 s2, s12, s0
	v_lshl_add_u64 v[2:3], v[2:3], 2, s[20:21]
.LBB359_82:                             ; =>This Inner Loop Header: Depth=1
	global_load_dword v1, v[2:3], off
	s_add_i32 s2, s2, -1
	s_cmp_lg_u32 s2, 0
	s_waitcnt vmcnt(0)
	v_mul_f32_e32 v1, v0, v1
	global_store_dword v[2:3], v1, off
	v_lshl_add_u64 v[2:3], v[2:3], 0, 4
	s_cbranch_scc1 .LBB359_82
.LBB359_83:
	s_endpgm
	.section	.rodata,"a",@progbits
	.p2align	6, 0x0
	.amdhsa_kernel _ZN4vllm3moe22topkGatingSoftplusSqrtILi18ELi576ELi4ELi2ELi32ELb0El6__halfEEvPKT6_PKbPfiPT5_PiiiibdPKfPKS9_SF_
		.amdhsa_group_segment_fixed_size 0
		.amdhsa_private_segment_fixed_size 80
		.amdhsa_kernarg_size 96
		.amdhsa_user_sgpr_count 2
		.amdhsa_user_sgpr_dispatch_ptr 0
		.amdhsa_user_sgpr_queue_ptr 0
		.amdhsa_user_sgpr_kernarg_segment_ptr 1
		.amdhsa_user_sgpr_dispatch_id 0
		.amdhsa_user_sgpr_kernarg_preload_length 0
		.amdhsa_user_sgpr_kernarg_preload_offset 0
		.amdhsa_user_sgpr_private_segment_size 0
		.amdhsa_uses_dynamic_stack 0
		.amdhsa_enable_private_segment 1
		.amdhsa_system_sgpr_workgroup_id_x 1
		.amdhsa_system_sgpr_workgroup_id_y 0
		.amdhsa_system_sgpr_workgroup_id_z 0
		.amdhsa_system_sgpr_workgroup_info 0
		.amdhsa_system_vgpr_workitem_id 1
		.amdhsa_next_free_vgpr 49
		.amdhsa_next_free_sgpr 32
		.amdhsa_accum_offset 52
		.amdhsa_reserve_vcc 1
		.amdhsa_float_round_mode_32 0
		.amdhsa_float_round_mode_16_64 0
		.amdhsa_float_denorm_mode_32 3
		.amdhsa_float_denorm_mode_16_64 3
		.amdhsa_dx10_clamp 1
		.amdhsa_ieee_mode 1
		.amdhsa_fp16_overflow 0
		.amdhsa_tg_split 0
		.amdhsa_exception_fp_ieee_invalid_op 0
		.amdhsa_exception_fp_denorm_src 0
		.amdhsa_exception_fp_ieee_div_zero 0
		.amdhsa_exception_fp_ieee_overflow 0
		.amdhsa_exception_fp_ieee_underflow 0
		.amdhsa_exception_fp_ieee_inexact 0
		.amdhsa_exception_int_div_zero 0
	.end_amdhsa_kernel
	.section	.text._ZN4vllm3moe22topkGatingSoftplusSqrtILi18ELi576ELi4ELi2ELi32ELb0El6__halfEEvPKT6_PKbPfiPT5_PiiiibdPKfPKS9_SF_,"axG",@progbits,_ZN4vllm3moe22topkGatingSoftplusSqrtILi18ELi576ELi4ELi2ELi32ELb0El6__halfEEvPKT6_PKbPfiPT5_PiiiibdPKfPKS9_SF_,comdat
.Lfunc_end359:
	.size	_ZN4vllm3moe22topkGatingSoftplusSqrtILi18ELi576ELi4ELi2ELi32ELb0El6__halfEEvPKT6_PKbPfiPT5_PiiiibdPKfPKS9_SF_, .Lfunc_end359-_ZN4vllm3moe22topkGatingSoftplusSqrtILi18ELi576ELi4ELi2ELi32ELb0El6__halfEEvPKT6_PKbPfiPT5_PiiiibdPKfPKS9_SF_
                                        ; -- End function
	.section	.AMDGPU.csdata,"",@progbits
; Kernel info:
; codeLenInByte = 7372
; NumSgprs: 38
; NumVgprs: 49
; NumAgprs: 0
; TotalNumVgprs: 49
; ScratchSize: 80
; MemoryBound: 0
; FloatMode: 240
; IeeeMode: 1
; LDSByteSize: 0 bytes/workgroup (compile time only)
; SGPRBlocks: 4
; VGPRBlocks: 6
; NumSGPRsForWavesPerEU: 38
; NumVGPRsForWavesPerEU: 49
; AccumOffset: 52
; Occupancy: 8
; WaveLimiterHint : 0
; COMPUTE_PGM_RSRC2:SCRATCH_EN: 1
; COMPUTE_PGM_RSRC2:USER_SGPR: 2
; COMPUTE_PGM_RSRC2:TRAP_HANDLER: 0
; COMPUTE_PGM_RSRC2:TGID_X_EN: 1
; COMPUTE_PGM_RSRC2:TGID_Y_EN: 0
; COMPUTE_PGM_RSRC2:TGID_Z_EN: 0
; COMPUTE_PGM_RSRC2:TIDIG_COMP_CNT: 1
; COMPUTE_PGM_RSRC3_GFX90A:ACCUM_OFFSET: 12
; COMPUTE_PGM_RSRC3_GFX90A:TG_SPLIT: 0
	.section	.text._ZN4vllm3moe22topkGatingSoftplusSqrtILi1ELi1ELi4ELi2ELi64ELb1Ei14__hip_bfloat16EEvPKT6_PKbPfiPT5_PiiiibdPKfPKS9_SF_,"axG",@progbits,_ZN4vllm3moe22topkGatingSoftplusSqrtILi1ELi1ELi4ELi2ELi64ELb1Ei14__hip_bfloat16EEvPKT6_PKbPfiPT5_PiiiibdPKfPKS9_SF_,comdat
	.protected	_ZN4vllm3moe22topkGatingSoftplusSqrtILi1ELi1ELi4ELi2ELi64ELb1Ei14__hip_bfloat16EEvPKT6_PKbPfiPT5_PiiiibdPKfPKS9_SF_ ; -- Begin function _ZN4vllm3moe22topkGatingSoftplusSqrtILi1ELi1ELi4ELi2ELi64ELb1Ei14__hip_bfloat16EEvPKT6_PKbPfiPT5_PiiiibdPKfPKS9_SF_
	.globl	_ZN4vllm3moe22topkGatingSoftplusSqrtILi1ELi1ELi4ELi2ELi64ELb1Ei14__hip_bfloat16EEvPKT6_PKbPfiPT5_PiiiibdPKfPKS9_SF_
	.p2align	8
	.type	_ZN4vllm3moe22topkGatingSoftplusSqrtILi1ELi1ELi4ELi2ELi64ELb1Ei14__hip_bfloat16EEvPKT6_PKbPfiPT5_PiiiibdPKfPKS9_SF_,@function
_ZN4vllm3moe22topkGatingSoftplusSqrtILi1ELi1ELi4ELi2ELi64ELb1Ei14__hip_bfloat16EEvPKT6_PKbPfiPT5_PiiiibdPKfPKS9_SF_: ; @_ZN4vllm3moe22topkGatingSoftplusSqrtILi1ELi1ELi4ELi2ELi64ELb1Ei14__hip_bfloat16EEvPKT6_PKbPfiPT5_PiiiibdPKfPKS9_SF_
; %bb.0:
	s_load_dword s3, s[0:1], 0x18
	v_bfe_u32 v1, v0, 10, 10
	s_lshl_b32 s2, s2, 8
	v_lshlrev_b32_e32 v1, 6, v1
	v_and_b32_e32 v0, 0x3ff, v0
	v_add3_u32 v2, v1, v0, s2
	s_waitcnt lgkmcnt(0)
	v_cmp_gt_i32_e32 vcc, s3, v2
	s_and_saveexec_b64 s[2:3], vcc
	s_cbranch_execz .LBB360_54
; %bb.1:
	s_load_dwordx2 s[2:3], s[0:1], 0x0
	s_load_dword s14, s[0:1], 0x30
	v_ashrrev_i32_e32 v3, 31, v2
	s_load_dwordx4 s[4:7], s[0:1], 0x50
	s_mov_b32 s9, 0x3f317217
	s_waitcnt lgkmcnt(0)
	v_lshl_add_u64 v[0:1], v[2:3], 1, s[2:3]
	global_load_ushort v4, v[0:1], off
	s_mov_b32 s3, 0x800000
	v_mov_b32_e32 v0, s4
	v_mov_b32_e32 v1, s5
	v_lshl_add_u64 v[0:1], v[2:3], 2, v[0:1]
	global_load_dword v0, v[0:1], off
	v_mov_b32_e32 v1, 0x4f800000
	s_mov_b32 s10, 0x7f800000
	v_mov_b32_e32 v5, 0x41b17218
	s_mov_b32 s2, 0x41a00000
	s_mov_b32 s11, 0xf800000
	v_mov_b32_e32 v7, 0x260
	s_cmp_gt_i32 s14, 0
	s_mov_b32 s8, 0
	v_mov_b32_e32 v3, 0
	s_cselect_b64 s[4:5], -1, 0
	s_cmp_lt_i32 s14, 1
	v_mul_lo_u32 v2, v2, s14
	s_waitcnt vmcnt(1)
	v_lshlrev_b32_e32 v4, 16, v4
	v_mul_f32_e32 v6, 0x3fb8aa3b, v4
	v_exp_f32_e32 v6, v6
	s_waitcnt vmcnt(0)
	v_mul_lo_u32 v0, v0, s14
	v_add_f32_e32 v6, 1.0, v6
	v_cmp_gt_f32_e32 vcc, s3, v6
	s_nop 1
	v_cndmask_b32_e32 v1, 1.0, v1, vcc
	v_mul_f32_e32 v1, v6, v1
	v_log_f32_e32 v1, v1
	v_cndmask_b32_e32 v5, 0, v5, vcc
	v_mul_f32_e32 v6, 0x3f317217, v1
	v_fma_f32 v6, v1, s9, -v6
	v_fmamk_f32 v6, v1, 0x3377d1cf, v6
	v_fmac_f32_e32 v6, 0x3f317217, v1
	v_cmp_lt_f32_e64 vcc, |v1|, s10
	s_nop 1
	v_cndmask_b32_e32 v1, v1, v6, vcc
	v_sub_f32_e32 v1, v1, v5
	v_cmp_lt_f32_e32 vcc, s2, v4
	s_nop 1
	v_cndmask_b32_e32 v1, v1, v4, vcc
	v_mul_f32_e32 v4, 0x4f800000, v1
	v_cmp_gt_f32_e32 vcc, s11, v1
	s_nop 1
	v_cndmask_b32_e32 v6, v1, v4, vcc
	v_sqrt_f32_e32 v8, v6
	v_ashrrev_i32_e32 v1, 31, v0
	v_lshl_add_u64 v[4:5], v[0:1], 2, s[6:7]
	v_add_u32_e32 v9, -1, v8
	v_add_u32_e32 v10, 1, v8
	v_fma_f32 v11, -v9, v8, v6
	v_fma_f32 v12, -v10, v8, v6
	v_cmp_ge_f32_e64 s[2:3], 0, v11
	s_nop 1
	v_cndmask_b32_e64 v8, v8, v9, s[2:3]
	v_cmp_lt_f32_e64 s[2:3], 0, v12
	s_nop 1
	v_cndmask_b32_e64 v8, v8, v10, s[2:3]
	v_mul_f32_e32 v9, 0x37800000, v8
	v_cndmask_b32_e32 v8, v8, v9, vcc
	v_cmp_class_f32_e32 vcc, v6, v7
	s_nop 1
	v_cndmask_b32_e32 v10, v8, v6, vcc
	s_cbranch_scc1 .LBB360_27
; %bb.2:
	s_load_dwordx2 s[2:3], s[0:1], 0x20
	s_cmp_lt_u32 s14, 8
	s_cbranch_scc1 .LBB360_21
; %bb.3:
	v_ashrrev_i32_e32 v3, 31, v2
	s_and_b32 s8, s14, 0x7ffffff8
	s_waitcnt lgkmcnt(0)
	v_lshl_add_u64 v[6:7], v[2:3], 2, s[2:3]
	s_mov_b32 s9, 0
	s_mov_b64 s[10:11], 0
	v_mov_b32_e32 v11, 0
	v_mov_b32_e32 v3, 0
	s_branch .LBB360_5
.LBB360_4:                              ;   in Loop: Header=BB360_5 Depth=1
	s_or_b64 exec, exec, s[12:13]
	s_add_i32 s9, s9, 8
	s_add_u32 s10, s10, 32
	s_addc_u32 s11, s11, 0
	s_cmp_eq_u32 s8, s9
	s_cbranch_scc1 .LBB360_22
.LBB360_5:                              ; =>This Inner Loop Header: Depth=1
	v_lshl_add_u64 v[8:9], v[4:5], 0, s[10:11]
	global_load_dword v12, v[8:9], off
	s_waitcnt vmcnt(0)
	v_cmp_eq_u32_e32 vcc, 0, v12
	s_and_saveexec_b64 s[12:13], vcc
	s_cbranch_execz .LBB360_7
; %bb.6:                                ;   in Loop: Header=BB360_5 Depth=1
	v_add_u32_e32 v12, s9, v2
	v_ashrrev_i32_e32 v13, 31, v12
	v_lshl_add_u64 v[12:13], v[12:13], 2, s[2:3]
	v_add_f32_e32 v3, v10, v3
	global_store_dword v[12:13], v11, off
.LBB360_7:                              ;   in Loop: Header=BB360_5 Depth=1
	s_or_b64 exec, exec, s[12:13]
	global_load_dword v12, v[8:9], off offset:4
	s_waitcnt vmcnt(0)
	v_cmp_eq_u32_e32 vcc, 0, v12
	s_and_saveexec_b64 s[12:13], vcc
	s_cbranch_execz .LBB360_9
; %bb.8:                                ;   in Loop: Header=BB360_5 Depth=1
	v_lshl_add_u64 v[12:13], v[6:7], 0, s[10:11]
	v_add_f32_e32 v3, v10, v3
	global_store_dword v[12:13], v11, off offset:4
.LBB360_9:                              ;   in Loop: Header=BB360_5 Depth=1
	s_or_b64 exec, exec, s[12:13]
	global_load_dword v12, v[8:9], off offset:8
	s_waitcnt vmcnt(0)
	v_cmp_eq_u32_e32 vcc, 0, v12
	s_and_saveexec_b64 s[12:13], vcc
	s_cbranch_execz .LBB360_11
; %bb.10:                               ;   in Loop: Header=BB360_5 Depth=1
	v_lshl_add_u64 v[12:13], v[6:7], 0, s[10:11]
	v_add_f32_e32 v3, v10, v3
	global_store_dword v[12:13], v11, off offset:8
.LBB360_11:                             ;   in Loop: Header=BB360_5 Depth=1
	s_or_b64 exec, exec, s[12:13]
	global_load_dword v12, v[8:9], off offset:12
	s_waitcnt vmcnt(0)
	v_cmp_eq_u32_e32 vcc, 0, v12
	s_and_saveexec_b64 s[12:13], vcc
	s_cbranch_execz .LBB360_13
; %bb.12:                               ;   in Loop: Header=BB360_5 Depth=1
	v_lshl_add_u64 v[12:13], v[6:7], 0, s[10:11]
	v_add_f32_e32 v3, v10, v3
	global_store_dword v[12:13], v11, off offset:12
.LBB360_13:                             ;   in Loop: Header=BB360_5 Depth=1
	;; [unrolled: 11-line block ×5, first 2 shown]
	s_or_b64 exec, exec, s[12:13]
	global_load_dword v8, v[8:9], off offset:28
	s_waitcnt vmcnt(0)
	v_cmp_eq_u32_e32 vcc, 0, v8
	s_and_saveexec_b64 s[12:13], vcc
	s_cbranch_execz .LBB360_4
; %bb.20:                               ;   in Loop: Header=BB360_5 Depth=1
	v_lshl_add_u64 v[8:9], v[6:7], 0, s[10:11]
	v_add_f32_e32 v3, v10, v3
	global_store_dword v[8:9], v11, off offset:28
	s_branch .LBB360_4
.LBB360_21:
	v_mov_b32_e32 v3, 0
.LBB360_22:
	s_and_b32 s10, s14, 7
	s_cmp_eq_u32 s10, 0
	s_mov_b32 s9, 0
	s_cbranch_scc1 .LBB360_27
; %bb.23:
	v_add_u32_e32 v6, s8, v2
	s_lshl_b64 s[8:9], s[8:9], 2
	s_add_u32 s8, s6, s8
	s_addc_u32 s9, s7, s9
	v_lshl_add_u64 v[8:9], v[0:1], 2, s[8:9]
	v_mov_b32_e32 v11, 0
	s_branch .LBB360_25
.LBB360_24:                             ;   in Loop: Header=BB360_25 Depth=1
	s_or_b64 exec, exec, s[8:9]
	s_add_i32 s10, s10, -1
	v_add_u32_e32 v6, 1, v6
	s_cmp_lg_u32 s10, 0
	v_lshl_add_u64 v[8:9], v[8:9], 0, 4
	s_cbranch_scc0 .LBB360_27
.LBB360_25:                             ; =>This Inner Loop Header: Depth=1
	global_load_dword v7, v[8:9], off
	s_waitcnt vmcnt(0)
	v_cmp_eq_u32_e32 vcc, 0, v7
	s_and_saveexec_b64 s[8:9], vcc
	s_cbranch_execz .LBB360_24
; %bb.26:                               ;   in Loop: Header=BB360_25 Depth=1
	v_ashrrev_i32_e32 v7, 31, v6
	s_waitcnt lgkmcnt(0)
	v_lshl_add_u64 v[12:13], v[6:7], 2, s[2:3]
	v_add_f32_e32 v3, v10, v3
	global_store_dword v[12:13], v11, off
	s_branch .LBB360_24
.LBB360_27:
	s_load_dword s8, s[0:1], 0x3c
	s_waitcnt lgkmcnt(0)
	s_load_dwordx2 s[2:3], s[0:1], 0x40
	s_bitcmp1_b32 s8, 0
	s_cselect_b64 s[8:9], -1, 0
	s_waitcnt lgkmcnt(0)
	v_cvt_f32_f64_e32 v6, s[2:3]
	s_and_b64 vcc, exec, s[8:9]
	s_cbranch_vccz .LBB360_29
; %bb.28:
	v_cmp_lt_f32_e32 vcc, 0, v3
	s_nop 1
	v_cndmask_b32_e32 v3, 1.0, v3, vcc
	v_div_scale_f32 v7, s[2:3], v3, v3, v6
	v_rcp_f32_e32 v8, v7
	s_nop 0
	v_fma_f32 v9, -v7, v8, 1.0
	v_fmac_f32_e32 v8, v9, v8
	v_div_scale_f32 v9, vcc, v6, v3, v6
	v_mul_f32_e32 v11, v9, v8
	v_fma_f32 v12, -v7, v11, v9
	v_fmac_f32_e32 v11, v12, v8
	v_fma_f32 v7, -v7, v11, v9
	v_div_fmas_f32 v7, v7, v8, v11
	v_div_fixup_f32 v6, v7, v3, v6
.LBB360_29:
	s_andn2_b64 vcc, exec, s[4:5]
	s_cbranch_vccnz .LBB360_54
; %bb.30:
	s_load_dwordx2 s[0:1], s[0:1], 0x10
	v_mul_f32_e32 v10, v10, v6
	s_cmp_lt_u32 s14, 8
	s_mov_b32 s2, 0
	s_cbranch_scc1 .LBB360_49
; %bb.31:
	v_ashrrev_i32_e32 v3, 31, v2
	s_and_b32 s2, s14, 0x7ffffff8
	s_waitcnt lgkmcnt(0)
	v_lshl_add_u64 v[6:7], v[2:3], 2, s[0:1]
	s_mov_b32 s3, 0
	s_mov_b64 s[4:5], 0
	s_branch .LBB360_33
.LBB360_32:                             ;   in Loop: Header=BB360_33 Depth=1
	s_or_b64 exec, exec, s[8:9]
	s_add_i32 s3, s3, 8
	s_add_u32 s4, s4, 32
	s_addc_u32 s5, s5, 0
	s_cmp_lg_u32 s2, s3
	s_cbranch_scc0 .LBB360_49
.LBB360_33:                             ; =>This Inner Loop Header: Depth=1
	v_lshl_add_u64 v[8:9], v[4:5], 0, s[4:5]
	global_load_dword v3, v[8:9], off
	s_waitcnt vmcnt(0)
	v_cmp_eq_u32_e32 vcc, 0, v3
	s_and_saveexec_b64 s[8:9], vcc
	s_cbranch_execz .LBB360_35
; %bb.34:                               ;   in Loop: Header=BB360_33 Depth=1
	v_add_u32_e32 v12, s3, v2
	v_ashrrev_i32_e32 v13, 31, v12
	v_lshl_add_u64 v[12:13], v[12:13], 2, s[0:1]
	global_store_dword v[12:13], v10, off
.LBB360_35:                             ;   in Loop: Header=BB360_33 Depth=1
	s_or_b64 exec, exec, s[8:9]
	global_load_dword v3, v[8:9], off offset:4
	s_waitcnt vmcnt(0)
	v_cmp_eq_u32_e32 vcc, 0, v3
	s_and_saveexec_b64 s[8:9], vcc
	s_cbranch_execz .LBB360_37
; %bb.36:                               ;   in Loop: Header=BB360_33 Depth=1
	v_lshl_add_u64 v[12:13], v[6:7], 0, s[4:5]
	global_store_dword v[12:13], v10, off offset:4
.LBB360_37:                             ;   in Loop: Header=BB360_33 Depth=1
	s_or_b64 exec, exec, s[8:9]
	global_load_dword v3, v[8:9], off offset:8
	s_waitcnt vmcnt(0)
	v_cmp_eq_u32_e32 vcc, 0, v3
	s_and_saveexec_b64 s[8:9], vcc
	s_cbranch_execz .LBB360_39
; %bb.38:                               ;   in Loop: Header=BB360_33 Depth=1
	v_lshl_add_u64 v[12:13], v[6:7], 0, s[4:5]
	global_store_dword v[12:13], v10, off offset:8
.LBB360_39:                             ;   in Loop: Header=BB360_33 Depth=1
	;; [unrolled: 10-line block ×6, first 2 shown]
	s_or_b64 exec, exec, s[8:9]
	global_load_dword v3, v[8:9], off offset:28
	s_waitcnt vmcnt(0)
	v_cmp_eq_u32_e32 vcc, 0, v3
	s_and_saveexec_b64 s[8:9], vcc
	s_cbranch_execz .LBB360_32
; %bb.48:                               ;   in Loop: Header=BB360_33 Depth=1
	v_lshl_add_u64 v[8:9], v[6:7], 0, s[4:5]
	global_store_dword v[8:9], v10, off offset:28
	s_branch .LBB360_32
.LBB360_49:
	s_and_b32 s4, s14, 7
	s_cmp_eq_u32 s4, 0
	s_mov_b32 s3, 0
	s_cbranch_scc1 .LBB360_54
; %bb.50:
	v_add_u32_e32 v2, s2, v2
	s_lshl_b64 s[2:3], s[2:3], 2
	s_add_u32 s2, s6, s2
	s_addc_u32 s3, s7, s3
	v_lshl_add_u64 v[0:1], v[0:1], 2, s[2:3]
	s_branch .LBB360_52
.LBB360_51:                             ;   in Loop: Header=BB360_52 Depth=1
	s_or_b64 exec, exec, s[2:3]
	s_add_i32 s4, s4, -1
	v_add_u32_e32 v2, 1, v2
	s_cmp_lg_u32 s4, 0
	v_lshl_add_u64 v[0:1], v[0:1], 0, 4
	s_cbranch_scc0 .LBB360_54
.LBB360_52:                             ; =>This Inner Loop Header: Depth=1
	global_load_dword v3, v[0:1], off
	s_waitcnt vmcnt(0)
	v_cmp_eq_u32_e32 vcc, 0, v3
	s_and_saveexec_b64 s[2:3], vcc
	s_cbranch_execz .LBB360_51
; %bb.53:                               ;   in Loop: Header=BB360_52 Depth=1
	v_ashrrev_i32_e32 v3, 31, v2
	s_waitcnt lgkmcnt(0)
	v_lshl_add_u64 v[4:5], v[2:3], 2, s[0:1]
	global_store_dword v[4:5], v10, off
	s_branch .LBB360_51
.LBB360_54:
	s_endpgm
	.section	.rodata,"a",@progbits
	.p2align	6, 0x0
	.amdhsa_kernel _ZN4vllm3moe22topkGatingSoftplusSqrtILi1ELi1ELi4ELi2ELi64ELb1Ei14__hip_bfloat16EEvPKT6_PKbPfiPT5_PiiiibdPKfPKS9_SF_
		.amdhsa_group_segment_fixed_size 0
		.amdhsa_private_segment_fixed_size 0
		.amdhsa_kernarg_size 96
		.amdhsa_user_sgpr_count 2
		.amdhsa_user_sgpr_dispatch_ptr 0
		.amdhsa_user_sgpr_queue_ptr 0
		.amdhsa_user_sgpr_kernarg_segment_ptr 1
		.amdhsa_user_sgpr_dispatch_id 0
		.amdhsa_user_sgpr_kernarg_preload_length 0
		.amdhsa_user_sgpr_kernarg_preload_offset 0
		.amdhsa_user_sgpr_private_segment_size 0
		.amdhsa_uses_dynamic_stack 0
		.amdhsa_enable_private_segment 0
		.amdhsa_system_sgpr_workgroup_id_x 1
		.amdhsa_system_sgpr_workgroup_id_y 0
		.amdhsa_system_sgpr_workgroup_id_z 0
		.amdhsa_system_sgpr_workgroup_info 0
		.amdhsa_system_vgpr_workitem_id 1
		.amdhsa_next_free_vgpr 14
		.amdhsa_next_free_sgpr 15
		.amdhsa_accum_offset 16
		.amdhsa_reserve_vcc 1
		.amdhsa_float_round_mode_32 0
		.amdhsa_float_round_mode_16_64 0
		.amdhsa_float_denorm_mode_32 3
		.amdhsa_float_denorm_mode_16_64 3
		.amdhsa_dx10_clamp 1
		.amdhsa_ieee_mode 1
		.amdhsa_fp16_overflow 0
		.amdhsa_tg_split 0
		.amdhsa_exception_fp_ieee_invalid_op 0
		.amdhsa_exception_fp_denorm_src 0
		.amdhsa_exception_fp_ieee_div_zero 0
		.amdhsa_exception_fp_ieee_overflow 0
		.amdhsa_exception_fp_ieee_underflow 0
		.amdhsa_exception_fp_ieee_inexact 0
		.amdhsa_exception_int_div_zero 0
	.end_amdhsa_kernel
	.section	.text._ZN4vllm3moe22topkGatingSoftplusSqrtILi1ELi1ELi4ELi2ELi64ELb1Ei14__hip_bfloat16EEvPKT6_PKbPfiPT5_PiiiibdPKfPKS9_SF_,"axG",@progbits,_ZN4vllm3moe22topkGatingSoftplusSqrtILi1ELi1ELi4ELi2ELi64ELb1Ei14__hip_bfloat16EEvPKT6_PKbPfiPT5_PiiiibdPKfPKS9_SF_,comdat
.Lfunc_end360:
	.size	_ZN4vllm3moe22topkGatingSoftplusSqrtILi1ELi1ELi4ELi2ELi64ELb1Ei14__hip_bfloat16EEvPKT6_PKbPfiPT5_PiiiibdPKfPKS9_SF_, .Lfunc_end360-_ZN4vllm3moe22topkGatingSoftplusSqrtILi1ELi1ELi4ELi2ELi64ELb1Ei14__hip_bfloat16EEvPKT6_PKbPfiPT5_PiiiibdPKfPKS9_SF_
                                        ; -- End function
	.section	.AMDGPU.csdata,"",@progbits
; Kernel info:
; codeLenInByte = 1812
; NumSgprs: 21
; NumVgprs: 14
; NumAgprs: 0
; TotalNumVgprs: 14
; ScratchSize: 0
; MemoryBound: 0
; FloatMode: 240
; IeeeMode: 1
; LDSByteSize: 0 bytes/workgroup (compile time only)
; SGPRBlocks: 2
; VGPRBlocks: 1
; NumSGPRsForWavesPerEU: 21
; NumVGPRsForWavesPerEU: 14
; AccumOffset: 16
; Occupancy: 8
; WaveLimiterHint : 1
; COMPUTE_PGM_RSRC2:SCRATCH_EN: 0
; COMPUTE_PGM_RSRC2:USER_SGPR: 2
; COMPUTE_PGM_RSRC2:TRAP_HANDLER: 0
; COMPUTE_PGM_RSRC2:TGID_X_EN: 1
; COMPUTE_PGM_RSRC2:TGID_Y_EN: 0
; COMPUTE_PGM_RSRC2:TGID_Z_EN: 0
; COMPUTE_PGM_RSRC2:TIDIG_COMP_CNT: 1
; COMPUTE_PGM_RSRC3_GFX90A:ACCUM_OFFSET: 3
; COMPUTE_PGM_RSRC3_GFX90A:TG_SPLIT: 0
	.section	.text._ZN4vllm3moe22topkGatingSoftplusSqrtILi1ELi1ELi4ELi2ELi64ELb0Ei14__hip_bfloat16EEvPKT6_PKbPfiPT5_PiiiibdPKfPKS9_SF_,"axG",@progbits,_ZN4vllm3moe22topkGatingSoftplusSqrtILi1ELi1ELi4ELi2ELi64ELb0Ei14__hip_bfloat16EEvPKT6_PKbPfiPT5_PiiiibdPKfPKS9_SF_,comdat
	.protected	_ZN4vllm3moe22topkGatingSoftplusSqrtILi1ELi1ELi4ELi2ELi64ELb0Ei14__hip_bfloat16EEvPKT6_PKbPfiPT5_PiiiibdPKfPKS9_SF_ ; -- Begin function _ZN4vllm3moe22topkGatingSoftplusSqrtILi1ELi1ELi4ELi2ELi64ELb0Ei14__hip_bfloat16EEvPKT6_PKbPfiPT5_PiiiibdPKfPKS9_SF_
	.globl	_ZN4vllm3moe22topkGatingSoftplusSqrtILi1ELi1ELi4ELi2ELi64ELb0Ei14__hip_bfloat16EEvPKT6_PKbPfiPT5_PiiiibdPKfPKS9_SF_
	.p2align	8
	.type	_ZN4vllm3moe22topkGatingSoftplusSqrtILi1ELi1ELi4ELi2ELi64ELb0Ei14__hip_bfloat16EEvPKT6_PKbPfiPT5_PiiiibdPKfPKS9_SF_,@function
_ZN4vllm3moe22topkGatingSoftplusSqrtILi1ELi1ELi4ELi2ELi64ELb0Ei14__hip_bfloat16EEvPKT6_PKbPfiPT5_PiiiibdPKfPKS9_SF_: ; @_ZN4vllm3moe22topkGatingSoftplusSqrtILi1ELi1ELi4ELi2ELi64ELb0Ei14__hip_bfloat16EEvPKT6_PKbPfiPT5_PiiiibdPKfPKS9_SF_
; %bb.0:
	s_load_dword s24, s[0:1], 0x18
	v_bfe_u32 v1, v0, 10, 10
	s_lshl_b32 s2, s2, 8
	v_lshlrev_b32_e32 v1, 6, v1
	v_and_b32_e32 v0, 0x3ff, v0
	v_add3_u32 v2, v1, v0, s2
	s_waitcnt lgkmcnt(0)
	v_cmp_gt_i32_e32 vcc, s24, v2
	s_and_saveexec_b64 s[2:3], vcc
	s_cbranch_execz .LBB361_24
; %bb.1:
	s_load_dwordx4 s[4:7], s[0:1], 0x0
	s_load_dwordx2 s[16:17], s[0:1], 0x10
	v_ashrrev_i32_e32 v3, 31, v2
	s_waitcnt lgkmcnt(0)
	s_cmp_eq_u64 s[6:7], 0
	s_cbranch_scc1 .LBB361_3
; %bb.2:
	v_lshl_add_u64 v[0:1], s[6:7], 0, v[2:3]
	global_load_ubyte v0, v[0:1], off
	s_waitcnt vmcnt(0)
	v_and_b32_e32 v0, 1, v0
	v_cmp_eq_u32_e32 vcc, 1, v0
	s_xor_b64 s[2:3], vcc, -1
	s_orn2_b64 s[18:19], s[2:3], exec
	s_branch .LBB361_4
.LBB361_3:
	s_mov_b64 s[18:19], -1
.LBB361_4:
	v_mov_b32_e32 v0, s4
	v_mov_b32_e32 v1, s5
	v_lshl_add_u64 v[0:1], v[2:3], 1, v[0:1]
	global_load_ushort v0, v[0:1], off
	s_mov_b32 s3, 0x800000
	v_mov_b32_e32 v1, 0x4f800000
	s_mov_b32 s4, 0x3f317217
	s_mov_b32 s5, 0x7f800000
	v_mov_b32_e32 v4, 0x41b17218
	s_mov_b32 s2, 0x41a00000
	s_load_dwordx4 s[8:11], s[0:1], 0x40
	s_waitcnt lgkmcnt(0)
	s_cmp_lg_u64 s[10:11], 0
	s_cselect_b64 s[22:23], -1, 0
	s_cmp_eq_u64 s[10:11], 0
	s_waitcnt vmcnt(0)
	v_lshlrev_b32_e32 v0, 16, v0
	v_mul_f32_e32 v3, 0x3fb8aa3b, v0
	v_exp_f32_e32 v3, v3
	s_nop 0
	v_add_f32_e32 v3, 1.0, v3
	v_cmp_gt_f32_e32 vcc, s3, v3
	s_mov_b32 s3, 0xf800000
	s_nop 0
	v_cndmask_b32_e32 v1, 1.0, v1, vcc
	v_mul_f32_e32 v1, v3, v1
	v_log_f32_e32 v1, v1
	v_cndmask_b32_e32 v4, 0, v4, vcc
	v_mov_b32_e32 v3, 0x260
	v_mul_f32_e32 v5, 0x3f317217, v1
	v_fma_f32 v5, v1, s4, -v5
	v_fmamk_f32 v5, v1, 0x3377d1cf, v5
	v_fmac_f32_e32 v5, 0x3f317217, v1
	v_cmp_lt_f32_e64 vcc, |v1|, s5
	s_nop 1
	v_cndmask_b32_e32 v1, v1, v5, vcc
	v_sub_f32_e32 v1, v1, v4
	v_cmp_lt_f32_e32 vcc, s2, v0
	s_nop 1
	v_cndmask_b32_e32 v0, v1, v0, vcc
	v_mul_f32_e32 v1, 0x4f800000, v0
	v_cmp_gt_f32_e32 vcc, s3, v0
	s_nop 1
	v_cndmask_b32_e32 v0, v0, v1, vcc
	v_sqrt_f32_e32 v1, v0
	s_nop 0
	v_add_u32_e32 v4, -1, v1
	v_add_u32_e32 v5, 1, v1
	v_fma_f32 v6, -v4, v1, v0
	v_fma_f32 v7, -v5, v1, v0
	v_cmp_ge_f32_e64 s[2:3], 0, v6
	s_nop 1
	v_cndmask_b32_e64 v1, v1, v4, s[2:3]
	v_cmp_lt_f32_e64 s[2:3], 0, v7
	s_nop 1
	v_cndmask_b32_e64 v1, v1, v5, s[2:3]
	v_mul_f32_e32 v4, 0x37800000, v1
	v_cndmask_b32_e32 v1, v1, v4, vcc
	v_cmp_class_f32_e32 vcc, v0, v3
	s_nop 1
	v_cndmask_b32_e32 v1, v1, v0, vcc
	s_cbranch_scc1 .LBB361_6
; %bb.5:
	s_load_dword s2, s[10:11], 0x0
	s_waitcnt lgkmcnt(0)
	v_add_f32_e32 v1, s2, v1
.LBB361_6:
	s_load_dwordx4 s[4:7], s[0:1], 0x30
	s_waitcnt lgkmcnt(0)
	s_bitcmp1_b32 s7, 0
	s_cselect_b64 s[2:3], -1, 0
	s_cmp_gt_i32 s4, 0
	s_cselect_b64 s[20:21], -1, 0
	s_cmp_lt_i32 s4, 1
	v_mul_lo_u32 v0, v2, s4
	s_cbranch_scc1 .LBB361_11
; %bb.7:
	s_cmp_lt_i32 s5, 1
	s_load_dwordx4 s[12:15], s[0:1], 0x20
	s_cselect_b64 s[0:1], -1, 0
	s_cmp_gt_i32 s6, 0
	s_cselect_b64 s[26:27], -1, 0
	s_and_b64 s[0:1], s[0:1], s[26:27]
	s_sub_i32 s5, 0, s5
	v_mov_b32_e32 v3, s5
	s_and_b64 vcc, s[18:19], s[0:1]
	v_cndmask_b32_e32 v4, 1, v3, vcc
	v_cndmask_b32_e64 v3, 0, 1, s[22:23]
	s_mov_b32 s7, 0
	v_mov_b32_e32 v5, 0
	v_cmp_ne_u32_e64 s[0:1], 1, v3
	v_mov_b32_e32 v6, 0xc61c4000
	v_mov_b32_e32 v3, 0
	s_branch .LBB361_9
.LBB361_8:                              ;   in Loop: Header=BB361_9 Depth=1
	v_add_u32_e32 v8, s7, v0
	v_ashrrev_i32_e32 v9, 31, v8
	v_lshlrev_b64 v[8:9], 2, v[8:9]
	s_add_i32 s7, s7, 1
	v_lshl_add_u64 v[10:11], s[16:17], 0, v[8:9]
	s_cmp_ge_i32 s7, s4
	global_store_dword v[10:11], v7, off
	s_waitcnt lgkmcnt(0)
	v_lshl_add_u64 v[10:11], s[12:13], 0, v[8:9]
	v_lshl_add_u64 v[8:9], s[14:15], 0, v[8:9]
	v_add_f32_e32 v7, v3, v7
	s_cselect_b64 vcc, -1, 0
	global_store_dword v[10:11], v4, off
	global_store_dword v[8:9], v2, off
	v_cndmask_b32_e64 v3, v3, v7, s[2:3]
	v_cndmask_b32_e32 v1, v6, v1, vcc
	s_cmp_lg_u32 s4, s7
	v_add_u32_e32 v2, s24, v2
	s_cbranch_scc0 .LBB361_12
.LBB361_9:                              ; =>This Inner Loop Header: Depth=1
	s_and_b64 vcc, exec, s[0:1]
	v_mov_b32_e32 v7, v1
	s_cbranch_vccnz .LBB361_8
; %bb.10:                               ;   in Loop: Header=BB361_9 Depth=1
	global_load_dword v7, v5, s[10:11]
	s_waitcnt vmcnt(0)
	v_sub_f32_e32 v7, v1, v7
	s_branch .LBB361_8
.LBB361_11:
	v_mov_b32_e32 v3, 0
.LBB361_12:
	s_andn2_b64 vcc, exec, s[2:3]
	v_cvt_f32_f64_e32 v2, s[8:9]
	s_cbranch_vccnz .LBB361_14
; %bb.13:
	v_cmp_lt_f32_e32 vcc, 0, v3
	s_nop 1
	v_cndmask_b32_e32 v1, 1.0, v3, vcc
	v_div_scale_f32 v3, s[0:1], v1, v1, v2
	v_rcp_f32_e32 v4, v3
	s_nop 0
	v_fma_f32 v5, -v3, v4, 1.0
	v_fmac_f32_e32 v4, v5, v4
	v_div_scale_f32 v5, vcc, v2, v1, v2
	v_mul_f32_e32 v6, v5, v4
	v_fma_f32 v7, -v3, v6, v5
	v_fmac_f32_e32 v6, v7, v4
	v_fma_f32 v3, -v3, v6, v5
	v_div_fmas_f32 v3, v3, v4, v6
	v_div_fixup_f32 v2, v3, v1, v2
.LBB361_14:
	s_andn2_b64 vcc, exec, s[20:21]
	s_cbranch_vccnz .LBB361_24
; %bb.15:
	s_cmp_gt_u32 s4, 3
	v_ashrrev_i32_e32 v1, 31, v0
	s_cbranch_scc0 .LBB361_19
; %bb.16:
	s_and_b32 s0, s4, 0x7ffffffc
	v_lshl_add_u64 v[4:5], v[0:1], 2, s[16:17]
	v_mov_b32_e32 v3, v2
	v_lshl_add_u64 v[4:5], v[4:5], 0, 8
	s_mov_b32 s1, s0
.LBB361_17:                             ; =>This Inner Loop Header: Depth=1
	global_load_dwordx4 v[6:9], v[4:5], off offset:-8
	s_add_i32 s1, s1, -4
	s_cmp_lg_u32 s1, 0
	s_waitcnt vmcnt(0)
	v_pk_mul_f32 v[6:7], v[2:3], v[6:7]
	v_pk_mul_f32 v[8:9], v[2:3], v[8:9]
	global_store_dwordx4 v[4:5], v[6:9], off offset:-8
	v_lshl_add_u64 v[4:5], v[4:5], 0, 16
	s_cbranch_scc1 .LBB361_17
; %bb.18:
	s_cmp_lg_u32 s0, s4
	s_cselect_b64 s[2:3], -1, 0
	s_branch .LBB361_21
.LBB361_19:
	s_mov_b64 s[2:3], 0
                                        ; implicit-def: $sgpr0
	s_cbranch_execz .LBB361_21
; %bb.20:
	s_mov_b64 s[2:3], -1
	s_mov_b32 s0, 0
.LBB361_21:
	s_andn2_b64 vcc, exec, s[2:3]
	s_cbranch_vccnz .LBB361_24
; %bb.22:
	s_mov_b32 s1, 0
	v_lshl_add_u64 v[0:1], v[0:1], 0, s[0:1]
	s_sub_i32 s2, s4, s0
	v_lshl_add_u64 v[0:1], v[0:1], 2, s[16:17]
.LBB361_23:                             ; =>This Inner Loop Header: Depth=1
	global_load_dword v3, v[0:1], off
	s_add_i32 s2, s2, -1
	s_cmp_lg_u32 s2, 0
	s_waitcnt vmcnt(0)
	v_mul_f32_e32 v3, v2, v3
	global_store_dword v[0:1], v3, off
	v_lshl_add_u64 v[0:1], v[0:1], 0, 4
	s_cbranch_scc1 .LBB361_23
.LBB361_24:
	s_endpgm
	.section	.rodata,"a",@progbits
	.p2align	6, 0x0
	.amdhsa_kernel _ZN4vllm3moe22topkGatingSoftplusSqrtILi1ELi1ELi4ELi2ELi64ELb0Ei14__hip_bfloat16EEvPKT6_PKbPfiPT5_PiiiibdPKfPKS9_SF_
		.amdhsa_group_segment_fixed_size 0
		.amdhsa_private_segment_fixed_size 0
		.amdhsa_kernarg_size 96
		.amdhsa_user_sgpr_count 2
		.amdhsa_user_sgpr_dispatch_ptr 0
		.amdhsa_user_sgpr_queue_ptr 0
		.amdhsa_user_sgpr_kernarg_segment_ptr 1
		.amdhsa_user_sgpr_dispatch_id 0
		.amdhsa_user_sgpr_kernarg_preload_length 0
		.amdhsa_user_sgpr_kernarg_preload_offset 0
		.amdhsa_user_sgpr_private_segment_size 0
		.amdhsa_uses_dynamic_stack 0
		.amdhsa_enable_private_segment 0
		.amdhsa_system_sgpr_workgroup_id_x 1
		.amdhsa_system_sgpr_workgroup_id_y 0
		.amdhsa_system_sgpr_workgroup_id_z 0
		.amdhsa_system_sgpr_workgroup_info 0
		.amdhsa_system_vgpr_workitem_id 1
		.amdhsa_next_free_vgpr 12
		.amdhsa_next_free_sgpr 28
		.amdhsa_accum_offset 12
		.amdhsa_reserve_vcc 1
		.amdhsa_float_round_mode_32 0
		.amdhsa_float_round_mode_16_64 0
		.amdhsa_float_denorm_mode_32 3
		.amdhsa_float_denorm_mode_16_64 3
		.amdhsa_dx10_clamp 1
		.amdhsa_ieee_mode 1
		.amdhsa_fp16_overflow 0
		.amdhsa_tg_split 0
		.amdhsa_exception_fp_ieee_invalid_op 0
		.amdhsa_exception_fp_denorm_src 0
		.amdhsa_exception_fp_ieee_div_zero 0
		.amdhsa_exception_fp_ieee_overflow 0
		.amdhsa_exception_fp_ieee_underflow 0
		.amdhsa_exception_fp_ieee_inexact 0
		.amdhsa_exception_int_div_zero 0
	.end_amdhsa_kernel
	.section	.text._ZN4vllm3moe22topkGatingSoftplusSqrtILi1ELi1ELi4ELi2ELi64ELb0Ei14__hip_bfloat16EEvPKT6_PKbPfiPT5_PiiiibdPKfPKS9_SF_,"axG",@progbits,_ZN4vllm3moe22topkGatingSoftplusSqrtILi1ELi1ELi4ELi2ELi64ELb0Ei14__hip_bfloat16EEvPKT6_PKbPfiPT5_PiiiibdPKfPKS9_SF_,comdat
.Lfunc_end361:
	.size	_ZN4vllm3moe22topkGatingSoftplusSqrtILi1ELi1ELi4ELi2ELi64ELb0Ei14__hip_bfloat16EEvPKT6_PKbPfiPT5_PiiiibdPKfPKS9_SF_, .Lfunc_end361-_ZN4vllm3moe22topkGatingSoftplusSqrtILi1ELi1ELi4ELi2ELi64ELb0Ei14__hip_bfloat16EEvPKT6_PKbPfiPT5_PiiiibdPKfPKS9_SF_
                                        ; -- End function
	.section	.AMDGPU.csdata,"",@progbits
; Kernel info:
; codeLenInByte = 1084
; NumSgprs: 34
; NumVgprs: 12
; NumAgprs: 0
; TotalNumVgprs: 12
; ScratchSize: 0
; MemoryBound: 0
; FloatMode: 240
; IeeeMode: 1
; LDSByteSize: 0 bytes/workgroup (compile time only)
; SGPRBlocks: 4
; VGPRBlocks: 1
; NumSGPRsForWavesPerEU: 34
; NumVGPRsForWavesPerEU: 12
; AccumOffset: 12
; Occupancy: 8
; WaveLimiterHint : 0
; COMPUTE_PGM_RSRC2:SCRATCH_EN: 0
; COMPUTE_PGM_RSRC2:USER_SGPR: 2
; COMPUTE_PGM_RSRC2:TRAP_HANDLER: 0
; COMPUTE_PGM_RSRC2:TGID_X_EN: 1
; COMPUTE_PGM_RSRC2:TGID_Y_EN: 0
; COMPUTE_PGM_RSRC2:TGID_Z_EN: 0
; COMPUTE_PGM_RSRC2:TIDIG_COMP_CNT: 1
; COMPUTE_PGM_RSRC3_GFX90A:ACCUM_OFFSET: 2
; COMPUTE_PGM_RSRC3_GFX90A:TG_SPLIT: 0
	.section	.text._ZN4vllm3moe22topkGatingSoftplusSqrtILi1ELi1ELi4ELi2ELi32ELb1Ei14__hip_bfloat16EEvPKT6_PKbPfiPT5_PiiiibdPKfPKS9_SF_,"axG",@progbits,_ZN4vllm3moe22topkGatingSoftplusSqrtILi1ELi1ELi4ELi2ELi32ELb1Ei14__hip_bfloat16EEvPKT6_PKbPfiPT5_PiiiibdPKfPKS9_SF_,comdat
	.protected	_ZN4vllm3moe22topkGatingSoftplusSqrtILi1ELi1ELi4ELi2ELi32ELb1Ei14__hip_bfloat16EEvPKT6_PKbPfiPT5_PiiiibdPKfPKS9_SF_ ; -- Begin function _ZN4vllm3moe22topkGatingSoftplusSqrtILi1ELi1ELi4ELi2ELi32ELb1Ei14__hip_bfloat16EEvPKT6_PKbPfiPT5_PiiiibdPKfPKS9_SF_
	.globl	_ZN4vllm3moe22topkGatingSoftplusSqrtILi1ELi1ELi4ELi2ELi32ELb1Ei14__hip_bfloat16EEvPKT6_PKbPfiPT5_PiiiibdPKfPKS9_SF_
	.p2align	8
	.type	_ZN4vllm3moe22topkGatingSoftplusSqrtILi1ELi1ELi4ELi2ELi32ELb1Ei14__hip_bfloat16EEvPKT6_PKbPfiPT5_PiiiibdPKfPKS9_SF_,@function
_ZN4vllm3moe22topkGatingSoftplusSqrtILi1ELi1ELi4ELi2ELi32ELb1Ei14__hip_bfloat16EEvPKT6_PKbPfiPT5_PiiiibdPKfPKS9_SF_: ; @_ZN4vllm3moe22topkGatingSoftplusSqrtILi1ELi1ELi4ELi2ELi32ELb1Ei14__hip_bfloat16EEvPKT6_PKbPfiPT5_PiiiibdPKfPKS9_SF_
; %bb.0:
	s_load_dword s3, s[0:1], 0x18
	v_bfe_u32 v1, v0, 10, 10
	s_lshl_b32 s2, s2, 7
	v_lshlrev_b32_e32 v1, 5, v1
	v_and_b32_e32 v0, 0x3ff, v0
	v_add3_u32 v2, v1, v0, s2
	s_waitcnt lgkmcnt(0)
	v_cmp_gt_i32_e32 vcc, s3, v2
	s_and_saveexec_b64 s[2:3], vcc
	s_cbranch_execz .LBB362_54
; %bb.1:
	s_load_dwordx2 s[2:3], s[0:1], 0x0
	s_load_dword s14, s[0:1], 0x30
	v_ashrrev_i32_e32 v3, 31, v2
	s_load_dwordx4 s[4:7], s[0:1], 0x50
	s_mov_b32 s9, 0x3f317217
	s_waitcnt lgkmcnt(0)
	v_lshl_add_u64 v[0:1], v[2:3], 1, s[2:3]
	global_load_ushort v4, v[0:1], off
	s_mov_b32 s3, 0x800000
	v_mov_b32_e32 v0, s4
	v_mov_b32_e32 v1, s5
	v_lshl_add_u64 v[0:1], v[2:3], 2, v[0:1]
	global_load_dword v0, v[0:1], off
	v_mov_b32_e32 v1, 0x4f800000
	s_mov_b32 s10, 0x7f800000
	v_mov_b32_e32 v5, 0x41b17218
	s_mov_b32 s2, 0x41a00000
	s_mov_b32 s11, 0xf800000
	v_mov_b32_e32 v7, 0x260
	s_cmp_gt_i32 s14, 0
	s_mov_b32 s8, 0
	v_mov_b32_e32 v3, 0
	s_cselect_b64 s[4:5], -1, 0
	s_cmp_lt_i32 s14, 1
	v_mul_lo_u32 v2, v2, s14
	s_waitcnt vmcnt(1)
	v_lshlrev_b32_e32 v4, 16, v4
	v_mul_f32_e32 v6, 0x3fb8aa3b, v4
	v_exp_f32_e32 v6, v6
	s_waitcnt vmcnt(0)
	v_mul_lo_u32 v0, v0, s14
	v_add_f32_e32 v6, 1.0, v6
	v_cmp_gt_f32_e32 vcc, s3, v6
	s_nop 1
	v_cndmask_b32_e32 v1, 1.0, v1, vcc
	v_mul_f32_e32 v1, v6, v1
	v_log_f32_e32 v1, v1
	v_cndmask_b32_e32 v5, 0, v5, vcc
	v_mul_f32_e32 v6, 0x3f317217, v1
	v_fma_f32 v6, v1, s9, -v6
	v_fmamk_f32 v6, v1, 0x3377d1cf, v6
	v_fmac_f32_e32 v6, 0x3f317217, v1
	v_cmp_lt_f32_e64 vcc, |v1|, s10
	s_nop 1
	v_cndmask_b32_e32 v1, v1, v6, vcc
	v_sub_f32_e32 v1, v1, v5
	v_cmp_lt_f32_e32 vcc, s2, v4
	s_nop 1
	v_cndmask_b32_e32 v1, v1, v4, vcc
	v_mul_f32_e32 v4, 0x4f800000, v1
	v_cmp_gt_f32_e32 vcc, s11, v1
	s_nop 1
	v_cndmask_b32_e32 v6, v1, v4, vcc
	v_sqrt_f32_e32 v8, v6
	v_ashrrev_i32_e32 v1, 31, v0
	v_lshl_add_u64 v[4:5], v[0:1], 2, s[6:7]
	v_add_u32_e32 v9, -1, v8
	v_add_u32_e32 v10, 1, v8
	v_fma_f32 v11, -v9, v8, v6
	v_fma_f32 v12, -v10, v8, v6
	v_cmp_ge_f32_e64 s[2:3], 0, v11
	s_nop 1
	v_cndmask_b32_e64 v8, v8, v9, s[2:3]
	v_cmp_lt_f32_e64 s[2:3], 0, v12
	s_nop 1
	v_cndmask_b32_e64 v8, v8, v10, s[2:3]
	v_mul_f32_e32 v9, 0x37800000, v8
	v_cndmask_b32_e32 v8, v8, v9, vcc
	v_cmp_class_f32_e32 vcc, v6, v7
	s_nop 1
	v_cndmask_b32_e32 v10, v8, v6, vcc
	s_cbranch_scc1 .LBB362_27
; %bb.2:
	s_load_dwordx2 s[2:3], s[0:1], 0x20
	s_cmp_lt_u32 s14, 8
	s_cbranch_scc1 .LBB362_21
; %bb.3:
	v_ashrrev_i32_e32 v3, 31, v2
	s_and_b32 s8, s14, 0x7ffffff8
	s_waitcnt lgkmcnt(0)
	v_lshl_add_u64 v[6:7], v[2:3], 2, s[2:3]
	s_mov_b32 s9, 0
	s_mov_b64 s[10:11], 0
	v_mov_b32_e32 v11, 0
	v_mov_b32_e32 v3, 0
	s_branch .LBB362_5
.LBB362_4:                              ;   in Loop: Header=BB362_5 Depth=1
	s_or_b64 exec, exec, s[12:13]
	s_add_i32 s9, s9, 8
	s_add_u32 s10, s10, 32
	s_addc_u32 s11, s11, 0
	s_cmp_eq_u32 s8, s9
	s_cbranch_scc1 .LBB362_22
.LBB362_5:                              ; =>This Inner Loop Header: Depth=1
	v_lshl_add_u64 v[8:9], v[4:5], 0, s[10:11]
	global_load_dword v12, v[8:9], off
	s_waitcnt vmcnt(0)
	v_cmp_eq_u32_e32 vcc, 0, v12
	s_and_saveexec_b64 s[12:13], vcc
	s_cbranch_execz .LBB362_7
; %bb.6:                                ;   in Loop: Header=BB362_5 Depth=1
	v_add_u32_e32 v12, s9, v2
	v_ashrrev_i32_e32 v13, 31, v12
	v_lshl_add_u64 v[12:13], v[12:13], 2, s[2:3]
	v_add_f32_e32 v3, v10, v3
	global_store_dword v[12:13], v11, off
.LBB362_7:                              ;   in Loop: Header=BB362_5 Depth=1
	s_or_b64 exec, exec, s[12:13]
	global_load_dword v12, v[8:9], off offset:4
	s_waitcnt vmcnt(0)
	v_cmp_eq_u32_e32 vcc, 0, v12
	s_and_saveexec_b64 s[12:13], vcc
	s_cbranch_execz .LBB362_9
; %bb.8:                                ;   in Loop: Header=BB362_5 Depth=1
	v_lshl_add_u64 v[12:13], v[6:7], 0, s[10:11]
	v_add_f32_e32 v3, v10, v3
	global_store_dword v[12:13], v11, off offset:4
.LBB362_9:                              ;   in Loop: Header=BB362_5 Depth=1
	s_or_b64 exec, exec, s[12:13]
	global_load_dword v12, v[8:9], off offset:8
	s_waitcnt vmcnt(0)
	v_cmp_eq_u32_e32 vcc, 0, v12
	s_and_saveexec_b64 s[12:13], vcc
	s_cbranch_execz .LBB362_11
; %bb.10:                               ;   in Loop: Header=BB362_5 Depth=1
	v_lshl_add_u64 v[12:13], v[6:7], 0, s[10:11]
	v_add_f32_e32 v3, v10, v3
	global_store_dword v[12:13], v11, off offset:8
.LBB362_11:                             ;   in Loop: Header=BB362_5 Depth=1
	s_or_b64 exec, exec, s[12:13]
	global_load_dword v12, v[8:9], off offset:12
	s_waitcnt vmcnt(0)
	v_cmp_eq_u32_e32 vcc, 0, v12
	s_and_saveexec_b64 s[12:13], vcc
	s_cbranch_execz .LBB362_13
; %bb.12:                               ;   in Loop: Header=BB362_5 Depth=1
	v_lshl_add_u64 v[12:13], v[6:7], 0, s[10:11]
	v_add_f32_e32 v3, v10, v3
	global_store_dword v[12:13], v11, off offset:12
.LBB362_13:                             ;   in Loop: Header=BB362_5 Depth=1
	;; [unrolled: 11-line block ×5, first 2 shown]
	s_or_b64 exec, exec, s[12:13]
	global_load_dword v8, v[8:9], off offset:28
	s_waitcnt vmcnt(0)
	v_cmp_eq_u32_e32 vcc, 0, v8
	s_and_saveexec_b64 s[12:13], vcc
	s_cbranch_execz .LBB362_4
; %bb.20:                               ;   in Loop: Header=BB362_5 Depth=1
	v_lshl_add_u64 v[8:9], v[6:7], 0, s[10:11]
	v_add_f32_e32 v3, v10, v3
	global_store_dword v[8:9], v11, off offset:28
	s_branch .LBB362_4
.LBB362_21:
	v_mov_b32_e32 v3, 0
.LBB362_22:
	s_and_b32 s10, s14, 7
	s_cmp_eq_u32 s10, 0
	s_mov_b32 s9, 0
	s_cbranch_scc1 .LBB362_27
; %bb.23:
	v_add_u32_e32 v6, s8, v2
	s_lshl_b64 s[8:9], s[8:9], 2
	s_add_u32 s8, s6, s8
	s_addc_u32 s9, s7, s9
	v_lshl_add_u64 v[8:9], v[0:1], 2, s[8:9]
	v_mov_b32_e32 v11, 0
	s_branch .LBB362_25
.LBB362_24:                             ;   in Loop: Header=BB362_25 Depth=1
	s_or_b64 exec, exec, s[8:9]
	s_add_i32 s10, s10, -1
	v_add_u32_e32 v6, 1, v6
	s_cmp_lg_u32 s10, 0
	v_lshl_add_u64 v[8:9], v[8:9], 0, 4
	s_cbranch_scc0 .LBB362_27
.LBB362_25:                             ; =>This Inner Loop Header: Depth=1
	global_load_dword v7, v[8:9], off
	s_waitcnt vmcnt(0)
	v_cmp_eq_u32_e32 vcc, 0, v7
	s_and_saveexec_b64 s[8:9], vcc
	s_cbranch_execz .LBB362_24
; %bb.26:                               ;   in Loop: Header=BB362_25 Depth=1
	v_ashrrev_i32_e32 v7, 31, v6
	s_waitcnt lgkmcnt(0)
	v_lshl_add_u64 v[12:13], v[6:7], 2, s[2:3]
	v_add_f32_e32 v3, v10, v3
	global_store_dword v[12:13], v11, off
	s_branch .LBB362_24
.LBB362_27:
	s_load_dword s8, s[0:1], 0x3c
	s_waitcnt lgkmcnt(0)
	s_load_dwordx2 s[2:3], s[0:1], 0x40
	s_bitcmp1_b32 s8, 0
	s_cselect_b64 s[8:9], -1, 0
	s_waitcnt lgkmcnt(0)
	v_cvt_f32_f64_e32 v6, s[2:3]
	s_and_b64 vcc, exec, s[8:9]
	s_cbranch_vccz .LBB362_29
; %bb.28:
	v_cmp_lt_f32_e32 vcc, 0, v3
	s_nop 1
	v_cndmask_b32_e32 v3, 1.0, v3, vcc
	v_div_scale_f32 v7, s[2:3], v3, v3, v6
	v_rcp_f32_e32 v8, v7
	s_nop 0
	v_fma_f32 v9, -v7, v8, 1.0
	v_fmac_f32_e32 v8, v9, v8
	v_div_scale_f32 v9, vcc, v6, v3, v6
	v_mul_f32_e32 v11, v9, v8
	v_fma_f32 v12, -v7, v11, v9
	v_fmac_f32_e32 v11, v12, v8
	v_fma_f32 v7, -v7, v11, v9
	v_div_fmas_f32 v7, v7, v8, v11
	v_div_fixup_f32 v6, v7, v3, v6
.LBB362_29:
	s_andn2_b64 vcc, exec, s[4:5]
	s_cbranch_vccnz .LBB362_54
; %bb.30:
	s_load_dwordx2 s[0:1], s[0:1], 0x10
	v_mul_f32_e32 v10, v10, v6
	s_cmp_lt_u32 s14, 8
	s_mov_b32 s2, 0
	s_cbranch_scc1 .LBB362_49
; %bb.31:
	v_ashrrev_i32_e32 v3, 31, v2
	s_and_b32 s2, s14, 0x7ffffff8
	s_waitcnt lgkmcnt(0)
	v_lshl_add_u64 v[6:7], v[2:3], 2, s[0:1]
	s_mov_b32 s3, 0
	s_mov_b64 s[4:5], 0
	s_branch .LBB362_33
.LBB362_32:                             ;   in Loop: Header=BB362_33 Depth=1
	s_or_b64 exec, exec, s[8:9]
	s_add_i32 s3, s3, 8
	s_add_u32 s4, s4, 32
	s_addc_u32 s5, s5, 0
	s_cmp_lg_u32 s2, s3
	s_cbranch_scc0 .LBB362_49
.LBB362_33:                             ; =>This Inner Loop Header: Depth=1
	v_lshl_add_u64 v[8:9], v[4:5], 0, s[4:5]
	global_load_dword v3, v[8:9], off
	s_waitcnt vmcnt(0)
	v_cmp_eq_u32_e32 vcc, 0, v3
	s_and_saveexec_b64 s[8:9], vcc
	s_cbranch_execz .LBB362_35
; %bb.34:                               ;   in Loop: Header=BB362_33 Depth=1
	v_add_u32_e32 v12, s3, v2
	v_ashrrev_i32_e32 v13, 31, v12
	v_lshl_add_u64 v[12:13], v[12:13], 2, s[0:1]
	global_store_dword v[12:13], v10, off
.LBB362_35:                             ;   in Loop: Header=BB362_33 Depth=1
	s_or_b64 exec, exec, s[8:9]
	global_load_dword v3, v[8:9], off offset:4
	s_waitcnt vmcnt(0)
	v_cmp_eq_u32_e32 vcc, 0, v3
	s_and_saveexec_b64 s[8:9], vcc
	s_cbranch_execz .LBB362_37
; %bb.36:                               ;   in Loop: Header=BB362_33 Depth=1
	v_lshl_add_u64 v[12:13], v[6:7], 0, s[4:5]
	global_store_dword v[12:13], v10, off offset:4
.LBB362_37:                             ;   in Loop: Header=BB362_33 Depth=1
	s_or_b64 exec, exec, s[8:9]
	global_load_dword v3, v[8:9], off offset:8
	s_waitcnt vmcnt(0)
	v_cmp_eq_u32_e32 vcc, 0, v3
	s_and_saveexec_b64 s[8:9], vcc
	s_cbranch_execz .LBB362_39
; %bb.38:                               ;   in Loop: Header=BB362_33 Depth=1
	v_lshl_add_u64 v[12:13], v[6:7], 0, s[4:5]
	global_store_dword v[12:13], v10, off offset:8
.LBB362_39:                             ;   in Loop: Header=BB362_33 Depth=1
	;; [unrolled: 10-line block ×6, first 2 shown]
	s_or_b64 exec, exec, s[8:9]
	global_load_dword v3, v[8:9], off offset:28
	s_waitcnt vmcnt(0)
	v_cmp_eq_u32_e32 vcc, 0, v3
	s_and_saveexec_b64 s[8:9], vcc
	s_cbranch_execz .LBB362_32
; %bb.48:                               ;   in Loop: Header=BB362_33 Depth=1
	v_lshl_add_u64 v[8:9], v[6:7], 0, s[4:5]
	global_store_dword v[8:9], v10, off offset:28
	s_branch .LBB362_32
.LBB362_49:
	s_and_b32 s4, s14, 7
	s_cmp_eq_u32 s4, 0
	s_mov_b32 s3, 0
	s_cbranch_scc1 .LBB362_54
; %bb.50:
	v_add_u32_e32 v2, s2, v2
	s_lshl_b64 s[2:3], s[2:3], 2
	s_add_u32 s2, s6, s2
	s_addc_u32 s3, s7, s3
	v_lshl_add_u64 v[0:1], v[0:1], 2, s[2:3]
	s_branch .LBB362_52
.LBB362_51:                             ;   in Loop: Header=BB362_52 Depth=1
	s_or_b64 exec, exec, s[2:3]
	s_add_i32 s4, s4, -1
	v_add_u32_e32 v2, 1, v2
	s_cmp_lg_u32 s4, 0
	v_lshl_add_u64 v[0:1], v[0:1], 0, 4
	s_cbranch_scc0 .LBB362_54
.LBB362_52:                             ; =>This Inner Loop Header: Depth=1
	global_load_dword v3, v[0:1], off
	s_waitcnt vmcnt(0)
	v_cmp_eq_u32_e32 vcc, 0, v3
	s_and_saveexec_b64 s[2:3], vcc
	s_cbranch_execz .LBB362_51
; %bb.53:                               ;   in Loop: Header=BB362_52 Depth=1
	v_ashrrev_i32_e32 v3, 31, v2
	s_waitcnt lgkmcnt(0)
	v_lshl_add_u64 v[4:5], v[2:3], 2, s[0:1]
	global_store_dword v[4:5], v10, off
	s_branch .LBB362_51
.LBB362_54:
	s_endpgm
	.section	.rodata,"a",@progbits
	.p2align	6, 0x0
	.amdhsa_kernel _ZN4vllm3moe22topkGatingSoftplusSqrtILi1ELi1ELi4ELi2ELi32ELb1Ei14__hip_bfloat16EEvPKT6_PKbPfiPT5_PiiiibdPKfPKS9_SF_
		.amdhsa_group_segment_fixed_size 0
		.amdhsa_private_segment_fixed_size 0
		.amdhsa_kernarg_size 96
		.amdhsa_user_sgpr_count 2
		.amdhsa_user_sgpr_dispatch_ptr 0
		.amdhsa_user_sgpr_queue_ptr 0
		.amdhsa_user_sgpr_kernarg_segment_ptr 1
		.amdhsa_user_sgpr_dispatch_id 0
		.amdhsa_user_sgpr_kernarg_preload_length 0
		.amdhsa_user_sgpr_kernarg_preload_offset 0
		.amdhsa_user_sgpr_private_segment_size 0
		.amdhsa_uses_dynamic_stack 0
		.amdhsa_enable_private_segment 0
		.amdhsa_system_sgpr_workgroup_id_x 1
		.amdhsa_system_sgpr_workgroup_id_y 0
		.amdhsa_system_sgpr_workgroup_id_z 0
		.amdhsa_system_sgpr_workgroup_info 0
		.amdhsa_system_vgpr_workitem_id 1
		.amdhsa_next_free_vgpr 14
		.amdhsa_next_free_sgpr 15
		.amdhsa_accum_offset 16
		.amdhsa_reserve_vcc 1
		.amdhsa_float_round_mode_32 0
		.amdhsa_float_round_mode_16_64 0
		.amdhsa_float_denorm_mode_32 3
		.amdhsa_float_denorm_mode_16_64 3
		.amdhsa_dx10_clamp 1
		.amdhsa_ieee_mode 1
		.amdhsa_fp16_overflow 0
		.amdhsa_tg_split 0
		.amdhsa_exception_fp_ieee_invalid_op 0
		.amdhsa_exception_fp_denorm_src 0
		.amdhsa_exception_fp_ieee_div_zero 0
		.amdhsa_exception_fp_ieee_overflow 0
		.amdhsa_exception_fp_ieee_underflow 0
		.amdhsa_exception_fp_ieee_inexact 0
		.amdhsa_exception_int_div_zero 0
	.end_amdhsa_kernel
	.section	.text._ZN4vllm3moe22topkGatingSoftplusSqrtILi1ELi1ELi4ELi2ELi32ELb1Ei14__hip_bfloat16EEvPKT6_PKbPfiPT5_PiiiibdPKfPKS9_SF_,"axG",@progbits,_ZN4vllm3moe22topkGatingSoftplusSqrtILi1ELi1ELi4ELi2ELi32ELb1Ei14__hip_bfloat16EEvPKT6_PKbPfiPT5_PiiiibdPKfPKS9_SF_,comdat
.Lfunc_end362:
	.size	_ZN4vllm3moe22topkGatingSoftplusSqrtILi1ELi1ELi4ELi2ELi32ELb1Ei14__hip_bfloat16EEvPKT6_PKbPfiPT5_PiiiibdPKfPKS9_SF_, .Lfunc_end362-_ZN4vllm3moe22topkGatingSoftplusSqrtILi1ELi1ELi4ELi2ELi32ELb1Ei14__hip_bfloat16EEvPKT6_PKbPfiPT5_PiiiibdPKfPKS9_SF_
                                        ; -- End function
	.section	.AMDGPU.csdata,"",@progbits
; Kernel info:
; codeLenInByte = 1812
; NumSgprs: 21
; NumVgprs: 14
; NumAgprs: 0
; TotalNumVgprs: 14
; ScratchSize: 0
; MemoryBound: 0
; FloatMode: 240
; IeeeMode: 1
; LDSByteSize: 0 bytes/workgroup (compile time only)
; SGPRBlocks: 2
; VGPRBlocks: 1
; NumSGPRsForWavesPerEU: 21
; NumVGPRsForWavesPerEU: 14
; AccumOffset: 16
; Occupancy: 8
; WaveLimiterHint : 1
; COMPUTE_PGM_RSRC2:SCRATCH_EN: 0
; COMPUTE_PGM_RSRC2:USER_SGPR: 2
; COMPUTE_PGM_RSRC2:TRAP_HANDLER: 0
; COMPUTE_PGM_RSRC2:TGID_X_EN: 1
; COMPUTE_PGM_RSRC2:TGID_Y_EN: 0
; COMPUTE_PGM_RSRC2:TGID_Z_EN: 0
; COMPUTE_PGM_RSRC2:TIDIG_COMP_CNT: 1
; COMPUTE_PGM_RSRC3_GFX90A:ACCUM_OFFSET: 3
; COMPUTE_PGM_RSRC3_GFX90A:TG_SPLIT: 0
	.section	.text._ZN4vllm3moe22topkGatingSoftplusSqrtILi1ELi1ELi4ELi2ELi32ELb0Ei14__hip_bfloat16EEvPKT6_PKbPfiPT5_PiiiibdPKfPKS9_SF_,"axG",@progbits,_ZN4vllm3moe22topkGatingSoftplusSqrtILi1ELi1ELi4ELi2ELi32ELb0Ei14__hip_bfloat16EEvPKT6_PKbPfiPT5_PiiiibdPKfPKS9_SF_,comdat
	.protected	_ZN4vllm3moe22topkGatingSoftplusSqrtILi1ELi1ELi4ELi2ELi32ELb0Ei14__hip_bfloat16EEvPKT6_PKbPfiPT5_PiiiibdPKfPKS9_SF_ ; -- Begin function _ZN4vllm3moe22topkGatingSoftplusSqrtILi1ELi1ELi4ELi2ELi32ELb0Ei14__hip_bfloat16EEvPKT6_PKbPfiPT5_PiiiibdPKfPKS9_SF_
	.globl	_ZN4vllm3moe22topkGatingSoftplusSqrtILi1ELi1ELi4ELi2ELi32ELb0Ei14__hip_bfloat16EEvPKT6_PKbPfiPT5_PiiiibdPKfPKS9_SF_
	.p2align	8
	.type	_ZN4vllm3moe22topkGatingSoftplusSqrtILi1ELi1ELi4ELi2ELi32ELb0Ei14__hip_bfloat16EEvPKT6_PKbPfiPT5_PiiiibdPKfPKS9_SF_,@function
_ZN4vllm3moe22topkGatingSoftplusSqrtILi1ELi1ELi4ELi2ELi32ELb0Ei14__hip_bfloat16EEvPKT6_PKbPfiPT5_PiiiibdPKfPKS9_SF_: ; @_ZN4vllm3moe22topkGatingSoftplusSqrtILi1ELi1ELi4ELi2ELi32ELb0Ei14__hip_bfloat16EEvPKT6_PKbPfiPT5_PiiiibdPKfPKS9_SF_
; %bb.0:
	s_load_dword s24, s[0:1], 0x18
	v_bfe_u32 v1, v0, 10, 10
	s_lshl_b32 s2, s2, 7
	v_lshlrev_b32_e32 v1, 5, v1
	v_and_b32_e32 v0, 0x3ff, v0
	v_add3_u32 v2, v1, v0, s2
	s_waitcnt lgkmcnt(0)
	v_cmp_gt_i32_e32 vcc, s24, v2
	s_and_saveexec_b64 s[2:3], vcc
	s_cbranch_execz .LBB363_24
; %bb.1:
	s_load_dwordx4 s[4:7], s[0:1], 0x0
	s_load_dwordx2 s[16:17], s[0:1], 0x10
	v_ashrrev_i32_e32 v3, 31, v2
	s_waitcnt lgkmcnt(0)
	s_cmp_eq_u64 s[6:7], 0
	s_cbranch_scc1 .LBB363_3
; %bb.2:
	v_lshl_add_u64 v[0:1], s[6:7], 0, v[2:3]
	global_load_ubyte v0, v[0:1], off
	s_waitcnt vmcnt(0)
	v_and_b32_e32 v0, 1, v0
	v_cmp_eq_u32_e32 vcc, 1, v0
	s_xor_b64 s[2:3], vcc, -1
	s_orn2_b64 s[18:19], s[2:3], exec
	s_branch .LBB363_4
.LBB363_3:
	s_mov_b64 s[18:19], -1
.LBB363_4:
	v_mov_b32_e32 v0, s4
	v_mov_b32_e32 v1, s5
	v_lshl_add_u64 v[0:1], v[2:3], 1, v[0:1]
	global_load_ushort v0, v[0:1], off
	s_mov_b32 s3, 0x800000
	v_mov_b32_e32 v1, 0x4f800000
	s_mov_b32 s4, 0x3f317217
	s_mov_b32 s5, 0x7f800000
	v_mov_b32_e32 v4, 0x41b17218
	s_mov_b32 s2, 0x41a00000
	s_load_dwordx4 s[8:11], s[0:1], 0x40
	s_waitcnt lgkmcnt(0)
	s_cmp_lg_u64 s[10:11], 0
	s_cselect_b64 s[22:23], -1, 0
	s_cmp_eq_u64 s[10:11], 0
	s_waitcnt vmcnt(0)
	v_lshlrev_b32_e32 v0, 16, v0
	v_mul_f32_e32 v3, 0x3fb8aa3b, v0
	v_exp_f32_e32 v3, v3
	s_nop 0
	v_add_f32_e32 v3, 1.0, v3
	v_cmp_gt_f32_e32 vcc, s3, v3
	s_mov_b32 s3, 0xf800000
	s_nop 0
	v_cndmask_b32_e32 v1, 1.0, v1, vcc
	v_mul_f32_e32 v1, v3, v1
	v_log_f32_e32 v1, v1
	v_cndmask_b32_e32 v4, 0, v4, vcc
	v_mov_b32_e32 v3, 0x260
	v_mul_f32_e32 v5, 0x3f317217, v1
	v_fma_f32 v5, v1, s4, -v5
	v_fmamk_f32 v5, v1, 0x3377d1cf, v5
	v_fmac_f32_e32 v5, 0x3f317217, v1
	v_cmp_lt_f32_e64 vcc, |v1|, s5
	s_nop 1
	v_cndmask_b32_e32 v1, v1, v5, vcc
	v_sub_f32_e32 v1, v1, v4
	v_cmp_lt_f32_e32 vcc, s2, v0
	s_nop 1
	v_cndmask_b32_e32 v0, v1, v0, vcc
	v_mul_f32_e32 v1, 0x4f800000, v0
	v_cmp_gt_f32_e32 vcc, s3, v0
	s_nop 1
	v_cndmask_b32_e32 v0, v0, v1, vcc
	v_sqrt_f32_e32 v1, v0
	s_nop 0
	v_add_u32_e32 v4, -1, v1
	v_add_u32_e32 v5, 1, v1
	v_fma_f32 v6, -v4, v1, v0
	v_fma_f32 v7, -v5, v1, v0
	v_cmp_ge_f32_e64 s[2:3], 0, v6
	s_nop 1
	v_cndmask_b32_e64 v1, v1, v4, s[2:3]
	v_cmp_lt_f32_e64 s[2:3], 0, v7
	s_nop 1
	v_cndmask_b32_e64 v1, v1, v5, s[2:3]
	v_mul_f32_e32 v4, 0x37800000, v1
	v_cndmask_b32_e32 v1, v1, v4, vcc
	v_cmp_class_f32_e32 vcc, v0, v3
	s_nop 1
	v_cndmask_b32_e32 v1, v1, v0, vcc
	s_cbranch_scc1 .LBB363_6
; %bb.5:
	s_load_dword s2, s[10:11], 0x0
	s_waitcnt lgkmcnt(0)
	v_add_f32_e32 v1, s2, v1
.LBB363_6:
	s_load_dwordx4 s[4:7], s[0:1], 0x30
	s_waitcnt lgkmcnt(0)
	s_bitcmp1_b32 s7, 0
	s_cselect_b64 s[2:3], -1, 0
	s_cmp_gt_i32 s4, 0
	s_cselect_b64 s[20:21], -1, 0
	s_cmp_lt_i32 s4, 1
	v_mul_lo_u32 v0, v2, s4
	s_cbranch_scc1 .LBB363_11
; %bb.7:
	s_cmp_lt_i32 s5, 1
	s_load_dwordx4 s[12:15], s[0:1], 0x20
	s_cselect_b64 s[0:1], -1, 0
	s_cmp_gt_i32 s6, 0
	s_cselect_b64 s[26:27], -1, 0
	s_and_b64 s[0:1], s[0:1], s[26:27]
	s_sub_i32 s5, 0, s5
	v_mov_b32_e32 v3, s5
	s_and_b64 vcc, s[18:19], s[0:1]
	v_cndmask_b32_e32 v4, 1, v3, vcc
	v_cndmask_b32_e64 v3, 0, 1, s[22:23]
	s_mov_b32 s7, 0
	v_mov_b32_e32 v5, 0
	v_cmp_ne_u32_e64 s[0:1], 1, v3
	v_mov_b32_e32 v6, 0xc61c4000
	v_mov_b32_e32 v3, 0
	s_branch .LBB363_9
.LBB363_8:                              ;   in Loop: Header=BB363_9 Depth=1
	v_add_u32_e32 v8, s7, v0
	v_ashrrev_i32_e32 v9, 31, v8
	v_lshlrev_b64 v[8:9], 2, v[8:9]
	s_add_i32 s7, s7, 1
	v_lshl_add_u64 v[10:11], s[16:17], 0, v[8:9]
	s_cmp_ge_i32 s7, s4
	global_store_dword v[10:11], v7, off
	s_waitcnt lgkmcnt(0)
	v_lshl_add_u64 v[10:11], s[12:13], 0, v[8:9]
	v_lshl_add_u64 v[8:9], s[14:15], 0, v[8:9]
	v_add_f32_e32 v7, v3, v7
	s_cselect_b64 vcc, -1, 0
	global_store_dword v[10:11], v4, off
	global_store_dword v[8:9], v2, off
	v_cndmask_b32_e64 v3, v3, v7, s[2:3]
	v_cndmask_b32_e32 v1, v6, v1, vcc
	s_cmp_lg_u32 s4, s7
	v_add_u32_e32 v2, s24, v2
	s_cbranch_scc0 .LBB363_12
.LBB363_9:                              ; =>This Inner Loop Header: Depth=1
	s_and_b64 vcc, exec, s[0:1]
	v_mov_b32_e32 v7, v1
	s_cbranch_vccnz .LBB363_8
; %bb.10:                               ;   in Loop: Header=BB363_9 Depth=1
	global_load_dword v7, v5, s[10:11]
	s_waitcnt vmcnt(0)
	v_sub_f32_e32 v7, v1, v7
	s_branch .LBB363_8
.LBB363_11:
	v_mov_b32_e32 v3, 0
.LBB363_12:
	s_andn2_b64 vcc, exec, s[2:3]
	v_cvt_f32_f64_e32 v2, s[8:9]
	s_cbranch_vccnz .LBB363_14
; %bb.13:
	v_cmp_lt_f32_e32 vcc, 0, v3
	s_nop 1
	v_cndmask_b32_e32 v1, 1.0, v3, vcc
	v_div_scale_f32 v3, s[0:1], v1, v1, v2
	v_rcp_f32_e32 v4, v3
	s_nop 0
	v_fma_f32 v5, -v3, v4, 1.0
	v_fmac_f32_e32 v4, v5, v4
	v_div_scale_f32 v5, vcc, v2, v1, v2
	v_mul_f32_e32 v6, v5, v4
	v_fma_f32 v7, -v3, v6, v5
	v_fmac_f32_e32 v6, v7, v4
	v_fma_f32 v3, -v3, v6, v5
	v_div_fmas_f32 v3, v3, v4, v6
	v_div_fixup_f32 v2, v3, v1, v2
.LBB363_14:
	s_andn2_b64 vcc, exec, s[20:21]
	s_cbranch_vccnz .LBB363_24
; %bb.15:
	s_cmp_gt_u32 s4, 3
	v_ashrrev_i32_e32 v1, 31, v0
	s_cbranch_scc0 .LBB363_19
; %bb.16:
	s_and_b32 s0, s4, 0x7ffffffc
	v_lshl_add_u64 v[4:5], v[0:1], 2, s[16:17]
	v_mov_b32_e32 v3, v2
	v_lshl_add_u64 v[4:5], v[4:5], 0, 8
	s_mov_b32 s1, s0
.LBB363_17:                             ; =>This Inner Loop Header: Depth=1
	global_load_dwordx4 v[6:9], v[4:5], off offset:-8
	s_add_i32 s1, s1, -4
	s_cmp_lg_u32 s1, 0
	s_waitcnt vmcnt(0)
	v_pk_mul_f32 v[6:7], v[2:3], v[6:7]
	v_pk_mul_f32 v[8:9], v[2:3], v[8:9]
	global_store_dwordx4 v[4:5], v[6:9], off offset:-8
	v_lshl_add_u64 v[4:5], v[4:5], 0, 16
	s_cbranch_scc1 .LBB363_17
; %bb.18:
	s_cmp_lg_u32 s0, s4
	s_cselect_b64 s[2:3], -1, 0
	s_branch .LBB363_21
.LBB363_19:
	s_mov_b64 s[2:3], 0
                                        ; implicit-def: $sgpr0
	s_cbranch_execz .LBB363_21
; %bb.20:
	s_mov_b64 s[2:3], -1
	s_mov_b32 s0, 0
.LBB363_21:
	s_andn2_b64 vcc, exec, s[2:3]
	s_cbranch_vccnz .LBB363_24
; %bb.22:
	s_mov_b32 s1, 0
	v_lshl_add_u64 v[0:1], v[0:1], 0, s[0:1]
	s_sub_i32 s2, s4, s0
	v_lshl_add_u64 v[0:1], v[0:1], 2, s[16:17]
.LBB363_23:                             ; =>This Inner Loop Header: Depth=1
	global_load_dword v3, v[0:1], off
	s_add_i32 s2, s2, -1
	s_cmp_lg_u32 s2, 0
	s_waitcnt vmcnt(0)
	v_mul_f32_e32 v3, v2, v3
	global_store_dword v[0:1], v3, off
	v_lshl_add_u64 v[0:1], v[0:1], 0, 4
	s_cbranch_scc1 .LBB363_23
.LBB363_24:
	s_endpgm
	.section	.rodata,"a",@progbits
	.p2align	6, 0x0
	.amdhsa_kernel _ZN4vllm3moe22topkGatingSoftplusSqrtILi1ELi1ELi4ELi2ELi32ELb0Ei14__hip_bfloat16EEvPKT6_PKbPfiPT5_PiiiibdPKfPKS9_SF_
		.amdhsa_group_segment_fixed_size 0
		.amdhsa_private_segment_fixed_size 0
		.amdhsa_kernarg_size 96
		.amdhsa_user_sgpr_count 2
		.amdhsa_user_sgpr_dispatch_ptr 0
		.amdhsa_user_sgpr_queue_ptr 0
		.amdhsa_user_sgpr_kernarg_segment_ptr 1
		.amdhsa_user_sgpr_dispatch_id 0
		.amdhsa_user_sgpr_kernarg_preload_length 0
		.amdhsa_user_sgpr_kernarg_preload_offset 0
		.amdhsa_user_sgpr_private_segment_size 0
		.amdhsa_uses_dynamic_stack 0
		.amdhsa_enable_private_segment 0
		.amdhsa_system_sgpr_workgroup_id_x 1
		.amdhsa_system_sgpr_workgroup_id_y 0
		.amdhsa_system_sgpr_workgroup_id_z 0
		.amdhsa_system_sgpr_workgroup_info 0
		.amdhsa_system_vgpr_workitem_id 1
		.amdhsa_next_free_vgpr 12
		.amdhsa_next_free_sgpr 28
		.amdhsa_accum_offset 12
		.amdhsa_reserve_vcc 1
		.amdhsa_float_round_mode_32 0
		.amdhsa_float_round_mode_16_64 0
		.amdhsa_float_denorm_mode_32 3
		.amdhsa_float_denorm_mode_16_64 3
		.amdhsa_dx10_clamp 1
		.amdhsa_ieee_mode 1
		.amdhsa_fp16_overflow 0
		.amdhsa_tg_split 0
		.amdhsa_exception_fp_ieee_invalid_op 0
		.amdhsa_exception_fp_denorm_src 0
		.amdhsa_exception_fp_ieee_div_zero 0
		.amdhsa_exception_fp_ieee_overflow 0
		.amdhsa_exception_fp_ieee_underflow 0
		.amdhsa_exception_fp_ieee_inexact 0
		.amdhsa_exception_int_div_zero 0
	.end_amdhsa_kernel
	.section	.text._ZN4vllm3moe22topkGatingSoftplusSqrtILi1ELi1ELi4ELi2ELi32ELb0Ei14__hip_bfloat16EEvPKT6_PKbPfiPT5_PiiiibdPKfPKS9_SF_,"axG",@progbits,_ZN4vllm3moe22topkGatingSoftplusSqrtILi1ELi1ELi4ELi2ELi32ELb0Ei14__hip_bfloat16EEvPKT6_PKbPfiPT5_PiiiibdPKfPKS9_SF_,comdat
.Lfunc_end363:
	.size	_ZN4vllm3moe22topkGatingSoftplusSqrtILi1ELi1ELi4ELi2ELi32ELb0Ei14__hip_bfloat16EEvPKT6_PKbPfiPT5_PiiiibdPKfPKS9_SF_, .Lfunc_end363-_ZN4vllm3moe22topkGatingSoftplusSqrtILi1ELi1ELi4ELi2ELi32ELb0Ei14__hip_bfloat16EEvPKT6_PKbPfiPT5_PiiiibdPKfPKS9_SF_
                                        ; -- End function
	.section	.AMDGPU.csdata,"",@progbits
; Kernel info:
; codeLenInByte = 1084
; NumSgprs: 34
; NumVgprs: 12
; NumAgprs: 0
; TotalNumVgprs: 12
; ScratchSize: 0
; MemoryBound: 0
; FloatMode: 240
; IeeeMode: 1
; LDSByteSize: 0 bytes/workgroup (compile time only)
; SGPRBlocks: 4
; VGPRBlocks: 1
; NumSGPRsForWavesPerEU: 34
; NumVGPRsForWavesPerEU: 12
; AccumOffset: 12
; Occupancy: 8
; WaveLimiterHint : 0
; COMPUTE_PGM_RSRC2:SCRATCH_EN: 0
; COMPUTE_PGM_RSRC2:USER_SGPR: 2
; COMPUTE_PGM_RSRC2:TRAP_HANDLER: 0
; COMPUTE_PGM_RSRC2:TGID_X_EN: 1
; COMPUTE_PGM_RSRC2:TGID_Y_EN: 0
; COMPUTE_PGM_RSRC2:TGID_Z_EN: 0
; COMPUTE_PGM_RSRC2:TIDIG_COMP_CNT: 1
; COMPUTE_PGM_RSRC3_GFX90A:ACCUM_OFFSET: 2
; COMPUTE_PGM_RSRC3_GFX90A:TG_SPLIT: 0
	.section	.text._ZN4vllm3moe22topkGatingSoftplusSqrtILi2ELi2ELi4ELi4ELi64ELb1Ei14__hip_bfloat16EEvPKT6_PKbPfiPT5_PiiiibdPKfPKS9_SF_,"axG",@progbits,_ZN4vllm3moe22topkGatingSoftplusSqrtILi2ELi2ELi4ELi4ELi64ELb1Ei14__hip_bfloat16EEvPKT6_PKbPfiPT5_PiiiibdPKfPKS9_SF_,comdat
	.protected	_ZN4vllm3moe22topkGatingSoftplusSqrtILi2ELi2ELi4ELi4ELi64ELb1Ei14__hip_bfloat16EEvPKT6_PKbPfiPT5_PiiiibdPKfPKS9_SF_ ; -- Begin function _ZN4vllm3moe22topkGatingSoftplusSqrtILi2ELi2ELi4ELi4ELi64ELb1Ei14__hip_bfloat16EEvPKT6_PKbPfiPT5_PiiiibdPKfPKS9_SF_
	.globl	_ZN4vllm3moe22topkGatingSoftplusSqrtILi2ELi2ELi4ELi4ELi64ELb1Ei14__hip_bfloat16EEvPKT6_PKbPfiPT5_PiiiibdPKfPKS9_SF_
	.p2align	8
	.type	_ZN4vllm3moe22topkGatingSoftplusSqrtILi2ELi2ELi4ELi4ELi64ELb1Ei14__hip_bfloat16EEvPKT6_PKbPfiPT5_PiiiibdPKfPKS9_SF_,@function
_ZN4vllm3moe22topkGatingSoftplusSqrtILi2ELi2ELi4ELi4ELi64ELb1Ei14__hip_bfloat16EEvPKT6_PKbPfiPT5_PiiiibdPKfPKS9_SF_: ; @_ZN4vllm3moe22topkGatingSoftplusSqrtILi2ELi2ELi4ELi4ELi64ELb1Ei14__hip_bfloat16EEvPKT6_PKbPfiPT5_PiiiibdPKfPKS9_SF_
; %bb.0:
	s_load_dword s3, s[0:1], 0x18
	v_bfe_u32 v1, v0, 10, 10
	s_lshl_b32 s2, s2, 8
	v_lshlrev_b32_e32 v1, 6, v1
	v_and_b32_e32 v0, 0x3ff, v0
	v_add3_u32 v4, v1, v0, s2
	s_waitcnt lgkmcnt(0)
	v_cmp_gt_i32_e32 vcc, s3, v4
	s_and_saveexec_b64 s[2:3], vcc
	s_cbranch_execz .LBB364_56
; %bb.1:
	s_load_dwordx2 s[2:3], s[0:1], 0x0
	s_load_dword s16, s[0:1], 0x30
	s_load_dwordx4 s[4:7], s[0:1], 0x50
	v_lshlrev_b32_e32 v0, 1, v4
	v_ashrrev_i32_e32 v1, 31, v0
	s_waitcnt lgkmcnt(0)
	v_lshl_add_u64 v[0:1], v[0:1], 1, s[2:3]
	global_load_dword v2, v[0:1], off
	v_ashrrev_i32_e32 v5, 31, v4
	v_mov_b32_e32 v0, s4
	v_mov_b32_e32 v1, s5
	v_lshl_add_u64 v[0:1], v[4:5], 2, v[0:1]
	global_load_dword v0, v[0:1], off
	s_mov_b32 s2, 0x800000
	v_mov_b32_e32 v5, 0x4f800000
	s_mov_b32 s5, 0x3f317217
	s_mov_b32 s9, 0x7f800000
	v_mov_b32_e32 v6, 0x41b17218
	s_mov_b32 s4, 0x41a00000
	s_mov_b32 s12, 0xf800000
	v_mov_b32_e32 v7, 0x260
	s_cmp_gt_i32 s16, 0
	s_mov_b32 s8, 0
	v_mov_b32_e32 v12, 0
	s_cselect_b64 s[10:11], -1, 0
	s_cmp_lt_i32 s16, 1
	v_mul_lo_u32 v4, v4, s16
	s_waitcnt vmcnt(1)
	v_and_b32_e32 v8, 0xffff0000, v2
	v_lshlrev_b32_e32 v9, 16, v2
	v_mul_f32_e32 v1, 0x3fb8aa3b, v9
	v_mul_f32_e32 v3, 0x3fb8aa3b, v8
	v_exp_f32_e32 v2, v1
	v_exp_f32_e32 v3, v3
	s_waitcnt vmcnt(0)
	v_mul_lo_u32 v0, v0, s16
	v_ashrrev_i32_e32 v1, 31, v0
	v_pk_add_f32 v[2:3], v[2:3], 1.0 op_sel_hi:[1,0]
	s_nop 0
	v_cmp_gt_f32_e32 vcc, s2, v3
	v_cmp_gt_f32_e64 s[2:3], s2, v2
	s_nop 0
	v_cndmask_b32_e32 v10, 1.0, v5, vcc
	v_cndmask_b32_e64 v5, 1.0, v5, s[2:3]
	v_mul_f32_e32 v3, v3, v10
	v_mul_f32_e32 v2, v2, v5
	v_log_f32_e32 v3, v3
	v_log_f32_e32 v2, v2
	v_cndmask_b32_e32 v5, 0, v6, vcc
	v_cndmask_b32_e64 v6, 0, v6, s[2:3]
	v_mul_f32_e32 v10, 0x3f317217, v3
	v_mul_f32_e32 v11, 0x3f317217, v2
	v_fma_f32 v10, v3, s5, -v10
	v_fma_f32 v11, v2, s5, -v11
	v_fmac_f32_e32 v10, 0x3377d1cf, v3
	v_fmac_f32_e32 v11, 0x3377d1cf, v2
	;; [unrolled: 1-line block ×3, first 2 shown]
	v_cmp_lt_f32_e64 vcc, |v3|, s9
	v_fmac_f32_e32 v11, 0x3f317217, v2
	s_nop 0
	v_cndmask_b32_e32 v3, v3, v10, vcc
	v_cmp_lt_f32_e64 vcc, |v2|, s9
	v_sub_f32_e32 v3, v3, v5
	s_nop 0
	v_cndmask_b32_e32 v2, v2, v11, vcc
	v_sub_f32_e32 v2, v2, v6
	v_cmp_lt_f32_e32 vcc, s4, v9
	s_nop 1
	v_cndmask_b32_e32 v2, v2, v9, vcc
	v_cmp_lt_f32_e32 vcc, s4, v8
	v_mul_f32_e32 v6, 0x4f800000, v2
	v_cmp_gt_f32_e64 s[2:3], s12, v2
	v_cndmask_b32_e32 v3, v3, v8, vcc
	v_mul_f32_e32 v5, 0x4f800000, v3
	v_cmp_gt_f32_e32 vcc, s12, v3
	v_cndmask_b32_e64 v6, v2, v6, s[2:3]
	v_sqrt_f32_e32 v9, v6
	v_cndmask_b32_e32 v5, v3, v5, vcc
	v_sqrt_f32_e32 v8, v5
	v_lshl_add_u64 v[2:3], v[0:1], 2, s[6:7]
	v_add_u32_e32 v13, -1, v9
	v_fma_f32 v17, -v13, v9, v6
	v_add_u32_e32 v10, -1, v8
	v_fma_f32 v15, -v10, v8, v5
	v_add_u32_e32 v11, 1, v8
	v_cmp_ge_f32_e64 s[4:5], 0, v15
	v_add_u32_e32 v14, 1, v9
	v_fma_f32 v16, -v11, v8, v5
	v_cndmask_b32_e64 v8, v8, v10, s[4:5]
	v_cmp_ge_f32_e64 s[4:5], 0, v17
	v_fma_f32 v18, -v14, v9, v6
	s_nop 0
	v_cndmask_b32_e64 v9, v9, v13, s[4:5]
	v_cmp_lt_f32_e64 s[4:5], 0, v16
	s_nop 1
	v_cndmask_b32_e64 v8, v8, v11, s[4:5]
	v_cmp_lt_f32_e64 s[4:5], 0, v18
	v_mul_f32_e32 v10, 0x37800000, v8
	v_cndmask_b32_e32 v8, v8, v10, vcc
	v_cndmask_b32_e64 v9, v9, v14, s[4:5]
	v_mul_f32_e32 v11, 0x37800000, v9
	v_cmp_class_f32_e32 vcc, v5, v7
	v_cndmask_b32_e64 v9, v9, v11, s[2:3]
	s_nop 0
	v_cndmask_b32_e32 v10, v8, v5, vcc
	v_cmp_class_f32_e32 vcc, v6, v7
	s_nop 1
	v_cndmask_b32_e32 v11, v9, v6, vcc
	s_cbranch_scc1 .LBB364_29
; %bb.2:
	s_load_dwordx2 s[2:3], s[0:1], 0x20
	s_cmp_lt_u32 s16, 4
	s_cbranch_scc1 .LBB364_21
; %bb.3:
	s_mov_b32 s5, 0
	s_and_b32 s8, s16, 0x7ffffffc
	v_ashrrev_i32_e32 v5, 31, v4
	v_mov_b32_e32 v12, 0
	s_mov_b32 s4, s5
	s_branch .LBB364_5
.LBB364_4:                              ;   in Loop: Header=BB364_5 Depth=1
	s_or_b64 exec, exec, s[12:13]
	s_add_i32 s4, s4, 4
	s_cmp_eq_u32 s4, s8
	s_cbranch_scc1 .LBB364_22
.LBB364_5:                              ; =>This Loop Header: Depth=1
                                        ;     Child Loop BB364_7 Depth 2
                                        ;     Child Loop BB364_11 Depth 2
	;; [unrolled: 1-line block ×4, first 2 shown]
	v_lshl_add_u64 v[6:7], s[4:5], 2, v[2:3]
	global_load_dword v13, v[6:7], off
	v_add_u32_e32 v8, s4, v4
	v_ashrrev_i32_e32 v9, 31, v8
	s_mov_b64 s[12:13], 0
	s_waitcnt lgkmcnt(0)
	v_lshl_add_u64 v[8:9], v[8:9], 2, s[2:3]
	s_mov_b32 s9, 0
	s_waitcnt vmcnt(0)
	v_cmp_eq_u32_e32 vcc, 0, v13
	s_nop 1
	v_cndmask_b32_e64 v14, 2, 1, vcc
	v_cmp_eq_u32_e32 vcc, 1, v13
	s_nop 1
	v_cndmask_b32_e32 v15, v11, v10, vcc
	s_branch .LBB364_7
.LBB364_6:                              ;   in Loop: Header=BB364_7 Depth=2
	s_or_b64 exec, exec, s[14:15]
	s_add_i32 s9, s9, 1
	v_cmp_eq_u32_e32 vcc, s9, v14
	s_or_b64 s[12:13], vcc, s[12:13]
	s_andn2_b64 exec, exec, s[12:13]
	s_cbranch_execz .LBB364_9
.LBB364_7:                              ;   Parent Loop BB364_5 Depth=1
                                        ; =>  This Inner Loop Header: Depth=2
	v_cmp_eq_u32_e32 vcc, s9, v13
	s_and_saveexec_b64 s[14:15], vcc
	s_cbranch_execz .LBB364_6
; %bb.8:                                ;   in Loop: Header=BB364_7 Depth=2
	v_add_f32_e32 v12, v12, v15
	global_store_dword v[8:9], v13, off
	s_branch .LBB364_6
.LBB364_9:                              ;   in Loop: Header=BB364_5 Depth=1
	s_or_b64 exec, exec, s[12:13]
	global_load_dword v13, v[6:7], off offset:4
	s_ashr_i32 s13, s4, 31
	s_mov_b32 s12, s4
	v_lshl_add_u64 v[8:9], s[12:13], 0, v[4:5]
	s_mov_b32 s9, 0
	v_lshl_add_u64 v[8:9], v[8:9], 2, s[2:3]
	s_mov_b64 s[12:13], 0
	s_waitcnt vmcnt(0)
	v_cmp_eq_u32_e32 vcc, 0, v13
	s_nop 1
	v_cndmask_b32_e64 v14, 2, 1, vcc
	v_cmp_eq_u32_e32 vcc, 1, v13
	s_nop 1
	v_cndmask_b32_e32 v15, v11, v10, vcc
	s_branch .LBB364_11
.LBB364_10:                             ;   in Loop: Header=BB364_11 Depth=2
	s_or_b64 exec, exec, s[14:15]
	s_add_i32 s9, s9, 1
	v_cmp_eq_u32_e32 vcc, s9, v14
	s_or_b64 s[12:13], vcc, s[12:13]
	s_andn2_b64 exec, exec, s[12:13]
	s_cbranch_execz .LBB364_13
.LBB364_11:                             ;   Parent Loop BB364_5 Depth=1
                                        ; =>  This Inner Loop Header: Depth=2
	v_cmp_eq_u32_e32 vcc, s9, v13
	s_and_saveexec_b64 s[14:15], vcc
	s_cbranch_execz .LBB364_10
; %bb.12:                               ;   in Loop: Header=BB364_11 Depth=2
	v_add_f32_e32 v12, v12, v15
	global_store_dword v[8:9], v13, off offset:4
	s_branch .LBB364_10
.LBB364_13:                             ;   in Loop: Header=BB364_5 Depth=1
	s_or_b64 exec, exec, s[12:13]
	global_load_dword v13, v[6:7], off offset:8
	s_mov_b32 s9, 0
	s_mov_b64 s[12:13], 0
	s_waitcnt vmcnt(0)
	v_cmp_eq_u32_e32 vcc, 0, v13
	s_nop 1
	v_cndmask_b32_e64 v14, 2, 1, vcc
	v_cmp_eq_u32_e32 vcc, 1, v13
	s_nop 1
	v_cndmask_b32_e32 v15, v11, v10, vcc
	s_branch .LBB364_15
.LBB364_14:                             ;   in Loop: Header=BB364_15 Depth=2
	s_or_b64 exec, exec, s[14:15]
	s_add_i32 s9, s9, 1
	v_cmp_eq_u32_e32 vcc, s9, v14
	s_or_b64 s[12:13], vcc, s[12:13]
	s_andn2_b64 exec, exec, s[12:13]
	s_cbranch_execz .LBB364_17
.LBB364_15:                             ;   Parent Loop BB364_5 Depth=1
                                        ; =>  This Inner Loop Header: Depth=2
	v_cmp_eq_u32_e32 vcc, s9, v13
	s_and_saveexec_b64 s[14:15], vcc
	s_cbranch_execz .LBB364_14
; %bb.16:                               ;   in Loop: Header=BB364_15 Depth=2
	v_add_f32_e32 v12, v12, v15
	global_store_dword v[8:9], v13, off offset:8
	s_branch .LBB364_14
.LBB364_17:                             ;   in Loop: Header=BB364_5 Depth=1
	s_or_b64 exec, exec, s[12:13]
	global_load_dword v6, v[6:7], off offset:12
	s_mov_b32 s9, 0
	s_mov_b64 s[12:13], 0
	s_waitcnt vmcnt(0)
	v_cmp_eq_u32_e32 vcc, 0, v6
	s_nop 1
	v_cndmask_b32_e64 v7, 2, 1, vcc
	v_cmp_eq_u32_e32 vcc, 1, v6
	s_nop 1
	v_cndmask_b32_e32 v13, v11, v10, vcc
	s_branch .LBB364_19
.LBB364_18:                             ;   in Loop: Header=BB364_19 Depth=2
	s_or_b64 exec, exec, s[14:15]
	s_add_i32 s9, s9, 1
	v_cmp_eq_u32_e32 vcc, s9, v7
	s_or_b64 s[12:13], vcc, s[12:13]
	s_andn2_b64 exec, exec, s[12:13]
	s_cbranch_execz .LBB364_4
.LBB364_19:                             ;   Parent Loop BB364_5 Depth=1
                                        ; =>  This Inner Loop Header: Depth=2
	v_cmp_eq_u32_e32 vcc, s9, v6
	s_and_saveexec_b64 s[14:15], vcc
	s_cbranch_execz .LBB364_18
; %bb.20:                               ;   in Loop: Header=BB364_19 Depth=2
	v_add_f32_e32 v12, v12, v13
	global_store_dword v[8:9], v6, off offset:12
	s_branch .LBB364_18
.LBB364_21:
	v_mov_b32_e32 v12, 0
.LBB364_22:
	s_and_b32 s14, s16, 3
	s_cmp_eq_u32 s14, 0
	s_mov_b32 s9, 0
	s_cbranch_scc1 .LBB364_29
; %bb.23:
	s_mov_b32 s15, s9
	s_branch .LBB364_25
.LBB364_24:                             ;   in Loop: Header=BB364_25 Depth=1
	s_or_b64 exec, exec, s[4:5]
	s_add_i32 s8, s8, 1
	s_add_i32 s15, s15, 1
	s_cmp_lg_u32 s15, s14
	s_cbranch_scc0 .LBB364_29
.LBB364_25:                             ; =>This Loop Header: Depth=1
                                        ;     Child Loop BB364_27 Depth 2
	v_lshl_add_u64 v[6:7], s[8:9], 2, v[2:3]
	global_load_dword v5, v[6:7], off
	v_add_u32_e32 v6, s8, v4
	v_ashrrev_i32_e32 v7, 31, v6
	s_mov_b32 s17, 0
	s_waitcnt lgkmcnt(0)
	v_lshl_add_u64 v[6:7], v[6:7], 2, s[2:3]
	s_mov_b64 s[4:5], 0
	s_waitcnt vmcnt(0)
	v_cmp_eq_u32_e32 vcc, 0, v5
	s_nop 1
	v_cndmask_b32_e64 v8, 2, 1, vcc
	v_cmp_eq_u32_e32 vcc, 1, v5
	s_nop 1
	v_cndmask_b32_e32 v9, v11, v10, vcc
	s_branch .LBB364_27
.LBB364_26:                             ;   in Loop: Header=BB364_27 Depth=2
	s_or_b64 exec, exec, s[12:13]
	s_add_i32 s17, s17, 1
	v_cmp_eq_u32_e32 vcc, s17, v8
	s_or_b64 s[4:5], vcc, s[4:5]
	s_andn2_b64 exec, exec, s[4:5]
	s_cbranch_execz .LBB364_24
.LBB364_27:                             ;   Parent Loop BB364_25 Depth=1
                                        ; =>  This Inner Loop Header: Depth=2
	v_cmp_eq_u32_e32 vcc, s17, v5
	s_and_saveexec_b64 s[12:13], vcc
	s_cbranch_execz .LBB364_26
; %bb.28:                               ;   in Loop: Header=BB364_27 Depth=2
	v_add_f32_e32 v12, v12, v9
	global_store_dword v[6:7], v5, off
	s_branch .LBB364_26
.LBB364_29:
	s_load_dword s4, s[0:1], 0x3c
	s_waitcnt lgkmcnt(0)
	s_load_dwordx2 s[2:3], s[0:1], 0x40
	s_bitcmp1_b32 s4, 0
	s_cselect_b64 s[4:5], -1, 0
	s_waitcnt lgkmcnt(0)
	v_cvt_f32_f64_e32 v13, s[2:3]
	s_and_b64 vcc, exec, s[4:5]
	s_cbranch_vccz .LBB364_31
; %bb.30:
	v_cmp_lt_f32_e32 vcc, 0, v12
	s_nop 1
	v_cndmask_b32_e32 v5, 1.0, v12, vcc
	v_div_scale_f32 v6, s[2:3], v5, v5, v13
	v_rcp_f32_e32 v7, v6
	s_nop 0
	v_fma_f32 v8, -v6, v7, 1.0
	v_fmac_f32_e32 v7, v8, v7
	v_div_scale_f32 v8, vcc, v13, v5, v13
	v_mul_f32_e32 v9, v8, v7
	v_fma_f32 v12, -v6, v9, v8
	v_fmac_f32_e32 v9, v12, v7
	v_fma_f32 v6, -v6, v9, v8
	v_div_fmas_f32 v6, v6, v7, v9
	v_div_fixup_f32 v13, v6, v5, v13
.LBB364_31:
	s_andn2_b64 vcc, exec, s[10:11]
	s_cbranch_vccnz .LBB364_56
; %bb.32:
	s_load_dwordx2 s[0:1], s[0:1], 0x10
	s_cmp_lt_u32 s16, 8
	s_mov_b32 s2, 0
	s_cbranch_scc1 .LBB364_51
; %bb.33:
	v_ashrrev_i32_e32 v5, 31, v4
	s_and_b32 s2, s16, 0x7ffffff8
	s_waitcnt lgkmcnt(0)
	v_lshl_add_u64 v[6:7], v[4:5], 2, s[0:1]
	s_mov_b32 s3, 0
	s_mov_b64 s[4:5], 0
	s_branch .LBB364_35
.LBB364_34:                             ;   in Loop: Header=BB364_35 Depth=1
	s_or_b64 exec, exec, s[8:9]
	s_add_i32 s3, s3, 8
	s_add_u32 s4, s4, 32
	s_addc_u32 s5, s5, 0
	s_cmp_lg_u32 s2, s3
	s_cbranch_scc0 .LBB364_51
.LBB364_35:                             ; =>This Inner Loop Header: Depth=1
	v_lshl_add_u64 v[8:9], v[2:3], 0, s[4:5]
	global_load_dword v5, v[8:9], off
	s_waitcnt vmcnt(0)
	v_cmp_gt_u32_e32 vcc, 2, v5
	s_and_saveexec_b64 s[8:9], vcc
	s_cbranch_execz .LBB364_37
; %bb.36:                               ;   in Loop: Header=BB364_35 Depth=1
	v_add_u32_e32 v14, s3, v4
	v_cmp_eq_u32_e32 vcc, 1, v5
	v_ashrrev_i32_e32 v15, 31, v14
	v_lshl_add_u64 v[14:15], v[14:15], 2, s[0:1]
	v_cndmask_b32_e32 v5, v11, v10, vcc
	v_mul_f32_e32 v5, v13, v5
	global_store_dword v[14:15], v5, off
.LBB364_37:                             ;   in Loop: Header=BB364_35 Depth=1
	s_or_b64 exec, exec, s[8:9]
	global_load_dword v5, v[8:9], off offset:4
	s_waitcnt vmcnt(0)
	v_cmp_gt_u32_e32 vcc, 2, v5
	s_and_saveexec_b64 s[8:9], vcc
	s_cbranch_execz .LBB364_39
; %bb.38:                               ;   in Loop: Header=BB364_35 Depth=1
	v_cmp_eq_u32_e32 vcc, 1, v5
	v_lshl_add_u64 v[14:15], v[6:7], 0, s[4:5]
	s_nop 0
	v_cndmask_b32_e32 v5, v11, v10, vcc
	v_mul_f32_e32 v5, v13, v5
	global_store_dword v[14:15], v5, off offset:4
.LBB364_39:                             ;   in Loop: Header=BB364_35 Depth=1
	s_or_b64 exec, exec, s[8:9]
	global_load_dword v5, v[8:9], off offset:8
	s_waitcnt vmcnt(0)
	v_cmp_gt_u32_e32 vcc, 2, v5
	s_and_saveexec_b64 s[8:9], vcc
	s_cbranch_execz .LBB364_41
; %bb.40:                               ;   in Loop: Header=BB364_35 Depth=1
	v_cmp_eq_u32_e32 vcc, 1, v5
	v_lshl_add_u64 v[14:15], v[6:7], 0, s[4:5]
	s_nop 0
	v_cndmask_b32_e32 v5, v11, v10, vcc
	v_mul_f32_e32 v5, v13, v5
	global_store_dword v[14:15], v5, off offset:8
.LBB364_41:                             ;   in Loop: Header=BB364_35 Depth=1
	;; [unrolled: 14-line block ×6, first 2 shown]
	s_or_b64 exec, exec, s[8:9]
	global_load_dword v5, v[8:9], off offset:28
	s_waitcnt vmcnt(0)
	v_cmp_gt_u32_e32 vcc, 2, v5
	s_and_saveexec_b64 s[8:9], vcc
	s_cbranch_execz .LBB364_34
; %bb.50:                               ;   in Loop: Header=BB364_35 Depth=1
	v_cmp_eq_u32_e32 vcc, 1, v5
	v_lshl_add_u64 v[8:9], v[6:7], 0, s[4:5]
	s_nop 0
	v_cndmask_b32_e32 v5, v11, v10, vcc
	v_mul_f32_e32 v5, v13, v5
	global_store_dword v[8:9], v5, off offset:28
	s_branch .LBB364_34
.LBB364_51:
	s_and_b32 s4, s16, 7
	s_cmp_eq_u32 s4, 0
	s_mov_b32 s3, 0
	s_cbranch_scc1 .LBB364_56
; %bb.52:
	v_add_u32_e32 v2, s2, v4
	s_lshl_b64 s[2:3], s[2:3], 2
	s_add_u32 s2, s6, s2
	s_addc_u32 s3, s7, s3
	v_lshl_add_u64 v[0:1], v[0:1], 2, s[2:3]
	s_branch .LBB364_54
.LBB364_53:                             ;   in Loop: Header=BB364_54 Depth=1
	s_or_b64 exec, exec, s[2:3]
	s_add_i32 s4, s4, -1
	v_add_u32_e32 v2, 1, v2
	s_cmp_lg_u32 s4, 0
	v_lshl_add_u64 v[0:1], v[0:1], 0, 4
	s_cbranch_scc0 .LBB364_56
.LBB364_54:                             ; =>This Inner Loop Header: Depth=1
	global_load_dword v3, v[0:1], off
	s_waitcnt vmcnt(0)
	v_cmp_gt_u32_e32 vcc, 2, v3
	s_and_saveexec_b64 s[2:3], vcc
	s_cbranch_execz .LBB364_53
; %bb.55:                               ;   in Loop: Header=BB364_54 Depth=1
	v_cmp_eq_u32_e32 vcc, 1, v3
	s_nop 1
	v_cndmask_b32_e32 v3, v11, v10, vcc
	v_mul_f32_e32 v6, v13, v3
	v_ashrrev_i32_e32 v3, 31, v2
	s_waitcnt lgkmcnt(0)
	v_lshl_add_u64 v[4:5], v[2:3], 2, s[0:1]
	global_store_dword v[4:5], v6, off
	s_branch .LBB364_53
.LBB364_56:
	s_endpgm
	.section	.rodata,"a",@progbits
	.p2align	6, 0x0
	.amdhsa_kernel _ZN4vllm3moe22topkGatingSoftplusSqrtILi2ELi2ELi4ELi4ELi64ELb1Ei14__hip_bfloat16EEvPKT6_PKbPfiPT5_PiiiibdPKfPKS9_SF_
		.amdhsa_group_segment_fixed_size 0
		.amdhsa_private_segment_fixed_size 0
		.amdhsa_kernarg_size 96
		.amdhsa_user_sgpr_count 2
		.amdhsa_user_sgpr_dispatch_ptr 0
		.amdhsa_user_sgpr_queue_ptr 0
		.amdhsa_user_sgpr_kernarg_segment_ptr 1
		.amdhsa_user_sgpr_dispatch_id 0
		.amdhsa_user_sgpr_kernarg_preload_length 0
		.amdhsa_user_sgpr_kernarg_preload_offset 0
		.amdhsa_user_sgpr_private_segment_size 0
		.amdhsa_uses_dynamic_stack 0
		.amdhsa_enable_private_segment 0
		.amdhsa_system_sgpr_workgroup_id_x 1
		.amdhsa_system_sgpr_workgroup_id_y 0
		.amdhsa_system_sgpr_workgroup_id_z 0
		.amdhsa_system_sgpr_workgroup_info 0
		.amdhsa_system_vgpr_workitem_id 1
		.amdhsa_next_free_vgpr 19
		.amdhsa_next_free_sgpr 18
		.amdhsa_accum_offset 20
		.amdhsa_reserve_vcc 1
		.amdhsa_float_round_mode_32 0
		.amdhsa_float_round_mode_16_64 0
		.amdhsa_float_denorm_mode_32 3
		.amdhsa_float_denorm_mode_16_64 3
		.amdhsa_dx10_clamp 1
		.amdhsa_ieee_mode 1
		.amdhsa_fp16_overflow 0
		.amdhsa_tg_split 0
		.amdhsa_exception_fp_ieee_invalid_op 0
		.amdhsa_exception_fp_denorm_src 0
		.amdhsa_exception_fp_ieee_div_zero 0
		.amdhsa_exception_fp_ieee_overflow 0
		.amdhsa_exception_fp_ieee_underflow 0
		.amdhsa_exception_fp_ieee_inexact 0
		.amdhsa_exception_int_div_zero 0
	.end_amdhsa_kernel
	.section	.text._ZN4vllm3moe22topkGatingSoftplusSqrtILi2ELi2ELi4ELi4ELi64ELb1Ei14__hip_bfloat16EEvPKT6_PKbPfiPT5_PiiiibdPKfPKS9_SF_,"axG",@progbits,_ZN4vllm3moe22topkGatingSoftplusSqrtILi2ELi2ELi4ELi4ELi64ELb1Ei14__hip_bfloat16EEvPKT6_PKbPfiPT5_PiiiibdPKfPKS9_SF_,comdat
.Lfunc_end364:
	.size	_ZN4vllm3moe22topkGatingSoftplusSqrtILi2ELi2ELi4ELi4ELi64ELb1Ei14__hip_bfloat16EEvPKT6_PKbPfiPT5_PiiiibdPKfPKS9_SF_, .Lfunc_end364-_ZN4vllm3moe22topkGatingSoftplusSqrtILi2ELi2ELi4ELi4ELi64ELb1Ei14__hip_bfloat16EEvPKT6_PKbPfiPT5_PiiiibdPKfPKS9_SF_
                                        ; -- End function
	.section	.AMDGPU.csdata,"",@progbits
; Kernel info:
; codeLenInByte = 2284
; NumSgprs: 24
; NumVgprs: 19
; NumAgprs: 0
; TotalNumVgprs: 19
; ScratchSize: 0
; MemoryBound: 0
; FloatMode: 240
; IeeeMode: 1
; LDSByteSize: 0 bytes/workgroup (compile time only)
; SGPRBlocks: 2
; VGPRBlocks: 2
; NumSGPRsForWavesPerEU: 24
; NumVGPRsForWavesPerEU: 19
; AccumOffset: 20
; Occupancy: 8
; WaveLimiterHint : 1
; COMPUTE_PGM_RSRC2:SCRATCH_EN: 0
; COMPUTE_PGM_RSRC2:USER_SGPR: 2
; COMPUTE_PGM_RSRC2:TRAP_HANDLER: 0
; COMPUTE_PGM_RSRC2:TGID_X_EN: 1
; COMPUTE_PGM_RSRC2:TGID_Y_EN: 0
; COMPUTE_PGM_RSRC2:TGID_Z_EN: 0
; COMPUTE_PGM_RSRC2:TIDIG_COMP_CNT: 1
; COMPUTE_PGM_RSRC3_GFX90A:ACCUM_OFFSET: 4
; COMPUTE_PGM_RSRC3_GFX90A:TG_SPLIT: 0
	.section	.text._ZN4vllm3moe22topkGatingSoftplusSqrtILi2ELi2ELi4ELi4ELi64ELb0Ei14__hip_bfloat16EEvPKT6_PKbPfiPT5_PiiiibdPKfPKS9_SF_,"axG",@progbits,_ZN4vllm3moe22topkGatingSoftplusSqrtILi2ELi2ELi4ELi4ELi64ELb0Ei14__hip_bfloat16EEvPKT6_PKbPfiPT5_PiiiibdPKfPKS9_SF_,comdat
	.protected	_ZN4vllm3moe22topkGatingSoftplusSqrtILi2ELi2ELi4ELi4ELi64ELb0Ei14__hip_bfloat16EEvPKT6_PKbPfiPT5_PiiiibdPKfPKS9_SF_ ; -- Begin function _ZN4vllm3moe22topkGatingSoftplusSqrtILi2ELi2ELi4ELi4ELi64ELb0Ei14__hip_bfloat16EEvPKT6_PKbPfiPT5_PiiiibdPKfPKS9_SF_
	.globl	_ZN4vllm3moe22topkGatingSoftplusSqrtILi2ELi2ELi4ELi4ELi64ELb0Ei14__hip_bfloat16EEvPKT6_PKbPfiPT5_PiiiibdPKfPKS9_SF_
	.p2align	8
	.type	_ZN4vllm3moe22topkGatingSoftplusSqrtILi2ELi2ELi4ELi4ELi64ELb0Ei14__hip_bfloat16EEvPKT6_PKbPfiPT5_PiiiibdPKfPKS9_SF_,@function
_ZN4vllm3moe22topkGatingSoftplusSqrtILi2ELi2ELi4ELi4ELi64ELb0Ei14__hip_bfloat16EEvPKT6_PKbPfiPT5_PiiiibdPKfPKS9_SF_: ; @_ZN4vllm3moe22topkGatingSoftplusSqrtILi2ELi2ELi4ELi4ELi64ELb0Ei14__hip_bfloat16EEvPKT6_PKbPfiPT5_PiiiibdPKfPKS9_SF_
; %bb.0:
	s_load_dword s24, s[0:1], 0x18
	v_bfe_u32 v1, v0, 10, 10
	s_lshl_b32 s2, s2, 8
	v_lshlrev_b32_e32 v1, 6, v1
	v_and_b32_e32 v0, 0x3ff, v0
	v_add3_u32 v0, v1, v0, s2
	s_waitcnt lgkmcnt(0)
	v_cmp_gt_i32_e32 vcc, s24, v0
	s_and_saveexec_b64 s[2:3], vcc
	s_cbranch_execz .LBB365_28
; %bb.1:
	s_load_dwordx4 s[4:7], s[0:1], 0x0
	s_load_dwordx2 s[16:17], s[0:1], 0x10
	s_waitcnt lgkmcnt(0)
	s_cmp_eq_u64 s[6:7], 0
	s_cbranch_scc1 .LBB365_3
; %bb.2:
	v_ashrrev_i32_e32 v1, 31, v0
	v_lshl_add_u64 v[2:3], s[6:7], 0, v[0:1]
	global_load_ubyte v1, v[2:3], off
	s_waitcnt vmcnt(0)
	v_and_b32_e32 v1, 1, v1
	v_cmp_eq_u32_e32 vcc, 1, v1
	s_xor_b64 s[2:3], vcc, -1
	s_orn2_b64 s[18:19], s[2:3], exec
	s_branch .LBB365_4
.LBB365_3:
	s_mov_b64 s[18:19], -1
.LBB365_4:
	v_lshlrev_b32_e32 v4, 1, v0
	v_mov_b32_e32 v2, s4
	v_mov_b32_e32 v3, s5
	v_ashrrev_i32_e32 v5, 31, v4
	v_lshl_add_u64 v[2:3], v[4:5], 1, v[2:3]
	global_load_dword v2, v[2:3], off
	s_mov_b32 s14, 0x800000
	v_mov_b32_e32 v3, 0x4f800000
	s_mov_b32 s7, 0x3f317217
	s_mov_b32 s12, 0x7f800000
	v_mov_b32_e32 v5, 0x41b17218
	s_mov_b32 s6, 0x41a00000
	s_mov_b32 s13, 0xf800000
	s_load_dwordx4 s[8:11], s[0:1], 0x40
	s_waitcnt lgkmcnt(0)
	s_cmp_lg_u64 s[10:11], 0
	s_cselect_b64 s[20:21], -1, 0
	s_and_b64 s[2:3], exec, s[20:21]
	s_waitcnt vmcnt(0)
	v_lshlrev_b32_e32 v4, 16, v2
	v_mul_f32_e32 v1, 0x3fb8aa3b, v4
	v_exp_f32_e32 v1, v1
	s_nop 0
	v_add_f32_e32 v1, 1.0, v1
	v_cmp_gt_f32_e32 vcc, s14, v1
	s_nop 1
	v_cndmask_b32_e32 v6, 1.0, v3, vcc
	v_mul_f32_e32 v1, v1, v6
	v_log_f32_e32 v6, v1
	v_cndmask_b32_e32 v7, 0, v5, vcc
	v_mov_b32_e32 v1, 0x260
	v_mul_f32_e32 v8, 0x3f317217, v6
	v_fma_f32 v8, v6, s7, -v8
	v_fmac_f32_e32 v8, 0x3377d1cf, v6
	v_fmac_f32_e32 v8, 0x3f317217, v6
	v_cmp_lt_f32_e64 vcc, |v6|, s12
	s_nop 1
	v_cndmask_b32_e32 v6, v6, v8, vcc
	v_sub_f32_e32 v6, v6, v7
	v_cmp_lt_f32_e32 vcc, s6, v4
	s_nop 1
	v_cndmask_b32_e32 v4, v6, v4, vcc
	v_mul_f32_e32 v6, 0x4f800000, v4
	v_cmp_gt_f32_e32 vcc, s13, v4
	s_nop 1
	v_cndmask_b32_e32 v4, v4, v6, vcc
	v_sqrt_f32_e32 v6, v4
	s_nop 0
	v_add_u32_e32 v7, -1, v6
	v_add_u32_e32 v8, 1, v6
	v_fma_f32 v9, -v7, v6, v4
	v_fma_f32 v10, -v8, v6, v4
	v_cmp_ge_f32_e64 s[4:5], 0, v9
	s_nop 1
	v_cndmask_b32_e64 v6, v6, v7, s[4:5]
	v_cmp_lt_f32_e64 s[4:5], 0, v10
	s_nop 1
	v_cndmask_b32_e64 v6, v6, v8, s[4:5]
	v_mul_f32_e32 v7, 0x37800000, v6
	v_cndmask_b32_e32 v6, v6, v7, vcc
	v_cmp_class_f32_e32 vcc, v4, v1
	s_nop 1
	v_cndmask_b32_e32 v4, v6, v4, vcc
	s_mov_b64 vcc, s[2:3]
	s_cbranch_vccz .LBB365_6
; %bb.5:
	s_load_dword s2, s[10:11], 0x0
	s_waitcnt lgkmcnt(0)
	v_add_f32_e32 v4, s2, v4
.LBB365_6:
	v_and_b32_e32 v2, 0xffff0000, v2
	v_mul_f32_e32 v6, 0x3fb8aa3b, v2
	v_exp_f32_e32 v6, v6
	s_nop 0
	v_add_f32_e32 v6, 1.0, v6
	v_cmp_gt_f32_e32 vcc, s14, v6
	s_nop 1
	v_cndmask_b32_e32 v3, 1.0, v3, vcc
	v_mul_f32_e32 v3, v6, v3
	v_log_f32_e32 v3, v3
	v_cndmask_b32_e32 v5, 0, v5, vcc
	v_mul_f32_e32 v6, 0x3f317217, v3
	v_fma_f32 v6, v3, s7, -v6
	v_fmac_f32_e32 v6, 0x3377d1cf, v3
	v_fmac_f32_e32 v6, 0x3f317217, v3
	v_cmp_lt_f32_e64 vcc, |v3|, s12
	s_nop 1
	v_cndmask_b32_e32 v3, v3, v6, vcc
	v_sub_f32_e32 v3, v3, v5
	v_cmp_lt_f32_e32 vcc, s6, v2
	s_nop 1
	v_cndmask_b32_e32 v2, v3, v2, vcc
	v_mul_f32_e32 v3, 0x4f800000, v2
	v_cmp_gt_f32_e32 vcc, s13, v2
	s_nop 1
	v_cndmask_b32_e32 v2, v2, v3, vcc
	v_sqrt_f32_e32 v3, v2
	s_nop 0
	v_add_u32_e32 v5, -1, v3
	v_add_u32_e32 v6, 1, v3
	v_fma_f32 v7, -v5, v3, v2
	v_fma_f32 v8, -v6, v3, v2
	v_cmp_ge_f32_e64 s[2:3], 0, v7
	s_nop 1
	v_cndmask_b32_e64 v3, v3, v5, s[2:3]
	v_cmp_lt_f32_e64 s[2:3], 0, v8
	s_nop 1
	v_cndmask_b32_e64 v3, v3, v6, s[2:3]
	v_mul_f32_e32 v5, 0x37800000, v3
	v_cndmask_b32_e32 v3, v3, v5, vcc
	v_cmp_class_f32_e64 s[2:3], v2, v1
	s_andn2_b64 vcc, exec, s[20:21]
	s_nop 0
	v_cndmask_b32_e64 v1, v3, v2, s[2:3]
	s_cbranch_vccnz .LBB365_8
; %bb.7:
	s_load_dword s2, s[10:11], 0x4
	s_waitcnt lgkmcnt(0)
	v_add_f32_e32 v1, s2, v1
.LBB365_8:
	s_load_dwordx4 s[4:7], s[0:1], 0x30
	s_mov_b32 s25, 0
	s_waitcnt lgkmcnt(0)
	s_bitcmp1_b32 s7, 0
	s_cselect_b64 s[2:3], -1, 0
	s_cmp_gt_i32 s4, 0
	s_cselect_b64 s[22:23], -1, 0
	s_and_b64 vcc, exec, s[22:23]
	v_mul_lo_u32 v2, v0, s4
	s_cbranch_vccz .LBB365_15
; %bb.9:
	s_load_dwordx4 s[12:15], s[0:1], 0x20
	v_mov_b32_e32 v3, 0
	v_mov_b32_e32 v5, 0xc61c4000
	s_branch .LBB365_11
.LBB365_10:                             ;   in Loop: Header=BB365_11 Depth=1
	v_add_u32_e32 v8, s25, v2
	v_ashrrev_i32_e32 v9, 31, v8
	v_cmp_le_i32_e32 vcc, s5, v6
	v_cmp_gt_i32_e64 s[0:1], s6, v6
	v_lshlrev_b64 v[8:9], 2, v[8:9]
	s_and_b64 s[0:1], vcc, s[0:1]
	v_lshl_add_u64 v[10:11], s[16:17], 0, v[8:9]
	global_store_dword v[10:11], v7, off
	v_subrev_u32_e32 v10, s5, v6
	s_and_b64 vcc, s[18:19], s[0:1]
	v_cndmask_b32_e32 v12, 2, v10, vcc
	v_add_f32_e32 v7, v3, v7
	s_add_i32 s25, s25, 1
	v_cmp_ne_u32_e32 vcc, 0, v6
	v_cndmask_b32_e64 v3, v3, v7, s[2:3]
	s_cmp_lt_i32 s25, s4
	v_cndmask_b32_e32 v7, v5, v4, vcc
	v_cmp_ne_u32_e32 vcc, 1, v6
	s_waitcnt lgkmcnt(0)
	v_lshl_add_u64 v[10:11], s[12:13], 0, v[8:9]
	v_lshl_add_u64 v[8:9], s[14:15], 0, v[8:9]
	v_cndmask_b32_e32 v6, v5, v1, vcc
	s_cselect_b64 vcc, -1, 0
	global_store_dword v[10:11], v12, off
	global_store_dword v[8:9], v0, off
	v_cndmask_b32_e32 v1, v1, v6, vcc
	v_cndmask_b32_e32 v4, v4, v7, vcc
	s_cmp_lg_u32 s4, s25
	v_add_u32_e32 v0, s24, v0
	s_cbranch_scc0 .LBB365_16
.LBB365_11:                             ; =>This Inner Loop Header: Depth=1
	v_cmp_gt_f32_e32 vcc, v1, v4
	s_and_b64 s[0:1], exec, s[20:21]
	s_nop 0
	v_cndmask_b32_e32 v8, v4, v1, vcc
	v_cndmask_b32_e64 v6, 0, 1, vcc
	s_mov_b64 vcc, s[0:1]
	s_cbranch_vccz .LBB365_13
; %bb.12:                               ;   in Loop: Header=BB365_11 Depth=1
	v_lshlrev_b32_e32 v7, 2, v6
	global_load_dword v7, v7, s[10:11]
	s_waitcnt vmcnt(0)
	v_sub_f32_e32 v7, v8, v7
	s_cbranch_execnz .LBB365_10
	s_branch .LBB365_14
.LBB365_13:                             ;   in Loop: Header=BB365_11 Depth=1
                                        ; implicit-def: $vgpr7
.LBB365_14:                             ;   in Loop: Header=BB365_11 Depth=1
	v_mov_b32_e32 v7, v8
	s_branch .LBB365_10
.LBB365_15:
	v_mov_b32_e32 v3, 0
.LBB365_16:
	s_andn2_b64 vcc, exec, s[2:3]
	v_cvt_f32_f64_e32 v0, s[8:9]
	s_cbranch_vccnz .LBB365_18
; %bb.17:
	v_cmp_lt_f32_e32 vcc, 0, v3
	s_nop 1
	v_cndmask_b32_e32 v1, 1.0, v3, vcc
	v_div_scale_f32 v3, s[0:1], v1, v1, v0
	v_rcp_f32_e32 v4, v3
	s_nop 0
	v_fma_f32 v5, -v3, v4, 1.0
	v_fmac_f32_e32 v4, v5, v4
	v_div_scale_f32 v5, vcc, v0, v1, v0
	v_mul_f32_e32 v6, v5, v4
	v_fma_f32 v7, -v3, v6, v5
	v_fmac_f32_e32 v6, v7, v4
	v_fma_f32 v3, -v3, v6, v5
	v_div_fmas_f32 v3, v3, v4, v6
	v_div_fixup_f32 v0, v3, v1, v0
.LBB365_18:
	s_andn2_b64 vcc, exec, s[22:23]
	s_cbranch_vccnz .LBB365_28
; %bb.19:
	s_cmp_gt_u32 s4, 3
	v_ashrrev_i32_e32 v3, 31, v2
	s_cbranch_scc0 .LBB365_23
; %bb.20:
	s_and_b32 s0, s4, 0x7ffffffc
	v_lshl_add_u64 v[4:5], v[2:3], 2, s[16:17]
	v_mov_b32_e32 v1, v0
	v_lshl_add_u64 v[4:5], v[4:5], 0, 8
	s_mov_b32 s1, s0
.LBB365_21:                             ; =>This Inner Loop Header: Depth=1
	global_load_dwordx4 v[6:9], v[4:5], off offset:-8
	s_add_i32 s1, s1, -4
	s_cmp_lg_u32 s1, 0
	s_waitcnt vmcnt(0)
	v_pk_mul_f32 v[6:7], v[0:1], v[6:7]
	v_pk_mul_f32 v[8:9], v[0:1], v[8:9]
	global_store_dwordx4 v[4:5], v[6:9], off offset:-8
	v_lshl_add_u64 v[4:5], v[4:5], 0, 16
	s_cbranch_scc1 .LBB365_21
; %bb.22:
	s_cmp_lg_u32 s0, s4
	s_cselect_b64 s[2:3], -1, 0
	s_branch .LBB365_25
.LBB365_23:
	s_mov_b64 s[2:3], 0
                                        ; implicit-def: $sgpr0
	s_cbranch_execz .LBB365_25
; %bb.24:
	s_mov_b64 s[2:3], -1
	s_mov_b32 s0, 0
.LBB365_25:
	s_andn2_b64 vcc, exec, s[2:3]
	s_cbranch_vccnz .LBB365_28
; %bb.26:
	s_mov_b32 s1, 0
	v_lshl_add_u64 v[2:3], v[2:3], 0, s[0:1]
	s_sub_i32 s2, s4, s0
	v_lshl_add_u64 v[2:3], v[2:3], 2, s[16:17]
.LBB365_27:                             ; =>This Inner Loop Header: Depth=1
	global_load_dword v1, v[2:3], off
	s_add_i32 s2, s2, -1
	s_cmp_lg_u32 s2, 0
	s_waitcnt vmcnt(0)
	v_mul_f32_e32 v1, v0, v1
	global_store_dword v[2:3], v1, off
	v_lshl_add_u64 v[2:3], v[2:3], 0, 4
	s_cbranch_scc1 .LBB365_27
.LBB365_28:
	s_endpgm
	.section	.rodata,"a",@progbits
	.p2align	6, 0x0
	.amdhsa_kernel _ZN4vllm3moe22topkGatingSoftplusSqrtILi2ELi2ELi4ELi4ELi64ELb0Ei14__hip_bfloat16EEvPKT6_PKbPfiPT5_PiiiibdPKfPKS9_SF_
		.amdhsa_group_segment_fixed_size 0
		.amdhsa_private_segment_fixed_size 0
		.amdhsa_kernarg_size 96
		.amdhsa_user_sgpr_count 2
		.amdhsa_user_sgpr_dispatch_ptr 0
		.amdhsa_user_sgpr_queue_ptr 0
		.amdhsa_user_sgpr_kernarg_segment_ptr 1
		.amdhsa_user_sgpr_dispatch_id 0
		.amdhsa_user_sgpr_kernarg_preload_length 0
		.amdhsa_user_sgpr_kernarg_preload_offset 0
		.amdhsa_user_sgpr_private_segment_size 0
		.amdhsa_uses_dynamic_stack 0
		.amdhsa_enable_private_segment 0
		.amdhsa_system_sgpr_workgroup_id_x 1
		.amdhsa_system_sgpr_workgroup_id_y 0
		.amdhsa_system_sgpr_workgroup_id_z 0
		.amdhsa_system_sgpr_workgroup_info 0
		.amdhsa_system_vgpr_workitem_id 1
		.amdhsa_next_free_vgpr 13
		.amdhsa_next_free_sgpr 26
		.amdhsa_accum_offset 16
		.amdhsa_reserve_vcc 1
		.amdhsa_float_round_mode_32 0
		.amdhsa_float_round_mode_16_64 0
		.amdhsa_float_denorm_mode_32 3
		.amdhsa_float_denorm_mode_16_64 3
		.amdhsa_dx10_clamp 1
		.amdhsa_ieee_mode 1
		.amdhsa_fp16_overflow 0
		.amdhsa_tg_split 0
		.amdhsa_exception_fp_ieee_invalid_op 0
		.amdhsa_exception_fp_denorm_src 0
		.amdhsa_exception_fp_ieee_div_zero 0
		.amdhsa_exception_fp_ieee_overflow 0
		.amdhsa_exception_fp_ieee_underflow 0
		.amdhsa_exception_fp_ieee_inexact 0
		.amdhsa_exception_int_div_zero 0
	.end_amdhsa_kernel
	.section	.text._ZN4vllm3moe22topkGatingSoftplusSqrtILi2ELi2ELi4ELi4ELi64ELb0Ei14__hip_bfloat16EEvPKT6_PKbPfiPT5_PiiiibdPKfPKS9_SF_,"axG",@progbits,_ZN4vllm3moe22topkGatingSoftplusSqrtILi2ELi2ELi4ELi4ELi64ELb0Ei14__hip_bfloat16EEvPKT6_PKbPfiPT5_PiiiibdPKfPKS9_SF_,comdat
.Lfunc_end365:
	.size	_ZN4vllm3moe22topkGatingSoftplusSqrtILi2ELi2ELi4ELi4ELi64ELb0Ei14__hip_bfloat16EEvPKT6_PKbPfiPT5_PiiiibdPKfPKS9_SF_, .Lfunc_end365-_ZN4vllm3moe22topkGatingSoftplusSqrtILi2ELi2ELi4ELi4ELi64ELb0Ei14__hip_bfloat16EEvPKT6_PKbPfiPT5_PiiiibdPKfPKS9_SF_
                                        ; -- End function
	.section	.AMDGPU.csdata,"",@progbits
; Kernel info:
; codeLenInByte = 1388
; NumSgprs: 32
; NumVgprs: 13
; NumAgprs: 0
; TotalNumVgprs: 13
; ScratchSize: 0
; MemoryBound: 0
; FloatMode: 240
; IeeeMode: 1
; LDSByteSize: 0 bytes/workgroup (compile time only)
; SGPRBlocks: 3
; VGPRBlocks: 1
; NumSGPRsForWavesPerEU: 32
; NumVGPRsForWavesPerEU: 13
; AccumOffset: 16
; Occupancy: 8
; WaveLimiterHint : 0
; COMPUTE_PGM_RSRC2:SCRATCH_EN: 0
; COMPUTE_PGM_RSRC2:USER_SGPR: 2
; COMPUTE_PGM_RSRC2:TRAP_HANDLER: 0
; COMPUTE_PGM_RSRC2:TGID_X_EN: 1
; COMPUTE_PGM_RSRC2:TGID_Y_EN: 0
; COMPUTE_PGM_RSRC2:TGID_Z_EN: 0
; COMPUTE_PGM_RSRC2:TIDIG_COMP_CNT: 1
; COMPUTE_PGM_RSRC3_GFX90A:ACCUM_OFFSET: 3
; COMPUTE_PGM_RSRC3_GFX90A:TG_SPLIT: 0
	.section	.text._ZN4vllm3moe22topkGatingSoftplusSqrtILi2ELi2ELi4ELi4ELi32ELb1Ei14__hip_bfloat16EEvPKT6_PKbPfiPT5_PiiiibdPKfPKS9_SF_,"axG",@progbits,_ZN4vllm3moe22topkGatingSoftplusSqrtILi2ELi2ELi4ELi4ELi32ELb1Ei14__hip_bfloat16EEvPKT6_PKbPfiPT5_PiiiibdPKfPKS9_SF_,comdat
	.protected	_ZN4vllm3moe22topkGatingSoftplusSqrtILi2ELi2ELi4ELi4ELi32ELb1Ei14__hip_bfloat16EEvPKT6_PKbPfiPT5_PiiiibdPKfPKS9_SF_ ; -- Begin function _ZN4vllm3moe22topkGatingSoftplusSqrtILi2ELi2ELi4ELi4ELi32ELb1Ei14__hip_bfloat16EEvPKT6_PKbPfiPT5_PiiiibdPKfPKS9_SF_
	.globl	_ZN4vllm3moe22topkGatingSoftplusSqrtILi2ELi2ELi4ELi4ELi32ELb1Ei14__hip_bfloat16EEvPKT6_PKbPfiPT5_PiiiibdPKfPKS9_SF_
	.p2align	8
	.type	_ZN4vllm3moe22topkGatingSoftplusSqrtILi2ELi2ELi4ELi4ELi32ELb1Ei14__hip_bfloat16EEvPKT6_PKbPfiPT5_PiiiibdPKfPKS9_SF_,@function
_ZN4vllm3moe22topkGatingSoftplusSqrtILi2ELi2ELi4ELi4ELi32ELb1Ei14__hip_bfloat16EEvPKT6_PKbPfiPT5_PiiiibdPKfPKS9_SF_: ; @_ZN4vllm3moe22topkGatingSoftplusSqrtILi2ELi2ELi4ELi4ELi32ELb1Ei14__hip_bfloat16EEvPKT6_PKbPfiPT5_PiiiibdPKfPKS9_SF_
; %bb.0:
	s_load_dword s3, s[0:1], 0x18
	v_bfe_u32 v1, v0, 10, 10
	s_lshl_b32 s2, s2, 7
	v_lshlrev_b32_e32 v1, 5, v1
	v_and_b32_e32 v0, 0x3ff, v0
	v_add3_u32 v4, v1, v0, s2
	s_waitcnt lgkmcnt(0)
	v_cmp_gt_i32_e32 vcc, s3, v4
	s_and_saveexec_b64 s[2:3], vcc
	s_cbranch_execz .LBB366_56
; %bb.1:
	s_load_dwordx2 s[2:3], s[0:1], 0x0
	s_load_dword s16, s[0:1], 0x30
	s_load_dwordx4 s[4:7], s[0:1], 0x50
	v_lshlrev_b32_e32 v0, 1, v4
	v_ashrrev_i32_e32 v1, 31, v0
	s_waitcnt lgkmcnt(0)
	v_lshl_add_u64 v[0:1], v[0:1], 1, s[2:3]
	global_load_dword v2, v[0:1], off
	v_ashrrev_i32_e32 v5, 31, v4
	v_mov_b32_e32 v0, s4
	v_mov_b32_e32 v1, s5
	v_lshl_add_u64 v[0:1], v[4:5], 2, v[0:1]
	global_load_dword v0, v[0:1], off
	s_mov_b32 s2, 0x800000
	v_mov_b32_e32 v5, 0x4f800000
	s_mov_b32 s5, 0x3f317217
	s_mov_b32 s9, 0x7f800000
	v_mov_b32_e32 v6, 0x41b17218
	s_mov_b32 s4, 0x41a00000
	s_mov_b32 s12, 0xf800000
	v_mov_b32_e32 v7, 0x260
	s_cmp_gt_i32 s16, 0
	s_mov_b32 s8, 0
	v_mov_b32_e32 v12, 0
	s_cselect_b64 s[10:11], -1, 0
	s_cmp_lt_i32 s16, 1
	v_mul_lo_u32 v4, v4, s16
	s_waitcnt vmcnt(1)
	v_and_b32_e32 v8, 0xffff0000, v2
	v_lshlrev_b32_e32 v9, 16, v2
	v_mul_f32_e32 v1, 0x3fb8aa3b, v9
	v_mul_f32_e32 v3, 0x3fb8aa3b, v8
	v_exp_f32_e32 v2, v1
	v_exp_f32_e32 v3, v3
	s_waitcnt vmcnt(0)
	v_mul_lo_u32 v0, v0, s16
	v_ashrrev_i32_e32 v1, 31, v0
	v_pk_add_f32 v[2:3], v[2:3], 1.0 op_sel_hi:[1,0]
	s_nop 0
	v_cmp_gt_f32_e32 vcc, s2, v3
	v_cmp_gt_f32_e64 s[2:3], s2, v2
	s_nop 0
	v_cndmask_b32_e32 v10, 1.0, v5, vcc
	v_cndmask_b32_e64 v5, 1.0, v5, s[2:3]
	v_mul_f32_e32 v3, v3, v10
	v_mul_f32_e32 v2, v2, v5
	v_log_f32_e32 v3, v3
	v_log_f32_e32 v2, v2
	v_cndmask_b32_e32 v5, 0, v6, vcc
	v_cndmask_b32_e64 v6, 0, v6, s[2:3]
	v_mul_f32_e32 v10, 0x3f317217, v3
	v_mul_f32_e32 v11, 0x3f317217, v2
	v_fma_f32 v10, v3, s5, -v10
	v_fma_f32 v11, v2, s5, -v11
	v_fmac_f32_e32 v10, 0x3377d1cf, v3
	v_fmac_f32_e32 v11, 0x3377d1cf, v2
	;; [unrolled: 1-line block ×3, first 2 shown]
	v_cmp_lt_f32_e64 vcc, |v3|, s9
	v_fmac_f32_e32 v11, 0x3f317217, v2
	s_nop 0
	v_cndmask_b32_e32 v3, v3, v10, vcc
	v_cmp_lt_f32_e64 vcc, |v2|, s9
	v_sub_f32_e32 v3, v3, v5
	s_nop 0
	v_cndmask_b32_e32 v2, v2, v11, vcc
	v_sub_f32_e32 v2, v2, v6
	v_cmp_lt_f32_e32 vcc, s4, v9
	s_nop 1
	v_cndmask_b32_e32 v2, v2, v9, vcc
	v_cmp_lt_f32_e32 vcc, s4, v8
	v_mul_f32_e32 v6, 0x4f800000, v2
	v_cmp_gt_f32_e64 s[2:3], s12, v2
	v_cndmask_b32_e32 v3, v3, v8, vcc
	v_mul_f32_e32 v5, 0x4f800000, v3
	v_cmp_gt_f32_e32 vcc, s12, v3
	v_cndmask_b32_e64 v6, v2, v6, s[2:3]
	v_sqrt_f32_e32 v9, v6
	v_cndmask_b32_e32 v5, v3, v5, vcc
	v_sqrt_f32_e32 v8, v5
	v_lshl_add_u64 v[2:3], v[0:1], 2, s[6:7]
	v_add_u32_e32 v13, -1, v9
	v_fma_f32 v17, -v13, v9, v6
	v_add_u32_e32 v10, -1, v8
	v_fma_f32 v15, -v10, v8, v5
	v_add_u32_e32 v11, 1, v8
	v_cmp_ge_f32_e64 s[4:5], 0, v15
	v_add_u32_e32 v14, 1, v9
	v_fma_f32 v16, -v11, v8, v5
	v_cndmask_b32_e64 v8, v8, v10, s[4:5]
	v_cmp_ge_f32_e64 s[4:5], 0, v17
	v_fma_f32 v18, -v14, v9, v6
	s_nop 0
	v_cndmask_b32_e64 v9, v9, v13, s[4:5]
	v_cmp_lt_f32_e64 s[4:5], 0, v16
	s_nop 1
	v_cndmask_b32_e64 v8, v8, v11, s[4:5]
	v_cmp_lt_f32_e64 s[4:5], 0, v18
	v_mul_f32_e32 v10, 0x37800000, v8
	v_cndmask_b32_e32 v8, v8, v10, vcc
	v_cndmask_b32_e64 v9, v9, v14, s[4:5]
	v_mul_f32_e32 v11, 0x37800000, v9
	v_cmp_class_f32_e32 vcc, v5, v7
	v_cndmask_b32_e64 v9, v9, v11, s[2:3]
	s_nop 0
	v_cndmask_b32_e32 v10, v8, v5, vcc
	v_cmp_class_f32_e32 vcc, v6, v7
	s_nop 1
	v_cndmask_b32_e32 v11, v9, v6, vcc
	s_cbranch_scc1 .LBB366_29
; %bb.2:
	s_load_dwordx2 s[2:3], s[0:1], 0x20
	s_cmp_lt_u32 s16, 4
	s_cbranch_scc1 .LBB366_21
; %bb.3:
	s_mov_b32 s5, 0
	s_and_b32 s8, s16, 0x7ffffffc
	v_ashrrev_i32_e32 v5, 31, v4
	v_mov_b32_e32 v12, 0
	s_mov_b32 s4, s5
	s_branch .LBB366_5
.LBB366_4:                              ;   in Loop: Header=BB366_5 Depth=1
	s_or_b64 exec, exec, s[12:13]
	s_add_i32 s4, s4, 4
	s_cmp_eq_u32 s4, s8
	s_cbranch_scc1 .LBB366_22
.LBB366_5:                              ; =>This Loop Header: Depth=1
                                        ;     Child Loop BB366_7 Depth 2
                                        ;     Child Loop BB366_11 Depth 2
	;; [unrolled: 1-line block ×4, first 2 shown]
	v_lshl_add_u64 v[6:7], s[4:5], 2, v[2:3]
	global_load_dword v13, v[6:7], off
	v_add_u32_e32 v8, s4, v4
	v_ashrrev_i32_e32 v9, 31, v8
	s_mov_b64 s[12:13], 0
	s_waitcnt lgkmcnt(0)
	v_lshl_add_u64 v[8:9], v[8:9], 2, s[2:3]
	s_mov_b32 s9, 0
	s_waitcnt vmcnt(0)
	v_cmp_eq_u32_e32 vcc, 0, v13
	s_nop 1
	v_cndmask_b32_e64 v14, 2, 1, vcc
	v_cmp_eq_u32_e32 vcc, 1, v13
	s_nop 1
	v_cndmask_b32_e32 v15, v11, v10, vcc
	s_branch .LBB366_7
.LBB366_6:                              ;   in Loop: Header=BB366_7 Depth=2
	s_or_b64 exec, exec, s[14:15]
	s_add_i32 s9, s9, 1
	v_cmp_eq_u32_e32 vcc, s9, v14
	s_or_b64 s[12:13], vcc, s[12:13]
	s_andn2_b64 exec, exec, s[12:13]
	s_cbranch_execz .LBB366_9
.LBB366_7:                              ;   Parent Loop BB366_5 Depth=1
                                        ; =>  This Inner Loop Header: Depth=2
	v_cmp_eq_u32_e32 vcc, s9, v13
	s_and_saveexec_b64 s[14:15], vcc
	s_cbranch_execz .LBB366_6
; %bb.8:                                ;   in Loop: Header=BB366_7 Depth=2
	v_add_f32_e32 v12, v12, v15
	global_store_dword v[8:9], v13, off
	s_branch .LBB366_6
.LBB366_9:                              ;   in Loop: Header=BB366_5 Depth=1
	s_or_b64 exec, exec, s[12:13]
	global_load_dword v13, v[6:7], off offset:4
	s_ashr_i32 s13, s4, 31
	s_mov_b32 s12, s4
	v_lshl_add_u64 v[8:9], s[12:13], 0, v[4:5]
	s_mov_b32 s9, 0
	v_lshl_add_u64 v[8:9], v[8:9], 2, s[2:3]
	s_mov_b64 s[12:13], 0
	s_waitcnt vmcnt(0)
	v_cmp_eq_u32_e32 vcc, 0, v13
	s_nop 1
	v_cndmask_b32_e64 v14, 2, 1, vcc
	v_cmp_eq_u32_e32 vcc, 1, v13
	s_nop 1
	v_cndmask_b32_e32 v15, v11, v10, vcc
	s_branch .LBB366_11
.LBB366_10:                             ;   in Loop: Header=BB366_11 Depth=2
	s_or_b64 exec, exec, s[14:15]
	s_add_i32 s9, s9, 1
	v_cmp_eq_u32_e32 vcc, s9, v14
	s_or_b64 s[12:13], vcc, s[12:13]
	s_andn2_b64 exec, exec, s[12:13]
	s_cbranch_execz .LBB366_13
.LBB366_11:                             ;   Parent Loop BB366_5 Depth=1
                                        ; =>  This Inner Loop Header: Depth=2
	v_cmp_eq_u32_e32 vcc, s9, v13
	s_and_saveexec_b64 s[14:15], vcc
	s_cbranch_execz .LBB366_10
; %bb.12:                               ;   in Loop: Header=BB366_11 Depth=2
	v_add_f32_e32 v12, v12, v15
	global_store_dword v[8:9], v13, off offset:4
	s_branch .LBB366_10
.LBB366_13:                             ;   in Loop: Header=BB366_5 Depth=1
	s_or_b64 exec, exec, s[12:13]
	global_load_dword v13, v[6:7], off offset:8
	s_mov_b32 s9, 0
	s_mov_b64 s[12:13], 0
	s_waitcnt vmcnt(0)
	v_cmp_eq_u32_e32 vcc, 0, v13
	s_nop 1
	v_cndmask_b32_e64 v14, 2, 1, vcc
	v_cmp_eq_u32_e32 vcc, 1, v13
	s_nop 1
	v_cndmask_b32_e32 v15, v11, v10, vcc
	s_branch .LBB366_15
.LBB366_14:                             ;   in Loop: Header=BB366_15 Depth=2
	s_or_b64 exec, exec, s[14:15]
	s_add_i32 s9, s9, 1
	v_cmp_eq_u32_e32 vcc, s9, v14
	s_or_b64 s[12:13], vcc, s[12:13]
	s_andn2_b64 exec, exec, s[12:13]
	s_cbranch_execz .LBB366_17
.LBB366_15:                             ;   Parent Loop BB366_5 Depth=1
                                        ; =>  This Inner Loop Header: Depth=2
	v_cmp_eq_u32_e32 vcc, s9, v13
	s_and_saveexec_b64 s[14:15], vcc
	s_cbranch_execz .LBB366_14
; %bb.16:                               ;   in Loop: Header=BB366_15 Depth=2
	v_add_f32_e32 v12, v12, v15
	global_store_dword v[8:9], v13, off offset:8
	s_branch .LBB366_14
.LBB366_17:                             ;   in Loop: Header=BB366_5 Depth=1
	s_or_b64 exec, exec, s[12:13]
	global_load_dword v6, v[6:7], off offset:12
	s_mov_b32 s9, 0
	s_mov_b64 s[12:13], 0
	s_waitcnt vmcnt(0)
	v_cmp_eq_u32_e32 vcc, 0, v6
	s_nop 1
	v_cndmask_b32_e64 v7, 2, 1, vcc
	v_cmp_eq_u32_e32 vcc, 1, v6
	s_nop 1
	v_cndmask_b32_e32 v13, v11, v10, vcc
	s_branch .LBB366_19
.LBB366_18:                             ;   in Loop: Header=BB366_19 Depth=2
	s_or_b64 exec, exec, s[14:15]
	s_add_i32 s9, s9, 1
	v_cmp_eq_u32_e32 vcc, s9, v7
	s_or_b64 s[12:13], vcc, s[12:13]
	s_andn2_b64 exec, exec, s[12:13]
	s_cbranch_execz .LBB366_4
.LBB366_19:                             ;   Parent Loop BB366_5 Depth=1
                                        ; =>  This Inner Loop Header: Depth=2
	v_cmp_eq_u32_e32 vcc, s9, v6
	s_and_saveexec_b64 s[14:15], vcc
	s_cbranch_execz .LBB366_18
; %bb.20:                               ;   in Loop: Header=BB366_19 Depth=2
	v_add_f32_e32 v12, v12, v13
	global_store_dword v[8:9], v6, off offset:12
	s_branch .LBB366_18
.LBB366_21:
	v_mov_b32_e32 v12, 0
.LBB366_22:
	s_and_b32 s14, s16, 3
	s_cmp_eq_u32 s14, 0
	s_mov_b32 s9, 0
	s_cbranch_scc1 .LBB366_29
; %bb.23:
	s_mov_b32 s15, s9
	s_branch .LBB366_25
.LBB366_24:                             ;   in Loop: Header=BB366_25 Depth=1
	s_or_b64 exec, exec, s[4:5]
	s_add_i32 s8, s8, 1
	s_add_i32 s15, s15, 1
	s_cmp_lg_u32 s15, s14
	s_cbranch_scc0 .LBB366_29
.LBB366_25:                             ; =>This Loop Header: Depth=1
                                        ;     Child Loop BB366_27 Depth 2
	v_lshl_add_u64 v[6:7], s[8:9], 2, v[2:3]
	global_load_dword v5, v[6:7], off
	v_add_u32_e32 v6, s8, v4
	v_ashrrev_i32_e32 v7, 31, v6
	s_mov_b32 s17, 0
	s_waitcnt lgkmcnt(0)
	v_lshl_add_u64 v[6:7], v[6:7], 2, s[2:3]
	s_mov_b64 s[4:5], 0
	s_waitcnt vmcnt(0)
	v_cmp_eq_u32_e32 vcc, 0, v5
	s_nop 1
	v_cndmask_b32_e64 v8, 2, 1, vcc
	v_cmp_eq_u32_e32 vcc, 1, v5
	s_nop 1
	v_cndmask_b32_e32 v9, v11, v10, vcc
	s_branch .LBB366_27
.LBB366_26:                             ;   in Loop: Header=BB366_27 Depth=2
	s_or_b64 exec, exec, s[12:13]
	s_add_i32 s17, s17, 1
	v_cmp_eq_u32_e32 vcc, s17, v8
	s_or_b64 s[4:5], vcc, s[4:5]
	s_andn2_b64 exec, exec, s[4:5]
	s_cbranch_execz .LBB366_24
.LBB366_27:                             ;   Parent Loop BB366_25 Depth=1
                                        ; =>  This Inner Loop Header: Depth=2
	v_cmp_eq_u32_e32 vcc, s17, v5
	s_and_saveexec_b64 s[12:13], vcc
	s_cbranch_execz .LBB366_26
; %bb.28:                               ;   in Loop: Header=BB366_27 Depth=2
	v_add_f32_e32 v12, v12, v9
	global_store_dword v[6:7], v5, off
	s_branch .LBB366_26
.LBB366_29:
	s_load_dword s4, s[0:1], 0x3c
	s_waitcnt lgkmcnt(0)
	s_load_dwordx2 s[2:3], s[0:1], 0x40
	s_bitcmp1_b32 s4, 0
	s_cselect_b64 s[4:5], -1, 0
	s_waitcnt lgkmcnt(0)
	v_cvt_f32_f64_e32 v13, s[2:3]
	s_and_b64 vcc, exec, s[4:5]
	s_cbranch_vccz .LBB366_31
; %bb.30:
	v_cmp_lt_f32_e32 vcc, 0, v12
	s_nop 1
	v_cndmask_b32_e32 v5, 1.0, v12, vcc
	v_div_scale_f32 v6, s[2:3], v5, v5, v13
	v_rcp_f32_e32 v7, v6
	s_nop 0
	v_fma_f32 v8, -v6, v7, 1.0
	v_fmac_f32_e32 v7, v8, v7
	v_div_scale_f32 v8, vcc, v13, v5, v13
	v_mul_f32_e32 v9, v8, v7
	v_fma_f32 v12, -v6, v9, v8
	v_fmac_f32_e32 v9, v12, v7
	v_fma_f32 v6, -v6, v9, v8
	v_div_fmas_f32 v6, v6, v7, v9
	v_div_fixup_f32 v13, v6, v5, v13
.LBB366_31:
	s_andn2_b64 vcc, exec, s[10:11]
	s_cbranch_vccnz .LBB366_56
; %bb.32:
	s_load_dwordx2 s[0:1], s[0:1], 0x10
	s_cmp_lt_u32 s16, 8
	s_mov_b32 s2, 0
	s_cbranch_scc1 .LBB366_51
; %bb.33:
	v_ashrrev_i32_e32 v5, 31, v4
	s_and_b32 s2, s16, 0x7ffffff8
	s_waitcnt lgkmcnt(0)
	v_lshl_add_u64 v[6:7], v[4:5], 2, s[0:1]
	s_mov_b32 s3, 0
	s_mov_b64 s[4:5], 0
	s_branch .LBB366_35
.LBB366_34:                             ;   in Loop: Header=BB366_35 Depth=1
	s_or_b64 exec, exec, s[8:9]
	s_add_i32 s3, s3, 8
	s_add_u32 s4, s4, 32
	s_addc_u32 s5, s5, 0
	s_cmp_lg_u32 s2, s3
	s_cbranch_scc0 .LBB366_51
.LBB366_35:                             ; =>This Inner Loop Header: Depth=1
	v_lshl_add_u64 v[8:9], v[2:3], 0, s[4:5]
	global_load_dword v5, v[8:9], off
	s_waitcnt vmcnt(0)
	v_cmp_gt_u32_e32 vcc, 2, v5
	s_and_saveexec_b64 s[8:9], vcc
	s_cbranch_execz .LBB366_37
; %bb.36:                               ;   in Loop: Header=BB366_35 Depth=1
	v_add_u32_e32 v14, s3, v4
	v_cmp_eq_u32_e32 vcc, 1, v5
	v_ashrrev_i32_e32 v15, 31, v14
	v_lshl_add_u64 v[14:15], v[14:15], 2, s[0:1]
	v_cndmask_b32_e32 v5, v11, v10, vcc
	v_mul_f32_e32 v5, v13, v5
	global_store_dword v[14:15], v5, off
.LBB366_37:                             ;   in Loop: Header=BB366_35 Depth=1
	s_or_b64 exec, exec, s[8:9]
	global_load_dword v5, v[8:9], off offset:4
	s_waitcnt vmcnt(0)
	v_cmp_gt_u32_e32 vcc, 2, v5
	s_and_saveexec_b64 s[8:9], vcc
	s_cbranch_execz .LBB366_39
; %bb.38:                               ;   in Loop: Header=BB366_35 Depth=1
	v_cmp_eq_u32_e32 vcc, 1, v5
	v_lshl_add_u64 v[14:15], v[6:7], 0, s[4:5]
	s_nop 0
	v_cndmask_b32_e32 v5, v11, v10, vcc
	v_mul_f32_e32 v5, v13, v5
	global_store_dword v[14:15], v5, off offset:4
.LBB366_39:                             ;   in Loop: Header=BB366_35 Depth=1
	s_or_b64 exec, exec, s[8:9]
	global_load_dword v5, v[8:9], off offset:8
	s_waitcnt vmcnt(0)
	v_cmp_gt_u32_e32 vcc, 2, v5
	s_and_saveexec_b64 s[8:9], vcc
	s_cbranch_execz .LBB366_41
; %bb.40:                               ;   in Loop: Header=BB366_35 Depth=1
	v_cmp_eq_u32_e32 vcc, 1, v5
	v_lshl_add_u64 v[14:15], v[6:7], 0, s[4:5]
	s_nop 0
	v_cndmask_b32_e32 v5, v11, v10, vcc
	v_mul_f32_e32 v5, v13, v5
	global_store_dword v[14:15], v5, off offset:8
.LBB366_41:                             ;   in Loop: Header=BB366_35 Depth=1
	;; [unrolled: 14-line block ×6, first 2 shown]
	s_or_b64 exec, exec, s[8:9]
	global_load_dword v5, v[8:9], off offset:28
	s_waitcnt vmcnt(0)
	v_cmp_gt_u32_e32 vcc, 2, v5
	s_and_saveexec_b64 s[8:9], vcc
	s_cbranch_execz .LBB366_34
; %bb.50:                               ;   in Loop: Header=BB366_35 Depth=1
	v_cmp_eq_u32_e32 vcc, 1, v5
	v_lshl_add_u64 v[8:9], v[6:7], 0, s[4:5]
	s_nop 0
	v_cndmask_b32_e32 v5, v11, v10, vcc
	v_mul_f32_e32 v5, v13, v5
	global_store_dword v[8:9], v5, off offset:28
	s_branch .LBB366_34
.LBB366_51:
	s_and_b32 s4, s16, 7
	s_cmp_eq_u32 s4, 0
	s_mov_b32 s3, 0
	s_cbranch_scc1 .LBB366_56
; %bb.52:
	v_add_u32_e32 v2, s2, v4
	s_lshl_b64 s[2:3], s[2:3], 2
	s_add_u32 s2, s6, s2
	s_addc_u32 s3, s7, s3
	v_lshl_add_u64 v[0:1], v[0:1], 2, s[2:3]
	s_branch .LBB366_54
.LBB366_53:                             ;   in Loop: Header=BB366_54 Depth=1
	s_or_b64 exec, exec, s[2:3]
	s_add_i32 s4, s4, -1
	v_add_u32_e32 v2, 1, v2
	s_cmp_lg_u32 s4, 0
	v_lshl_add_u64 v[0:1], v[0:1], 0, 4
	s_cbranch_scc0 .LBB366_56
.LBB366_54:                             ; =>This Inner Loop Header: Depth=1
	global_load_dword v3, v[0:1], off
	s_waitcnt vmcnt(0)
	v_cmp_gt_u32_e32 vcc, 2, v3
	s_and_saveexec_b64 s[2:3], vcc
	s_cbranch_execz .LBB366_53
; %bb.55:                               ;   in Loop: Header=BB366_54 Depth=1
	v_cmp_eq_u32_e32 vcc, 1, v3
	s_nop 1
	v_cndmask_b32_e32 v3, v11, v10, vcc
	v_mul_f32_e32 v6, v13, v3
	v_ashrrev_i32_e32 v3, 31, v2
	s_waitcnt lgkmcnt(0)
	v_lshl_add_u64 v[4:5], v[2:3], 2, s[0:1]
	global_store_dword v[4:5], v6, off
	s_branch .LBB366_53
.LBB366_56:
	s_endpgm
	.section	.rodata,"a",@progbits
	.p2align	6, 0x0
	.amdhsa_kernel _ZN4vllm3moe22topkGatingSoftplusSqrtILi2ELi2ELi4ELi4ELi32ELb1Ei14__hip_bfloat16EEvPKT6_PKbPfiPT5_PiiiibdPKfPKS9_SF_
		.amdhsa_group_segment_fixed_size 0
		.amdhsa_private_segment_fixed_size 0
		.amdhsa_kernarg_size 96
		.amdhsa_user_sgpr_count 2
		.amdhsa_user_sgpr_dispatch_ptr 0
		.amdhsa_user_sgpr_queue_ptr 0
		.amdhsa_user_sgpr_kernarg_segment_ptr 1
		.amdhsa_user_sgpr_dispatch_id 0
		.amdhsa_user_sgpr_kernarg_preload_length 0
		.amdhsa_user_sgpr_kernarg_preload_offset 0
		.amdhsa_user_sgpr_private_segment_size 0
		.amdhsa_uses_dynamic_stack 0
		.amdhsa_enable_private_segment 0
		.amdhsa_system_sgpr_workgroup_id_x 1
		.amdhsa_system_sgpr_workgroup_id_y 0
		.amdhsa_system_sgpr_workgroup_id_z 0
		.amdhsa_system_sgpr_workgroup_info 0
		.amdhsa_system_vgpr_workitem_id 1
		.amdhsa_next_free_vgpr 19
		.amdhsa_next_free_sgpr 18
		.amdhsa_accum_offset 20
		.amdhsa_reserve_vcc 1
		.amdhsa_float_round_mode_32 0
		.amdhsa_float_round_mode_16_64 0
		.amdhsa_float_denorm_mode_32 3
		.amdhsa_float_denorm_mode_16_64 3
		.amdhsa_dx10_clamp 1
		.amdhsa_ieee_mode 1
		.amdhsa_fp16_overflow 0
		.amdhsa_tg_split 0
		.amdhsa_exception_fp_ieee_invalid_op 0
		.amdhsa_exception_fp_denorm_src 0
		.amdhsa_exception_fp_ieee_div_zero 0
		.amdhsa_exception_fp_ieee_overflow 0
		.amdhsa_exception_fp_ieee_underflow 0
		.amdhsa_exception_fp_ieee_inexact 0
		.amdhsa_exception_int_div_zero 0
	.end_amdhsa_kernel
	.section	.text._ZN4vllm3moe22topkGatingSoftplusSqrtILi2ELi2ELi4ELi4ELi32ELb1Ei14__hip_bfloat16EEvPKT6_PKbPfiPT5_PiiiibdPKfPKS9_SF_,"axG",@progbits,_ZN4vllm3moe22topkGatingSoftplusSqrtILi2ELi2ELi4ELi4ELi32ELb1Ei14__hip_bfloat16EEvPKT6_PKbPfiPT5_PiiiibdPKfPKS9_SF_,comdat
.Lfunc_end366:
	.size	_ZN4vllm3moe22topkGatingSoftplusSqrtILi2ELi2ELi4ELi4ELi32ELb1Ei14__hip_bfloat16EEvPKT6_PKbPfiPT5_PiiiibdPKfPKS9_SF_, .Lfunc_end366-_ZN4vllm3moe22topkGatingSoftplusSqrtILi2ELi2ELi4ELi4ELi32ELb1Ei14__hip_bfloat16EEvPKT6_PKbPfiPT5_PiiiibdPKfPKS9_SF_
                                        ; -- End function
	.section	.AMDGPU.csdata,"",@progbits
; Kernel info:
; codeLenInByte = 2284
; NumSgprs: 24
; NumVgprs: 19
; NumAgprs: 0
; TotalNumVgprs: 19
; ScratchSize: 0
; MemoryBound: 0
; FloatMode: 240
; IeeeMode: 1
; LDSByteSize: 0 bytes/workgroup (compile time only)
; SGPRBlocks: 2
; VGPRBlocks: 2
; NumSGPRsForWavesPerEU: 24
; NumVGPRsForWavesPerEU: 19
; AccumOffset: 20
; Occupancy: 8
; WaveLimiterHint : 1
; COMPUTE_PGM_RSRC2:SCRATCH_EN: 0
; COMPUTE_PGM_RSRC2:USER_SGPR: 2
; COMPUTE_PGM_RSRC2:TRAP_HANDLER: 0
; COMPUTE_PGM_RSRC2:TGID_X_EN: 1
; COMPUTE_PGM_RSRC2:TGID_Y_EN: 0
; COMPUTE_PGM_RSRC2:TGID_Z_EN: 0
; COMPUTE_PGM_RSRC2:TIDIG_COMP_CNT: 1
; COMPUTE_PGM_RSRC3_GFX90A:ACCUM_OFFSET: 4
; COMPUTE_PGM_RSRC3_GFX90A:TG_SPLIT: 0
	.section	.text._ZN4vllm3moe22topkGatingSoftplusSqrtILi2ELi2ELi4ELi4ELi32ELb0Ei14__hip_bfloat16EEvPKT6_PKbPfiPT5_PiiiibdPKfPKS9_SF_,"axG",@progbits,_ZN4vllm3moe22topkGatingSoftplusSqrtILi2ELi2ELi4ELi4ELi32ELb0Ei14__hip_bfloat16EEvPKT6_PKbPfiPT5_PiiiibdPKfPKS9_SF_,comdat
	.protected	_ZN4vllm3moe22topkGatingSoftplusSqrtILi2ELi2ELi4ELi4ELi32ELb0Ei14__hip_bfloat16EEvPKT6_PKbPfiPT5_PiiiibdPKfPKS9_SF_ ; -- Begin function _ZN4vllm3moe22topkGatingSoftplusSqrtILi2ELi2ELi4ELi4ELi32ELb0Ei14__hip_bfloat16EEvPKT6_PKbPfiPT5_PiiiibdPKfPKS9_SF_
	.globl	_ZN4vllm3moe22topkGatingSoftplusSqrtILi2ELi2ELi4ELi4ELi32ELb0Ei14__hip_bfloat16EEvPKT6_PKbPfiPT5_PiiiibdPKfPKS9_SF_
	.p2align	8
	.type	_ZN4vllm3moe22topkGatingSoftplusSqrtILi2ELi2ELi4ELi4ELi32ELb0Ei14__hip_bfloat16EEvPKT6_PKbPfiPT5_PiiiibdPKfPKS9_SF_,@function
_ZN4vllm3moe22topkGatingSoftplusSqrtILi2ELi2ELi4ELi4ELi32ELb0Ei14__hip_bfloat16EEvPKT6_PKbPfiPT5_PiiiibdPKfPKS9_SF_: ; @_ZN4vllm3moe22topkGatingSoftplusSqrtILi2ELi2ELi4ELi4ELi32ELb0Ei14__hip_bfloat16EEvPKT6_PKbPfiPT5_PiiiibdPKfPKS9_SF_
; %bb.0:
	s_load_dword s24, s[0:1], 0x18
	v_bfe_u32 v1, v0, 10, 10
	s_lshl_b32 s2, s2, 7
	v_lshlrev_b32_e32 v1, 5, v1
	v_and_b32_e32 v0, 0x3ff, v0
	v_add3_u32 v0, v1, v0, s2
	s_waitcnt lgkmcnt(0)
	v_cmp_gt_i32_e32 vcc, s24, v0
	s_and_saveexec_b64 s[2:3], vcc
	s_cbranch_execz .LBB367_28
; %bb.1:
	s_load_dwordx4 s[4:7], s[0:1], 0x0
	s_load_dwordx2 s[16:17], s[0:1], 0x10
	s_waitcnt lgkmcnt(0)
	s_cmp_eq_u64 s[6:7], 0
	s_cbranch_scc1 .LBB367_3
; %bb.2:
	v_ashrrev_i32_e32 v1, 31, v0
	v_lshl_add_u64 v[2:3], s[6:7], 0, v[0:1]
	global_load_ubyte v1, v[2:3], off
	s_waitcnt vmcnt(0)
	v_and_b32_e32 v1, 1, v1
	v_cmp_eq_u32_e32 vcc, 1, v1
	s_xor_b64 s[2:3], vcc, -1
	s_orn2_b64 s[18:19], s[2:3], exec
	s_branch .LBB367_4
.LBB367_3:
	s_mov_b64 s[18:19], -1
.LBB367_4:
	v_lshlrev_b32_e32 v4, 1, v0
	v_mov_b32_e32 v2, s4
	v_mov_b32_e32 v3, s5
	v_ashrrev_i32_e32 v5, 31, v4
	v_lshl_add_u64 v[2:3], v[4:5], 1, v[2:3]
	global_load_dword v2, v[2:3], off
	s_mov_b32 s14, 0x800000
	v_mov_b32_e32 v3, 0x4f800000
	s_mov_b32 s7, 0x3f317217
	s_mov_b32 s12, 0x7f800000
	v_mov_b32_e32 v5, 0x41b17218
	s_mov_b32 s6, 0x41a00000
	s_mov_b32 s13, 0xf800000
	s_load_dwordx4 s[8:11], s[0:1], 0x40
	s_waitcnt lgkmcnt(0)
	s_cmp_lg_u64 s[10:11], 0
	s_cselect_b64 s[20:21], -1, 0
	s_and_b64 s[2:3], exec, s[20:21]
	s_waitcnt vmcnt(0)
	v_lshlrev_b32_e32 v4, 16, v2
	v_mul_f32_e32 v1, 0x3fb8aa3b, v4
	v_exp_f32_e32 v1, v1
	s_nop 0
	v_add_f32_e32 v1, 1.0, v1
	v_cmp_gt_f32_e32 vcc, s14, v1
	s_nop 1
	v_cndmask_b32_e32 v6, 1.0, v3, vcc
	v_mul_f32_e32 v1, v1, v6
	v_log_f32_e32 v6, v1
	v_cndmask_b32_e32 v7, 0, v5, vcc
	v_mov_b32_e32 v1, 0x260
	v_mul_f32_e32 v8, 0x3f317217, v6
	v_fma_f32 v8, v6, s7, -v8
	v_fmac_f32_e32 v8, 0x3377d1cf, v6
	v_fmac_f32_e32 v8, 0x3f317217, v6
	v_cmp_lt_f32_e64 vcc, |v6|, s12
	s_nop 1
	v_cndmask_b32_e32 v6, v6, v8, vcc
	v_sub_f32_e32 v6, v6, v7
	v_cmp_lt_f32_e32 vcc, s6, v4
	s_nop 1
	v_cndmask_b32_e32 v4, v6, v4, vcc
	v_mul_f32_e32 v6, 0x4f800000, v4
	v_cmp_gt_f32_e32 vcc, s13, v4
	s_nop 1
	v_cndmask_b32_e32 v4, v4, v6, vcc
	v_sqrt_f32_e32 v6, v4
	s_nop 0
	v_add_u32_e32 v7, -1, v6
	v_add_u32_e32 v8, 1, v6
	v_fma_f32 v9, -v7, v6, v4
	v_fma_f32 v10, -v8, v6, v4
	v_cmp_ge_f32_e64 s[4:5], 0, v9
	s_nop 1
	v_cndmask_b32_e64 v6, v6, v7, s[4:5]
	v_cmp_lt_f32_e64 s[4:5], 0, v10
	s_nop 1
	v_cndmask_b32_e64 v6, v6, v8, s[4:5]
	v_mul_f32_e32 v7, 0x37800000, v6
	v_cndmask_b32_e32 v6, v6, v7, vcc
	v_cmp_class_f32_e32 vcc, v4, v1
	s_nop 1
	v_cndmask_b32_e32 v4, v6, v4, vcc
	s_mov_b64 vcc, s[2:3]
	s_cbranch_vccz .LBB367_6
; %bb.5:
	s_load_dword s2, s[10:11], 0x0
	s_waitcnt lgkmcnt(0)
	v_add_f32_e32 v4, s2, v4
.LBB367_6:
	v_and_b32_e32 v2, 0xffff0000, v2
	v_mul_f32_e32 v6, 0x3fb8aa3b, v2
	v_exp_f32_e32 v6, v6
	s_nop 0
	v_add_f32_e32 v6, 1.0, v6
	v_cmp_gt_f32_e32 vcc, s14, v6
	s_nop 1
	v_cndmask_b32_e32 v3, 1.0, v3, vcc
	v_mul_f32_e32 v3, v6, v3
	v_log_f32_e32 v3, v3
	v_cndmask_b32_e32 v5, 0, v5, vcc
	v_mul_f32_e32 v6, 0x3f317217, v3
	v_fma_f32 v6, v3, s7, -v6
	v_fmac_f32_e32 v6, 0x3377d1cf, v3
	v_fmac_f32_e32 v6, 0x3f317217, v3
	v_cmp_lt_f32_e64 vcc, |v3|, s12
	s_nop 1
	v_cndmask_b32_e32 v3, v3, v6, vcc
	v_sub_f32_e32 v3, v3, v5
	v_cmp_lt_f32_e32 vcc, s6, v2
	s_nop 1
	v_cndmask_b32_e32 v2, v3, v2, vcc
	v_mul_f32_e32 v3, 0x4f800000, v2
	v_cmp_gt_f32_e32 vcc, s13, v2
	s_nop 1
	v_cndmask_b32_e32 v2, v2, v3, vcc
	v_sqrt_f32_e32 v3, v2
	s_nop 0
	v_add_u32_e32 v5, -1, v3
	v_add_u32_e32 v6, 1, v3
	v_fma_f32 v7, -v5, v3, v2
	v_fma_f32 v8, -v6, v3, v2
	v_cmp_ge_f32_e64 s[2:3], 0, v7
	s_nop 1
	v_cndmask_b32_e64 v3, v3, v5, s[2:3]
	v_cmp_lt_f32_e64 s[2:3], 0, v8
	s_nop 1
	v_cndmask_b32_e64 v3, v3, v6, s[2:3]
	v_mul_f32_e32 v5, 0x37800000, v3
	v_cndmask_b32_e32 v3, v3, v5, vcc
	v_cmp_class_f32_e64 s[2:3], v2, v1
	s_andn2_b64 vcc, exec, s[20:21]
	s_nop 0
	v_cndmask_b32_e64 v1, v3, v2, s[2:3]
	s_cbranch_vccnz .LBB367_8
; %bb.7:
	s_load_dword s2, s[10:11], 0x4
	s_waitcnt lgkmcnt(0)
	v_add_f32_e32 v1, s2, v1
.LBB367_8:
	s_load_dwordx4 s[4:7], s[0:1], 0x30
	s_mov_b32 s25, 0
	s_waitcnt lgkmcnt(0)
	s_bitcmp1_b32 s7, 0
	s_cselect_b64 s[2:3], -1, 0
	s_cmp_gt_i32 s4, 0
	s_cselect_b64 s[22:23], -1, 0
	s_and_b64 vcc, exec, s[22:23]
	v_mul_lo_u32 v2, v0, s4
	s_cbranch_vccz .LBB367_15
; %bb.9:
	s_load_dwordx4 s[12:15], s[0:1], 0x20
	v_mov_b32_e32 v3, 0
	v_mov_b32_e32 v5, 0xc61c4000
	s_branch .LBB367_11
.LBB367_10:                             ;   in Loop: Header=BB367_11 Depth=1
	v_add_u32_e32 v8, s25, v2
	v_ashrrev_i32_e32 v9, 31, v8
	v_cmp_le_i32_e32 vcc, s5, v6
	v_cmp_gt_i32_e64 s[0:1], s6, v6
	v_lshlrev_b64 v[8:9], 2, v[8:9]
	s_and_b64 s[0:1], vcc, s[0:1]
	v_lshl_add_u64 v[10:11], s[16:17], 0, v[8:9]
	global_store_dword v[10:11], v7, off
	v_subrev_u32_e32 v10, s5, v6
	s_and_b64 vcc, s[18:19], s[0:1]
	v_cndmask_b32_e32 v12, 2, v10, vcc
	v_add_f32_e32 v7, v3, v7
	s_add_i32 s25, s25, 1
	v_cmp_ne_u32_e32 vcc, 0, v6
	v_cndmask_b32_e64 v3, v3, v7, s[2:3]
	s_cmp_lt_i32 s25, s4
	v_cndmask_b32_e32 v7, v5, v4, vcc
	v_cmp_ne_u32_e32 vcc, 1, v6
	s_waitcnt lgkmcnt(0)
	v_lshl_add_u64 v[10:11], s[12:13], 0, v[8:9]
	v_lshl_add_u64 v[8:9], s[14:15], 0, v[8:9]
	v_cndmask_b32_e32 v6, v5, v1, vcc
	s_cselect_b64 vcc, -1, 0
	global_store_dword v[10:11], v12, off
	global_store_dword v[8:9], v0, off
	v_cndmask_b32_e32 v1, v1, v6, vcc
	v_cndmask_b32_e32 v4, v4, v7, vcc
	s_cmp_lg_u32 s4, s25
	v_add_u32_e32 v0, s24, v0
	s_cbranch_scc0 .LBB367_16
.LBB367_11:                             ; =>This Inner Loop Header: Depth=1
	v_cmp_gt_f32_e32 vcc, v1, v4
	s_and_b64 s[0:1], exec, s[20:21]
	s_nop 0
	v_cndmask_b32_e32 v8, v4, v1, vcc
	v_cndmask_b32_e64 v6, 0, 1, vcc
	s_mov_b64 vcc, s[0:1]
	s_cbranch_vccz .LBB367_13
; %bb.12:                               ;   in Loop: Header=BB367_11 Depth=1
	v_lshlrev_b32_e32 v7, 2, v6
	global_load_dword v7, v7, s[10:11]
	s_waitcnt vmcnt(0)
	v_sub_f32_e32 v7, v8, v7
	s_cbranch_execnz .LBB367_10
	s_branch .LBB367_14
.LBB367_13:                             ;   in Loop: Header=BB367_11 Depth=1
                                        ; implicit-def: $vgpr7
.LBB367_14:                             ;   in Loop: Header=BB367_11 Depth=1
	v_mov_b32_e32 v7, v8
	s_branch .LBB367_10
.LBB367_15:
	v_mov_b32_e32 v3, 0
.LBB367_16:
	s_andn2_b64 vcc, exec, s[2:3]
	v_cvt_f32_f64_e32 v0, s[8:9]
	s_cbranch_vccnz .LBB367_18
; %bb.17:
	v_cmp_lt_f32_e32 vcc, 0, v3
	s_nop 1
	v_cndmask_b32_e32 v1, 1.0, v3, vcc
	v_div_scale_f32 v3, s[0:1], v1, v1, v0
	v_rcp_f32_e32 v4, v3
	s_nop 0
	v_fma_f32 v5, -v3, v4, 1.0
	v_fmac_f32_e32 v4, v5, v4
	v_div_scale_f32 v5, vcc, v0, v1, v0
	v_mul_f32_e32 v6, v5, v4
	v_fma_f32 v7, -v3, v6, v5
	v_fmac_f32_e32 v6, v7, v4
	v_fma_f32 v3, -v3, v6, v5
	v_div_fmas_f32 v3, v3, v4, v6
	v_div_fixup_f32 v0, v3, v1, v0
.LBB367_18:
	s_andn2_b64 vcc, exec, s[22:23]
	s_cbranch_vccnz .LBB367_28
; %bb.19:
	s_cmp_gt_u32 s4, 3
	v_ashrrev_i32_e32 v3, 31, v2
	s_cbranch_scc0 .LBB367_23
; %bb.20:
	s_and_b32 s0, s4, 0x7ffffffc
	v_lshl_add_u64 v[4:5], v[2:3], 2, s[16:17]
	v_mov_b32_e32 v1, v0
	v_lshl_add_u64 v[4:5], v[4:5], 0, 8
	s_mov_b32 s1, s0
.LBB367_21:                             ; =>This Inner Loop Header: Depth=1
	global_load_dwordx4 v[6:9], v[4:5], off offset:-8
	s_add_i32 s1, s1, -4
	s_cmp_lg_u32 s1, 0
	s_waitcnt vmcnt(0)
	v_pk_mul_f32 v[6:7], v[0:1], v[6:7]
	v_pk_mul_f32 v[8:9], v[0:1], v[8:9]
	global_store_dwordx4 v[4:5], v[6:9], off offset:-8
	v_lshl_add_u64 v[4:5], v[4:5], 0, 16
	s_cbranch_scc1 .LBB367_21
; %bb.22:
	s_cmp_lg_u32 s0, s4
	s_cselect_b64 s[2:3], -1, 0
	s_branch .LBB367_25
.LBB367_23:
	s_mov_b64 s[2:3], 0
                                        ; implicit-def: $sgpr0
	s_cbranch_execz .LBB367_25
; %bb.24:
	s_mov_b64 s[2:3], -1
	s_mov_b32 s0, 0
.LBB367_25:
	s_andn2_b64 vcc, exec, s[2:3]
	s_cbranch_vccnz .LBB367_28
; %bb.26:
	s_mov_b32 s1, 0
	v_lshl_add_u64 v[2:3], v[2:3], 0, s[0:1]
	s_sub_i32 s2, s4, s0
	v_lshl_add_u64 v[2:3], v[2:3], 2, s[16:17]
.LBB367_27:                             ; =>This Inner Loop Header: Depth=1
	global_load_dword v1, v[2:3], off
	s_add_i32 s2, s2, -1
	s_cmp_lg_u32 s2, 0
	s_waitcnt vmcnt(0)
	v_mul_f32_e32 v1, v0, v1
	global_store_dword v[2:3], v1, off
	v_lshl_add_u64 v[2:3], v[2:3], 0, 4
	s_cbranch_scc1 .LBB367_27
.LBB367_28:
	s_endpgm
	.section	.rodata,"a",@progbits
	.p2align	6, 0x0
	.amdhsa_kernel _ZN4vllm3moe22topkGatingSoftplusSqrtILi2ELi2ELi4ELi4ELi32ELb0Ei14__hip_bfloat16EEvPKT6_PKbPfiPT5_PiiiibdPKfPKS9_SF_
		.amdhsa_group_segment_fixed_size 0
		.amdhsa_private_segment_fixed_size 0
		.amdhsa_kernarg_size 96
		.amdhsa_user_sgpr_count 2
		.amdhsa_user_sgpr_dispatch_ptr 0
		.amdhsa_user_sgpr_queue_ptr 0
		.amdhsa_user_sgpr_kernarg_segment_ptr 1
		.amdhsa_user_sgpr_dispatch_id 0
		.amdhsa_user_sgpr_kernarg_preload_length 0
		.amdhsa_user_sgpr_kernarg_preload_offset 0
		.amdhsa_user_sgpr_private_segment_size 0
		.amdhsa_uses_dynamic_stack 0
		.amdhsa_enable_private_segment 0
		.amdhsa_system_sgpr_workgroup_id_x 1
		.amdhsa_system_sgpr_workgroup_id_y 0
		.amdhsa_system_sgpr_workgroup_id_z 0
		.amdhsa_system_sgpr_workgroup_info 0
		.amdhsa_system_vgpr_workitem_id 1
		.amdhsa_next_free_vgpr 13
		.amdhsa_next_free_sgpr 26
		.amdhsa_accum_offset 16
		.amdhsa_reserve_vcc 1
		.amdhsa_float_round_mode_32 0
		.amdhsa_float_round_mode_16_64 0
		.amdhsa_float_denorm_mode_32 3
		.amdhsa_float_denorm_mode_16_64 3
		.amdhsa_dx10_clamp 1
		.amdhsa_ieee_mode 1
		.amdhsa_fp16_overflow 0
		.amdhsa_tg_split 0
		.amdhsa_exception_fp_ieee_invalid_op 0
		.amdhsa_exception_fp_denorm_src 0
		.amdhsa_exception_fp_ieee_div_zero 0
		.amdhsa_exception_fp_ieee_overflow 0
		.amdhsa_exception_fp_ieee_underflow 0
		.amdhsa_exception_fp_ieee_inexact 0
		.amdhsa_exception_int_div_zero 0
	.end_amdhsa_kernel
	.section	.text._ZN4vllm3moe22topkGatingSoftplusSqrtILi2ELi2ELi4ELi4ELi32ELb0Ei14__hip_bfloat16EEvPKT6_PKbPfiPT5_PiiiibdPKfPKS9_SF_,"axG",@progbits,_ZN4vllm3moe22topkGatingSoftplusSqrtILi2ELi2ELi4ELi4ELi32ELb0Ei14__hip_bfloat16EEvPKT6_PKbPfiPT5_PiiiibdPKfPKS9_SF_,comdat
.Lfunc_end367:
	.size	_ZN4vllm3moe22topkGatingSoftplusSqrtILi2ELi2ELi4ELi4ELi32ELb0Ei14__hip_bfloat16EEvPKT6_PKbPfiPT5_PiiiibdPKfPKS9_SF_, .Lfunc_end367-_ZN4vllm3moe22topkGatingSoftplusSqrtILi2ELi2ELi4ELi4ELi32ELb0Ei14__hip_bfloat16EEvPKT6_PKbPfiPT5_PiiiibdPKfPKS9_SF_
                                        ; -- End function
	.section	.AMDGPU.csdata,"",@progbits
; Kernel info:
; codeLenInByte = 1388
; NumSgprs: 32
; NumVgprs: 13
; NumAgprs: 0
; TotalNumVgprs: 13
; ScratchSize: 0
; MemoryBound: 0
; FloatMode: 240
; IeeeMode: 1
; LDSByteSize: 0 bytes/workgroup (compile time only)
; SGPRBlocks: 3
; VGPRBlocks: 1
; NumSGPRsForWavesPerEU: 32
; NumVGPRsForWavesPerEU: 13
; AccumOffset: 16
; Occupancy: 8
; WaveLimiterHint : 0
; COMPUTE_PGM_RSRC2:SCRATCH_EN: 0
; COMPUTE_PGM_RSRC2:USER_SGPR: 2
; COMPUTE_PGM_RSRC2:TRAP_HANDLER: 0
; COMPUTE_PGM_RSRC2:TGID_X_EN: 1
; COMPUTE_PGM_RSRC2:TGID_Y_EN: 0
; COMPUTE_PGM_RSRC2:TGID_Z_EN: 0
; COMPUTE_PGM_RSRC2:TIDIG_COMP_CNT: 1
; COMPUTE_PGM_RSRC3_GFX90A:ACCUM_OFFSET: 3
; COMPUTE_PGM_RSRC3_GFX90A:TG_SPLIT: 0
	.section	.text._ZN4vllm3moe22topkGatingSoftplusSqrtILi4ELi4ELi4ELi8ELi64ELb1Ei14__hip_bfloat16EEvPKT6_PKbPfiPT5_PiiiibdPKfPKS9_SF_,"axG",@progbits,_ZN4vllm3moe22topkGatingSoftplusSqrtILi4ELi4ELi4ELi8ELi64ELb1Ei14__hip_bfloat16EEvPKT6_PKbPfiPT5_PiiiibdPKfPKS9_SF_,comdat
	.protected	_ZN4vllm3moe22topkGatingSoftplusSqrtILi4ELi4ELi4ELi8ELi64ELb1Ei14__hip_bfloat16EEvPKT6_PKbPfiPT5_PiiiibdPKfPKS9_SF_ ; -- Begin function _ZN4vllm3moe22topkGatingSoftplusSqrtILi4ELi4ELi4ELi8ELi64ELb1Ei14__hip_bfloat16EEvPKT6_PKbPfiPT5_PiiiibdPKfPKS9_SF_
	.globl	_ZN4vllm3moe22topkGatingSoftplusSqrtILi4ELi4ELi4ELi8ELi64ELb1Ei14__hip_bfloat16EEvPKT6_PKbPfiPT5_PiiiibdPKfPKS9_SF_
	.p2align	8
	.type	_ZN4vllm3moe22topkGatingSoftplusSqrtILi4ELi4ELi4ELi8ELi64ELb1Ei14__hip_bfloat16EEvPKT6_PKbPfiPT5_PiiiibdPKfPKS9_SF_,@function
_ZN4vllm3moe22topkGatingSoftplusSqrtILi4ELi4ELi4ELi8ELi64ELb1Ei14__hip_bfloat16EEvPKT6_PKbPfiPT5_PiiiibdPKfPKS9_SF_: ; @_ZN4vllm3moe22topkGatingSoftplusSqrtILi4ELi4ELi4ELi8ELi64ELb1Ei14__hip_bfloat16EEvPKT6_PKbPfiPT5_PiiiibdPKfPKS9_SF_
; %bb.0:
	s_load_dword s3, s[0:1], 0x18
	v_bfe_u32 v1, v0, 10, 10
	s_lshl_b32 s2, s2, 8
	v_lshlrev_b32_e32 v1, 6, v1
	v_and_b32_e32 v0, 0x3ff, v0
	v_add3_u32 v2, v1, v0, s2
	s_waitcnt lgkmcnt(0)
	v_cmp_gt_i32_e32 vcc, s3, v2
	s_and_saveexec_b64 s[2:3], vcc
	s_cbranch_execz .LBB368_56
; %bb.1:
	s_load_dwordx4 s[8:11], s[0:1], 0x50
	s_load_dwordx2 s[2:3], s[0:1], 0x0
	s_load_dword s16, s[0:1], 0x30
	v_lshlrev_b32_e32 v0, 2, v2
	v_ashrrev_i32_e32 v1, 31, v0
	s_waitcnt lgkmcnt(0)
	v_mov_b32_e32 v4, s8
	v_lshl_add_u64 v[0:1], v[0:1], 1, s[2:3]
	v_mov_b32_e32 v5, s9
	v_ashrrev_i32_e32 v3, 31, v2
	global_load_dwordx2 v[0:1], v[0:1], off
	v_lshl_add_u64 v[4:5], v[2:3], 2, v[4:5]
	global_load_dword v3, v[4:5], off
	s_mov_b32 s4, 0x800000
	v_mov_b32_e32 v8, 0x4f800000
	v_mov_b32_e32 v9, 0x41b17218
	s_mov_b32 s5, 0x3f317217
	s_mov_b32 s12, 0x7f800000
	;; [unrolled: 1-line block ×4, first 2 shown]
	v_mov_b32_e32 v13, 0x260
	s_cmp_gt_i32 s16, 0
	s_mov_b32 s8, 0
	v_mov_b32_e32 v14, 0
	v_mul_lo_u32 v2, v2, s16
	s_waitcnt vmcnt(1)
	v_lshlrev_b32_e32 v10, 16, v0
	v_and_b32_e32 v11, 0xffff0000, v0
	v_alignbit_b32 v4, v1, v0, 16
	s_waitcnt vmcnt(0)
	v_mul_lo_u32 v0, v3, s16
	v_mul_f32_e32 v3, 0x3fb8aa3b, v10
	v_mul_f32_e32 v5, 0x3fb8aa3b, v11
	v_and_b32_e32 v12, 0xffff0000, v1
	v_and_b32_e32 v15, 0xffff0000, v4
	v_exp_f32_e32 v4, v3
	v_exp_f32_e32 v5, v5
	v_mul_f32_e32 v6, 0x3fb8aa3b, v12
	v_mul_f32_e32 v3, 0x3fb8aa3b, v15
	v_exp_f32_e32 v7, v6
	v_exp_f32_e32 v6, v3
	v_pk_add_f32 v[4:5], v[4:5], 1.0 op_sel_hi:[1,0]
	v_ashrrev_i32_e32 v1, 31, v0
	v_cmp_gt_f32_e32 vcc, s4, v5
	v_cmp_gt_f32_e64 s[2:3], s4, v4
	v_pk_add_f32 v[6:7], v[6:7], 1.0 op_sel_hi:[1,0]
	v_cndmask_b32_e32 v3, 1.0, v8, vcc
	v_cndmask_b32_e64 v16, 1.0, v8, s[2:3]
	v_mul_f32_e32 v3, v5, v3
	v_cndmask_b32_e32 v5, 0, v9, vcc
	v_cmp_gt_f32_e32 vcc, s4, v7
	v_mul_f32_e32 v4, v4, v16
	v_log_f32_e32 v3, v3
	v_cndmask_b32_e32 v17, 1.0, v8, vcc
	v_log_f32_e32 v4, v4
	v_mul_f32_e32 v7, v7, v17
	v_cndmask_b32_e64 v16, 0, v9, s[2:3]
	v_cmp_gt_f32_e64 s[2:3], s4, v6
	v_log_f32_e32 v7, v7
	v_mul_f32_e32 v18, 0x3f317217, v4
	v_cndmask_b32_e64 v8, 1.0, v8, s[2:3]
	v_mul_f32_e32 v6, v6, v8
	v_mul_f32_e32 v8, 0x3f317217, v3
	v_fma_f32 v8, v3, s5, -v8
	v_fma_f32 v18, v4, s5, -v18
	v_mul_f32_e32 v19, 0x3f317217, v7
	v_fmac_f32_e32 v8, 0x3377d1cf, v3
	v_cndmask_b32_e32 v17, 0, v9, vcc
	v_fmac_f32_e32 v18, 0x3377d1cf, v4
	v_fma_f32 v19, v7, s5, -v19
	v_fmac_f32_e32 v8, 0x3f317217, v3
	v_cmp_lt_f32_e64 vcc, |v3|, s12
	v_fmac_f32_e32 v18, 0x3f317217, v4
	v_fmac_f32_e32 v19, 0x3377d1cf, v7
	v_cndmask_b32_e32 v3, v3, v8, vcc
	v_cmp_lt_f32_e64 vcc, |v4|, s12
	v_log_f32_e32 v6, v6
	v_fmac_f32_e32 v19, 0x3f317217, v7
	v_cndmask_b32_e32 v4, v4, v18, vcc
	v_cmp_lt_f32_e64 vcc, |v7|, s12
	v_sub_f32_e32 v3, v3, v5
	v_sub_f32_e32 v4, v4, v16
	v_cndmask_b32_e32 v5, v7, v19, vcc
	v_cmp_lt_f32_e32 vcc, s9, v10
	v_mul_f32_e32 v20, 0x3f317217, v6
	v_fma_f32 v20, v6, s5, -v20
	v_cndmask_b32_e32 v4, v4, v10, vcc
	v_cmp_lt_f32_e32 vcc, s9, v11
	v_mul_f32_e32 v8, 0x4f800000, v4
	v_cmp_gt_f32_e64 s[4:5], s13, v4
	v_cndmask_b32_e32 v3, v3, v11, vcc
	v_mul_f32_e32 v7, 0x4f800000, v3
	v_cmp_gt_f32_e32 vcc, s13, v3
	v_cndmask_b32_e64 v4, v4, v8, s[4:5]
	v_sqrt_f32_e32 v8, v4
	v_cndmask_b32_e32 v3, v3, v7, vcc
	v_sqrt_f32_e32 v7, v3
	v_sub_f32_e32 v5, v5, v17
	v_add_u32_e32 v16, -1, v8
	v_fma_f32 v21, -v16, v8, v4
	v_add_u32_e32 v10, -1, v7
	v_fma_f32 v18, -v10, v7, v3
	v_add_u32_e32 v11, 1, v7
	v_cmp_ge_f32_e64 s[6:7], 0, v18
	v_add_u32_e32 v17, 1, v8
	v_fma_f32 v19, -v11, v7, v3
	v_cndmask_b32_e64 v7, v7, v10, s[6:7]
	v_cmp_ge_f32_e64 s[6:7], 0, v21
	v_fma_f32 v22, -v17, v8, v4
	v_fmac_f32_e32 v20, 0x3377d1cf, v6
	v_cndmask_b32_e64 v8, v8, v16, s[6:7]
	v_cmp_lt_f32_e64 s[6:7], 0, v19
	v_fmac_f32_e32 v20, 0x3f317217, v6
	s_nop 0
	v_cndmask_b32_e64 v7, v7, v11, s[6:7]
	v_cmp_lt_f32_e64 s[6:7], 0, v22
	v_mul_f32_e32 v10, 0x37800000, v7
	v_cndmask_b32_e32 v7, v7, v10, vcc
	v_cndmask_b32_e64 v8, v8, v17, s[6:7]
	v_mul_f32_e32 v11, 0x37800000, v8
	v_cmp_class_f32_e32 vcc, v3, v13
	v_cndmask_b32_e64 v8, v8, v11, s[4:5]
	s_nop 0
	v_cndmask_b32_e32 v10, v7, v3, vcc
	v_cmp_class_f32_e32 vcc, v4, v13
	s_nop 1
	v_cndmask_b32_e32 v11, v8, v4, vcc
	v_cmp_lt_f32_e64 vcc, |v6|, s12
	v_cndmask_b32_e64 v4, 0, v9, s[2:3]
	v_cmp_lt_f32_e64 s[2:3], s9, v15
	v_cndmask_b32_e32 v3, v6, v20, vcc
	v_cmp_lt_f32_e32 vcc, s9, v12
	v_sub_f32_e32 v3, v3, v4
	v_cndmask_b32_e64 v3, v3, v15, s[2:3]
	v_cndmask_b32_e32 v5, v5, v12, vcc
	v_mul_f32_e32 v6, 0x4f800000, v5
	v_cmp_gt_f32_e32 vcc, s13, v5
	s_nop 1
	v_cndmask_b32_e32 v5, v5, v6, vcc
	v_sqrt_f32_e32 v6, v5
	s_nop 0
	v_add_u32_e32 v4, -1, v6
	v_fma_f32 v7, -v4, v6, v5
	v_cmp_ge_f32_e64 s[2:3], 0, v7
	v_add_u32_e32 v7, 1, v6
	s_nop 0
	v_cndmask_b32_e64 v4, v6, v4, s[2:3]
	v_fma_f32 v6, -v7, v6, v5
	v_cmp_lt_f32_e64 s[2:3], 0, v6
	s_nop 1
	v_cndmask_b32_e64 v4, v4, v7, s[2:3]
	v_mul_f32_e32 v7, 0x4f800000, v3
	v_cmp_gt_f32_e64 s[2:3], s13, v3
	v_mul_f32_e32 v6, 0x37800000, v4
	v_cndmask_b32_e32 v4, v4, v6, vcc
	v_cndmask_b32_e64 v3, v3, v7, s[2:3]
	v_sqrt_f32_e32 v7, v3
	v_cmp_class_f32_e32 vcc, v5, v13
	s_nop 1
	v_cndmask_b32_e32 v12, v4, v5, vcc
	v_add_u32_e32 v4, -1, v7
	v_fma_f32 v5, -v4, v7, v3
	v_cmp_ge_f32_e32 vcc, 0, v5
	v_add_u32_e32 v5, 1, v7
	v_fma_f32 v6, -v5, v7, v3
	v_cndmask_b32_e32 v4, v7, v4, vcc
	v_cmp_lt_f32_e32 vcc, 0, v6
	s_nop 1
	v_cndmask_b32_e32 v4, v4, v5, vcc
	v_mul_f32_e32 v5, 0x37800000, v4
	v_cndmask_b32_e64 v4, v4, v5, s[2:3]
	v_cmp_class_f32_e32 vcc, v3, v13
	s_cselect_b64 s[2:3], -1, 0
	s_cmp_lt_i32 s16, 1
	v_cndmask_b32_e32 v13, v4, v3, vcc
	v_lshl_add_u64 v[4:5], v[0:1], 2, s[10:11]
	s_cbranch_scc1 .LBB368_29
; %bb.2:
	s_load_dwordx2 s[4:5], s[0:1], 0x20
	s_cmp_lt_u32 s16, 4
	s_cbranch_scc1 .LBB368_21
; %bb.3:
	s_mov_b32 s7, 0
	s_and_b32 s8, s16, 0x7ffffffc
	v_ashrrev_i32_e32 v3, 31, v2
	v_mov_b32_e32 v14, 0
	s_mov_b32 s6, s7
	s_branch .LBB368_5
.LBB368_4:                              ;   in Loop: Header=BB368_5 Depth=1
	s_or_b64 exec, exec, s[12:13]
	s_add_i32 s6, s6, 4
	s_cmp_eq_u32 s6, s8
	s_cbranch_scc1 .LBB368_22
.LBB368_5:                              ; =>This Loop Header: Depth=1
                                        ;     Child Loop BB368_7 Depth 2
                                        ;     Child Loop BB368_11 Depth 2
	;; [unrolled: 1-line block ×4, first 2 shown]
	v_lshl_add_u64 v[6:7], s[6:7], 2, v[4:5]
	global_load_dword v15, v[6:7], off
	v_add_u32_e32 v8, s6, v2
	v_ashrrev_i32_e32 v9, 31, v8
	s_mov_b64 s[12:13], 0
	s_waitcnt lgkmcnt(0)
	v_lshl_add_u64 v[8:9], v[8:9], 2, s[4:5]
	s_mov_b32 s9, 0
	s_waitcnt vmcnt(0)
	v_cmp_eq_u32_e32 vcc, 1, v15
	s_nop 1
	v_cndmask_b32_e32 v17, v11, v10, vcc
	v_cmp_eq_u32_e32 vcc, 2, v15
	v_min_u32_e32 v16, 3, v15
	v_add_u32_e32 v16, 1, v16
	v_cndmask_b32_e32 v17, v17, v13, vcc
	v_cmp_eq_u32_e32 vcc, 3, v15
	s_nop 1
	v_cndmask_b32_e32 v17, v17, v12, vcc
	s_branch .LBB368_7
.LBB368_6:                              ;   in Loop: Header=BB368_7 Depth=2
	s_or_b64 exec, exec, s[14:15]
	s_add_i32 s9, s9, 1
	v_cmp_eq_u32_e32 vcc, s9, v16
	s_or_b64 s[12:13], vcc, s[12:13]
	s_andn2_b64 exec, exec, s[12:13]
	s_cbranch_execz .LBB368_9
.LBB368_7:                              ;   Parent Loop BB368_5 Depth=1
                                        ; =>  This Inner Loop Header: Depth=2
	v_cmp_eq_u32_e32 vcc, s9, v15
	s_and_saveexec_b64 s[14:15], vcc
	s_cbranch_execz .LBB368_6
; %bb.8:                                ;   in Loop: Header=BB368_7 Depth=2
	v_add_f32_e32 v14, v14, v17
	global_store_dword v[8:9], v15, off
	s_branch .LBB368_6
.LBB368_9:                              ;   in Loop: Header=BB368_5 Depth=1
	s_or_b64 exec, exec, s[12:13]
	global_load_dword v15, v[6:7], off offset:4
	s_ashr_i32 s13, s6, 31
	s_mov_b32 s12, s6
	v_lshl_add_u64 v[8:9], s[12:13], 0, v[2:3]
	s_mov_b32 s9, 0
	v_lshl_add_u64 v[8:9], v[8:9], 2, s[4:5]
	s_mov_b64 s[12:13], 0
	s_waitcnt vmcnt(0)
	v_cmp_eq_u32_e32 vcc, 1, v15
	s_nop 1
	v_cndmask_b32_e32 v17, v11, v10, vcc
	v_cmp_eq_u32_e32 vcc, 2, v15
	v_min_u32_e32 v16, 3, v15
	v_add_u32_e32 v16, 1, v16
	v_cndmask_b32_e32 v17, v17, v13, vcc
	v_cmp_eq_u32_e32 vcc, 3, v15
	s_nop 1
	v_cndmask_b32_e32 v17, v17, v12, vcc
	s_branch .LBB368_11
.LBB368_10:                             ;   in Loop: Header=BB368_11 Depth=2
	s_or_b64 exec, exec, s[14:15]
	s_add_i32 s9, s9, 1
	v_cmp_eq_u32_e32 vcc, s9, v16
	s_or_b64 s[12:13], vcc, s[12:13]
	s_andn2_b64 exec, exec, s[12:13]
	s_cbranch_execz .LBB368_13
.LBB368_11:                             ;   Parent Loop BB368_5 Depth=1
                                        ; =>  This Inner Loop Header: Depth=2
	v_cmp_eq_u32_e32 vcc, s9, v15
	s_and_saveexec_b64 s[14:15], vcc
	s_cbranch_execz .LBB368_10
; %bb.12:                               ;   in Loop: Header=BB368_11 Depth=2
	v_add_f32_e32 v14, v14, v17
	global_store_dword v[8:9], v15, off offset:4
	s_branch .LBB368_10
.LBB368_13:                             ;   in Loop: Header=BB368_5 Depth=1
	s_or_b64 exec, exec, s[12:13]
	global_load_dword v15, v[6:7], off offset:8
	s_mov_b32 s9, 0
	s_mov_b64 s[12:13], 0
	s_waitcnt vmcnt(0)
	v_cmp_eq_u32_e32 vcc, 1, v15
	s_nop 1
	v_cndmask_b32_e32 v17, v11, v10, vcc
	v_cmp_eq_u32_e32 vcc, 2, v15
	v_min_u32_e32 v16, 3, v15
	v_add_u32_e32 v16, 1, v16
	v_cndmask_b32_e32 v17, v17, v13, vcc
	v_cmp_eq_u32_e32 vcc, 3, v15
	s_nop 1
	v_cndmask_b32_e32 v17, v17, v12, vcc
	s_branch .LBB368_15
.LBB368_14:                             ;   in Loop: Header=BB368_15 Depth=2
	s_or_b64 exec, exec, s[14:15]
	s_add_i32 s9, s9, 1
	v_cmp_eq_u32_e32 vcc, s9, v16
	s_or_b64 s[12:13], vcc, s[12:13]
	s_andn2_b64 exec, exec, s[12:13]
	s_cbranch_execz .LBB368_17
.LBB368_15:                             ;   Parent Loop BB368_5 Depth=1
                                        ; =>  This Inner Loop Header: Depth=2
	v_cmp_eq_u32_e32 vcc, s9, v15
	s_and_saveexec_b64 s[14:15], vcc
	s_cbranch_execz .LBB368_14
; %bb.16:                               ;   in Loop: Header=BB368_15 Depth=2
	v_add_f32_e32 v14, v14, v17
	global_store_dword v[8:9], v15, off offset:8
	s_branch .LBB368_14
.LBB368_17:                             ;   in Loop: Header=BB368_5 Depth=1
	s_or_b64 exec, exec, s[12:13]
	global_load_dword v6, v[6:7], off offset:12
	s_mov_b32 s9, 0
	s_mov_b64 s[12:13], 0
	s_waitcnt vmcnt(0)
	v_cmp_eq_u32_e32 vcc, 1, v6
	s_nop 1
	v_cndmask_b32_e32 v15, v11, v10, vcc
	v_cmp_eq_u32_e32 vcc, 2, v6
	v_min_u32_e32 v7, 3, v6
	v_add_u32_e32 v7, 1, v7
	v_cndmask_b32_e32 v15, v15, v13, vcc
	v_cmp_eq_u32_e32 vcc, 3, v6
	s_nop 1
	v_cndmask_b32_e32 v15, v15, v12, vcc
	s_branch .LBB368_19
.LBB368_18:                             ;   in Loop: Header=BB368_19 Depth=2
	s_or_b64 exec, exec, s[14:15]
	s_add_i32 s9, s9, 1
	v_cmp_eq_u32_e32 vcc, s9, v7
	s_or_b64 s[12:13], vcc, s[12:13]
	s_andn2_b64 exec, exec, s[12:13]
	s_cbranch_execz .LBB368_4
.LBB368_19:                             ;   Parent Loop BB368_5 Depth=1
                                        ; =>  This Inner Loop Header: Depth=2
	v_cmp_eq_u32_e32 vcc, s9, v6
	s_and_saveexec_b64 s[14:15], vcc
	s_cbranch_execz .LBB368_18
; %bb.20:                               ;   in Loop: Header=BB368_19 Depth=2
	v_add_f32_e32 v14, v14, v15
	global_store_dword v[8:9], v6, off offset:12
	s_branch .LBB368_18
.LBB368_21:
	v_mov_b32_e32 v14, 0
.LBB368_22:
	s_and_b32 s14, s16, 3
	s_cmp_eq_u32 s14, 0
	s_mov_b32 s9, 0
	s_cbranch_scc1 .LBB368_29
; %bb.23:
	s_mov_b32 s15, s9
	s_branch .LBB368_25
.LBB368_24:                             ;   in Loop: Header=BB368_25 Depth=1
	s_or_b64 exec, exec, s[6:7]
	s_add_i32 s8, s8, 1
	s_add_i32 s15, s15, 1
	s_cmp_lg_u32 s15, s14
	s_cbranch_scc0 .LBB368_29
.LBB368_25:                             ; =>This Loop Header: Depth=1
                                        ;     Child Loop BB368_27 Depth 2
	v_lshl_add_u64 v[6:7], s[8:9], 2, v[4:5]
	global_load_dword v3, v[6:7], off
	v_add_u32_e32 v6, s8, v2
	v_ashrrev_i32_e32 v7, 31, v6
	s_mov_b32 s17, 0
	s_waitcnt lgkmcnt(0)
	v_lshl_add_u64 v[6:7], v[6:7], 2, s[4:5]
	s_mov_b64 s[6:7], 0
	s_waitcnt vmcnt(0)
	v_cmp_eq_u32_e32 vcc, 1, v3
	s_nop 1
	v_cndmask_b32_e32 v9, v11, v10, vcc
	v_cmp_eq_u32_e32 vcc, 2, v3
	v_min_u32_e32 v8, 3, v3
	v_add_u32_e32 v8, 1, v8
	v_cndmask_b32_e32 v9, v9, v13, vcc
	v_cmp_eq_u32_e32 vcc, 3, v3
	s_nop 1
	v_cndmask_b32_e32 v9, v9, v12, vcc
	s_branch .LBB368_27
.LBB368_26:                             ;   in Loop: Header=BB368_27 Depth=2
	s_or_b64 exec, exec, s[12:13]
	s_add_i32 s17, s17, 1
	v_cmp_eq_u32_e32 vcc, s17, v8
	s_or_b64 s[6:7], vcc, s[6:7]
	s_andn2_b64 exec, exec, s[6:7]
	s_cbranch_execz .LBB368_24
.LBB368_27:                             ;   Parent Loop BB368_25 Depth=1
                                        ; =>  This Inner Loop Header: Depth=2
	v_cmp_eq_u32_e32 vcc, s17, v3
	s_and_saveexec_b64 s[12:13], vcc
	s_cbranch_execz .LBB368_26
; %bb.28:                               ;   in Loop: Header=BB368_27 Depth=2
	v_add_f32_e32 v14, v14, v9
	global_store_dword v[6:7], v3, off
	s_branch .LBB368_26
.LBB368_29:
	s_load_dword s6, s[0:1], 0x3c
	s_waitcnt lgkmcnt(0)
	s_load_dwordx2 s[4:5], s[0:1], 0x40
	s_bitcmp1_b32 s6, 0
	s_cselect_b64 s[6:7], -1, 0
	s_waitcnt lgkmcnt(0)
	v_cvt_f32_f64_e32 v15, s[4:5]
	s_and_b64 vcc, exec, s[6:7]
	s_cbranch_vccz .LBB368_31
; %bb.30:
	v_cmp_lt_f32_e32 vcc, 0, v14
	s_nop 1
	v_cndmask_b32_e32 v3, 1.0, v14, vcc
	v_div_scale_f32 v6, s[4:5], v3, v3, v15
	v_rcp_f32_e32 v7, v6
	s_nop 0
	v_fma_f32 v8, -v6, v7, 1.0
	v_fmac_f32_e32 v7, v8, v7
	v_div_scale_f32 v8, vcc, v15, v3, v15
	v_mul_f32_e32 v9, v8, v7
	v_fma_f32 v14, -v6, v9, v8
	v_fmac_f32_e32 v9, v14, v7
	v_fma_f32 v6, -v6, v9, v8
	v_div_fmas_f32 v6, v6, v7, v9
	v_div_fixup_f32 v15, v6, v3, v15
.LBB368_31:
	s_andn2_b64 vcc, exec, s[2:3]
	s_cbranch_vccnz .LBB368_56
; %bb.32:
	s_load_dwordx2 s[0:1], s[0:1], 0x10
	s_cmp_lt_u32 s16, 8
	s_mov_b32 s2, 0
	s_cbranch_scc1 .LBB368_51
; %bb.33:
	v_ashrrev_i32_e32 v3, 31, v2
	s_and_b32 s2, s16, 0x7ffffff8
	s_waitcnt lgkmcnt(0)
	v_lshl_add_u64 v[6:7], v[2:3], 2, s[0:1]
	s_mov_b32 s3, 0
	s_mov_b64 s[4:5], 0
	s_branch .LBB368_35
.LBB368_34:                             ;   in Loop: Header=BB368_35 Depth=1
	s_or_b64 exec, exec, s[6:7]
	s_add_i32 s3, s3, 8
	s_add_u32 s4, s4, 32
	s_addc_u32 s5, s5, 0
	s_cmp_eq_u32 s2, s3
	s_cbranch_scc1 .LBB368_51
.LBB368_35:                             ; =>This Inner Loop Header: Depth=1
	v_lshl_add_u64 v[8:9], v[4:5], 0, s[4:5]
	global_load_dword v3, v[8:9], off
	s_waitcnt vmcnt(0)
	v_cmp_gt_u32_e32 vcc, 4, v3
	s_and_saveexec_b64 s[6:7], vcc
	s_cbranch_execz .LBB368_37
; %bb.36:                               ;   in Loop: Header=BB368_35 Depth=1
	v_cmp_eq_u32_e32 vcc, 1, v3
	v_add_u32_e32 v16, s3, v2
	v_ashrrev_i32_e32 v17, 31, v16
	v_cndmask_b32_e32 v14, v11, v10, vcc
	v_cmp_eq_u32_e32 vcc, 2, v3
	v_lshl_add_u64 v[16:17], v[16:17], 2, s[0:1]
	s_nop 0
	v_cndmask_b32_e32 v14, v14, v13, vcc
	v_cmp_eq_u32_e32 vcc, 3, v3
	s_nop 1
	v_cndmask_b32_e32 v3, v14, v12, vcc
	v_mul_f32_e32 v3, v15, v3
	global_store_dword v[16:17], v3, off
.LBB368_37:                             ;   in Loop: Header=BB368_35 Depth=1
	s_or_b64 exec, exec, s[6:7]
	global_load_dword v3, v[8:9], off offset:4
	s_waitcnt vmcnt(0)
	v_cmp_gt_u32_e32 vcc, 4, v3
	s_and_saveexec_b64 s[6:7], vcc
	s_cbranch_execz .LBB368_39
; %bb.38:                               ;   in Loop: Header=BB368_35 Depth=1
	v_cmp_eq_u32_e32 vcc, 1, v3
	v_lshl_add_u64 v[16:17], v[6:7], 0, s[4:5]
	s_nop 0
	v_cndmask_b32_e32 v14, v11, v10, vcc
	v_cmp_eq_u32_e32 vcc, 2, v3
	s_nop 1
	v_cndmask_b32_e32 v14, v14, v13, vcc
	v_cmp_eq_u32_e32 vcc, 3, v3
	s_nop 1
	v_cndmask_b32_e32 v3, v14, v12, vcc
	v_mul_f32_e32 v3, v15, v3
	global_store_dword v[16:17], v3, off offset:4
.LBB368_39:                             ;   in Loop: Header=BB368_35 Depth=1
	s_or_b64 exec, exec, s[6:7]
	global_load_dword v3, v[8:9], off offset:8
	s_waitcnt vmcnt(0)
	v_cmp_gt_u32_e32 vcc, 4, v3
	s_and_saveexec_b64 s[6:7], vcc
	s_cbranch_execz .LBB368_41
; %bb.40:                               ;   in Loop: Header=BB368_35 Depth=1
	v_cmp_eq_u32_e32 vcc, 1, v3
	v_lshl_add_u64 v[16:17], v[6:7], 0, s[4:5]
	s_nop 0
	v_cndmask_b32_e32 v14, v11, v10, vcc
	v_cmp_eq_u32_e32 vcc, 2, v3
	s_nop 1
	v_cndmask_b32_e32 v14, v14, v13, vcc
	v_cmp_eq_u32_e32 vcc, 3, v3
	s_nop 1
	v_cndmask_b32_e32 v3, v14, v12, vcc
	v_mul_f32_e32 v3, v15, v3
	global_store_dword v[16:17], v3, off offset:8
.LBB368_41:                             ;   in Loop: Header=BB368_35 Depth=1
	;; [unrolled: 20-line block ×6, first 2 shown]
	s_or_b64 exec, exec, s[6:7]
	global_load_dword v3, v[8:9], off offset:28
	s_waitcnt vmcnt(0)
	v_cmp_gt_u32_e32 vcc, 4, v3
	s_and_saveexec_b64 s[6:7], vcc
	s_cbranch_execz .LBB368_34
; %bb.50:                               ;   in Loop: Header=BB368_35 Depth=1
	v_cmp_eq_u32_e32 vcc, 1, v3
	s_nop 1
	v_cndmask_b32_e32 v8, v11, v10, vcc
	v_cmp_eq_u32_e32 vcc, 2, v3
	s_nop 1
	v_cndmask_b32_e32 v8, v8, v13, vcc
	;; [unrolled: 3-line block ×3, first 2 shown]
	v_mul_f32_e32 v3, v15, v3
	v_lshl_add_u64 v[8:9], v[6:7], 0, s[4:5]
	global_store_dword v[8:9], v3, off offset:28
	s_branch .LBB368_34
.LBB368_51:
	s_and_b32 s4, s16, 7
	s_cmp_eq_u32 s4, 0
	s_mov_b32 s3, 0
	s_cbranch_scc1 .LBB368_56
; %bb.52:
	v_add_u32_e32 v2, s2, v2
	s_lshl_b64 s[2:3], s[2:3], 2
	s_add_u32 s2, s10, s2
	s_addc_u32 s3, s11, s3
	v_lshl_add_u64 v[0:1], v[0:1], 2, s[2:3]
	s_branch .LBB368_54
.LBB368_53:                             ;   in Loop: Header=BB368_54 Depth=1
	s_or_b64 exec, exec, s[2:3]
	s_add_i32 s4, s4, -1
	v_add_u32_e32 v2, 1, v2
	s_cmp_eq_u32 s4, 0
	v_lshl_add_u64 v[0:1], v[0:1], 0, 4
	s_cbranch_scc1 .LBB368_56
.LBB368_54:                             ; =>This Inner Loop Header: Depth=1
	global_load_dword v3, v[0:1], off
	s_waitcnt vmcnt(0)
	v_cmp_gt_u32_e32 vcc, 4, v3
	s_and_saveexec_b64 s[2:3], vcc
	s_cbranch_execz .LBB368_53
; %bb.55:                               ;   in Loop: Header=BB368_54 Depth=1
	v_cmp_eq_u32_e32 vcc, 1, v3
	s_nop 1
	v_cndmask_b32_e32 v4, v11, v10, vcc
	v_cmp_eq_u32_e32 vcc, 2, v3
	s_nop 1
	v_cndmask_b32_e32 v4, v4, v13, vcc
	;; [unrolled: 3-line block ×3, first 2 shown]
	v_mul_f32_e32 v6, v15, v3
	v_ashrrev_i32_e32 v3, 31, v2
	s_waitcnt lgkmcnt(0)
	v_lshl_add_u64 v[4:5], v[2:3], 2, s[0:1]
	global_store_dword v[4:5], v6, off
	s_branch .LBB368_53
.LBB368_56:
	s_endpgm
	.section	.rodata,"a",@progbits
	.p2align	6, 0x0
	.amdhsa_kernel _ZN4vllm3moe22topkGatingSoftplusSqrtILi4ELi4ELi4ELi8ELi64ELb1Ei14__hip_bfloat16EEvPKT6_PKbPfiPT5_PiiiibdPKfPKS9_SF_
		.amdhsa_group_segment_fixed_size 0
		.amdhsa_private_segment_fixed_size 0
		.amdhsa_kernarg_size 96
		.amdhsa_user_sgpr_count 2
		.amdhsa_user_sgpr_dispatch_ptr 0
		.amdhsa_user_sgpr_queue_ptr 0
		.amdhsa_user_sgpr_kernarg_segment_ptr 1
		.amdhsa_user_sgpr_dispatch_id 0
		.amdhsa_user_sgpr_kernarg_preload_length 0
		.amdhsa_user_sgpr_kernarg_preload_offset 0
		.amdhsa_user_sgpr_private_segment_size 0
		.amdhsa_uses_dynamic_stack 0
		.amdhsa_enable_private_segment 0
		.amdhsa_system_sgpr_workgroup_id_x 1
		.amdhsa_system_sgpr_workgroup_id_y 0
		.amdhsa_system_sgpr_workgroup_id_z 0
		.amdhsa_system_sgpr_workgroup_info 0
		.amdhsa_system_vgpr_workitem_id 1
		.amdhsa_next_free_vgpr 23
		.amdhsa_next_free_sgpr 18
		.amdhsa_accum_offset 24
		.amdhsa_reserve_vcc 1
		.amdhsa_float_round_mode_32 0
		.amdhsa_float_round_mode_16_64 0
		.amdhsa_float_denorm_mode_32 3
		.amdhsa_float_denorm_mode_16_64 3
		.amdhsa_dx10_clamp 1
		.amdhsa_ieee_mode 1
		.amdhsa_fp16_overflow 0
		.amdhsa_tg_split 0
		.amdhsa_exception_fp_ieee_invalid_op 0
		.amdhsa_exception_fp_denorm_src 0
		.amdhsa_exception_fp_ieee_div_zero 0
		.amdhsa_exception_fp_ieee_overflow 0
		.amdhsa_exception_fp_ieee_underflow 0
		.amdhsa_exception_fp_ieee_inexact 0
		.amdhsa_exception_int_div_zero 0
	.end_amdhsa_kernel
	.section	.text._ZN4vllm3moe22topkGatingSoftplusSqrtILi4ELi4ELi4ELi8ELi64ELb1Ei14__hip_bfloat16EEvPKT6_PKbPfiPT5_PiiiibdPKfPKS9_SF_,"axG",@progbits,_ZN4vllm3moe22topkGatingSoftplusSqrtILi4ELi4ELi4ELi8ELi64ELb1Ei14__hip_bfloat16EEvPKT6_PKbPfiPT5_PiiiibdPKfPKS9_SF_,comdat
.Lfunc_end368:
	.size	_ZN4vllm3moe22topkGatingSoftplusSqrtILi4ELi4ELi4ELi8ELi64ELb1Ei14__hip_bfloat16EEvPKT6_PKbPfiPT5_PiiiibdPKfPKS9_SF_, .Lfunc_end368-_ZN4vllm3moe22topkGatingSoftplusSqrtILi4ELi4ELi4ELi8ELi64ELb1Ei14__hip_bfloat16EEvPKT6_PKbPfiPT5_PiiiibdPKfPKS9_SF_
                                        ; -- End function
	.section	.AMDGPU.csdata,"",@progbits
; Kernel info:
; codeLenInByte = 2976
; NumSgprs: 24
; NumVgprs: 23
; NumAgprs: 0
; TotalNumVgprs: 23
; ScratchSize: 0
; MemoryBound: 0
; FloatMode: 240
; IeeeMode: 1
; LDSByteSize: 0 bytes/workgroup (compile time only)
; SGPRBlocks: 2
; VGPRBlocks: 2
; NumSGPRsForWavesPerEU: 24
; NumVGPRsForWavesPerEU: 23
; AccumOffset: 24
; Occupancy: 8
; WaveLimiterHint : 1
; COMPUTE_PGM_RSRC2:SCRATCH_EN: 0
; COMPUTE_PGM_RSRC2:USER_SGPR: 2
; COMPUTE_PGM_RSRC2:TRAP_HANDLER: 0
; COMPUTE_PGM_RSRC2:TGID_X_EN: 1
; COMPUTE_PGM_RSRC2:TGID_Y_EN: 0
; COMPUTE_PGM_RSRC2:TGID_Z_EN: 0
; COMPUTE_PGM_RSRC2:TIDIG_COMP_CNT: 1
; COMPUTE_PGM_RSRC3_GFX90A:ACCUM_OFFSET: 5
; COMPUTE_PGM_RSRC3_GFX90A:TG_SPLIT: 0
	.section	.text._ZN4vllm3moe22topkGatingSoftplusSqrtILi4ELi4ELi4ELi8ELi64ELb0Ei14__hip_bfloat16EEvPKT6_PKbPfiPT5_PiiiibdPKfPKS9_SF_,"axG",@progbits,_ZN4vllm3moe22topkGatingSoftplusSqrtILi4ELi4ELi4ELi8ELi64ELb0Ei14__hip_bfloat16EEvPKT6_PKbPfiPT5_PiiiibdPKfPKS9_SF_,comdat
	.protected	_ZN4vllm3moe22topkGatingSoftplusSqrtILi4ELi4ELi4ELi8ELi64ELb0Ei14__hip_bfloat16EEvPKT6_PKbPfiPT5_PiiiibdPKfPKS9_SF_ ; -- Begin function _ZN4vllm3moe22topkGatingSoftplusSqrtILi4ELi4ELi4ELi8ELi64ELb0Ei14__hip_bfloat16EEvPKT6_PKbPfiPT5_PiiiibdPKfPKS9_SF_
	.globl	_ZN4vllm3moe22topkGatingSoftplusSqrtILi4ELi4ELi4ELi8ELi64ELb0Ei14__hip_bfloat16EEvPKT6_PKbPfiPT5_PiiiibdPKfPKS9_SF_
	.p2align	8
	.type	_ZN4vllm3moe22topkGatingSoftplusSqrtILi4ELi4ELi4ELi8ELi64ELb0Ei14__hip_bfloat16EEvPKT6_PKbPfiPT5_PiiiibdPKfPKS9_SF_,@function
_ZN4vllm3moe22topkGatingSoftplusSqrtILi4ELi4ELi4ELi8ELi64ELb0Ei14__hip_bfloat16EEvPKT6_PKbPfiPT5_PiiiibdPKfPKS9_SF_: ; @_ZN4vllm3moe22topkGatingSoftplusSqrtILi4ELi4ELi4ELi8ELi64ELb0Ei14__hip_bfloat16EEvPKT6_PKbPfiPT5_PiiiibdPKfPKS9_SF_
; %bb.0:
	s_load_dword s24, s[0:1], 0x18
	v_bfe_u32 v1, v0, 10, 10
	s_lshl_b32 s2, s2, 8
	v_lshlrev_b32_e32 v1, 6, v1
	v_and_b32_e32 v0, 0x3ff, v0
	v_add3_u32 v4, v1, v0, s2
	s_waitcnt lgkmcnt(0)
	v_cmp_gt_i32_e32 vcc, s24, v4
	s_and_saveexec_b64 s[2:3], vcc
	s_cbranch_execz .LBB369_32
; %bb.1:
	s_load_dwordx4 s[4:7], s[0:1], 0x0
	s_load_dwordx2 s[20:21], s[0:1], 0x10
	s_waitcnt lgkmcnt(0)
	s_cmp_eq_u64 s[6:7], 0
	s_cbranch_scc1 .LBB369_3
; %bb.2:
	v_ashrrev_i32_e32 v5, 31, v4
	v_lshl_add_u64 v[0:1], s[6:7], 0, v[4:5]
	global_load_ubyte v0, v[0:1], off
	s_waitcnt vmcnt(0)
	v_and_b32_e32 v0, 1, v0
	v_cmp_eq_u32_e32 vcc, 1, v0
	s_xor_b64 s[2:3], vcc, -1
	s_orn2_b64 s[6:7], s[2:3], exec
	s_branch .LBB369_4
.LBB369_3:
	s_mov_b64 s[6:7], -1
.LBB369_4:
	v_lshlrev_b32_e32 v2, 2, v4
	v_mov_b32_e32 v0, s4
	v_mov_b32_e32 v1, s5
	v_ashrrev_i32_e32 v3, 31, v2
	v_lshl_add_u64 v[0:1], v[2:3], 1, v[0:1]
	global_load_dwordx2 v[2:3], v[0:1], off
	s_mov_b32 s18, 0x800000
	v_mov_b32_e32 v5, 0x4f800000
	s_mov_b32 s15, 0x3f317217
	s_mov_b32 s16, 0x7f800000
	v_mov_b32_e32 v6, 0x41b17218
	s_mov_b32 s14, 0x41a00000
	s_mov_b32 s17, 0xf800000
	s_load_dwordx4 s[8:11], s[0:1], 0x40
	s_waitcnt lgkmcnt(0)
	s_cmp_lg_u64 s[10:11], 0
	s_cselect_b64 s[12:13], -1, 0
	s_and_b64 s[2:3], exec, s[12:13]
	s_waitcnt vmcnt(0)
	v_lshlrev_b32_e32 v0, 16, v2
	v_mul_f32_e32 v1, 0x3fb8aa3b, v0
	v_exp_f32_e32 v1, v1
	s_nop 0
	v_add_f32_e32 v1, 1.0, v1
	v_cmp_gt_f32_e32 vcc, s18, v1
	s_nop 1
	v_cndmask_b32_e32 v7, 1.0, v5, vcc
	v_mul_f32_e32 v1, v1, v7
	v_log_f32_e32 v7, v1
	v_cndmask_b32_e32 v8, 0, v6, vcc
	v_mov_b32_e32 v1, 0x260
	v_mul_f32_e32 v9, 0x3f317217, v7
	v_fma_f32 v9, v7, s15, -v9
	v_fmac_f32_e32 v9, 0x3377d1cf, v7
	v_fmac_f32_e32 v9, 0x3f317217, v7
	v_cmp_lt_f32_e64 vcc, |v7|, s16
	s_nop 1
	v_cndmask_b32_e32 v7, v7, v9, vcc
	v_sub_f32_e32 v7, v7, v8
	v_cmp_lt_f32_e32 vcc, s14, v0
	s_nop 1
	v_cndmask_b32_e32 v0, v7, v0, vcc
	v_mul_f32_e32 v7, 0x4f800000, v0
	v_cmp_gt_f32_e32 vcc, s17, v0
	s_nop 1
	v_cndmask_b32_e32 v0, v0, v7, vcc
	v_sqrt_f32_e32 v7, v0
	s_nop 0
	v_add_u32_e32 v8, -1, v7
	v_add_u32_e32 v9, 1, v7
	v_fma_f32 v10, -v8, v7, v0
	v_fma_f32 v11, -v9, v7, v0
	v_cmp_ge_f32_e64 s[4:5], 0, v10
	s_nop 1
	v_cndmask_b32_e64 v7, v7, v8, s[4:5]
	v_cmp_lt_f32_e64 s[4:5], 0, v11
	s_nop 1
	v_cndmask_b32_e64 v7, v7, v9, s[4:5]
	v_mul_f32_e32 v8, 0x37800000, v7
	v_cndmask_b32_e32 v7, v7, v8, vcc
	v_cmp_class_f32_e32 vcc, v0, v1
	s_nop 1
	v_cndmask_b32_e32 v0, v7, v0, vcc
	s_mov_b64 vcc, s[2:3]
	s_cbranch_vccz .LBB369_6
; %bb.5:
	s_load_dword s2, s[10:11], 0x0
	s_waitcnt lgkmcnt(0)
	v_add_f32_e32 v0, s2, v0
.LBB369_6:
	v_and_b32_e32 v7, 0xffff0000, v2
	v_mul_f32_e32 v8, 0x3fb8aa3b, v7
	v_exp_f32_e32 v8, v8
	s_nop 0
	v_add_f32_e32 v8, 1.0, v8
	v_cmp_gt_f32_e32 vcc, s18, v8
	s_nop 1
	v_cndmask_b32_e32 v5, 1.0, v5, vcc
	v_mul_f32_e32 v5, v8, v5
	v_log_f32_e32 v5, v5
	v_cndmask_b32_e32 v6, 0, v6, vcc
	v_mul_f32_e32 v8, 0x3f317217, v5
	v_fma_f32 v8, v5, s15, -v8
	v_fmac_f32_e32 v8, 0x3377d1cf, v5
	v_fmac_f32_e32 v8, 0x3f317217, v5
	v_cmp_lt_f32_e64 vcc, |v5|, s16
	s_nop 1
	v_cndmask_b32_e32 v5, v5, v8, vcc
	v_sub_f32_e32 v5, v5, v6
	v_cmp_lt_f32_e32 vcc, s14, v7
	s_nop 1
	v_cndmask_b32_e32 v5, v5, v7, vcc
	v_mul_f32_e32 v6, 0x4f800000, v5
	v_cmp_gt_f32_e32 vcc, s17, v5
	s_nop 1
	v_cndmask_b32_e32 v5, v5, v6, vcc
	v_sqrt_f32_e32 v6, v5
	v_cmp_class_f32_e64 s[4:5], v5, v1
	v_add_u32_e32 v7, -1, v6
	v_add_u32_e32 v8, 1, v6
	v_fma_f32 v9, -v7, v6, v5
	v_fma_f32 v10, -v8, v6, v5
	v_cmp_ge_f32_e64 s[2:3], 0, v9
	s_nop 1
	v_cndmask_b32_e64 v6, v6, v7, s[2:3]
	v_cmp_lt_f32_e64 s[2:3], 0, v10
	s_nop 1
	v_cndmask_b32_e64 v6, v6, v8, s[2:3]
	v_mul_f32_e32 v7, 0x37800000, v6
	v_cndmask_b32_e32 v6, v6, v7, vcc
	v_cndmask_b32_e64 v7, 0, 1, s[12:13]
	v_cmp_ne_u32_e64 s[2:3], 1, v7
	s_andn2_b64 vcc, exec, s[12:13]
	v_cndmask_b32_e64 v1, v6, v5, s[4:5]
	s_cbranch_vccnz .LBB369_8
; %bb.7:
	s_load_dword s4, s[10:11], 0x4
	s_waitcnt lgkmcnt(0)
	v_add_f32_e32 v1, s4, v1
.LBB369_8:
	v_alignbit_b32 v2, v3, v2, 16
	v_and_b32_e32 v2, 0xffff0000, v2
	v_mul_f32_e32 v5, 0x3fb8aa3b, v2
	v_exp_f32_e32 v5, v5
	s_mov_b32 s16, 0x800000
	v_mov_b32_e32 v6, 0x4f800000
	s_mov_b32 s13, 0x3f317217
	v_add_f32_e32 v5, 1.0, v5
	v_cmp_gt_f32_e32 vcc, s16, v5
	s_mov_b32 s14, 0x7f800000
	s_mov_b32 s12, 0x41a00000
	v_cndmask_b32_e32 v7, 1.0, v6, vcc
	v_mul_f32_e32 v5, v5, v7
	v_log_f32_e32 v5, v5
	s_mov_b32 s15, 0xf800000
	v_mul_f32_e32 v7, 0x3f317217, v5
	v_fma_f32 v7, v5, s13, -v7
	v_fmac_f32_e32 v7, 0x3377d1cf, v5
	v_fmac_f32_e32 v7, 0x3f317217, v5
	v_cmp_lt_f32_e64 s[4:5], |v5|, s14
	s_nop 1
	v_cndmask_b32_e64 v5, v5, v7, s[4:5]
	v_mov_b32_e32 v7, 0x41b17218
	v_cndmask_b32_e32 v8, 0, v7, vcc
	v_sub_f32_e32 v5, v5, v8
	v_cmp_lt_f32_e32 vcc, s12, v2
	s_nop 1
	v_cndmask_b32_e32 v2, v5, v2, vcc
	v_mul_f32_e32 v5, 0x4f800000, v2
	v_cmp_gt_f32_e32 vcc, s15, v2
	s_nop 1
	v_cndmask_b32_e32 v2, v2, v5, vcc
	v_sqrt_f32_e32 v5, v2
	s_nop 0
	v_add_u32_e32 v8, -1, v5
	v_fma_f32 v9, -v8, v5, v2
	v_cmp_ge_f32_e64 s[4:5], 0, v9
	v_add_u32_e32 v9, 1, v5
	s_nop 0
	v_cndmask_b32_e64 v8, v5, v8, s[4:5]
	v_fma_f32 v5, -v9, v5, v2
	v_cmp_lt_f32_e64 s[4:5], 0, v5
	s_nop 1
	v_cndmask_b32_e64 v5, v8, v9, s[4:5]
	v_mul_f32_e32 v8, 0x37800000, v5
	v_cndmask_b32_e32 v8, v5, v8, vcc
	v_mov_b32_e32 v5, 0x260
	v_cmp_class_f32_e64 s[4:5], v2, v5
	s_and_b64 vcc, exec, s[2:3]
	s_nop 0
	v_cndmask_b32_e64 v2, v8, v2, s[4:5]
	s_cbranch_vccnz .LBB369_10
; %bb.9:
	s_load_dword s4, s[10:11], 0x8
	s_waitcnt lgkmcnt(0)
	v_add_f32_e32 v2, s4, v2
.LBB369_10:
	v_and_b32_e32 v3, 0xffff0000, v3
	v_mul_f32_e32 v8, 0x3fb8aa3b, v3
	v_exp_f32_e32 v8, v8
	s_nop 0
	v_add_f32_e32 v8, 1.0, v8
	v_cmp_gt_f32_e32 vcc, s16, v8
	s_nop 1
	v_cndmask_b32_e32 v6, 1.0, v6, vcc
	v_mul_f32_e32 v6, v8, v6
	v_log_f32_e32 v6, v6
	v_cndmask_b32_e32 v7, 0, v7, vcc
	v_mul_f32_e32 v8, 0x3f317217, v6
	v_fma_f32 v8, v6, s13, -v8
	v_fmac_f32_e32 v8, 0x3377d1cf, v6
	v_fmac_f32_e32 v8, 0x3f317217, v6
	v_cmp_lt_f32_e64 vcc, |v6|, s14
	s_nop 1
	v_cndmask_b32_e32 v6, v6, v8, vcc
	v_sub_f32_e32 v6, v6, v7
	v_cmp_lt_f32_e32 vcc, s12, v3
	s_nop 1
	v_cndmask_b32_e32 v3, v6, v3, vcc
	v_mul_f32_e32 v6, 0x4f800000, v3
	v_cmp_gt_f32_e32 vcc, s15, v3
	s_nop 1
	v_cndmask_b32_e32 v3, v3, v6, vcc
	v_sqrt_f32_e32 v6, v3
	s_nop 0
	v_add_u32_e32 v7, -1, v6
	v_add_u32_e32 v8, 1, v6
	v_fma_f32 v9, -v7, v6, v3
	v_fma_f32 v10, -v8, v6, v3
	v_cmp_ge_f32_e64 s[4:5], 0, v9
	s_nop 1
	v_cndmask_b32_e64 v6, v6, v7, s[4:5]
	v_cmp_lt_f32_e64 s[4:5], 0, v10
	s_nop 1
	v_cndmask_b32_e64 v6, v6, v8, s[4:5]
	v_mul_f32_e32 v7, 0x37800000, v6
	v_cndmask_b32_e32 v6, v6, v7, vcc
	v_cmp_class_f32_e64 s[4:5], v3, v5
	s_and_b64 vcc, exec, s[2:3]
	s_nop 0
	v_cndmask_b32_e64 v3, v6, v3, s[4:5]
	s_cbranch_vccnz .LBB369_12
; %bb.11:
	s_load_dword s4, s[10:11], 0xc
	s_waitcnt lgkmcnt(0)
	v_add_f32_e32 v3, s4, v3
.LBB369_12:
	s_load_dwordx4 s[12:15], s[0:1], 0x30
	s_mov_b32 s25, 0
	s_waitcnt lgkmcnt(0)
	s_bitcmp1_b32 s15, 0
	s_cselect_b64 s[4:5], -1, 0
	s_cmp_gt_i32 s12, 0
	s_cselect_b64 s[22:23], -1, 0
	s_and_b64 vcc, exec, s[22:23]
	v_mul_lo_u32 v6, v4, s12
	s_cbranch_vccz .LBB369_19
; %bb.13:
	s_load_dwordx4 s[16:19], s[0:1], 0x20
	v_mov_b32_e32 v5, 0
	v_mov_b32_e32 v7, 0xc61c4000
	s_branch .LBB369_15
.LBB369_14:                             ;   in Loop: Header=BB369_15 Depth=1
	v_add_f32_e32 v8, v5, v8
	v_cndmask_b32_e64 v5, v5, v8, s[4:5]
	s_cmp_lg_u32 s12, s25
	v_add_u32_e32 v4, s24, v4
	s_cbranch_scc0 .LBB369_20
.LBB369_15:                             ; =>This Inner Loop Header: Depth=1
	v_cmp_gt_f32_e32 vcc, v1, v0
	s_nop 1
	v_cndmask_b32_e32 v9, v0, v1, vcc
	v_cndmask_b32_e64 v8, 0, 1, vcc
	v_cmp_gt_f32_e32 vcc, v2, v9
	s_nop 1
	v_cndmask_b32_e32 v10, v9, v2, vcc
	v_cndmask_b32_e64 v8, v8, 2, vcc
	v_cmp_gt_f32_e64 s[0:1], v3, v10
	s_and_b64 vcc, exec, s[2:3]
	s_nop 0
	v_cndmask_b32_e64 v9, v8, 3, s[0:1]
	v_cndmask_b32_e64 v8, v10, v3, s[0:1]
	s_cbranch_vccnz .LBB369_17
; %bb.16:                               ;   in Loop: Header=BB369_15 Depth=1
	v_lshlrev_b32_e32 v10, 2, v9
	global_load_dword v10, v10, s[10:11]
	s_waitcnt vmcnt(0)
	v_sub_f32_e32 v8, v8, v10
.LBB369_17:                             ;   in Loop: Header=BB369_15 Depth=1
	v_add_u32_e32 v10, s25, v6
	v_ashrrev_i32_e32 v11, 31, v10
	v_cmp_le_i32_e32 vcc, s13, v9
	v_cmp_gt_i32_e64 s[0:1], s14, v9
	v_lshlrev_b64 v[10:11], 2, v[10:11]
	s_and_b64 s[0:1], vcc, s[0:1]
	v_lshl_add_u64 v[12:13], s[20:21], 0, v[10:11]
	global_store_dword v[12:13], v8, off
	v_subrev_u32_e32 v12, s13, v9
	s_and_b64 vcc, s[6:7], s[0:1]
	s_add_i32 s25, s25, 1
	v_cndmask_b32_e32 v14, 4, v12, vcc
	s_waitcnt lgkmcnt(0)
	v_lshl_add_u64 v[12:13], s[16:17], 0, v[10:11]
	v_lshl_add_u64 v[10:11], s[18:19], 0, v[10:11]
	s_cmp_ge_i32 s25, s12
	global_store_dword v[12:13], v14, off
	global_store_dword v[10:11], v4, off
	s_cbranch_scc1 .LBB369_14
; %bb.18:                               ;   in Loop: Header=BB369_15 Depth=1
	v_cmp_ne_u32_e32 vcc, 3, v9
	s_nop 1
	v_cndmask_b32_e32 v3, v7, v3, vcc
	v_cmp_ne_u32_e32 vcc, 2, v9
	s_nop 1
	v_cndmask_b32_e32 v2, v7, v2, vcc
	v_cmp_ne_u32_e32 vcc, 1, v9
	s_nop 1
	v_cndmask_b32_e32 v1, v7, v1, vcc
	v_cmp_ne_u32_e32 vcc, 0, v9
	s_nop 1
	v_cndmask_b32_e32 v0, v7, v0, vcc
	s_branch .LBB369_14
.LBB369_19:
	v_mov_b32_e32 v5, 0
.LBB369_20:
	s_andn2_b64 vcc, exec, s[4:5]
	v_cvt_f32_f64_e32 v0, s[8:9]
	s_cbranch_vccnz .LBB369_22
; %bb.21:
	v_cmp_lt_f32_e32 vcc, 0, v5
	s_nop 1
	v_cndmask_b32_e32 v1, 1.0, v5, vcc
	v_div_scale_f32 v2, s[0:1], v1, v1, v0
	v_rcp_f32_e32 v3, v2
	s_nop 0
	v_fma_f32 v4, -v2, v3, 1.0
	v_fmac_f32_e32 v3, v4, v3
	v_div_scale_f32 v4, vcc, v0, v1, v0
	v_mul_f32_e32 v5, v4, v3
	v_fma_f32 v7, -v2, v5, v4
	v_fmac_f32_e32 v5, v7, v3
	v_fma_f32 v2, -v2, v5, v4
	v_div_fmas_f32 v2, v2, v3, v5
	v_div_fixup_f32 v0, v2, v1, v0
.LBB369_22:
	s_andn2_b64 vcc, exec, s[22:23]
	s_cbranch_vccnz .LBB369_32
; %bb.23:
	s_cmp_gt_u32 s12, 3
	v_ashrrev_i32_e32 v7, 31, v6
	s_cbranch_scc0 .LBB369_27
; %bb.24:
	s_and_b32 s0, s12, 0x7ffffffc
	v_lshl_add_u64 v[2:3], v[6:7], 2, s[20:21]
	v_mov_b32_e32 v1, v0
	v_lshl_add_u64 v[2:3], v[2:3], 0, 8
	s_mov_b32 s1, s0
.LBB369_25:                             ; =>This Inner Loop Header: Depth=1
	global_load_dwordx4 v[8:11], v[2:3], off offset:-8
	s_add_i32 s1, s1, -4
	s_cmp_lg_u32 s1, 0
	s_waitcnt vmcnt(0)
	v_pk_mul_f32 v[8:9], v[0:1], v[8:9]
	v_pk_mul_f32 v[10:11], v[0:1], v[10:11]
	global_store_dwordx4 v[2:3], v[8:11], off offset:-8
	v_lshl_add_u64 v[2:3], v[2:3], 0, 16
	s_cbranch_scc1 .LBB369_25
; %bb.26:
	s_cmp_lg_u32 s0, s12
	s_cselect_b64 s[2:3], -1, 0
	s_branch .LBB369_29
.LBB369_27:
	s_mov_b64 s[2:3], 0
                                        ; implicit-def: $sgpr0
	s_cbranch_execz .LBB369_29
; %bb.28:
	s_mov_b64 s[2:3], -1
	s_mov_b32 s0, 0
.LBB369_29:
	s_andn2_b64 vcc, exec, s[2:3]
	s_cbranch_vccnz .LBB369_32
; %bb.30:
	s_mov_b32 s1, 0
	v_lshl_add_u64 v[2:3], v[6:7], 0, s[0:1]
	s_sub_i32 s2, s12, s0
	v_lshl_add_u64 v[2:3], v[2:3], 2, s[20:21]
.LBB369_31:                             ; =>This Inner Loop Header: Depth=1
	global_load_dword v1, v[2:3], off
	s_add_i32 s2, s2, -1
	s_cmp_lg_u32 s2, 0
	s_waitcnt vmcnt(0)
	v_mul_f32_e32 v1, v0, v1
	global_store_dword v[2:3], v1, off
	v_lshl_add_u64 v[2:3], v[2:3], 0, 4
	s_cbranch_scc1 .LBB369_31
.LBB369_32:
	s_endpgm
	.section	.rodata,"a",@progbits
	.p2align	6, 0x0
	.amdhsa_kernel _ZN4vllm3moe22topkGatingSoftplusSqrtILi4ELi4ELi4ELi8ELi64ELb0Ei14__hip_bfloat16EEvPKT6_PKbPfiPT5_PiiiibdPKfPKS9_SF_
		.amdhsa_group_segment_fixed_size 0
		.amdhsa_private_segment_fixed_size 0
		.amdhsa_kernarg_size 96
		.amdhsa_user_sgpr_count 2
		.amdhsa_user_sgpr_dispatch_ptr 0
		.amdhsa_user_sgpr_queue_ptr 0
		.amdhsa_user_sgpr_kernarg_segment_ptr 1
		.amdhsa_user_sgpr_dispatch_id 0
		.amdhsa_user_sgpr_kernarg_preload_length 0
		.amdhsa_user_sgpr_kernarg_preload_offset 0
		.amdhsa_user_sgpr_private_segment_size 0
		.amdhsa_uses_dynamic_stack 0
		.amdhsa_enable_private_segment 0
		.amdhsa_system_sgpr_workgroup_id_x 1
		.amdhsa_system_sgpr_workgroup_id_y 0
		.amdhsa_system_sgpr_workgroup_id_z 0
		.amdhsa_system_sgpr_workgroup_info 0
		.amdhsa_system_vgpr_workitem_id 1
		.amdhsa_next_free_vgpr 15
		.amdhsa_next_free_sgpr 26
		.amdhsa_accum_offset 16
		.amdhsa_reserve_vcc 1
		.amdhsa_float_round_mode_32 0
		.amdhsa_float_round_mode_16_64 0
		.amdhsa_float_denorm_mode_32 3
		.amdhsa_float_denorm_mode_16_64 3
		.amdhsa_dx10_clamp 1
		.amdhsa_ieee_mode 1
		.amdhsa_fp16_overflow 0
		.amdhsa_tg_split 0
		.amdhsa_exception_fp_ieee_invalid_op 0
		.amdhsa_exception_fp_denorm_src 0
		.amdhsa_exception_fp_ieee_div_zero 0
		.amdhsa_exception_fp_ieee_overflow 0
		.amdhsa_exception_fp_ieee_underflow 0
		.amdhsa_exception_fp_ieee_inexact 0
		.amdhsa_exception_int_div_zero 0
	.end_amdhsa_kernel
	.section	.text._ZN4vllm3moe22topkGatingSoftplusSqrtILi4ELi4ELi4ELi8ELi64ELb0Ei14__hip_bfloat16EEvPKT6_PKbPfiPT5_PiiiibdPKfPKS9_SF_,"axG",@progbits,_ZN4vllm3moe22topkGatingSoftplusSqrtILi4ELi4ELi4ELi8ELi64ELb0Ei14__hip_bfloat16EEvPKT6_PKbPfiPT5_PiiiibdPKfPKS9_SF_,comdat
.Lfunc_end369:
	.size	_ZN4vllm3moe22topkGatingSoftplusSqrtILi4ELi4ELi4ELi8ELi64ELb0Ei14__hip_bfloat16EEvPKT6_PKbPfiPT5_PiiiibdPKfPKS9_SF_, .Lfunc_end369-_ZN4vllm3moe22topkGatingSoftplusSqrtILi4ELi4ELi4ELi8ELi64ELb0Ei14__hip_bfloat16EEvPKT6_PKbPfiPT5_PiiiibdPKfPKS9_SF_
                                        ; -- End function
	.section	.AMDGPU.csdata,"",@progbits
; Kernel info:
; codeLenInByte = 2048
; NumSgprs: 32
; NumVgprs: 15
; NumAgprs: 0
; TotalNumVgprs: 15
; ScratchSize: 0
; MemoryBound: 0
; FloatMode: 240
; IeeeMode: 1
; LDSByteSize: 0 bytes/workgroup (compile time only)
; SGPRBlocks: 3
; VGPRBlocks: 1
; NumSGPRsForWavesPerEU: 32
; NumVGPRsForWavesPerEU: 15
; AccumOffset: 16
; Occupancy: 8
; WaveLimiterHint : 0
; COMPUTE_PGM_RSRC2:SCRATCH_EN: 0
; COMPUTE_PGM_RSRC2:USER_SGPR: 2
; COMPUTE_PGM_RSRC2:TRAP_HANDLER: 0
; COMPUTE_PGM_RSRC2:TGID_X_EN: 1
; COMPUTE_PGM_RSRC2:TGID_Y_EN: 0
; COMPUTE_PGM_RSRC2:TGID_Z_EN: 0
; COMPUTE_PGM_RSRC2:TIDIG_COMP_CNT: 1
; COMPUTE_PGM_RSRC3_GFX90A:ACCUM_OFFSET: 3
; COMPUTE_PGM_RSRC3_GFX90A:TG_SPLIT: 0
	.section	.text._ZN4vllm3moe22topkGatingSoftplusSqrtILi4ELi4ELi4ELi8ELi32ELb1Ei14__hip_bfloat16EEvPKT6_PKbPfiPT5_PiiiibdPKfPKS9_SF_,"axG",@progbits,_ZN4vllm3moe22topkGatingSoftplusSqrtILi4ELi4ELi4ELi8ELi32ELb1Ei14__hip_bfloat16EEvPKT6_PKbPfiPT5_PiiiibdPKfPKS9_SF_,comdat
	.protected	_ZN4vllm3moe22topkGatingSoftplusSqrtILi4ELi4ELi4ELi8ELi32ELb1Ei14__hip_bfloat16EEvPKT6_PKbPfiPT5_PiiiibdPKfPKS9_SF_ ; -- Begin function _ZN4vllm3moe22topkGatingSoftplusSqrtILi4ELi4ELi4ELi8ELi32ELb1Ei14__hip_bfloat16EEvPKT6_PKbPfiPT5_PiiiibdPKfPKS9_SF_
	.globl	_ZN4vllm3moe22topkGatingSoftplusSqrtILi4ELi4ELi4ELi8ELi32ELb1Ei14__hip_bfloat16EEvPKT6_PKbPfiPT5_PiiiibdPKfPKS9_SF_
	.p2align	8
	.type	_ZN4vllm3moe22topkGatingSoftplusSqrtILi4ELi4ELi4ELi8ELi32ELb1Ei14__hip_bfloat16EEvPKT6_PKbPfiPT5_PiiiibdPKfPKS9_SF_,@function
_ZN4vllm3moe22topkGatingSoftplusSqrtILi4ELi4ELi4ELi8ELi32ELb1Ei14__hip_bfloat16EEvPKT6_PKbPfiPT5_PiiiibdPKfPKS9_SF_: ; @_ZN4vllm3moe22topkGatingSoftplusSqrtILi4ELi4ELi4ELi8ELi32ELb1Ei14__hip_bfloat16EEvPKT6_PKbPfiPT5_PiiiibdPKfPKS9_SF_
; %bb.0:
	s_load_dword s3, s[0:1], 0x18
	v_bfe_u32 v1, v0, 10, 10
	s_lshl_b32 s2, s2, 7
	v_lshlrev_b32_e32 v1, 5, v1
	v_and_b32_e32 v0, 0x3ff, v0
	v_add3_u32 v2, v1, v0, s2
	s_waitcnt lgkmcnt(0)
	v_cmp_gt_i32_e32 vcc, s3, v2
	s_and_saveexec_b64 s[2:3], vcc
	s_cbranch_execz .LBB370_56
; %bb.1:
	s_load_dwordx4 s[8:11], s[0:1], 0x50
	s_load_dwordx2 s[2:3], s[0:1], 0x0
	s_load_dword s16, s[0:1], 0x30
	v_lshlrev_b32_e32 v0, 2, v2
	v_ashrrev_i32_e32 v1, 31, v0
	s_waitcnt lgkmcnt(0)
	v_mov_b32_e32 v4, s8
	v_lshl_add_u64 v[0:1], v[0:1], 1, s[2:3]
	v_mov_b32_e32 v5, s9
	v_ashrrev_i32_e32 v3, 31, v2
	global_load_dwordx2 v[0:1], v[0:1], off
	v_lshl_add_u64 v[4:5], v[2:3], 2, v[4:5]
	global_load_dword v3, v[4:5], off
	s_mov_b32 s4, 0x800000
	v_mov_b32_e32 v8, 0x4f800000
	v_mov_b32_e32 v9, 0x41b17218
	s_mov_b32 s5, 0x3f317217
	s_mov_b32 s12, 0x7f800000
	;; [unrolled: 1-line block ×4, first 2 shown]
	v_mov_b32_e32 v13, 0x260
	s_cmp_gt_i32 s16, 0
	s_mov_b32 s8, 0
	v_mov_b32_e32 v14, 0
	v_mul_lo_u32 v2, v2, s16
	s_waitcnt vmcnt(1)
	v_lshlrev_b32_e32 v10, 16, v0
	v_and_b32_e32 v11, 0xffff0000, v0
	v_alignbit_b32 v4, v1, v0, 16
	s_waitcnt vmcnt(0)
	v_mul_lo_u32 v0, v3, s16
	v_mul_f32_e32 v3, 0x3fb8aa3b, v10
	v_mul_f32_e32 v5, 0x3fb8aa3b, v11
	v_and_b32_e32 v12, 0xffff0000, v1
	v_and_b32_e32 v15, 0xffff0000, v4
	v_exp_f32_e32 v4, v3
	v_exp_f32_e32 v5, v5
	v_mul_f32_e32 v6, 0x3fb8aa3b, v12
	v_mul_f32_e32 v3, 0x3fb8aa3b, v15
	v_exp_f32_e32 v7, v6
	v_exp_f32_e32 v6, v3
	v_pk_add_f32 v[4:5], v[4:5], 1.0 op_sel_hi:[1,0]
	v_ashrrev_i32_e32 v1, 31, v0
	v_cmp_gt_f32_e32 vcc, s4, v5
	v_cmp_gt_f32_e64 s[2:3], s4, v4
	v_pk_add_f32 v[6:7], v[6:7], 1.0 op_sel_hi:[1,0]
	v_cndmask_b32_e32 v3, 1.0, v8, vcc
	v_cndmask_b32_e64 v16, 1.0, v8, s[2:3]
	v_mul_f32_e32 v3, v5, v3
	v_cndmask_b32_e32 v5, 0, v9, vcc
	v_cmp_gt_f32_e32 vcc, s4, v7
	v_mul_f32_e32 v4, v4, v16
	v_log_f32_e32 v3, v3
	v_cndmask_b32_e32 v17, 1.0, v8, vcc
	v_log_f32_e32 v4, v4
	v_mul_f32_e32 v7, v7, v17
	v_cndmask_b32_e64 v16, 0, v9, s[2:3]
	v_cmp_gt_f32_e64 s[2:3], s4, v6
	v_log_f32_e32 v7, v7
	v_mul_f32_e32 v18, 0x3f317217, v4
	v_cndmask_b32_e64 v8, 1.0, v8, s[2:3]
	v_mul_f32_e32 v6, v6, v8
	v_mul_f32_e32 v8, 0x3f317217, v3
	v_fma_f32 v8, v3, s5, -v8
	v_fma_f32 v18, v4, s5, -v18
	v_mul_f32_e32 v19, 0x3f317217, v7
	v_fmac_f32_e32 v8, 0x3377d1cf, v3
	v_cndmask_b32_e32 v17, 0, v9, vcc
	v_fmac_f32_e32 v18, 0x3377d1cf, v4
	v_fma_f32 v19, v7, s5, -v19
	v_fmac_f32_e32 v8, 0x3f317217, v3
	v_cmp_lt_f32_e64 vcc, |v3|, s12
	v_fmac_f32_e32 v18, 0x3f317217, v4
	v_fmac_f32_e32 v19, 0x3377d1cf, v7
	v_cndmask_b32_e32 v3, v3, v8, vcc
	v_cmp_lt_f32_e64 vcc, |v4|, s12
	v_log_f32_e32 v6, v6
	v_fmac_f32_e32 v19, 0x3f317217, v7
	v_cndmask_b32_e32 v4, v4, v18, vcc
	v_cmp_lt_f32_e64 vcc, |v7|, s12
	v_sub_f32_e32 v3, v3, v5
	v_sub_f32_e32 v4, v4, v16
	v_cndmask_b32_e32 v5, v7, v19, vcc
	v_cmp_lt_f32_e32 vcc, s9, v10
	v_mul_f32_e32 v20, 0x3f317217, v6
	v_fma_f32 v20, v6, s5, -v20
	v_cndmask_b32_e32 v4, v4, v10, vcc
	v_cmp_lt_f32_e32 vcc, s9, v11
	v_mul_f32_e32 v8, 0x4f800000, v4
	v_cmp_gt_f32_e64 s[4:5], s13, v4
	v_cndmask_b32_e32 v3, v3, v11, vcc
	v_mul_f32_e32 v7, 0x4f800000, v3
	v_cmp_gt_f32_e32 vcc, s13, v3
	v_cndmask_b32_e64 v4, v4, v8, s[4:5]
	v_sqrt_f32_e32 v8, v4
	v_cndmask_b32_e32 v3, v3, v7, vcc
	v_sqrt_f32_e32 v7, v3
	v_sub_f32_e32 v5, v5, v17
	v_add_u32_e32 v16, -1, v8
	v_fma_f32 v21, -v16, v8, v4
	v_add_u32_e32 v10, -1, v7
	v_fma_f32 v18, -v10, v7, v3
	v_add_u32_e32 v11, 1, v7
	v_cmp_ge_f32_e64 s[6:7], 0, v18
	v_add_u32_e32 v17, 1, v8
	v_fma_f32 v19, -v11, v7, v3
	v_cndmask_b32_e64 v7, v7, v10, s[6:7]
	v_cmp_ge_f32_e64 s[6:7], 0, v21
	v_fma_f32 v22, -v17, v8, v4
	v_fmac_f32_e32 v20, 0x3377d1cf, v6
	v_cndmask_b32_e64 v8, v8, v16, s[6:7]
	v_cmp_lt_f32_e64 s[6:7], 0, v19
	v_fmac_f32_e32 v20, 0x3f317217, v6
	s_nop 0
	v_cndmask_b32_e64 v7, v7, v11, s[6:7]
	v_cmp_lt_f32_e64 s[6:7], 0, v22
	v_mul_f32_e32 v10, 0x37800000, v7
	v_cndmask_b32_e32 v7, v7, v10, vcc
	v_cndmask_b32_e64 v8, v8, v17, s[6:7]
	v_mul_f32_e32 v11, 0x37800000, v8
	v_cmp_class_f32_e32 vcc, v3, v13
	v_cndmask_b32_e64 v8, v8, v11, s[4:5]
	s_nop 0
	v_cndmask_b32_e32 v10, v7, v3, vcc
	v_cmp_class_f32_e32 vcc, v4, v13
	s_nop 1
	v_cndmask_b32_e32 v11, v8, v4, vcc
	v_cmp_lt_f32_e64 vcc, |v6|, s12
	v_cndmask_b32_e64 v4, 0, v9, s[2:3]
	v_cmp_lt_f32_e64 s[2:3], s9, v15
	v_cndmask_b32_e32 v3, v6, v20, vcc
	v_cmp_lt_f32_e32 vcc, s9, v12
	v_sub_f32_e32 v3, v3, v4
	v_cndmask_b32_e64 v3, v3, v15, s[2:3]
	v_cndmask_b32_e32 v5, v5, v12, vcc
	v_mul_f32_e32 v6, 0x4f800000, v5
	v_cmp_gt_f32_e32 vcc, s13, v5
	s_nop 1
	v_cndmask_b32_e32 v5, v5, v6, vcc
	v_sqrt_f32_e32 v6, v5
	s_nop 0
	v_add_u32_e32 v4, -1, v6
	v_fma_f32 v7, -v4, v6, v5
	v_cmp_ge_f32_e64 s[2:3], 0, v7
	v_add_u32_e32 v7, 1, v6
	s_nop 0
	v_cndmask_b32_e64 v4, v6, v4, s[2:3]
	v_fma_f32 v6, -v7, v6, v5
	v_cmp_lt_f32_e64 s[2:3], 0, v6
	s_nop 1
	v_cndmask_b32_e64 v4, v4, v7, s[2:3]
	v_mul_f32_e32 v7, 0x4f800000, v3
	v_cmp_gt_f32_e64 s[2:3], s13, v3
	v_mul_f32_e32 v6, 0x37800000, v4
	v_cndmask_b32_e32 v4, v4, v6, vcc
	v_cndmask_b32_e64 v3, v3, v7, s[2:3]
	v_sqrt_f32_e32 v7, v3
	v_cmp_class_f32_e32 vcc, v5, v13
	s_nop 1
	v_cndmask_b32_e32 v12, v4, v5, vcc
	v_add_u32_e32 v4, -1, v7
	v_fma_f32 v5, -v4, v7, v3
	v_cmp_ge_f32_e32 vcc, 0, v5
	v_add_u32_e32 v5, 1, v7
	v_fma_f32 v6, -v5, v7, v3
	v_cndmask_b32_e32 v4, v7, v4, vcc
	v_cmp_lt_f32_e32 vcc, 0, v6
	s_nop 1
	v_cndmask_b32_e32 v4, v4, v5, vcc
	v_mul_f32_e32 v5, 0x37800000, v4
	v_cndmask_b32_e64 v4, v4, v5, s[2:3]
	v_cmp_class_f32_e32 vcc, v3, v13
	s_cselect_b64 s[2:3], -1, 0
	s_cmp_lt_i32 s16, 1
	v_cndmask_b32_e32 v13, v4, v3, vcc
	v_lshl_add_u64 v[4:5], v[0:1], 2, s[10:11]
	s_cbranch_scc1 .LBB370_29
; %bb.2:
	s_load_dwordx2 s[4:5], s[0:1], 0x20
	s_cmp_lt_u32 s16, 4
	s_cbranch_scc1 .LBB370_21
; %bb.3:
	s_mov_b32 s7, 0
	s_and_b32 s8, s16, 0x7ffffffc
	v_ashrrev_i32_e32 v3, 31, v2
	v_mov_b32_e32 v14, 0
	s_mov_b32 s6, s7
	s_branch .LBB370_5
.LBB370_4:                              ;   in Loop: Header=BB370_5 Depth=1
	s_or_b64 exec, exec, s[12:13]
	s_add_i32 s6, s6, 4
	s_cmp_eq_u32 s6, s8
	s_cbranch_scc1 .LBB370_22
.LBB370_5:                              ; =>This Loop Header: Depth=1
                                        ;     Child Loop BB370_7 Depth 2
                                        ;     Child Loop BB370_11 Depth 2
	;; [unrolled: 1-line block ×4, first 2 shown]
	v_lshl_add_u64 v[6:7], s[6:7], 2, v[4:5]
	global_load_dword v15, v[6:7], off
	v_add_u32_e32 v8, s6, v2
	v_ashrrev_i32_e32 v9, 31, v8
	s_mov_b64 s[12:13], 0
	s_waitcnt lgkmcnt(0)
	v_lshl_add_u64 v[8:9], v[8:9], 2, s[4:5]
	s_mov_b32 s9, 0
	s_waitcnt vmcnt(0)
	v_cmp_eq_u32_e32 vcc, 1, v15
	s_nop 1
	v_cndmask_b32_e32 v17, v11, v10, vcc
	v_cmp_eq_u32_e32 vcc, 2, v15
	v_min_u32_e32 v16, 3, v15
	v_add_u32_e32 v16, 1, v16
	v_cndmask_b32_e32 v17, v17, v13, vcc
	v_cmp_eq_u32_e32 vcc, 3, v15
	s_nop 1
	v_cndmask_b32_e32 v17, v17, v12, vcc
	s_branch .LBB370_7
.LBB370_6:                              ;   in Loop: Header=BB370_7 Depth=2
	s_or_b64 exec, exec, s[14:15]
	s_add_i32 s9, s9, 1
	v_cmp_eq_u32_e32 vcc, s9, v16
	s_or_b64 s[12:13], vcc, s[12:13]
	s_andn2_b64 exec, exec, s[12:13]
	s_cbranch_execz .LBB370_9
.LBB370_7:                              ;   Parent Loop BB370_5 Depth=1
                                        ; =>  This Inner Loop Header: Depth=2
	v_cmp_eq_u32_e32 vcc, s9, v15
	s_and_saveexec_b64 s[14:15], vcc
	s_cbranch_execz .LBB370_6
; %bb.8:                                ;   in Loop: Header=BB370_7 Depth=2
	v_add_f32_e32 v14, v14, v17
	global_store_dword v[8:9], v15, off
	s_branch .LBB370_6
.LBB370_9:                              ;   in Loop: Header=BB370_5 Depth=1
	s_or_b64 exec, exec, s[12:13]
	global_load_dword v15, v[6:7], off offset:4
	s_ashr_i32 s13, s6, 31
	s_mov_b32 s12, s6
	v_lshl_add_u64 v[8:9], s[12:13], 0, v[2:3]
	s_mov_b32 s9, 0
	v_lshl_add_u64 v[8:9], v[8:9], 2, s[4:5]
	s_mov_b64 s[12:13], 0
	s_waitcnt vmcnt(0)
	v_cmp_eq_u32_e32 vcc, 1, v15
	s_nop 1
	v_cndmask_b32_e32 v17, v11, v10, vcc
	v_cmp_eq_u32_e32 vcc, 2, v15
	v_min_u32_e32 v16, 3, v15
	v_add_u32_e32 v16, 1, v16
	v_cndmask_b32_e32 v17, v17, v13, vcc
	v_cmp_eq_u32_e32 vcc, 3, v15
	s_nop 1
	v_cndmask_b32_e32 v17, v17, v12, vcc
	s_branch .LBB370_11
.LBB370_10:                             ;   in Loop: Header=BB370_11 Depth=2
	s_or_b64 exec, exec, s[14:15]
	s_add_i32 s9, s9, 1
	v_cmp_eq_u32_e32 vcc, s9, v16
	s_or_b64 s[12:13], vcc, s[12:13]
	s_andn2_b64 exec, exec, s[12:13]
	s_cbranch_execz .LBB370_13
.LBB370_11:                             ;   Parent Loop BB370_5 Depth=1
                                        ; =>  This Inner Loop Header: Depth=2
	v_cmp_eq_u32_e32 vcc, s9, v15
	s_and_saveexec_b64 s[14:15], vcc
	s_cbranch_execz .LBB370_10
; %bb.12:                               ;   in Loop: Header=BB370_11 Depth=2
	v_add_f32_e32 v14, v14, v17
	global_store_dword v[8:9], v15, off offset:4
	s_branch .LBB370_10
.LBB370_13:                             ;   in Loop: Header=BB370_5 Depth=1
	s_or_b64 exec, exec, s[12:13]
	global_load_dword v15, v[6:7], off offset:8
	s_mov_b32 s9, 0
	s_mov_b64 s[12:13], 0
	s_waitcnt vmcnt(0)
	v_cmp_eq_u32_e32 vcc, 1, v15
	s_nop 1
	v_cndmask_b32_e32 v17, v11, v10, vcc
	v_cmp_eq_u32_e32 vcc, 2, v15
	v_min_u32_e32 v16, 3, v15
	v_add_u32_e32 v16, 1, v16
	v_cndmask_b32_e32 v17, v17, v13, vcc
	v_cmp_eq_u32_e32 vcc, 3, v15
	s_nop 1
	v_cndmask_b32_e32 v17, v17, v12, vcc
	s_branch .LBB370_15
.LBB370_14:                             ;   in Loop: Header=BB370_15 Depth=2
	s_or_b64 exec, exec, s[14:15]
	s_add_i32 s9, s9, 1
	v_cmp_eq_u32_e32 vcc, s9, v16
	s_or_b64 s[12:13], vcc, s[12:13]
	s_andn2_b64 exec, exec, s[12:13]
	s_cbranch_execz .LBB370_17
.LBB370_15:                             ;   Parent Loop BB370_5 Depth=1
                                        ; =>  This Inner Loop Header: Depth=2
	v_cmp_eq_u32_e32 vcc, s9, v15
	s_and_saveexec_b64 s[14:15], vcc
	s_cbranch_execz .LBB370_14
; %bb.16:                               ;   in Loop: Header=BB370_15 Depth=2
	v_add_f32_e32 v14, v14, v17
	global_store_dword v[8:9], v15, off offset:8
	s_branch .LBB370_14
.LBB370_17:                             ;   in Loop: Header=BB370_5 Depth=1
	s_or_b64 exec, exec, s[12:13]
	global_load_dword v6, v[6:7], off offset:12
	s_mov_b32 s9, 0
	s_mov_b64 s[12:13], 0
	s_waitcnt vmcnt(0)
	v_cmp_eq_u32_e32 vcc, 1, v6
	s_nop 1
	v_cndmask_b32_e32 v15, v11, v10, vcc
	v_cmp_eq_u32_e32 vcc, 2, v6
	v_min_u32_e32 v7, 3, v6
	v_add_u32_e32 v7, 1, v7
	v_cndmask_b32_e32 v15, v15, v13, vcc
	v_cmp_eq_u32_e32 vcc, 3, v6
	s_nop 1
	v_cndmask_b32_e32 v15, v15, v12, vcc
	s_branch .LBB370_19
.LBB370_18:                             ;   in Loop: Header=BB370_19 Depth=2
	s_or_b64 exec, exec, s[14:15]
	s_add_i32 s9, s9, 1
	v_cmp_eq_u32_e32 vcc, s9, v7
	s_or_b64 s[12:13], vcc, s[12:13]
	s_andn2_b64 exec, exec, s[12:13]
	s_cbranch_execz .LBB370_4
.LBB370_19:                             ;   Parent Loop BB370_5 Depth=1
                                        ; =>  This Inner Loop Header: Depth=2
	v_cmp_eq_u32_e32 vcc, s9, v6
	s_and_saveexec_b64 s[14:15], vcc
	s_cbranch_execz .LBB370_18
; %bb.20:                               ;   in Loop: Header=BB370_19 Depth=2
	v_add_f32_e32 v14, v14, v15
	global_store_dword v[8:9], v6, off offset:12
	s_branch .LBB370_18
.LBB370_21:
	v_mov_b32_e32 v14, 0
.LBB370_22:
	s_and_b32 s14, s16, 3
	s_cmp_eq_u32 s14, 0
	s_mov_b32 s9, 0
	s_cbranch_scc1 .LBB370_29
; %bb.23:
	s_mov_b32 s15, s9
	s_branch .LBB370_25
.LBB370_24:                             ;   in Loop: Header=BB370_25 Depth=1
	s_or_b64 exec, exec, s[6:7]
	s_add_i32 s8, s8, 1
	s_add_i32 s15, s15, 1
	s_cmp_lg_u32 s15, s14
	s_cbranch_scc0 .LBB370_29
.LBB370_25:                             ; =>This Loop Header: Depth=1
                                        ;     Child Loop BB370_27 Depth 2
	v_lshl_add_u64 v[6:7], s[8:9], 2, v[4:5]
	global_load_dword v3, v[6:7], off
	v_add_u32_e32 v6, s8, v2
	v_ashrrev_i32_e32 v7, 31, v6
	s_mov_b32 s17, 0
	s_waitcnt lgkmcnt(0)
	v_lshl_add_u64 v[6:7], v[6:7], 2, s[4:5]
	s_mov_b64 s[6:7], 0
	s_waitcnt vmcnt(0)
	v_cmp_eq_u32_e32 vcc, 1, v3
	s_nop 1
	v_cndmask_b32_e32 v9, v11, v10, vcc
	v_cmp_eq_u32_e32 vcc, 2, v3
	v_min_u32_e32 v8, 3, v3
	v_add_u32_e32 v8, 1, v8
	v_cndmask_b32_e32 v9, v9, v13, vcc
	v_cmp_eq_u32_e32 vcc, 3, v3
	s_nop 1
	v_cndmask_b32_e32 v9, v9, v12, vcc
	s_branch .LBB370_27
.LBB370_26:                             ;   in Loop: Header=BB370_27 Depth=2
	s_or_b64 exec, exec, s[12:13]
	s_add_i32 s17, s17, 1
	v_cmp_eq_u32_e32 vcc, s17, v8
	s_or_b64 s[6:7], vcc, s[6:7]
	s_andn2_b64 exec, exec, s[6:7]
	s_cbranch_execz .LBB370_24
.LBB370_27:                             ;   Parent Loop BB370_25 Depth=1
                                        ; =>  This Inner Loop Header: Depth=2
	v_cmp_eq_u32_e32 vcc, s17, v3
	s_and_saveexec_b64 s[12:13], vcc
	s_cbranch_execz .LBB370_26
; %bb.28:                               ;   in Loop: Header=BB370_27 Depth=2
	v_add_f32_e32 v14, v14, v9
	global_store_dword v[6:7], v3, off
	s_branch .LBB370_26
.LBB370_29:
	s_load_dword s6, s[0:1], 0x3c
	s_waitcnt lgkmcnt(0)
	s_load_dwordx2 s[4:5], s[0:1], 0x40
	s_bitcmp1_b32 s6, 0
	s_cselect_b64 s[6:7], -1, 0
	s_waitcnt lgkmcnt(0)
	v_cvt_f32_f64_e32 v15, s[4:5]
	s_and_b64 vcc, exec, s[6:7]
	s_cbranch_vccz .LBB370_31
; %bb.30:
	v_cmp_lt_f32_e32 vcc, 0, v14
	s_nop 1
	v_cndmask_b32_e32 v3, 1.0, v14, vcc
	v_div_scale_f32 v6, s[4:5], v3, v3, v15
	v_rcp_f32_e32 v7, v6
	s_nop 0
	v_fma_f32 v8, -v6, v7, 1.0
	v_fmac_f32_e32 v7, v8, v7
	v_div_scale_f32 v8, vcc, v15, v3, v15
	v_mul_f32_e32 v9, v8, v7
	v_fma_f32 v14, -v6, v9, v8
	v_fmac_f32_e32 v9, v14, v7
	v_fma_f32 v6, -v6, v9, v8
	v_div_fmas_f32 v6, v6, v7, v9
	v_div_fixup_f32 v15, v6, v3, v15
.LBB370_31:
	s_andn2_b64 vcc, exec, s[2:3]
	s_cbranch_vccnz .LBB370_56
; %bb.32:
	s_load_dwordx2 s[0:1], s[0:1], 0x10
	s_cmp_lt_u32 s16, 8
	s_mov_b32 s2, 0
	s_cbranch_scc1 .LBB370_51
; %bb.33:
	v_ashrrev_i32_e32 v3, 31, v2
	s_and_b32 s2, s16, 0x7ffffff8
	s_waitcnt lgkmcnt(0)
	v_lshl_add_u64 v[6:7], v[2:3], 2, s[0:1]
	s_mov_b32 s3, 0
	s_mov_b64 s[4:5], 0
	s_branch .LBB370_35
.LBB370_34:                             ;   in Loop: Header=BB370_35 Depth=1
	s_or_b64 exec, exec, s[6:7]
	s_add_i32 s3, s3, 8
	s_add_u32 s4, s4, 32
	s_addc_u32 s5, s5, 0
	s_cmp_eq_u32 s2, s3
	s_cbranch_scc1 .LBB370_51
.LBB370_35:                             ; =>This Inner Loop Header: Depth=1
	v_lshl_add_u64 v[8:9], v[4:5], 0, s[4:5]
	global_load_dword v3, v[8:9], off
	s_waitcnt vmcnt(0)
	v_cmp_gt_u32_e32 vcc, 4, v3
	s_and_saveexec_b64 s[6:7], vcc
	s_cbranch_execz .LBB370_37
; %bb.36:                               ;   in Loop: Header=BB370_35 Depth=1
	v_cmp_eq_u32_e32 vcc, 1, v3
	v_add_u32_e32 v16, s3, v2
	v_ashrrev_i32_e32 v17, 31, v16
	v_cndmask_b32_e32 v14, v11, v10, vcc
	v_cmp_eq_u32_e32 vcc, 2, v3
	v_lshl_add_u64 v[16:17], v[16:17], 2, s[0:1]
	s_nop 0
	v_cndmask_b32_e32 v14, v14, v13, vcc
	v_cmp_eq_u32_e32 vcc, 3, v3
	s_nop 1
	v_cndmask_b32_e32 v3, v14, v12, vcc
	v_mul_f32_e32 v3, v15, v3
	global_store_dword v[16:17], v3, off
.LBB370_37:                             ;   in Loop: Header=BB370_35 Depth=1
	s_or_b64 exec, exec, s[6:7]
	global_load_dword v3, v[8:9], off offset:4
	s_waitcnt vmcnt(0)
	v_cmp_gt_u32_e32 vcc, 4, v3
	s_and_saveexec_b64 s[6:7], vcc
	s_cbranch_execz .LBB370_39
; %bb.38:                               ;   in Loop: Header=BB370_35 Depth=1
	v_cmp_eq_u32_e32 vcc, 1, v3
	v_lshl_add_u64 v[16:17], v[6:7], 0, s[4:5]
	s_nop 0
	v_cndmask_b32_e32 v14, v11, v10, vcc
	v_cmp_eq_u32_e32 vcc, 2, v3
	s_nop 1
	v_cndmask_b32_e32 v14, v14, v13, vcc
	v_cmp_eq_u32_e32 vcc, 3, v3
	s_nop 1
	v_cndmask_b32_e32 v3, v14, v12, vcc
	v_mul_f32_e32 v3, v15, v3
	global_store_dword v[16:17], v3, off offset:4
.LBB370_39:                             ;   in Loop: Header=BB370_35 Depth=1
	s_or_b64 exec, exec, s[6:7]
	global_load_dword v3, v[8:9], off offset:8
	s_waitcnt vmcnt(0)
	v_cmp_gt_u32_e32 vcc, 4, v3
	s_and_saveexec_b64 s[6:7], vcc
	s_cbranch_execz .LBB370_41
; %bb.40:                               ;   in Loop: Header=BB370_35 Depth=1
	v_cmp_eq_u32_e32 vcc, 1, v3
	v_lshl_add_u64 v[16:17], v[6:7], 0, s[4:5]
	s_nop 0
	v_cndmask_b32_e32 v14, v11, v10, vcc
	v_cmp_eq_u32_e32 vcc, 2, v3
	s_nop 1
	v_cndmask_b32_e32 v14, v14, v13, vcc
	v_cmp_eq_u32_e32 vcc, 3, v3
	s_nop 1
	v_cndmask_b32_e32 v3, v14, v12, vcc
	v_mul_f32_e32 v3, v15, v3
	global_store_dword v[16:17], v3, off offset:8
.LBB370_41:                             ;   in Loop: Header=BB370_35 Depth=1
	;; [unrolled: 20-line block ×6, first 2 shown]
	s_or_b64 exec, exec, s[6:7]
	global_load_dword v3, v[8:9], off offset:28
	s_waitcnt vmcnt(0)
	v_cmp_gt_u32_e32 vcc, 4, v3
	s_and_saveexec_b64 s[6:7], vcc
	s_cbranch_execz .LBB370_34
; %bb.50:                               ;   in Loop: Header=BB370_35 Depth=1
	v_cmp_eq_u32_e32 vcc, 1, v3
	s_nop 1
	v_cndmask_b32_e32 v8, v11, v10, vcc
	v_cmp_eq_u32_e32 vcc, 2, v3
	s_nop 1
	v_cndmask_b32_e32 v8, v8, v13, vcc
	;; [unrolled: 3-line block ×3, first 2 shown]
	v_mul_f32_e32 v3, v15, v3
	v_lshl_add_u64 v[8:9], v[6:7], 0, s[4:5]
	global_store_dword v[8:9], v3, off offset:28
	s_branch .LBB370_34
.LBB370_51:
	s_and_b32 s4, s16, 7
	s_cmp_eq_u32 s4, 0
	s_mov_b32 s3, 0
	s_cbranch_scc1 .LBB370_56
; %bb.52:
	v_add_u32_e32 v2, s2, v2
	s_lshl_b64 s[2:3], s[2:3], 2
	s_add_u32 s2, s10, s2
	s_addc_u32 s3, s11, s3
	v_lshl_add_u64 v[0:1], v[0:1], 2, s[2:3]
	s_branch .LBB370_54
.LBB370_53:                             ;   in Loop: Header=BB370_54 Depth=1
	s_or_b64 exec, exec, s[2:3]
	s_add_i32 s4, s4, -1
	v_add_u32_e32 v2, 1, v2
	s_cmp_eq_u32 s4, 0
	v_lshl_add_u64 v[0:1], v[0:1], 0, 4
	s_cbranch_scc1 .LBB370_56
.LBB370_54:                             ; =>This Inner Loop Header: Depth=1
	global_load_dword v3, v[0:1], off
	s_waitcnt vmcnt(0)
	v_cmp_gt_u32_e32 vcc, 4, v3
	s_and_saveexec_b64 s[2:3], vcc
	s_cbranch_execz .LBB370_53
; %bb.55:                               ;   in Loop: Header=BB370_54 Depth=1
	v_cmp_eq_u32_e32 vcc, 1, v3
	s_nop 1
	v_cndmask_b32_e32 v4, v11, v10, vcc
	v_cmp_eq_u32_e32 vcc, 2, v3
	s_nop 1
	v_cndmask_b32_e32 v4, v4, v13, vcc
	;; [unrolled: 3-line block ×3, first 2 shown]
	v_mul_f32_e32 v6, v15, v3
	v_ashrrev_i32_e32 v3, 31, v2
	s_waitcnt lgkmcnt(0)
	v_lshl_add_u64 v[4:5], v[2:3], 2, s[0:1]
	global_store_dword v[4:5], v6, off
	s_branch .LBB370_53
.LBB370_56:
	s_endpgm
	.section	.rodata,"a",@progbits
	.p2align	6, 0x0
	.amdhsa_kernel _ZN4vllm3moe22topkGatingSoftplusSqrtILi4ELi4ELi4ELi8ELi32ELb1Ei14__hip_bfloat16EEvPKT6_PKbPfiPT5_PiiiibdPKfPKS9_SF_
		.amdhsa_group_segment_fixed_size 0
		.amdhsa_private_segment_fixed_size 0
		.amdhsa_kernarg_size 96
		.amdhsa_user_sgpr_count 2
		.amdhsa_user_sgpr_dispatch_ptr 0
		.amdhsa_user_sgpr_queue_ptr 0
		.amdhsa_user_sgpr_kernarg_segment_ptr 1
		.amdhsa_user_sgpr_dispatch_id 0
		.amdhsa_user_sgpr_kernarg_preload_length 0
		.amdhsa_user_sgpr_kernarg_preload_offset 0
		.amdhsa_user_sgpr_private_segment_size 0
		.amdhsa_uses_dynamic_stack 0
		.amdhsa_enable_private_segment 0
		.amdhsa_system_sgpr_workgroup_id_x 1
		.amdhsa_system_sgpr_workgroup_id_y 0
		.amdhsa_system_sgpr_workgroup_id_z 0
		.amdhsa_system_sgpr_workgroup_info 0
		.amdhsa_system_vgpr_workitem_id 1
		.amdhsa_next_free_vgpr 23
		.amdhsa_next_free_sgpr 18
		.amdhsa_accum_offset 24
		.amdhsa_reserve_vcc 1
		.amdhsa_float_round_mode_32 0
		.amdhsa_float_round_mode_16_64 0
		.amdhsa_float_denorm_mode_32 3
		.amdhsa_float_denorm_mode_16_64 3
		.amdhsa_dx10_clamp 1
		.amdhsa_ieee_mode 1
		.amdhsa_fp16_overflow 0
		.amdhsa_tg_split 0
		.amdhsa_exception_fp_ieee_invalid_op 0
		.amdhsa_exception_fp_denorm_src 0
		.amdhsa_exception_fp_ieee_div_zero 0
		.amdhsa_exception_fp_ieee_overflow 0
		.amdhsa_exception_fp_ieee_underflow 0
		.amdhsa_exception_fp_ieee_inexact 0
		.amdhsa_exception_int_div_zero 0
	.end_amdhsa_kernel
	.section	.text._ZN4vllm3moe22topkGatingSoftplusSqrtILi4ELi4ELi4ELi8ELi32ELb1Ei14__hip_bfloat16EEvPKT6_PKbPfiPT5_PiiiibdPKfPKS9_SF_,"axG",@progbits,_ZN4vllm3moe22topkGatingSoftplusSqrtILi4ELi4ELi4ELi8ELi32ELb1Ei14__hip_bfloat16EEvPKT6_PKbPfiPT5_PiiiibdPKfPKS9_SF_,comdat
.Lfunc_end370:
	.size	_ZN4vllm3moe22topkGatingSoftplusSqrtILi4ELi4ELi4ELi8ELi32ELb1Ei14__hip_bfloat16EEvPKT6_PKbPfiPT5_PiiiibdPKfPKS9_SF_, .Lfunc_end370-_ZN4vllm3moe22topkGatingSoftplusSqrtILi4ELi4ELi4ELi8ELi32ELb1Ei14__hip_bfloat16EEvPKT6_PKbPfiPT5_PiiiibdPKfPKS9_SF_
                                        ; -- End function
	.section	.AMDGPU.csdata,"",@progbits
; Kernel info:
; codeLenInByte = 2976
; NumSgprs: 24
; NumVgprs: 23
; NumAgprs: 0
; TotalNumVgprs: 23
; ScratchSize: 0
; MemoryBound: 0
; FloatMode: 240
; IeeeMode: 1
; LDSByteSize: 0 bytes/workgroup (compile time only)
; SGPRBlocks: 2
; VGPRBlocks: 2
; NumSGPRsForWavesPerEU: 24
; NumVGPRsForWavesPerEU: 23
; AccumOffset: 24
; Occupancy: 8
; WaveLimiterHint : 1
; COMPUTE_PGM_RSRC2:SCRATCH_EN: 0
; COMPUTE_PGM_RSRC2:USER_SGPR: 2
; COMPUTE_PGM_RSRC2:TRAP_HANDLER: 0
; COMPUTE_PGM_RSRC2:TGID_X_EN: 1
; COMPUTE_PGM_RSRC2:TGID_Y_EN: 0
; COMPUTE_PGM_RSRC2:TGID_Z_EN: 0
; COMPUTE_PGM_RSRC2:TIDIG_COMP_CNT: 1
; COMPUTE_PGM_RSRC3_GFX90A:ACCUM_OFFSET: 5
; COMPUTE_PGM_RSRC3_GFX90A:TG_SPLIT: 0
	.section	.text._ZN4vllm3moe22topkGatingSoftplusSqrtILi4ELi4ELi4ELi8ELi32ELb0Ei14__hip_bfloat16EEvPKT6_PKbPfiPT5_PiiiibdPKfPKS9_SF_,"axG",@progbits,_ZN4vllm3moe22topkGatingSoftplusSqrtILi4ELi4ELi4ELi8ELi32ELb0Ei14__hip_bfloat16EEvPKT6_PKbPfiPT5_PiiiibdPKfPKS9_SF_,comdat
	.protected	_ZN4vllm3moe22topkGatingSoftplusSqrtILi4ELi4ELi4ELi8ELi32ELb0Ei14__hip_bfloat16EEvPKT6_PKbPfiPT5_PiiiibdPKfPKS9_SF_ ; -- Begin function _ZN4vllm3moe22topkGatingSoftplusSqrtILi4ELi4ELi4ELi8ELi32ELb0Ei14__hip_bfloat16EEvPKT6_PKbPfiPT5_PiiiibdPKfPKS9_SF_
	.globl	_ZN4vllm3moe22topkGatingSoftplusSqrtILi4ELi4ELi4ELi8ELi32ELb0Ei14__hip_bfloat16EEvPKT6_PKbPfiPT5_PiiiibdPKfPKS9_SF_
	.p2align	8
	.type	_ZN4vllm3moe22topkGatingSoftplusSqrtILi4ELi4ELi4ELi8ELi32ELb0Ei14__hip_bfloat16EEvPKT6_PKbPfiPT5_PiiiibdPKfPKS9_SF_,@function
_ZN4vllm3moe22topkGatingSoftplusSqrtILi4ELi4ELi4ELi8ELi32ELb0Ei14__hip_bfloat16EEvPKT6_PKbPfiPT5_PiiiibdPKfPKS9_SF_: ; @_ZN4vllm3moe22topkGatingSoftplusSqrtILi4ELi4ELi4ELi8ELi32ELb0Ei14__hip_bfloat16EEvPKT6_PKbPfiPT5_PiiiibdPKfPKS9_SF_
; %bb.0:
	s_load_dword s24, s[0:1], 0x18
	v_bfe_u32 v1, v0, 10, 10
	s_lshl_b32 s2, s2, 7
	v_lshlrev_b32_e32 v1, 5, v1
	v_and_b32_e32 v0, 0x3ff, v0
	v_add3_u32 v4, v1, v0, s2
	s_waitcnt lgkmcnt(0)
	v_cmp_gt_i32_e32 vcc, s24, v4
	s_and_saveexec_b64 s[2:3], vcc
	s_cbranch_execz .LBB371_32
; %bb.1:
	s_load_dwordx4 s[4:7], s[0:1], 0x0
	s_load_dwordx2 s[20:21], s[0:1], 0x10
	s_waitcnt lgkmcnt(0)
	s_cmp_eq_u64 s[6:7], 0
	s_cbranch_scc1 .LBB371_3
; %bb.2:
	v_ashrrev_i32_e32 v5, 31, v4
	v_lshl_add_u64 v[0:1], s[6:7], 0, v[4:5]
	global_load_ubyte v0, v[0:1], off
	s_waitcnt vmcnt(0)
	v_and_b32_e32 v0, 1, v0
	v_cmp_eq_u32_e32 vcc, 1, v0
	s_xor_b64 s[2:3], vcc, -1
	s_orn2_b64 s[6:7], s[2:3], exec
	s_branch .LBB371_4
.LBB371_3:
	s_mov_b64 s[6:7], -1
.LBB371_4:
	v_lshlrev_b32_e32 v2, 2, v4
	v_mov_b32_e32 v0, s4
	v_mov_b32_e32 v1, s5
	v_ashrrev_i32_e32 v3, 31, v2
	v_lshl_add_u64 v[0:1], v[2:3], 1, v[0:1]
	global_load_dwordx2 v[2:3], v[0:1], off
	s_mov_b32 s18, 0x800000
	v_mov_b32_e32 v5, 0x4f800000
	s_mov_b32 s15, 0x3f317217
	s_mov_b32 s16, 0x7f800000
	v_mov_b32_e32 v6, 0x41b17218
	s_mov_b32 s14, 0x41a00000
	s_mov_b32 s17, 0xf800000
	s_load_dwordx4 s[8:11], s[0:1], 0x40
	s_waitcnt lgkmcnt(0)
	s_cmp_lg_u64 s[10:11], 0
	s_cselect_b64 s[12:13], -1, 0
	s_and_b64 s[2:3], exec, s[12:13]
	s_waitcnt vmcnt(0)
	v_lshlrev_b32_e32 v0, 16, v2
	v_mul_f32_e32 v1, 0x3fb8aa3b, v0
	v_exp_f32_e32 v1, v1
	s_nop 0
	v_add_f32_e32 v1, 1.0, v1
	v_cmp_gt_f32_e32 vcc, s18, v1
	s_nop 1
	v_cndmask_b32_e32 v7, 1.0, v5, vcc
	v_mul_f32_e32 v1, v1, v7
	v_log_f32_e32 v7, v1
	v_cndmask_b32_e32 v8, 0, v6, vcc
	v_mov_b32_e32 v1, 0x260
	v_mul_f32_e32 v9, 0x3f317217, v7
	v_fma_f32 v9, v7, s15, -v9
	v_fmac_f32_e32 v9, 0x3377d1cf, v7
	v_fmac_f32_e32 v9, 0x3f317217, v7
	v_cmp_lt_f32_e64 vcc, |v7|, s16
	s_nop 1
	v_cndmask_b32_e32 v7, v7, v9, vcc
	v_sub_f32_e32 v7, v7, v8
	v_cmp_lt_f32_e32 vcc, s14, v0
	s_nop 1
	v_cndmask_b32_e32 v0, v7, v0, vcc
	v_mul_f32_e32 v7, 0x4f800000, v0
	v_cmp_gt_f32_e32 vcc, s17, v0
	s_nop 1
	v_cndmask_b32_e32 v0, v0, v7, vcc
	v_sqrt_f32_e32 v7, v0
	s_nop 0
	v_add_u32_e32 v8, -1, v7
	v_add_u32_e32 v9, 1, v7
	v_fma_f32 v10, -v8, v7, v0
	v_fma_f32 v11, -v9, v7, v0
	v_cmp_ge_f32_e64 s[4:5], 0, v10
	s_nop 1
	v_cndmask_b32_e64 v7, v7, v8, s[4:5]
	v_cmp_lt_f32_e64 s[4:5], 0, v11
	s_nop 1
	v_cndmask_b32_e64 v7, v7, v9, s[4:5]
	v_mul_f32_e32 v8, 0x37800000, v7
	v_cndmask_b32_e32 v7, v7, v8, vcc
	v_cmp_class_f32_e32 vcc, v0, v1
	s_nop 1
	v_cndmask_b32_e32 v0, v7, v0, vcc
	s_mov_b64 vcc, s[2:3]
	s_cbranch_vccz .LBB371_6
; %bb.5:
	s_load_dword s2, s[10:11], 0x0
	s_waitcnt lgkmcnt(0)
	v_add_f32_e32 v0, s2, v0
.LBB371_6:
	v_and_b32_e32 v7, 0xffff0000, v2
	v_mul_f32_e32 v8, 0x3fb8aa3b, v7
	v_exp_f32_e32 v8, v8
	s_nop 0
	v_add_f32_e32 v8, 1.0, v8
	v_cmp_gt_f32_e32 vcc, s18, v8
	s_nop 1
	v_cndmask_b32_e32 v5, 1.0, v5, vcc
	v_mul_f32_e32 v5, v8, v5
	v_log_f32_e32 v5, v5
	v_cndmask_b32_e32 v6, 0, v6, vcc
	v_mul_f32_e32 v8, 0x3f317217, v5
	v_fma_f32 v8, v5, s15, -v8
	v_fmac_f32_e32 v8, 0x3377d1cf, v5
	v_fmac_f32_e32 v8, 0x3f317217, v5
	v_cmp_lt_f32_e64 vcc, |v5|, s16
	s_nop 1
	v_cndmask_b32_e32 v5, v5, v8, vcc
	v_sub_f32_e32 v5, v5, v6
	v_cmp_lt_f32_e32 vcc, s14, v7
	s_nop 1
	v_cndmask_b32_e32 v5, v5, v7, vcc
	v_mul_f32_e32 v6, 0x4f800000, v5
	v_cmp_gt_f32_e32 vcc, s17, v5
	s_nop 1
	v_cndmask_b32_e32 v5, v5, v6, vcc
	v_sqrt_f32_e32 v6, v5
	v_cmp_class_f32_e64 s[4:5], v5, v1
	v_add_u32_e32 v7, -1, v6
	v_add_u32_e32 v8, 1, v6
	v_fma_f32 v9, -v7, v6, v5
	v_fma_f32 v10, -v8, v6, v5
	v_cmp_ge_f32_e64 s[2:3], 0, v9
	s_nop 1
	v_cndmask_b32_e64 v6, v6, v7, s[2:3]
	v_cmp_lt_f32_e64 s[2:3], 0, v10
	s_nop 1
	v_cndmask_b32_e64 v6, v6, v8, s[2:3]
	v_mul_f32_e32 v7, 0x37800000, v6
	v_cndmask_b32_e32 v6, v6, v7, vcc
	v_cndmask_b32_e64 v7, 0, 1, s[12:13]
	v_cmp_ne_u32_e64 s[2:3], 1, v7
	s_andn2_b64 vcc, exec, s[12:13]
	v_cndmask_b32_e64 v1, v6, v5, s[4:5]
	s_cbranch_vccnz .LBB371_8
; %bb.7:
	s_load_dword s4, s[10:11], 0x4
	s_waitcnt lgkmcnt(0)
	v_add_f32_e32 v1, s4, v1
.LBB371_8:
	v_alignbit_b32 v2, v3, v2, 16
	v_and_b32_e32 v2, 0xffff0000, v2
	v_mul_f32_e32 v5, 0x3fb8aa3b, v2
	v_exp_f32_e32 v5, v5
	s_mov_b32 s16, 0x800000
	v_mov_b32_e32 v6, 0x4f800000
	s_mov_b32 s13, 0x3f317217
	v_add_f32_e32 v5, 1.0, v5
	v_cmp_gt_f32_e32 vcc, s16, v5
	s_mov_b32 s14, 0x7f800000
	s_mov_b32 s12, 0x41a00000
	v_cndmask_b32_e32 v7, 1.0, v6, vcc
	v_mul_f32_e32 v5, v5, v7
	v_log_f32_e32 v5, v5
	s_mov_b32 s15, 0xf800000
	v_mul_f32_e32 v7, 0x3f317217, v5
	v_fma_f32 v7, v5, s13, -v7
	v_fmac_f32_e32 v7, 0x3377d1cf, v5
	v_fmac_f32_e32 v7, 0x3f317217, v5
	v_cmp_lt_f32_e64 s[4:5], |v5|, s14
	s_nop 1
	v_cndmask_b32_e64 v5, v5, v7, s[4:5]
	v_mov_b32_e32 v7, 0x41b17218
	v_cndmask_b32_e32 v8, 0, v7, vcc
	v_sub_f32_e32 v5, v5, v8
	v_cmp_lt_f32_e32 vcc, s12, v2
	s_nop 1
	v_cndmask_b32_e32 v2, v5, v2, vcc
	v_mul_f32_e32 v5, 0x4f800000, v2
	v_cmp_gt_f32_e32 vcc, s15, v2
	s_nop 1
	v_cndmask_b32_e32 v2, v2, v5, vcc
	v_sqrt_f32_e32 v5, v2
	s_nop 0
	v_add_u32_e32 v8, -1, v5
	v_fma_f32 v9, -v8, v5, v2
	v_cmp_ge_f32_e64 s[4:5], 0, v9
	v_add_u32_e32 v9, 1, v5
	s_nop 0
	v_cndmask_b32_e64 v8, v5, v8, s[4:5]
	v_fma_f32 v5, -v9, v5, v2
	v_cmp_lt_f32_e64 s[4:5], 0, v5
	s_nop 1
	v_cndmask_b32_e64 v5, v8, v9, s[4:5]
	v_mul_f32_e32 v8, 0x37800000, v5
	v_cndmask_b32_e32 v8, v5, v8, vcc
	v_mov_b32_e32 v5, 0x260
	v_cmp_class_f32_e64 s[4:5], v2, v5
	s_and_b64 vcc, exec, s[2:3]
	s_nop 0
	v_cndmask_b32_e64 v2, v8, v2, s[4:5]
	s_cbranch_vccnz .LBB371_10
; %bb.9:
	s_load_dword s4, s[10:11], 0x8
	s_waitcnt lgkmcnt(0)
	v_add_f32_e32 v2, s4, v2
.LBB371_10:
	v_and_b32_e32 v3, 0xffff0000, v3
	v_mul_f32_e32 v8, 0x3fb8aa3b, v3
	v_exp_f32_e32 v8, v8
	s_nop 0
	v_add_f32_e32 v8, 1.0, v8
	v_cmp_gt_f32_e32 vcc, s16, v8
	s_nop 1
	v_cndmask_b32_e32 v6, 1.0, v6, vcc
	v_mul_f32_e32 v6, v8, v6
	v_log_f32_e32 v6, v6
	v_cndmask_b32_e32 v7, 0, v7, vcc
	v_mul_f32_e32 v8, 0x3f317217, v6
	v_fma_f32 v8, v6, s13, -v8
	v_fmac_f32_e32 v8, 0x3377d1cf, v6
	v_fmac_f32_e32 v8, 0x3f317217, v6
	v_cmp_lt_f32_e64 vcc, |v6|, s14
	s_nop 1
	v_cndmask_b32_e32 v6, v6, v8, vcc
	v_sub_f32_e32 v6, v6, v7
	v_cmp_lt_f32_e32 vcc, s12, v3
	s_nop 1
	v_cndmask_b32_e32 v3, v6, v3, vcc
	v_mul_f32_e32 v6, 0x4f800000, v3
	v_cmp_gt_f32_e32 vcc, s15, v3
	s_nop 1
	v_cndmask_b32_e32 v3, v3, v6, vcc
	v_sqrt_f32_e32 v6, v3
	s_nop 0
	v_add_u32_e32 v7, -1, v6
	v_add_u32_e32 v8, 1, v6
	v_fma_f32 v9, -v7, v6, v3
	v_fma_f32 v10, -v8, v6, v3
	v_cmp_ge_f32_e64 s[4:5], 0, v9
	s_nop 1
	v_cndmask_b32_e64 v6, v6, v7, s[4:5]
	v_cmp_lt_f32_e64 s[4:5], 0, v10
	s_nop 1
	v_cndmask_b32_e64 v6, v6, v8, s[4:5]
	v_mul_f32_e32 v7, 0x37800000, v6
	v_cndmask_b32_e32 v6, v6, v7, vcc
	v_cmp_class_f32_e64 s[4:5], v3, v5
	s_and_b64 vcc, exec, s[2:3]
	s_nop 0
	v_cndmask_b32_e64 v3, v6, v3, s[4:5]
	s_cbranch_vccnz .LBB371_12
; %bb.11:
	s_load_dword s4, s[10:11], 0xc
	s_waitcnt lgkmcnt(0)
	v_add_f32_e32 v3, s4, v3
.LBB371_12:
	s_load_dwordx4 s[12:15], s[0:1], 0x30
	s_mov_b32 s25, 0
	s_waitcnt lgkmcnt(0)
	s_bitcmp1_b32 s15, 0
	s_cselect_b64 s[4:5], -1, 0
	s_cmp_gt_i32 s12, 0
	s_cselect_b64 s[22:23], -1, 0
	s_and_b64 vcc, exec, s[22:23]
	v_mul_lo_u32 v6, v4, s12
	s_cbranch_vccz .LBB371_19
; %bb.13:
	s_load_dwordx4 s[16:19], s[0:1], 0x20
	v_mov_b32_e32 v5, 0
	v_mov_b32_e32 v7, 0xc61c4000
	s_branch .LBB371_15
.LBB371_14:                             ;   in Loop: Header=BB371_15 Depth=1
	v_add_f32_e32 v8, v5, v8
	v_cndmask_b32_e64 v5, v5, v8, s[4:5]
	s_cmp_lg_u32 s12, s25
	v_add_u32_e32 v4, s24, v4
	s_cbranch_scc0 .LBB371_20
.LBB371_15:                             ; =>This Inner Loop Header: Depth=1
	v_cmp_gt_f32_e32 vcc, v1, v0
	s_nop 1
	v_cndmask_b32_e32 v9, v0, v1, vcc
	v_cndmask_b32_e64 v8, 0, 1, vcc
	v_cmp_gt_f32_e32 vcc, v2, v9
	s_nop 1
	v_cndmask_b32_e32 v10, v9, v2, vcc
	v_cndmask_b32_e64 v8, v8, 2, vcc
	v_cmp_gt_f32_e64 s[0:1], v3, v10
	s_and_b64 vcc, exec, s[2:3]
	s_nop 0
	v_cndmask_b32_e64 v9, v8, 3, s[0:1]
	v_cndmask_b32_e64 v8, v10, v3, s[0:1]
	s_cbranch_vccnz .LBB371_17
; %bb.16:                               ;   in Loop: Header=BB371_15 Depth=1
	v_lshlrev_b32_e32 v10, 2, v9
	global_load_dword v10, v10, s[10:11]
	s_waitcnt vmcnt(0)
	v_sub_f32_e32 v8, v8, v10
.LBB371_17:                             ;   in Loop: Header=BB371_15 Depth=1
	v_add_u32_e32 v10, s25, v6
	v_ashrrev_i32_e32 v11, 31, v10
	v_cmp_le_i32_e32 vcc, s13, v9
	v_cmp_gt_i32_e64 s[0:1], s14, v9
	v_lshlrev_b64 v[10:11], 2, v[10:11]
	s_and_b64 s[0:1], vcc, s[0:1]
	v_lshl_add_u64 v[12:13], s[20:21], 0, v[10:11]
	global_store_dword v[12:13], v8, off
	v_subrev_u32_e32 v12, s13, v9
	s_and_b64 vcc, s[6:7], s[0:1]
	s_add_i32 s25, s25, 1
	v_cndmask_b32_e32 v14, 4, v12, vcc
	s_waitcnt lgkmcnt(0)
	v_lshl_add_u64 v[12:13], s[16:17], 0, v[10:11]
	v_lshl_add_u64 v[10:11], s[18:19], 0, v[10:11]
	s_cmp_ge_i32 s25, s12
	global_store_dword v[12:13], v14, off
	global_store_dword v[10:11], v4, off
	s_cbranch_scc1 .LBB371_14
; %bb.18:                               ;   in Loop: Header=BB371_15 Depth=1
	v_cmp_ne_u32_e32 vcc, 3, v9
	s_nop 1
	v_cndmask_b32_e32 v3, v7, v3, vcc
	v_cmp_ne_u32_e32 vcc, 2, v9
	s_nop 1
	v_cndmask_b32_e32 v2, v7, v2, vcc
	;; [unrolled: 3-line block ×4, first 2 shown]
	s_branch .LBB371_14
.LBB371_19:
	v_mov_b32_e32 v5, 0
.LBB371_20:
	s_andn2_b64 vcc, exec, s[4:5]
	v_cvt_f32_f64_e32 v0, s[8:9]
	s_cbranch_vccnz .LBB371_22
; %bb.21:
	v_cmp_lt_f32_e32 vcc, 0, v5
	s_nop 1
	v_cndmask_b32_e32 v1, 1.0, v5, vcc
	v_div_scale_f32 v2, s[0:1], v1, v1, v0
	v_rcp_f32_e32 v3, v2
	s_nop 0
	v_fma_f32 v4, -v2, v3, 1.0
	v_fmac_f32_e32 v3, v4, v3
	v_div_scale_f32 v4, vcc, v0, v1, v0
	v_mul_f32_e32 v5, v4, v3
	v_fma_f32 v7, -v2, v5, v4
	v_fmac_f32_e32 v5, v7, v3
	v_fma_f32 v2, -v2, v5, v4
	v_div_fmas_f32 v2, v2, v3, v5
	v_div_fixup_f32 v0, v2, v1, v0
.LBB371_22:
	s_andn2_b64 vcc, exec, s[22:23]
	s_cbranch_vccnz .LBB371_32
; %bb.23:
	s_cmp_gt_u32 s12, 3
	v_ashrrev_i32_e32 v7, 31, v6
	s_cbranch_scc0 .LBB371_27
; %bb.24:
	s_and_b32 s0, s12, 0x7ffffffc
	v_lshl_add_u64 v[2:3], v[6:7], 2, s[20:21]
	v_mov_b32_e32 v1, v0
	v_lshl_add_u64 v[2:3], v[2:3], 0, 8
	s_mov_b32 s1, s0
.LBB371_25:                             ; =>This Inner Loop Header: Depth=1
	global_load_dwordx4 v[8:11], v[2:3], off offset:-8
	s_add_i32 s1, s1, -4
	s_cmp_lg_u32 s1, 0
	s_waitcnt vmcnt(0)
	v_pk_mul_f32 v[8:9], v[0:1], v[8:9]
	v_pk_mul_f32 v[10:11], v[0:1], v[10:11]
	global_store_dwordx4 v[2:3], v[8:11], off offset:-8
	v_lshl_add_u64 v[2:3], v[2:3], 0, 16
	s_cbranch_scc1 .LBB371_25
; %bb.26:
	s_cmp_lg_u32 s0, s12
	s_cselect_b64 s[2:3], -1, 0
	s_branch .LBB371_29
.LBB371_27:
	s_mov_b64 s[2:3], 0
                                        ; implicit-def: $sgpr0
	s_cbranch_execz .LBB371_29
; %bb.28:
	s_mov_b64 s[2:3], -1
	s_mov_b32 s0, 0
.LBB371_29:
	s_andn2_b64 vcc, exec, s[2:3]
	s_cbranch_vccnz .LBB371_32
; %bb.30:
	s_mov_b32 s1, 0
	v_lshl_add_u64 v[2:3], v[6:7], 0, s[0:1]
	s_sub_i32 s2, s12, s0
	v_lshl_add_u64 v[2:3], v[2:3], 2, s[20:21]
.LBB371_31:                             ; =>This Inner Loop Header: Depth=1
	global_load_dword v1, v[2:3], off
	s_add_i32 s2, s2, -1
	s_cmp_lg_u32 s2, 0
	s_waitcnt vmcnt(0)
	v_mul_f32_e32 v1, v0, v1
	global_store_dword v[2:3], v1, off
	v_lshl_add_u64 v[2:3], v[2:3], 0, 4
	s_cbranch_scc1 .LBB371_31
.LBB371_32:
	s_endpgm
	.section	.rodata,"a",@progbits
	.p2align	6, 0x0
	.amdhsa_kernel _ZN4vllm3moe22topkGatingSoftplusSqrtILi4ELi4ELi4ELi8ELi32ELb0Ei14__hip_bfloat16EEvPKT6_PKbPfiPT5_PiiiibdPKfPKS9_SF_
		.amdhsa_group_segment_fixed_size 0
		.amdhsa_private_segment_fixed_size 0
		.amdhsa_kernarg_size 96
		.amdhsa_user_sgpr_count 2
		.amdhsa_user_sgpr_dispatch_ptr 0
		.amdhsa_user_sgpr_queue_ptr 0
		.amdhsa_user_sgpr_kernarg_segment_ptr 1
		.amdhsa_user_sgpr_dispatch_id 0
		.amdhsa_user_sgpr_kernarg_preload_length 0
		.amdhsa_user_sgpr_kernarg_preload_offset 0
		.amdhsa_user_sgpr_private_segment_size 0
		.amdhsa_uses_dynamic_stack 0
		.amdhsa_enable_private_segment 0
		.amdhsa_system_sgpr_workgroup_id_x 1
		.amdhsa_system_sgpr_workgroup_id_y 0
		.amdhsa_system_sgpr_workgroup_id_z 0
		.amdhsa_system_sgpr_workgroup_info 0
		.amdhsa_system_vgpr_workitem_id 1
		.amdhsa_next_free_vgpr 15
		.amdhsa_next_free_sgpr 26
		.amdhsa_accum_offset 16
		.amdhsa_reserve_vcc 1
		.amdhsa_float_round_mode_32 0
		.amdhsa_float_round_mode_16_64 0
		.amdhsa_float_denorm_mode_32 3
		.amdhsa_float_denorm_mode_16_64 3
		.amdhsa_dx10_clamp 1
		.amdhsa_ieee_mode 1
		.amdhsa_fp16_overflow 0
		.amdhsa_tg_split 0
		.amdhsa_exception_fp_ieee_invalid_op 0
		.amdhsa_exception_fp_denorm_src 0
		.amdhsa_exception_fp_ieee_div_zero 0
		.amdhsa_exception_fp_ieee_overflow 0
		.amdhsa_exception_fp_ieee_underflow 0
		.amdhsa_exception_fp_ieee_inexact 0
		.amdhsa_exception_int_div_zero 0
	.end_amdhsa_kernel
	.section	.text._ZN4vllm3moe22topkGatingSoftplusSqrtILi4ELi4ELi4ELi8ELi32ELb0Ei14__hip_bfloat16EEvPKT6_PKbPfiPT5_PiiiibdPKfPKS9_SF_,"axG",@progbits,_ZN4vllm3moe22topkGatingSoftplusSqrtILi4ELi4ELi4ELi8ELi32ELb0Ei14__hip_bfloat16EEvPKT6_PKbPfiPT5_PiiiibdPKfPKS9_SF_,comdat
.Lfunc_end371:
	.size	_ZN4vllm3moe22topkGatingSoftplusSqrtILi4ELi4ELi4ELi8ELi32ELb0Ei14__hip_bfloat16EEvPKT6_PKbPfiPT5_PiiiibdPKfPKS9_SF_, .Lfunc_end371-_ZN4vllm3moe22topkGatingSoftplusSqrtILi4ELi4ELi4ELi8ELi32ELb0Ei14__hip_bfloat16EEvPKT6_PKbPfiPT5_PiiiibdPKfPKS9_SF_
                                        ; -- End function
	.section	.AMDGPU.csdata,"",@progbits
; Kernel info:
; codeLenInByte = 2048
; NumSgprs: 32
; NumVgprs: 15
; NumAgprs: 0
; TotalNumVgprs: 15
; ScratchSize: 0
; MemoryBound: 0
; FloatMode: 240
; IeeeMode: 1
; LDSByteSize: 0 bytes/workgroup (compile time only)
; SGPRBlocks: 3
; VGPRBlocks: 1
; NumSGPRsForWavesPerEU: 32
; NumVGPRsForWavesPerEU: 15
; AccumOffset: 16
; Occupancy: 8
; WaveLimiterHint : 0
; COMPUTE_PGM_RSRC2:SCRATCH_EN: 0
; COMPUTE_PGM_RSRC2:USER_SGPR: 2
; COMPUTE_PGM_RSRC2:TRAP_HANDLER: 0
; COMPUTE_PGM_RSRC2:TGID_X_EN: 1
; COMPUTE_PGM_RSRC2:TGID_Y_EN: 0
; COMPUTE_PGM_RSRC2:TGID_Z_EN: 0
; COMPUTE_PGM_RSRC2:TIDIG_COMP_CNT: 1
; COMPUTE_PGM_RSRC3_GFX90A:ACCUM_OFFSET: 3
; COMPUTE_PGM_RSRC3_GFX90A:TG_SPLIT: 0
	.section	.text._ZN4vllm3moe22topkGatingSoftplusSqrtILi8ELi8ELi4ELi16ELi64ELb1Ei14__hip_bfloat16EEvPKT6_PKbPfiPT5_PiiiibdPKfPKS9_SF_,"axG",@progbits,_ZN4vllm3moe22topkGatingSoftplusSqrtILi8ELi8ELi4ELi16ELi64ELb1Ei14__hip_bfloat16EEvPKT6_PKbPfiPT5_PiiiibdPKfPKS9_SF_,comdat
	.protected	_ZN4vllm3moe22topkGatingSoftplusSqrtILi8ELi8ELi4ELi16ELi64ELb1Ei14__hip_bfloat16EEvPKT6_PKbPfiPT5_PiiiibdPKfPKS9_SF_ ; -- Begin function _ZN4vllm3moe22topkGatingSoftplusSqrtILi8ELi8ELi4ELi16ELi64ELb1Ei14__hip_bfloat16EEvPKT6_PKbPfiPT5_PiiiibdPKfPKS9_SF_
	.globl	_ZN4vllm3moe22topkGatingSoftplusSqrtILi8ELi8ELi4ELi16ELi64ELb1Ei14__hip_bfloat16EEvPKT6_PKbPfiPT5_PiiiibdPKfPKS9_SF_
	.p2align	8
	.type	_ZN4vllm3moe22topkGatingSoftplusSqrtILi8ELi8ELi4ELi16ELi64ELb1Ei14__hip_bfloat16EEvPKT6_PKbPfiPT5_PiiiibdPKfPKS9_SF_,@function
_ZN4vllm3moe22topkGatingSoftplusSqrtILi8ELi8ELi4ELi16ELi64ELb1Ei14__hip_bfloat16EEvPKT6_PKbPfiPT5_PiiiibdPKfPKS9_SF_: ; @_ZN4vllm3moe22topkGatingSoftplusSqrtILi8ELi8ELi4ELi16ELi64ELb1Ei14__hip_bfloat16EEvPKT6_PKbPfiPT5_PiiiibdPKfPKS9_SF_
; %bb.0:
	s_load_dword s3, s[0:1], 0x18
	v_bfe_u32 v1, v0, 10, 10
	s_lshl_b32 s2, s2, 8
	v_lshlrev_b32_e32 v1, 6, v1
	v_and_b32_e32 v0, 0x3ff, v0
	v_add3_u32 v6, v1, v0, s2
	s_waitcnt lgkmcnt(0)
	v_cmp_gt_i32_e32 vcc, s3, v6
	s_and_saveexec_b64 s[2:3], vcc
	s_cbranch_execz .LBB372_56
; %bb.1:
	s_load_dwordx2 s[2:3], s[0:1], 0x0
	s_load_dword s16, s[0:1], 0x30
	v_lshlrev_b32_e32 v0, 3, v6
	v_ashrrev_i32_e32 v1, 31, v0
	s_load_dwordx4 s[8:11], s[0:1], 0x50
	s_waitcnt lgkmcnt(0)
	v_lshl_add_u64 v[0:1], v[0:1], 1, s[2:3]
	global_load_dwordx4 v[0:3], v[0:1], off
	v_ashrrev_i32_e32 v7, 31, v6
	s_mov_b32 s15, 0x800000
	v_mov_b32_e32 v4, s8
	v_mov_b32_e32 v5, s9
	v_lshl_add_u64 v[4:5], v[6:7], 2, v[4:5]
	global_load_dword v7, v[4:5], off
	v_mov_b32_e32 v17, 0x4f800000
	s_mov_b32 s13, 0x3f317217
	s_mov_b32 s14, 0x7f800000
	v_mov_b32_e32 v18, 0x41b17218
	s_mov_b32 s9, 0x41a00000
	s_mov_b32 s12, 0xf800000
	v_mov_b32_e32 v19, 0x260
	s_cmp_gt_i32 s16, 0
	s_mov_b32 s8, 0
	v_mov_b32_e32 v16, 0
	s_waitcnt vmcnt(1)
	v_and_b32_e32 v10, 0xffff0000, v0
	v_lshlrev_b32_e32 v11, 16, v0
	v_and_b32_e32 v12, 0xffff0000, v1
	v_lshlrev_b32_e32 v13, 16, v1
	v_mul_f32_e32 v0, 0x3fb8aa3b, v11
	v_mul_f32_e32 v1, 0x3fb8aa3b, v10
	v_exp_f32_e32 v4, v0
	v_exp_f32_e32 v5, v1
	v_mul_f32_e32 v8, 0x3fb8aa3b, v13
	v_mul_f32_e32 v9, 0x3fb8aa3b, v12
	v_exp_f32_e32 v8, v8
	v_exp_f32_e32 v9, v9
	v_pk_add_f32 v[4:5], v[4:5], 1.0 op_sel_hi:[1,0]
	s_waitcnt vmcnt(0)
	v_mul_lo_u32 v0, v7, s16
	v_cmp_gt_f32_e32 vcc, s15, v5
	v_pk_add_f32 v[8:9], v[8:9], 1.0 op_sel_hi:[1,0]
	v_cmp_gt_f32_e64 s[2:3], s15, v4
	v_cndmask_b32_e32 v7, 1.0, v17, vcc
	v_cmp_gt_f32_e64 s[4:5], s15, v9
	v_cndmask_b32_e64 v14, 1.0, v17, s[2:3]
	v_mul_f32_e32 v5, v5, v7
	v_cndmask_b32_e64 v15, 1.0, v17, s[4:5]
	v_mul_f32_e32 v4, v4, v14
	v_log_f32_e32 v5, v5
	v_mul_f32_e32 v9, v9, v15
	v_log_f32_e32 v4, v4
	v_cmp_gt_f32_e64 s[6:7], s15, v8
	v_log_f32_e32 v9, v9
	v_cndmask_b32_e32 v7, 0, v18, vcc
	v_cndmask_b32_e64 v20, 1.0, v17, s[6:7]
	v_mul_f32_e32 v8, v8, v20
	v_mul_f32_e32 v20, 0x3f317217, v5
	;; [unrolled: 1-line block ×3, first 2 shown]
	v_fma_f32 v20, v5, s13, -v20
	v_mul_f32_e32 v22, 0x3f317217, v9
	v_fma_f32 v21, v4, s13, -v21
	v_fmac_f32_e32 v20, 0x3377d1cf, v5
	v_fma_f32 v22, v9, s13, -v22
	v_fmac_f32_e32 v21, 0x3377d1cf, v4
	v_fmac_f32_e32 v20, 0x3f317217, v5
	v_cmp_lt_f32_e64 vcc, |v5|, s14
	v_fmac_f32_e32 v22, 0x3377d1cf, v9
	v_fmac_f32_e32 v21, 0x3f317217, v4
	v_cndmask_b32_e32 v5, v5, v20, vcc
	v_cmp_lt_f32_e64 vcc, |v4|, s14
	v_cndmask_b32_e64 v14, 0, v18, s[2:3]
	v_fmac_f32_e32 v22, 0x3f317217, v9
	v_cndmask_b32_e32 v4, v4, v21, vcc
	v_cmp_lt_f32_e64 vcc, |v9|, s14
	v_sub_f32_e32 v4, v4, v14
	v_sub_f32_e32 v5, v5, v7
	v_cndmask_b32_e32 v9, v9, v22, vcc
	v_cmp_lt_f32_e32 vcc, s9, v11
	v_cndmask_b32_e64 v15, 0, v18, s[4:5]
	v_sub_f32_e32 v9, v9, v15
	v_cndmask_b32_e32 v4, v4, v11, vcc
	v_cmp_lt_f32_e32 vcc, s9, v10
	v_cmp_gt_f32_e64 s[2:3], s12, v4
	v_log_f32_e32 v8, v8
	v_cndmask_b32_e32 v5, v5, v10, vcc
	v_mul_f32_e32 v7, 0x4f800000, v5
	v_cmp_gt_f32_e32 vcc, s12, v5
	v_mul_f32_e32 v10, 0x4f800000, v4
	v_cndmask_b32_e64 v4, v4, v10, s[2:3]
	v_cndmask_b32_e32 v5, v5, v7, vcc
	v_sqrt_f32_e32 v7, v5
	v_sqrt_f32_e32 v10, v4
	v_mul_f32_e32 v23, 0x3f317217, v8
	v_fma_f32 v23, v8, s13, -v23
	v_add_u32_e32 v11, -1, v7
	v_add_u32_e32 v15, -1, v10
	v_fma_f32 v21, -v11, v7, v5
	v_add_u32_e32 v14, 1, v7
	v_fma_f32 v24, -v15, v10, v4
	v_cmp_ge_f32_e64 s[4:5], 0, v21
	v_add_u32_e32 v20, 1, v10
	v_fma_f32 v22, -v14, v7, v5
	v_cndmask_b32_e64 v7, v7, v11, s[4:5]
	v_cmp_ge_f32_e64 s[4:5], 0, v24
	v_fma_f32 v25, -v20, v10, v4
	v_fmac_f32_e32 v23, 0x3377d1cf, v8
	v_cndmask_b32_e64 v10, v10, v15, s[4:5]
	v_cmp_lt_f32_e64 s[4:5], 0, v22
	v_fmac_f32_e32 v23, 0x3f317217, v8
	v_ashrrev_i32_e32 v1, 31, v0
	v_cndmask_b32_e64 v7, v7, v14, s[4:5]
	v_cmp_lt_f32_e64 s[4:5], 0, v25
	v_mul_f32_e32 v11, 0x37800000, v7
	v_cndmask_b32_e32 v7, v7, v11, vcc
	v_cndmask_b32_e64 v10, v10, v20, s[4:5]
	v_mul_f32_e32 v14, 0x37800000, v10
	v_cmp_class_f32_e32 vcc, v5, v19
	v_cndmask_b32_e64 v11, v10, v14, s[2:3]
	v_cmp_lt_f32_e64 s[2:3], s9, v13
	v_cndmask_b32_e32 v10, v7, v5, vcc
	v_cmp_class_f32_e32 vcc, v4, v19
	v_cndmask_b32_e64 v5, 0, v18, s[6:7]
	v_and_b32_e32 v14, 0xffff0000, v2
	v_cndmask_b32_e32 v11, v11, v4, vcc
	v_cmp_lt_f32_e64 vcc, |v8|, s14
	v_lshlrev_b32_e32 v2, 16, v2
	v_lshlrev_b32_e32 v20, 16, v3
	v_cndmask_b32_e32 v4, v8, v23, vcc
	v_cmp_lt_f32_e32 vcc, s9, v12
	v_sub_f32_e32 v4, v4, v5
	v_cndmask_b32_e64 v4, v4, v13, s[2:3]
	v_cndmask_b32_e32 v7, v9, v12, vcc
	v_mul_f32_e32 v8, 0x4f800000, v7
	v_cmp_gt_f32_e32 vcc, s12, v7
	s_nop 1
	v_cndmask_b32_e32 v7, v7, v8, vcc
	v_sqrt_f32_e32 v8, v7
	s_nop 0
	v_add_u32_e32 v5, -1, v8
	v_fma_f32 v9, -v5, v8, v7
	v_cmp_ge_f32_e64 s[2:3], 0, v9
	v_add_u32_e32 v9, 1, v8
	s_nop 0
	v_cndmask_b32_e64 v5, v8, v5, s[2:3]
	v_fma_f32 v8, -v9, v8, v7
	v_cmp_lt_f32_e64 s[2:3], 0, v8
	s_nop 1
	v_cndmask_b32_e64 v5, v5, v9, s[2:3]
	v_mul_f32_e32 v9, 0x4f800000, v4
	v_cmp_gt_f32_e64 s[2:3], s12, v4
	v_mul_f32_e32 v8, 0x37800000, v5
	v_cndmask_b32_e32 v5, v5, v8, vcc
	v_cndmask_b32_e64 v9, v4, v9, s[2:3]
	v_sqrt_f32_e32 v4, v9
	v_cmp_class_f32_e32 vcc, v7, v19
	v_add_u32_e32 v8, 1, v4
	s_nop 0
	v_cndmask_b32_e32 v12, v5, v7, vcc
	v_add_u32_e32 v5, -1, v4
	v_fma_f32 v7, -v5, v4, v9
	v_cmp_ge_f32_e32 vcc, 0, v7
	v_fma_f32 v13, -v8, v4, v9
	s_nop 0
	v_cndmask_b32_e32 v7, v4, v5, vcc
	v_mul_f32_e32 v4, 0x3fb8aa3b, v2
	v_mul_f32_e32 v5, 0x3fb8aa3b, v14
	v_exp_f32_e32 v4, v4
	v_exp_f32_e32 v5, v5
	v_cmp_lt_f32_e32 vcc, 0, v13
	v_pk_add_f32 v[4:5], v[4:5], 1.0 op_sel_hi:[1,0]
	s_nop 0
	v_cndmask_b32_e32 v7, v7, v8, vcc
	v_cmp_gt_f32_e32 vcc, s15, v5
	v_mul_f32_e32 v8, 0x37800000, v7
	v_cndmask_b32_e64 v7, v7, v8, s[2:3]
	v_cndmask_b32_e32 v13, 1.0, v17, vcc
	v_mul_f32_e32 v5, v5, v13
	v_log_f32_e32 v5, v5
	v_cmp_class_f32_e64 s[2:3], v9, v19
	v_cmp_lt_f32_e64 s[4:5], |v5|, s14
	s_nop 0
	v_cndmask_b32_e64 v13, v7, v9, s[2:3]
	v_cmp_gt_f32_e64 s[2:3], s15, v4
	v_mul_f32_e32 v7, 0x3f317217, v5
	v_fma_f32 v7, v5, s13, -v7
	v_cndmask_b32_e64 v8, 1.0, v17, s[2:3]
	v_mul_f32_e32 v4, v4, v8
	v_log_f32_e32 v4, v4
	v_fmac_f32_e32 v7, 0x3377d1cf, v5
	v_fmac_f32_e32 v7, 0x3f317217, v5
	v_cndmask_b32_e64 v5, v5, v7, s[4:5]
	v_cndmask_b32_e32 v7, 0, v18, vcc
	v_sub_f32_e32 v5, v5, v7
	v_mul_f32_e32 v7, 0x3f317217, v4
	v_fma_f32 v7, v4, s13, -v7
	v_fmac_f32_e32 v7, 0x3377d1cf, v4
	v_fmac_f32_e32 v7, 0x3f317217, v4
	v_cmp_lt_f32_e64 vcc, |v4|, s14
	v_and_b32_e32 v9, 0xffff0000, v3
	v_mul_f32_e32 v3, 0x3fb8aa3b, v9
	v_cndmask_b32_e32 v4, v4, v7, vcc
	v_cmp_lt_f32_e32 vcc, s9, v14
	v_cndmask_b32_e64 v7, 0, v18, s[2:3]
	v_sub_f32_e32 v4, v4, v7
	v_cndmask_b32_e32 v5, v5, v14, vcc
	v_mul_f32_e32 v8, 0x4f800000, v5
	v_cmp_gt_f32_e32 vcc, s12, v5
	v_cmp_lt_f32_e64 s[2:3], s9, v2
	v_exp_f32_e32 v3, v3
	v_cndmask_b32_e32 v5, v5, v8, vcc
	v_sqrt_f32_e32 v8, v5
	v_cndmask_b32_e64 v2, v4, v2, s[2:3]
	v_add_u32_e32 v4, -1, v8
	v_fma_f32 v7, -v4, v8, v5
	v_cmp_ge_f32_e64 s[2:3], 0, v7
	v_add_u32_e32 v7, 1, v8
	s_nop 0
	v_cndmask_b32_e64 v4, v8, v4, s[2:3]
	v_fma_f32 v8, -v7, v8, v5
	v_cmp_lt_f32_e64 s[2:3], 0, v8
	v_mul_f32_e32 v8, 0x4f800000, v2
	s_nop 0
	v_cndmask_b32_e64 v4, v4, v7, s[2:3]
	v_cmp_gt_f32_e64 s[2:3], s12, v2
	v_mul_f32_e32 v7, 0x37800000, v4
	v_cndmask_b32_e32 v4, v4, v7, vcc
	v_cndmask_b32_e64 v8, v2, v8, s[2:3]
	v_sqrt_f32_e32 v2, v8
	v_cmp_class_f32_e32 vcc, v5, v19
	s_nop 1
	v_cndmask_b32_e32 v14, v4, v5, vcc
	v_add_u32_e32 v4, -1, v2
	v_fma_f32 v5, -v4, v2, v8
	v_cmp_ge_f32_e32 vcc, 0, v5
	v_add_u32_e32 v5, 1, v2
	v_fma_f32 v7, -v5, v2, v8
	v_cndmask_b32_e32 v4, v2, v4, vcc
	v_mul_f32_e32 v2, 0x3fb8aa3b, v20
	v_exp_f32_e32 v2, v2
	v_cmp_lt_f32_e32 vcc, 0, v7
	v_pk_add_f32 v[2:3], v[2:3], 1.0 op_sel_hi:[1,0]
	s_nop 0
	v_cndmask_b32_e32 v4, v4, v5, vcc
	v_cmp_gt_f32_e32 vcc, s15, v3
	v_mul_f32_e32 v5, 0x37800000, v4
	v_cndmask_b32_e64 v4, v4, v5, s[2:3]
	v_cndmask_b32_e32 v7, 1.0, v17, vcc
	v_mul_f32_e32 v3, v3, v7
	v_log_f32_e32 v3, v3
	v_cmp_class_f32_e64 s[2:3], v8, v19
	v_cmp_lt_f32_e64 s[4:5], |v3|, s14
	s_nop 0
	v_cndmask_b32_e64 v15, v4, v8, s[2:3]
	v_cmp_gt_f32_e64 s[2:3], s15, v2
	v_mul_f32_e32 v4, 0x3f317217, v3
	v_fma_f32 v4, v3, s13, -v4
	v_cndmask_b32_e64 v5, 1.0, v17, s[2:3]
	v_mul_f32_e32 v2, v2, v5
	v_log_f32_e32 v2, v2
	v_fmac_f32_e32 v4, 0x3377d1cf, v3
	v_fmac_f32_e32 v4, 0x3f317217, v3
	v_cndmask_b32_e64 v3, v3, v4, s[4:5]
	v_cndmask_b32_e32 v4, 0, v18, vcc
	v_sub_f32_e32 v3, v3, v4
	v_mul_f32_e32 v4, 0x3f317217, v2
	v_fma_f32 v4, v2, s13, -v4
	v_fmac_f32_e32 v4, 0x3377d1cf, v2
	v_fmac_f32_e32 v4, 0x3f317217, v2
	v_cmp_lt_f32_e64 vcc, |v2|, s14
	s_nop 1
	v_cndmask_b32_e32 v2, v2, v4, vcc
	v_cmp_lt_f32_e32 vcc, s9, v9
	v_cndmask_b32_e64 v4, 0, v18, s[2:3]
	v_sub_f32_e32 v2, v2, v4
	v_cndmask_b32_e32 v3, v3, v9, vcc
	v_mul_f32_e32 v5, 0x4f800000, v3
	v_cmp_gt_f32_e32 vcc, s12, v3
	v_cmp_lt_f32_e64 s[2:3], s9, v20
	s_nop 0
	v_cndmask_b32_e32 v3, v3, v5, vcc
	v_sqrt_f32_e32 v5, v3
	v_cndmask_b32_e64 v2, v2, v20, s[2:3]
	v_add_u32_e32 v4, -1, v5
	v_fma_f32 v7, -v4, v5, v3
	v_cmp_ge_f32_e64 s[2:3], 0, v7
	v_add_u32_e32 v7, 1, v5
	s_nop 0
	v_cndmask_b32_e64 v4, v5, v4, s[2:3]
	v_fma_f32 v5, -v7, v5, v3
	v_cmp_lt_f32_e64 s[2:3], 0, v5
	s_nop 1
	v_cndmask_b32_e64 v4, v4, v7, s[2:3]
	v_mul_f32_e32 v7, 0x4f800000, v2
	v_cmp_gt_f32_e64 s[2:3], s12, v2
	v_mul_f32_e32 v5, 0x37800000, v4
	v_cndmask_b32_e32 v4, v4, v5, vcc
	v_cndmask_b32_e64 v2, v2, v7, s[2:3]
	v_sqrt_f32_e32 v7, v2
	v_cmp_class_f32_e32 vcc, v3, v19
	s_nop 1
	v_cndmask_b32_e32 v17, v4, v3, vcc
	v_add_u32_e32 v3, -1, v7
	v_fma_f32 v4, -v3, v7, v2
	v_cmp_ge_f32_e32 vcc, 0, v4
	v_add_u32_e32 v4, 1, v7
	v_fma_f32 v5, -v4, v7, v2
	v_cndmask_b32_e32 v3, v7, v3, vcc
	v_cmp_lt_f32_e32 vcc, 0, v5
	s_nop 1
	v_cndmask_b32_e32 v3, v3, v4, vcc
	v_mul_f32_e32 v4, 0x37800000, v3
	v_cndmask_b32_e64 v3, v3, v4, s[2:3]
	v_cmp_class_f32_e32 vcc, v2, v19
	v_lshl_add_u64 v[4:5], v[0:1], 2, s[10:11]
	s_cselect_b64 s[2:3], -1, 0
	v_cndmask_b32_e32 v18, v3, v2, vcc
	s_cmp_lt_i32 s16, 1
	v_mul_lo_u32 v2, v6, s16
	s_cbranch_scc1 .LBB372_29
; %bb.2:
	s_load_dwordx2 s[4:5], s[0:1], 0x20
	s_cmp_lt_u32 s16, 4
	s_cbranch_scc1 .LBB372_21
; %bb.3:
	s_mov_b32 s7, 0
	s_and_b32 s8, s16, 0x7ffffffc
	v_ashrrev_i32_e32 v3, 31, v2
	v_mov_b32_e32 v16, 0
	s_mov_b32 s6, s7
	s_branch .LBB372_5
.LBB372_4:                              ;   in Loop: Header=BB372_5 Depth=1
	s_or_b64 exec, exec, s[12:13]
	s_add_i32 s6, s6, 4
	s_cmp_eq_u32 s6, s8
	s_cbranch_scc1 .LBB372_22
.LBB372_5:                              ; =>This Loop Header: Depth=1
                                        ;     Child Loop BB372_7 Depth 2
                                        ;     Child Loop BB372_11 Depth 2
	;; [unrolled: 1-line block ×4, first 2 shown]
	v_lshl_add_u64 v[6:7], s[6:7], 2, v[4:5]
	global_load_dword v19, v[6:7], off
	v_add_u32_e32 v8, s6, v2
	v_ashrrev_i32_e32 v9, 31, v8
	s_mov_b64 s[12:13], 0
	s_waitcnt lgkmcnt(0)
	v_lshl_add_u64 v[8:9], v[8:9], 2, s[4:5]
	s_mov_b32 s9, 0
	s_waitcnt vmcnt(0)
	v_cmp_eq_u32_e32 vcc, 1, v19
	s_nop 1
	v_cndmask_b32_e32 v21, v11, v10, vcc
	v_cmp_eq_u32_e32 vcc, 2, v19
	v_min_u32_e32 v20, 7, v19
	v_add_u32_e32 v20, 1, v20
	v_cndmask_b32_e32 v21, v21, v13, vcc
	v_cmp_eq_u32_e32 vcc, 3, v19
	s_nop 1
	v_cndmask_b32_e32 v21, v21, v12, vcc
	v_cmp_eq_u32_e32 vcc, 4, v19
	s_nop 1
	;; [unrolled: 3-line block ×5, first 2 shown]
	v_cndmask_b32_e32 v21, v21, v17, vcc
	s_branch .LBB372_7
.LBB372_6:                              ;   in Loop: Header=BB372_7 Depth=2
	s_or_b64 exec, exec, s[14:15]
	s_add_i32 s9, s9, 1
	v_cmp_eq_u32_e32 vcc, s9, v20
	s_or_b64 s[12:13], vcc, s[12:13]
	s_andn2_b64 exec, exec, s[12:13]
	s_cbranch_execz .LBB372_9
.LBB372_7:                              ;   Parent Loop BB372_5 Depth=1
                                        ; =>  This Inner Loop Header: Depth=2
	v_cmp_eq_u32_e32 vcc, s9, v19
	s_and_saveexec_b64 s[14:15], vcc
	s_cbranch_execz .LBB372_6
; %bb.8:                                ;   in Loop: Header=BB372_7 Depth=2
	v_add_f32_e32 v16, v16, v21
	global_store_dword v[8:9], v19, off
	s_branch .LBB372_6
.LBB372_9:                              ;   in Loop: Header=BB372_5 Depth=1
	s_or_b64 exec, exec, s[12:13]
	global_load_dword v19, v[6:7], off offset:4
	s_ashr_i32 s13, s6, 31
	s_mov_b32 s12, s6
	v_lshl_add_u64 v[8:9], s[12:13], 0, v[2:3]
	s_mov_b32 s9, 0
	v_lshl_add_u64 v[8:9], v[8:9], 2, s[4:5]
	s_mov_b64 s[12:13], 0
	s_waitcnt vmcnt(0)
	v_cmp_eq_u32_e32 vcc, 1, v19
	s_nop 1
	v_cndmask_b32_e32 v21, v11, v10, vcc
	v_cmp_eq_u32_e32 vcc, 2, v19
	v_min_u32_e32 v20, 7, v19
	v_add_u32_e32 v20, 1, v20
	v_cndmask_b32_e32 v21, v21, v13, vcc
	v_cmp_eq_u32_e32 vcc, 3, v19
	s_nop 1
	v_cndmask_b32_e32 v21, v21, v12, vcc
	v_cmp_eq_u32_e32 vcc, 4, v19
	s_nop 1
	;; [unrolled: 3-line block ×5, first 2 shown]
	v_cndmask_b32_e32 v21, v21, v17, vcc
	s_branch .LBB372_11
.LBB372_10:                             ;   in Loop: Header=BB372_11 Depth=2
	s_or_b64 exec, exec, s[14:15]
	s_add_i32 s9, s9, 1
	v_cmp_eq_u32_e32 vcc, s9, v20
	s_or_b64 s[12:13], vcc, s[12:13]
	s_andn2_b64 exec, exec, s[12:13]
	s_cbranch_execz .LBB372_13
.LBB372_11:                             ;   Parent Loop BB372_5 Depth=1
                                        ; =>  This Inner Loop Header: Depth=2
	v_cmp_eq_u32_e32 vcc, s9, v19
	s_and_saveexec_b64 s[14:15], vcc
	s_cbranch_execz .LBB372_10
; %bb.12:                               ;   in Loop: Header=BB372_11 Depth=2
	v_add_f32_e32 v16, v16, v21
	global_store_dword v[8:9], v19, off offset:4
	s_branch .LBB372_10
.LBB372_13:                             ;   in Loop: Header=BB372_5 Depth=1
	s_or_b64 exec, exec, s[12:13]
	global_load_dword v19, v[6:7], off offset:8
	s_mov_b32 s9, 0
	s_mov_b64 s[12:13], 0
	s_waitcnt vmcnt(0)
	v_cmp_eq_u32_e32 vcc, 1, v19
	s_nop 1
	v_cndmask_b32_e32 v21, v11, v10, vcc
	v_cmp_eq_u32_e32 vcc, 2, v19
	v_min_u32_e32 v20, 7, v19
	v_add_u32_e32 v20, 1, v20
	v_cndmask_b32_e32 v21, v21, v13, vcc
	v_cmp_eq_u32_e32 vcc, 3, v19
	s_nop 1
	v_cndmask_b32_e32 v21, v21, v12, vcc
	v_cmp_eq_u32_e32 vcc, 4, v19
	s_nop 1
	;; [unrolled: 3-line block ×5, first 2 shown]
	v_cndmask_b32_e32 v21, v21, v17, vcc
	s_branch .LBB372_15
.LBB372_14:                             ;   in Loop: Header=BB372_15 Depth=2
	s_or_b64 exec, exec, s[14:15]
	s_add_i32 s9, s9, 1
	v_cmp_eq_u32_e32 vcc, s9, v20
	s_or_b64 s[12:13], vcc, s[12:13]
	s_andn2_b64 exec, exec, s[12:13]
	s_cbranch_execz .LBB372_17
.LBB372_15:                             ;   Parent Loop BB372_5 Depth=1
                                        ; =>  This Inner Loop Header: Depth=2
	v_cmp_eq_u32_e32 vcc, s9, v19
	s_and_saveexec_b64 s[14:15], vcc
	s_cbranch_execz .LBB372_14
; %bb.16:                               ;   in Loop: Header=BB372_15 Depth=2
	v_add_f32_e32 v16, v16, v21
	global_store_dword v[8:9], v19, off offset:8
	s_branch .LBB372_14
.LBB372_17:                             ;   in Loop: Header=BB372_5 Depth=1
	s_or_b64 exec, exec, s[12:13]
	global_load_dword v6, v[6:7], off offset:12
	s_mov_b32 s9, 0
	s_mov_b64 s[12:13], 0
	s_waitcnt vmcnt(0)
	v_cmp_eq_u32_e32 vcc, 1, v6
	s_nop 1
	v_cndmask_b32_e32 v19, v11, v10, vcc
	v_cmp_eq_u32_e32 vcc, 2, v6
	v_min_u32_e32 v7, 7, v6
	v_add_u32_e32 v7, 1, v7
	v_cndmask_b32_e32 v19, v19, v13, vcc
	v_cmp_eq_u32_e32 vcc, 3, v6
	s_nop 1
	v_cndmask_b32_e32 v19, v19, v12, vcc
	v_cmp_eq_u32_e32 vcc, 4, v6
	s_nop 1
	v_cndmask_b32_e32 v19, v19, v15, vcc
	v_cmp_eq_u32_e32 vcc, 5, v6
	s_nop 1
	v_cndmask_b32_e32 v19, v19, v14, vcc
	v_cmp_eq_u32_e32 vcc, 6, v6
	s_nop 1
	v_cndmask_b32_e32 v19, v19, v18, vcc
	v_cmp_eq_u32_e32 vcc, 7, v6
	s_nop 1
	v_cndmask_b32_e32 v19, v19, v17, vcc
	s_branch .LBB372_19
.LBB372_18:                             ;   in Loop: Header=BB372_19 Depth=2
	s_or_b64 exec, exec, s[14:15]
	s_add_i32 s9, s9, 1
	v_cmp_eq_u32_e32 vcc, s9, v7
	s_or_b64 s[12:13], vcc, s[12:13]
	s_andn2_b64 exec, exec, s[12:13]
	s_cbranch_execz .LBB372_4
.LBB372_19:                             ;   Parent Loop BB372_5 Depth=1
                                        ; =>  This Inner Loop Header: Depth=2
	v_cmp_eq_u32_e32 vcc, s9, v6
	s_and_saveexec_b64 s[14:15], vcc
	s_cbranch_execz .LBB372_18
; %bb.20:                               ;   in Loop: Header=BB372_19 Depth=2
	v_add_f32_e32 v16, v16, v19
	global_store_dword v[8:9], v6, off offset:12
	s_branch .LBB372_18
.LBB372_21:
	v_mov_b32_e32 v16, 0
.LBB372_22:
	s_and_b32 s14, s16, 3
	s_cmp_eq_u32 s14, 0
	s_mov_b32 s9, 0
	s_cbranch_scc1 .LBB372_29
; %bb.23:
	s_mov_b32 s15, s9
	s_branch .LBB372_25
.LBB372_24:                             ;   in Loop: Header=BB372_25 Depth=1
	s_or_b64 exec, exec, s[6:7]
	s_add_i32 s8, s8, 1
	s_add_i32 s15, s15, 1
	s_cmp_lg_u32 s15, s14
	s_cbranch_scc0 .LBB372_29
.LBB372_25:                             ; =>This Loop Header: Depth=1
                                        ;     Child Loop BB372_27 Depth 2
	v_lshl_add_u64 v[6:7], s[8:9], 2, v[4:5]
	global_load_dword v3, v[6:7], off
	v_add_u32_e32 v6, s8, v2
	v_ashrrev_i32_e32 v7, 31, v6
	s_mov_b32 s17, 0
	s_waitcnt lgkmcnt(0)
	v_lshl_add_u64 v[6:7], v[6:7], 2, s[4:5]
	s_mov_b64 s[6:7], 0
	s_waitcnt vmcnt(0)
	v_cmp_eq_u32_e32 vcc, 1, v3
	s_nop 1
	v_cndmask_b32_e32 v9, v11, v10, vcc
	v_cmp_eq_u32_e32 vcc, 2, v3
	v_min_u32_e32 v8, 7, v3
	v_add_u32_e32 v8, 1, v8
	v_cndmask_b32_e32 v9, v9, v13, vcc
	v_cmp_eq_u32_e32 vcc, 3, v3
	s_nop 1
	v_cndmask_b32_e32 v9, v9, v12, vcc
	v_cmp_eq_u32_e32 vcc, 4, v3
	s_nop 1
	;; [unrolled: 3-line block ×5, first 2 shown]
	v_cndmask_b32_e32 v9, v9, v17, vcc
	s_branch .LBB372_27
.LBB372_26:                             ;   in Loop: Header=BB372_27 Depth=2
	s_or_b64 exec, exec, s[12:13]
	s_add_i32 s17, s17, 1
	v_cmp_eq_u32_e32 vcc, s17, v8
	s_or_b64 s[6:7], vcc, s[6:7]
	s_andn2_b64 exec, exec, s[6:7]
	s_cbranch_execz .LBB372_24
.LBB372_27:                             ;   Parent Loop BB372_25 Depth=1
                                        ; =>  This Inner Loop Header: Depth=2
	v_cmp_eq_u32_e32 vcc, s17, v3
	s_and_saveexec_b64 s[12:13], vcc
	s_cbranch_execz .LBB372_26
; %bb.28:                               ;   in Loop: Header=BB372_27 Depth=2
	v_add_f32_e32 v16, v16, v9
	global_store_dword v[6:7], v3, off
	s_branch .LBB372_26
.LBB372_29:
	s_load_dword s6, s[0:1], 0x3c
	s_waitcnt lgkmcnt(0)
	s_load_dwordx2 s[4:5], s[0:1], 0x40
	s_bitcmp1_b32 s6, 0
	s_cselect_b64 s[6:7], -1, 0
	s_waitcnt lgkmcnt(0)
	v_cvt_f32_f64_e32 v19, s[4:5]
	s_and_b64 vcc, exec, s[6:7]
	s_cbranch_vccz .LBB372_31
; %bb.30:
	v_cmp_lt_f32_e32 vcc, 0, v16
	s_nop 1
	v_cndmask_b32_e32 v3, 1.0, v16, vcc
	v_div_scale_f32 v6, s[4:5], v3, v3, v19
	v_rcp_f32_e32 v7, v6
	s_nop 0
	v_fma_f32 v8, -v6, v7, 1.0
	v_fmac_f32_e32 v7, v8, v7
	v_div_scale_f32 v8, vcc, v19, v3, v19
	v_mul_f32_e32 v9, v8, v7
	v_fma_f32 v16, -v6, v9, v8
	v_fmac_f32_e32 v9, v16, v7
	v_fma_f32 v6, -v6, v9, v8
	v_div_fmas_f32 v6, v6, v7, v9
	v_div_fixup_f32 v19, v6, v3, v19
.LBB372_31:
	s_andn2_b64 vcc, exec, s[2:3]
	s_cbranch_vccnz .LBB372_56
; %bb.32:
	s_load_dwordx2 s[0:1], s[0:1], 0x10
	s_cmp_lt_u32 s16, 8
	s_mov_b32 s2, 0
	s_cbranch_scc1 .LBB372_51
; %bb.33:
	v_ashrrev_i32_e32 v3, 31, v2
	s_and_b32 s2, s16, 0x7ffffff8
	s_waitcnt lgkmcnt(0)
	v_lshl_add_u64 v[6:7], v[2:3], 2, s[0:1]
	s_mov_b32 s3, 0
	s_mov_b64 s[4:5], 0
	s_branch .LBB372_35
.LBB372_34:                             ;   in Loop: Header=BB372_35 Depth=1
	s_or_b64 exec, exec, s[6:7]
	s_add_i32 s3, s3, 8
	s_add_u32 s4, s4, 32
	s_addc_u32 s5, s5, 0
	s_cmp_eq_u32 s2, s3
	s_cbranch_scc1 .LBB372_51
.LBB372_35:                             ; =>This Inner Loop Header: Depth=1
	v_lshl_add_u64 v[8:9], v[4:5], 0, s[4:5]
	global_load_dword v3, v[8:9], off
	s_waitcnt vmcnt(0)
	v_cmp_gt_u32_e32 vcc, 8, v3
	s_and_saveexec_b64 s[6:7], vcc
	s_cbranch_execz .LBB372_37
; %bb.36:                               ;   in Loop: Header=BB372_35 Depth=1
	v_cmp_eq_u32_e32 vcc, 1, v3
	v_add_u32_e32 v20, s3, v2
	v_ashrrev_i32_e32 v21, 31, v20
	v_cndmask_b32_e32 v16, v11, v10, vcc
	v_cmp_eq_u32_e32 vcc, 2, v3
	v_lshl_add_u64 v[20:21], v[20:21], 2, s[0:1]
	s_nop 0
	v_cndmask_b32_e32 v16, v16, v13, vcc
	v_cmp_eq_u32_e32 vcc, 3, v3
	s_nop 1
	v_cndmask_b32_e32 v16, v16, v12, vcc
	v_cmp_eq_u32_e32 vcc, 4, v3
	;; [unrolled: 3-line block ×5, first 2 shown]
	s_nop 1
	v_cndmask_b32_e32 v3, v16, v17, vcc
	v_mul_f32_e32 v3, v19, v3
	global_store_dword v[20:21], v3, off
.LBB372_37:                             ;   in Loop: Header=BB372_35 Depth=1
	s_or_b64 exec, exec, s[6:7]
	global_load_dword v3, v[8:9], off offset:4
	s_waitcnt vmcnt(0)
	v_cmp_gt_u32_e32 vcc, 8, v3
	s_and_saveexec_b64 s[6:7], vcc
	s_cbranch_execz .LBB372_39
; %bb.38:                               ;   in Loop: Header=BB372_35 Depth=1
	v_cmp_eq_u32_e32 vcc, 1, v3
	v_lshl_add_u64 v[20:21], v[6:7], 0, s[4:5]
	s_nop 0
	v_cndmask_b32_e32 v16, v11, v10, vcc
	v_cmp_eq_u32_e32 vcc, 2, v3
	s_nop 1
	v_cndmask_b32_e32 v16, v16, v13, vcc
	v_cmp_eq_u32_e32 vcc, 3, v3
	s_nop 1
	v_cndmask_b32_e32 v16, v16, v12, vcc
	v_cmp_eq_u32_e32 vcc, 4, v3
	s_nop 1
	v_cndmask_b32_e32 v16, v16, v15, vcc
	v_cmp_eq_u32_e32 vcc, 5, v3
	s_nop 1
	v_cndmask_b32_e32 v16, v16, v14, vcc
	v_cmp_eq_u32_e32 vcc, 6, v3
	s_nop 1
	v_cndmask_b32_e32 v16, v16, v18, vcc
	v_cmp_eq_u32_e32 vcc, 7, v3
	s_nop 1
	v_cndmask_b32_e32 v3, v16, v17, vcc
	v_mul_f32_e32 v3, v19, v3
	global_store_dword v[20:21], v3, off offset:4
.LBB372_39:                             ;   in Loop: Header=BB372_35 Depth=1
	s_or_b64 exec, exec, s[6:7]
	global_load_dword v3, v[8:9], off offset:8
	s_waitcnt vmcnt(0)
	v_cmp_gt_u32_e32 vcc, 8, v3
	s_and_saveexec_b64 s[6:7], vcc
	s_cbranch_execz .LBB372_41
; %bb.40:                               ;   in Loop: Header=BB372_35 Depth=1
	v_cmp_eq_u32_e32 vcc, 1, v3
	v_lshl_add_u64 v[20:21], v[6:7], 0, s[4:5]
	s_nop 0
	v_cndmask_b32_e32 v16, v11, v10, vcc
	v_cmp_eq_u32_e32 vcc, 2, v3
	s_nop 1
	v_cndmask_b32_e32 v16, v16, v13, vcc
	v_cmp_eq_u32_e32 vcc, 3, v3
	s_nop 1
	v_cndmask_b32_e32 v16, v16, v12, vcc
	v_cmp_eq_u32_e32 vcc, 4, v3
	s_nop 1
	v_cndmask_b32_e32 v16, v16, v15, vcc
	v_cmp_eq_u32_e32 vcc, 5, v3
	s_nop 1
	v_cndmask_b32_e32 v16, v16, v14, vcc
	v_cmp_eq_u32_e32 vcc, 6, v3
	s_nop 1
	v_cndmask_b32_e32 v16, v16, v18, vcc
	v_cmp_eq_u32_e32 vcc, 7, v3
	s_nop 1
	v_cndmask_b32_e32 v3, v16, v17, vcc
	v_mul_f32_e32 v3, v19, v3
	global_store_dword v[20:21], v3, off offset:8
.LBB372_41:                             ;   in Loop: Header=BB372_35 Depth=1
	;; [unrolled: 32-line block ×6, first 2 shown]
	s_or_b64 exec, exec, s[6:7]
	global_load_dword v3, v[8:9], off offset:28
	s_waitcnt vmcnt(0)
	v_cmp_gt_u32_e32 vcc, 8, v3
	s_and_saveexec_b64 s[6:7], vcc
	s_cbranch_execz .LBB372_34
; %bb.50:                               ;   in Loop: Header=BB372_35 Depth=1
	v_cmp_eq_u32_e32 vcc, 1, v3
	s_nop 1
	v_cndmask_b32_e32 v8, v11, v10, vcc
	v_cmp_eq_u32_e32 vcc, 2, v3
	s_nop 1
	v_cndmask_b32_e32 v8, v8, v13, vcc
	;; [unrolled: 3-line block ×7, first 2 shown]
	v_mul_f32_e32 v3, v19, v3
	v_lshl_add_u64 v[8:9], v[6:7], 0, s[4:5]
	global_store_dword v[8:9], v3, off offset:28
	s_branch .LBB372_34
.LBB372_51:
	s_and_b32 s4, s16, 7
	s_cmp_eq_u32 s4, 0
	s_mov_b32 s3, 0
	s_cbranch_scc1 .LBB372_56
; %bb.52:
	v_add_u32_e32 v2, s2, v2
	s_lshl_b64 s[2:3], s[2:3], 2
	s_add_u32 s2, s10, s2
	s_addc_u32 s3, s11, s3
	v_lshl_add_u64 v[0:1], v[0:1], 2, s[2:3]
	s_branch .LBB372_54
.LBB372_53:                             ;   in Loop: Header=BB372_54 Depth=1
	s_or_b64 exec, exec, s[2:3]
	s_add_i32 s4, s4, -1
	v_add_u32_e32 v2, 1, v2
	s_cmp_eq_u32 s4, 0
	v_lshl_add_u64 v[0:1], v[0:1], 0, 4
	s_cbranch_scc1 .LBB372_56
.LBB372_54:                             ; =>This Inner Loop Header: Depth=1
	global_load_dword v3, v[0:1], off
	s_waitcnt vmcnt(0)
	v_cmp_gt_u32_e32 vcc, 8, v3
	s_and_saveexec_b64 s[2:3], vcc
	s_cbranch_execz .LBB372_53
; %bb.55:                               ;   in Loop: Header=BB372_54 Depth=1
	v_cmp_eq_u32_e32 vcc, 1, v3
	s_nop 1
	v_cndmask_b32_e32 v4, v11, v10, vcc
	v_cmp_eq_u32_e32 vcc, 2, v3
	s_nop 1
	v_cndmask_b32_e32 v4, v4, v13, vcc
	;; [unrolled: 3-line block ×7, first 2 shown]
	v_mul_f32_e32 v6, v19, v3
	v_ashrrev_i32_e32 v3, 31, v2
	s_waitcnt lgkmcnt(0)
	v_lshl_add_u64 v[4:5], v[2:3], 2, s[0:1]
	global_store_dword v[4:5], v6, off
	s_branch .LBB372_53
.LBB372_56:
	s_endpgm
	.section	.rodata,"a",@progbits
	.p2align	6, 0x0
	.amdhsa_kernel _ZN4vllm3moe22topkGatingSoftplusSqrtILi8ELi8ELi4ELi16ELi64ELb1Ei14__hip_bfloat16EEvPKT6_PKbPfiPT5_PiiiibdPKfPKS9_SF_
		.amdhsa_group_segment_fixed_size 0
		.amdhsa_private_segment_fixed_size 0
		.amdhsa_kernarg_size 96
		.amdhsa_user_sgpr_count 2
		.amdhsa_user_sgpr_dispatch_ptr 0
		.amdhsa_user_sgpr_queue_ptr 0
		.amdhsa_user_sgpr_kernarg_segment_ptr 1
		.amdhsa_user_sgpr_dispatch_id 0
		.amdhsa_user_sgpr_kernarg_preload_length 0
		.amdhsa_user_sgpr_kernarg_preload_offset 0
		.amdhsa_user_sgpr_private_segment_size 0
		.amdhsa_uses_dynamic_stack 0
		.amdhsa_enable_private_segment 0
		.amdhsa_system_sgpr_workgroup_id_x 1
		.amdhsa_system_sgpr_workgroup_id_y 0
		.amdhsa_system_sgpr_workgroup_id_z 0
		.amdhsa_system_sgpr_workgroup_info 0
		.amdhsa_system_vgpr_workitem_id 1
		.amdhsa_next_free_vgpr 26
		.amdhsa_next_free_sgpr 18
		.amdhsa_accum_offset 28
		.amdhsa_reserve_vcc 1
		.amdhsa_float_round_mode_32 0
		.amdhsa_float_round_mode_16_64 0
		.amdhsa_float_denorm_mode_32 3
		.amdhsa_float_denorm_mode_16_64 3
		.amdhsa_dx10_clamp 1
		.amdhsa_ieee_mode 1
		.amdhsa_fp16_overflow 0
		.amdhsa_tg_split 0
		.amdhsa_exception_fp_ieee_invalid_op 0
		.amdhsa_exception_fp_denorm_src 0
		.amdhsa_exception_fp_ieee_div_zero 0
		.amdhsa_exception_fp_ieee_overflow 0
		.amdhsa_exception_fp_ieee_underflow 0
		.amdhsa_exception_fp_ieee_inexact 0
		.amdhsa_exception_int_div_zero 0
	.end_amdhsa_kernel
	.section	.text._ZN4vllm3moe22topkGatingSoftplusSqrtILi8ELi8ELi4ELi16ELi64ELb1Ei14__hip_bfloat16EEvPKT6_PKbPfiPT5_PiiiibdPKfPKS9_SF_,"axG",@progbits,_ZN4vllm3moe22topkGatingSoftplusSqrtILi8ELi8ELi4ELi16ELi64ELb1Ei14__hip_bfloat16EEvPKT6_PKbPfiPT5_PiiiibdPKfPKS9_SF_,comdat
.Lfunc_end372:
	.size	_ZN4vllm3moe22topkGatingSoftplusSqrtILi8ELi8ELi4ELi16ELi64ELb1Ei14__hip_bfloat16EEvPKT6_PKbPfiPT5_PiiiibdPKfPKS9_SF_, .Lfunc_end372-_ZN4vllm3moe22topkGatingSoftplusSqrtILi8ELi8ELi4ELi16ELi64ELb1Ei14__hip_bfloat16EEvPKT6_PKbPfiPT5_PiiiibdPKfPKS9_SF_
                                        ; -- End function
	.section	.AMDGPU.csdata,"",@progbits
; Kernel info:
; codeLenInByte = 4520
; NumSgprs: 24
; NumVgprs: 26
; NumAgprs: 0
; TotalNumVgprs: 26
; ScratchSize: 0
; MemoryBound: 0
; FloatMode: 240
; IeeeMode: 1
; LDSByteSize: 0 bytes/workgroup (compile time only)
; SGPRBlocks: 2
; VGPRBlocks: 3
; NumSGPRsForWavesPerEU: 24
; NumVGPRsForWavesPerEU: 26
; AccumOffset: 28
; Occupancy: 8
; WaveLimiterHint : 1
; COMPUTE_PGM_RSRC2:SCRATCH_EN: 0
; COMPUTE_PGM_RSRC2:USER_SGPR: 2
; COMPUTE_PGM_RSRC2:TRAP_HANDLER: 0
; COMPUTE_PGM_RSRC2:TGID_X_EN: 1
; COMPUTE_PGM_RSRC2:TGID_Y_EN: 0
; COMPUTE_PGM_RSRC2:TGID_Z_EN: 0
; COMPUTE_PGM_RSRC2:TIDIG_COMP_CNT: 1
; COMPUTE_PGM_RSRC3_GFX90A:ACCUM_OFFSET: 6
; COMPUTE_PGM_RSRC3_GFX90A:TG_SPLIT: 0
	.section	.text._ZN4vllm3moe22topkGatingSoftplusSqrtILi8ELi8ELi4ELi16ELi64ELb0Ei14__hip_bfloat16EEvPKT6_PKbPfiPT5_PiiiibdPKfPKS9_SF_,"axG",@progbits,_ZN4vllm3moe22topkGatingSoftplusSqrtILi8ELi8ELi4ELi16ELi64ELb0Ei14__hip_bfloat16EEvPKT6_PKbPfiPT5_PiiiibdPKfPKS9_SF_,comdat
	.protected	_ZN4vllm3moe22topkGatingSoftplusSqrtILi8ELi8ELi4ELi16ELi64ELb0Ei14__hip_bfloat16EEvPKT6_PKbPfiPT5_PiiiibdPKfPKS9_SF_ ; -- Begin function _ZN4vllm3moe22topkGatingSoftplusSqrtILi8ELi8ELi4ELi16ELi64ELb0Ei14__hip_bfloat16EEvPKT6_PKbPfiPT5_PiiiibdPKfPKS9_SF_
	.globl	_ZN4vllm3moe22topkGatingSoftplusSqrtILi8ELi8ELi4ELi16ELi64ELb0Ei14__hip_bfloat16EEvPKT6_PKbPfiPT5_PiiiibdPKfPKS9_SF_
	.p2align	8
	.type	_ZN4vllm3moe22topkGatingSoftplusSqrtILi8ELi8ELi4ELi16ELi64ELb0Ei14__hip_bfloat16EEvPKT6_PKbPfiPT5_PiiiibdPKfPKS9_SF_,@function
_ZN4vllm3moe22topkGatingSoftplusSqrtILi8ELi8ELi4ELi16ELi64ELb0Ei14__hip_bfloat16EEvPKT6_PKbPfiPT5_PiiiibdPKfPKS9_SF_: ; @_ZN4vllm3moe22topkGatingSoftplusSqrtILi8ELi8ELi4ELi16ELi64ELb0Ei14__hip_bfloat16EEvPKT6_PKbPfiPT5_PiiiibdPKfPKS9_SF_
; %bb.0:
	s_load_dword s24, s[0:1], 0x18
	v_bfe_u32 v1, v0, 10, 10
	s_lshl_b32 s2, s2, 8
	v_lshlrev_b32_e32 v1, 6, v1
	v_and_b32_e32 v0, 0x3ff, v0
	v_add3_u32 v8, v1, v0, s2
	s_waitcnt lgkmcnt(0)
	v_cmp_gt_i32_e32 vcc, s24, v8
	s_and_saveexec_b64 s[2:3], vcc
	s_cbranch_execz .LBB373_40
; %bb.1:
	s_load_dwordx4 s[4:7], s[0:1], 0x0
	s_load_dwordx2 s[20:21], s[0:1], 0x10
	s_waitcnt lgkmcnt(0)
	s_cmp_eq_u64 s[6:7], 0
	s_cbranch_scc1 .LBB373_3
; %bb.2:
	v_ashrrev_i32_e32 v9, 31, v8
	v_lshl_add_u64 v[0:1], s[6:7], 0, v[8:9]
	global_load_ubyte v0, v[0:1], off
	s_waitcnt vmcnt(0)
	v_and_b32_e32 v0, 1, v0
	v_cmp_eq_u32_e32 vcc, 1, v0
	s_xor_b64 s[2:3], vcc, -1
	s_orn2_b64 s[6:7], s[2:3], exec
	s_branch .LBB373_4
.LBB373_3:
	s_mov_b64 s[6:7], -1
.LBB373_4:
	v_lshlrev_b32_e32 v2, 3, v8
	v_mov_b32_e32 v0, s4
	v_mov_b32_e32 v1, s5
	v_ashrrev_i32_e32 v3, 31, v2
	v_lshl_add_u64 v[0:1], v[2:3], 1, v[0:1]
	global_load_dwordx4 v[4:7], v[0:1], off
	s_mov_b32 s18, 0x800000
	v_mov_b32_e32 v2, 0x4f800000
	s_mov_b32 s15, 0x3f317217
	s_mov_b32 s16, 0x7f800000
	v_mov_b32_e32 v3, 0x41b17218
	s_mov_b32 s14, 0x41a00000
	s_mov_b32 s17, 0xf800000
	s_load_dwordx4 s[8:11], s[0:1], 0x40
	s_waitcnt lgkmcnt(0)
	s_cmp_lg_u64 s[10:11], 0
	s_cselect_b64 s[12:13], -1, 0
	s_and_b64 s[2:3], exec, s[12:13]
	s_waitcnt vmcnt(0)
	v_lshlrev_b32_e32 v0, 16, v4
	v_mul_f32_e32 v1, 0x3fb8aa3b, v0
	v_exp_f32_e32 v1, v1
	s_nop 0
	v_add_f32_e32 v1, 1.0, v1
	v_cmp_gt_f32_e32 vcc, s18, v1
	s_nop 1
	v_cndmask_b32_e32 v9, 1.0, v2, vcc
	v_mul_f32_e32 v1, v1, v9
	v_log_f32_e32 v9, v1
	v_cndmask_b32_e32 v10, 0, v3, vcc
	v_mov_b32_e32 v1, 0x260
	v_mul_f32_e32 v11, 0x3f317217, v9
	v_fma_f32 v11, v9, s15, -v11
	v_fmac_f32_e32 v11, 0x3377d1cf, v9
	v_fmac_f32_e32 v11, 0x3f317217, v9
	v_cmp_lt_f32_e64 vcc, |v9|, s16
	s_nop 1
	v_cndmask_b32_e32 v9, v9, v11, vcc
	v_sub_f32_e32 v9, v9, v10
	v_cmp_lt_f32_e32 vcc, s14, v0
	s_nop 1
	v_cndmask_b32_e32 v0, v9, v0, vcc
	v_mul_f32_e32 v9, 0x4f800000, v0
	v_cmp_gt_f32_e32 vcc, s17, v0
	s_nop 1
	v_cndmask_b32_e32 v0, v0, v9, vcc
	v_sqrt_f32_e32 v9, v0
	s_nop 0
	v_add_u32_e32 v10, -1, v9
	v_add_u32_e32 v11, 1, v9
	v_fma_f32 v12, -v10, v9, v0
	v_fma_f32 v13, -v11, v9, v0
	v_cmp_ge_f32_e64 s[4:5], 0, v12
	s_nop 1
	v_cndmask_b32_e64 v9, v9, v10, s[4:5]
	v_cmp_lt_f32_e64 s[4:5], 0, v13
	s_nop 1
	v_cndmask_b32_e64 v9, v9, v11, s[4:5]
	v_mul_f32_e32 v10, 0x37800000, v9
	v_cndmask_b32_e32 v9, v9, v10, vcc
	v_cmp_class_f32_e32 vcc, v0, v1
	s_nop 1
	v_cndmask_b32_e32 v0, v9, v0, vcc
	s_mov_b64 vcc, s[2:3]
	s_cbranch_vccz .LBB373_6
; %bb.5:
	s_load_dword s2, s[10:11], 0x0
	s_waitcnt lgkmcnt(0)
	v_add_f32_e32 v0, s2, v0
.LBB373_6:
	v_and_b32_e32 v4, 0xffff0000, v4
	v_mul_f32_e32 v9, 0x3fb8aa3b, v4
	v_exp_f32_e32 v9, v9
	s_nop 0
	v_add_f32_e32 v9, 1.0, v9
	v_cmp_gt_f32_e32 vcc, s18, v9
	s_nop 1
	v_cndmask_b32_e32 v2, 1.0, v2, vcc
	v_mul_f32_e32 v2, v9, v2
	v_log_f32_e32 v2, v2
	v_cndmask_b32_e32 v3, 0, v3, vcc
	v_mul_f32_e32 v9, 0x3f317217, v2
	v_fma_f32 v9, v2, s15, -v9
	v_fmac_f32_e32 v9, 0x3377d1cf, v2
	v_fmac_f32_e32 v9, 0x3f317217, v2
	v_cmp_lt_f32_e64 vcc, |v2|, s16
	s_nop 1
	v_cndmask_b32_e32 v2, v2, v9, vcc
	v_sub_f32_e32 v2, v2, v3
	v_cmp_lt_f32_e32 vcc, s14, v4
	s_nop 1
	v_cndmask_b32_e32 v2, v2, v4, vcc
	v_mul_f32_e32 v3, 0x4f800000, v2
	v_cmp_gt_f32_e32 vcc, s17, v2
	s_nop 1
	v_cndmask_b32_e32 v2, v2, v3, vcc
	v_sqrt_f32_e32 v3, v2
	v_cmp_class_f32_e64 s[4:5], v2, v1
	v_add_u32_e32 v4, -1, v3
	v_add_u32_e32 v9, 1, v3
	v_fma_f32 v10, -v4, v3, v2
	v_fma_f32 v11, -v9, v3, v2
	v_cmp_ge_f32_e64 s[2:3], 0, v10
	s_nop 1
	v_cndmask_b32_e64 v3, v3, v4, s[2:3]
	v_cmp_lt_f32_e64 s[2:3], 0, v11
	s_nop 1
	v_cndmask_b32_e64 v3, v3, v9, s[2:3]
	v_mul_f32_e32 v4, 0x37800000, v3
	v_cndmask_b32_e32 v3, v3, v4, vcc
	v_cndmask_b32_e64 v4, 0, 1, s[12:13]
	v_cmp_ne_u32_e64 s[2:3], 1, v4
	s_andn2_b64 vcc, exec, s[12:13]
	v_cndmask_b32_e64 v1, v3, v2, s[4:5]
	s_cbranch_vccnz .LBB373_8
; %bb.7:
	s_load_dword s4, s[10:11], 0x4
	s_waitcnt lgkmcnt(0)
	v_add_f32_e32 v1, s4, v1
.LBB373_8:
	v_lshlrev_b32_e32 v2, 16, v5
	v_mul_f32_e32 v3, 0x3fb8aa3b, v2
	v_exp_f32_e32 v3, v3
	s_mov_b32 s16, 0x800000
	v_mov_b32_e32 v4, 0x4f800000
	s_mov_b32 s13, 0x3f317217
	v_add_f32_e32 v3, 1.0, v3
	v_cmp_gt_f32_e32 vcc, s16, v3
	s_mov_b32 s14, 0x7f800000
	s_mov_b32 s12, 0x41a00000
	v_cndmask_b32_e32 v9, 1.0, v4, vcc
	v_mul_f32_e32 v3, v3, v9
	v_log_f32_e32 v3, v3
	s_mov_b32 s15, 0xf800000
	v_mul_f32_e32 v9, 0x3f317217, v3
	v_fma_f32 v9, v3, s13, -v9
	v_fmac_f32_e32 v9, 0x3377d1cf, v3
	v_fmac_f32_e32 v9, 0x3f317217, v3
	v_cmp_lt_f32_e64 s[4:5], |v3|, s14
	s_nop 1
	v_cndmask_b32_e64 v3, v3, v9, s[4:5]
	v_mov_b32_e32 v9, 0x41b17218
	v_cndmask_b32_e32 v10, 0, v9, vcc
	v_sub_f32_e32 v3, v3, v10
	v_cmp_lt_f32_e32 vcc, s12, v2
	s_nop 1
	v_cndmask_b32_e32 v2, v3, v2, vcc
	v_mul_f32_e32 v3, 0x4f800000, v2
	v_cmp_gt_f32_e32 vcc, s15, v2
	s_nop 1
	v_cndmask_b32_e32 v2, v2, v3, vcc
	v_sqrt_f32_e32 v3, v2
	s_nop 0
	v_add_u32_e32 v10, -1, v3
	v_fma_f32 v11, -v10, v3, v2
	v_cmp_ge_f32_e64 s[4:5], 0, v11
	v_add_u32_e32 v11, 1, v3
	s_nop 0
	v_cndmask_b32_e64 v10, v3, v10, s[4:5]
	v_fma_f32 v3, -v11, v3, v2
	v_cmp_lt_f32_e64 s[4:5], 0, v3
	s_nop 1
	v_cndmask_b32_e64 v3, v10, v11, s[4:5]
	v_mul_f32_e32 v10, 0x37800000, v3
	v_cndmask_b32_e32 v10, v3, v10, vcc
	v_mov_b32_e32 v3, 0x260
	v_cmp_class_f32_e64 s[4:5], v2, v3
	s_and_b64 vcc, exec, s[2:3]
	s_nop 0
	v_cndmask_b32_e64 v2, v10, v2, s[4:5]
	s_cbranch_vccnz .LBB373_10
; %bb.9:
	s_load_dword s4, s[10:11], 0x8
	s_waitcnt lgkmcnt(0)
	v_add_f32_e32 v2, s4, v2
.LBB373_10:
	v_and_b32_e32 v5, 0xffff0000, v5
	v_mul_f32_e32 v10, 0x3fb8aa3b, v5
	v_exp_f32_e32 v10, v10
	s_nop 0
	v_add_f32_e32 v10, 1.0, v10
	v_cmp_gt_f32_e32 vcc, s16, v10
	s_nop 1
	v_cndmask_b32_e32 v4, 1.0, v4, vcc
	v_mul_f32_e32 v4, v10, v4
	v_log_f32_e32 v4, v4
	v_cndmask_b32_e32 v9, 0, v9, vcc
	v_mul_f32_e32 v10, 0x3f317217, v4
	v_fma_f32 v10, v4, s13, -v10
	v_fmac_f32_e32 v10, 0x3377d1cf, v4
	v_fmac_f32_e32 v10, 0x3f317217, v4
	v_cmp_lt_f32_e64 vcc, |v4|, s14
	s_nop 1
	v_cndmask_b32_e32 v4, v4, v10, vcc
	v_sub_f32_e32 v4, v4, v9
	v_cmp_lt_f32_e32 vcc, s12, v5
	s_nop 1
	v_cndmask_b32_e32 v4, v4, v5, vcc
	v_mul_f32_e32 v5, 0x4f800000, v4
	v_cmp_gt_f32_e32 vcc, s15, v4
	s_nop 1
	v_cndmask_b32_e32 v4, v4, v5, vcc
	v_sqrt_f32_e32 v5, v4
	s_nop 0
	v_add_u32_e32 v9, -1, v5
	v_add_u32_e32 v10, 1, v5
	v_fma_f32 v11, -v9, v5, v4
	v_fma_f32 v12, -v10, v5, v4
	v_cmp_ge_f32_e64 s[4:5], 0, v11
	s_nop 1
	v_cndmask_b32_e64 v5, v5, v9, s[4:5]
	v_cmp_lt_f32_e64 s[4:5], 0, v12
	s_nop 1
	v_cndmask_b32_e64 v5, v5, v10, s[4:5]
	v_mul_f32_e32 v9, 0x37800000, v5
	v_cndmask_b32_e32 v5, v5, v9, vcc
	v_cmp_class_f32_e64 s[4:5], v4, v3
	s_and_b64 vcc, exec, s[2:3]
	s_nop 0
	v_cndmask_b32_e64 v3, v5, v4, s[4:5]
	s_cbranch_vccnz .LBB373_12
; %bb.11:
	s_load_dword s4, s[10:11], 0xc
	s_waitcnt lgkmcnt(0)
	v_add_f32_e32 v3, s4, v3
.LBB373_12:
	v_lshlrev_b32_e32 v4, 16, v6
	v_mul_f32_e32 v5, 0x3fb8aa3b, v4
	v_exp_f32_e32 v5, v5
	v_mov_b32_e32 v9, 0x4f800000
	v_add_f32_e32 v5, 1.0, v5
	v_cmp_gt_f32_e32 vcc, s16, v5
	s_nop 1
	v_cndmask_b32_e32 v10, 1.0, v9, vcc
	v_mul_f32_e32 v5, v5, v10
	v_log_f32_e32 v5, v5
	s_nop 0
	v_mul_f32_e32 v10, 0x3f317217, v5
	v_fma_f32 v10, v5, s13, -v10
	v_fmac_f32_e32 v10, 0x3377d1cf, v5
	v_fmac_f32_e32 v10, 0x3f317217, v5
	v_cmp_lt_f32_e64 s[4:5], |v5|, s14
	s_nop 1
	v_cndmask_b32_e64 v5, v5, v10, s[4:5]
	v_mov_b32_e32 v10, 0x41b17218
	v_cndmask_b32_e32 v11, 0, v10, vcc
	v_sub_f32_e32 v5, v5, v11
	v_cmp_lt_f32_e32 vcc, s12, v4
	s_nop 1
	v_cndmask_b32_e32 v4, v5, v4, vcc
	v_mul_f32_e32 v5, 0x4f800000, v4
	v_cmp_gt_f32_e32 vcc, s15, v4
	s_nop 1
	v_cndmask_b32_e32 v4, v4, v5, vcc
	v_sqrt_f32_e32 v5, v4
	s_nop 0
	v_add_u32_e32 v11, -1, v5
	v_fma_f32 v12, -v11, v5, v4
	v_cmp_ge_f32_e64 s[4:5], 0, v12
	v_add_u32_e32 v12, 1, v5
	s_nop 0
	v_cndmask_b32_e64 v11, v5, v11, s[4:5]
	v_fma_f32 v5, -v12, v5, v4
	v_cmp_lt_f32_e64 s[4:5], 0, v5
	s_nop 1
	v_cndmask_b32_e64 v5, v11, v12, s[4:5]
	v_mul_f32_e32 v11, 0x37800000, v5
	v_cndmask_b32_e32 v11, v5, v11, vcc
	v_mov_b32_e32 v5, 0x260
	v_cmp_class_f32_e64 s[4:5], v4, v5
	s_and_b64 vcc, exec, s[2:3]
	s_nop 0
	v_cndmask_b32_e64 v4, v11, v4, s[4:5]
	s_cbranch_vccnz .LBB373_14
; %bb.13:
	s_load_dword s4, s[10:11], 0x10
	s_waitcnt lgkmcnt(0)
	v_add_f32_e32 v4, s4, v4
.LBB373_14:
	v_and_b32_e32 v6, 0xffff0000, v6
	v_mul_f32_e32 v11, 0x3fb8aa3b, v6
	v_exp_f32_e32 v11, v11
	s_nop 0
	v_add_f32_e32 v11, 1.0, v11
	v_cmp_gt_f32_e32 vcc, s16, v11
	s_nop 1
	v_cndmask_b32_e32 v9, 1.0, v9, vcc
	v_mul_f32_e32 v9, v11, v9
	v_log_f32_e32 v9, v9
	v_cndmask_b32_e32 v10, 0, v10, vcc
	v_mul_f32_e32 v11, 0x3f317217, v9
	v_fma_f32 v11, v9, s13, -v11
	v_fmac_f32_e32 v11, 0x3377d1cf, v9
	v_fmac_f32_e32 v11, 0x3f317217, v9
	v_cmp_lt_f32_e64 vcc, |v9|, s14
	s_nop 1
	v_cndmask_b32_e32 v9, v9, v11, vcc
	v_sub_f32_e32 v9, v9, v10
	v_cmp_lt_f32_e32 vcc, s12, v6
	s_nop 1
	v_cndmask_b32_e32 v6, v9, v6, vcc
	v_mul_f32_e32 v9, 0x4f800000, v6
	v_cmp_gt_f32_e32 vcc, s15, v6
	s_nop 1
	v_cndmask_b32_e32 v6, v6, v9, vcc
	v_sqrt_f32_e32 v9, v6
	s_nop 0
	v_add_u32_e32 v10, -1, v9
	v_add_u32_e32 v11, 1, v9
	v_fma_f32 v12, -v10, v9, v6
	v_fma_f32 v13, -v11, v9, v6
	v_cmp_ge_f32_e64 s[4:5], 0, v12
	s_nop 1
	v_cndmask_b32_e64 v9, v9, v10, s[4:5]
	v_cmp_lt_f32_e64 s[4:5], 0, v13
	s_nop 1
	v_cndmask_b32_e64 v9, v9, v11, s[4:5]
	v_mul_f32_e32 v10, 0x37800000, v9
	v_cndmask_b32_e32 v9, v9, v10, vcc
	v_cmp_class_f32_e64 s[4:5], v6, v5
	s_and_b64 vcc, exec, s[2:3]
	s_nop 0
	v_cndmask_b32_e64 v5, v9, v6, s[4:5]
	s_cbranch_vccnz .LBB373_16
; %bb.15:
	s_load_dword s4, s[10:11], 0x14
	s_waitcnt lgkmcnt(0)
	v_add_f32_e32 v5, s4, v5
.LBB373_16:
	v_lshlrev_b32_e32 v6, 16, v7
	v_mul_f32_e32 v9, 0x3fb8aa3b, v6
	v_exp_f32_e32 v9, v9
	v_mov_b32_e32 v10, 0x4f800000
	v_add_f32_e32 v9, 1.0, v9
	v_cmp_gt_f32_e32 vcc, s16, v9
	s_nop 1
	v_cndmask_b32_e32 v11, 1.0, v10, vcc
	v_mul_f32_e32 v9, v9, v11
	v_log_f32_e32 v9, v9
	s_nop 0
	v_mul_f32_e32 v11, 0x3f317217, v9
	v_fma_f32 v11, v9, s13, -v11
	v_fmac_f32_e32 v11, 0x3377d1cf, v9
	v_fmac_f32_e32 v11, 0x3f317217, v9
	v_cmp_lt_f32_e64 s[4:5], |v9|, s14
	s_nop 1
	v_cndmask_b32_e64 v9, v9, v11, s[4:5]
	v_mov_b32_e32 v11, 0x41b17218
	v_cndmask_b32_e32 v12, 0, v11, vcc
	v_sub_f32_e32 v9, v9, v12
	v_cmp_lt_f32_e32 vcc, s12, v6
	s_nop 1
	v_cndmask_b32_e32 v6, v9, v6, vcc
	v_mul_f32_e32 v9, 0x4f800000, v6
	v_cmp_gt_f32_e32 vcc, s15, v6
	s_nop 1
	v_cndmask_b32_e32 v6, v6, v9, vcc
	v_sqrt_f32_e32 v9, v6
	s_nop 0
	v_add_u32_e32 v12, -1, v9
	v_fma_f32 v13, -v12, v9, v6
	v_cmp_ge_f32_e64 s[4:5], 0, v13
	v_add_u32_e32 v13, 1, v9
	s_nop 0
	v_cndmask_b32_e64 v12, v9, v12, s[4:5]
	v_fma_f32 v9, -v13, v9, v6
	v_cmp_lt_f32_e64 s[4:5], 0, v9
	s_nop 1
	v_cndmask_b32_e64 v9, v12, v13, s[4:5]
	v_mul_f32_e32 v12, 0x37800000, v9
	v_cndmask_b32_e32 v12, v9, v12, vcc
	v_mov_b32_e32 v9, 0x260
	v_cmp_class_f32_e64 s[4:5], v6, v9
	s_and_b64 vcc, exec, s[2:3]
	s_nop 0
	v_cndmask_b32_e64 v6, v12, v6, s[4:5]
	s_cbranch_vccnz .LBB373_18
; %bb.17:
	s_load_dword s4, s[10:11], 0x18
	s_waitcnt lgkmcnt(0)
	v_add_f32_e32 v6, s4, v6
.LBB373_18:
	v_and_b32_e32 v7, 0xffff0000, v7
	v_mul_f32_e32 v12, 0x3fb8aa3b, v7
	v_exp_f32_e32 v12, v12
	s_nop 0
	v_add_f32_e32 v12, 1.0, v12
	v_cmp_gt_f32_e32 vcc, s16, v12
	s_nop 1
	v_cndmask_b32_e32 v10, 1.0, v10, vcc
	v_mul_f32_e32 v10, v12, v10
	v_log_f32_e32 v10, v10
	v_cndmask_b32_e32 v11, 0, v11, vcc
	v_mul_f32_e32 v12, 0x3f317217, v10
	v_fma_f32 v12, v10, s13, -v12
	v_fmac_f32_e32 v12, 0x3377d1cf, v10
	v_fmac_f32_e32 v12, 0x3f317217, v10
	v_cmp_lt_f32_e64 vcc, |v10|, s14
	s_nop 1
	v_cndmask_b32_e32 v10, v10, v12, vcc
	v_sub_f32_e32 v10, v10, v11
	v_cmp_lt_f32_e32 vcc, s12, v7
	s_nop 1
	v_cndmask_b32_e32 v7, v10, v7, vcc
	v_mul_f32_e32 v10, 0x4f800000, v7
	v_cmp_gt_f32_e32 vcc, s15, v7
	s_nop 1
	v_cndmask_b32_e32 v7, v7, v10, vcc
	v_sqrt_f32_e32 v10, v7
	s_nop 0
	v_add_u32_e32 v11, -1, v10
	v_add_u32_e32 v12, 1, v10
	v_fma_f32 v13, -v11, v10, v7
	v_fma_f32 v14, -v12, v10, v7
	v_cmp_ge_f32_e64 s[4:5], 0, v13
	s_nop 1
	v_cndmask_b32_e64 v10, v10, v11, s[4:5]
	v_cmp_lt_f32_e64 s[4:5], 0, v14
	s_nop 1
	v_cndmask_b32_e64 v10, v10, v12, s[4:5]
	v_mul_f32_e32 v11, 0x37800000, v10
	v_cndmask_b32_e32 v10, v10, v11, vcc
	v_cmp_class_f32_e64 s[4:5], v7, v9
	s_and_b64 vcc, exec, s[2:3]
	s_nop 0
	v_cndmask_b32_e64 v7, v10, v7, s[4:5]
	s_cbranch_vccnz .LBB373_20
; %bb.19:
	s_load_dword s4, s[10:11], 0x1c
	s_waitcnt lgkmcnt(0)
	v_add_f32_e32 v7, s4, v7
.LBB373_20:
	s_load_dwordx4 s[12:15], s[0:1], 0x30
	s_mov_b32 s25, 0
	s_waitcnt lgkmcnt(0)
	s_bitcmp1_b32 s15, 0
	s_cselect_b64 s[4:5], -1, 0
	s_cmp_gt_i32 s12, 0
	s_cselect_b64 s[22:23], -1, 0
	s_and_b64 vcc, exec, s[22:23]
	v_mul_lo_u32 v10, v8, s12
	s_cbranch_vccz .LBB373_27
; %bb.21:
	s_load_dwordx4 s[16:19], s[0:1], 0x20
	v_mov_b32_e32 v13, 0
	v_mov_b32_e32 v11, 0xc61c4000
	;; [unrolled: 1-line block ×3, first 2 shown]
	s_branch .LBB373_23
.LBB373_22:                             ;   in Loop: Header=BB373_23 Depth=1
	v_add_f32_e32 v12, v9, v14
	v_cndmask_b32_e64 v9, v9, v12, s[4:5]
	s_cmp_lg_u32 s12, s25
	v_add_u32_e32 v8, s24, v8
	s_cbranch_scc0 .LBB373_28
.LBB373_23:                             ; =>This Inner Loop Header: Depth=1
	v_cmp_gt_f32_e32 vcc, v1, v0
	s_nop 1
	v_cndmask_b32_e32 v14, v0, v1, vcc
	v_cndmask_b32_e64 v12, 0, 1, vcc
	v_cmp_gt_f32_e32 vcc, v2, v14
	s_nop 1
	v_cndmask_b32_e32 v14, v14, v2, vcc
	v_cndmask_b32_e64 v12, v12, 2, vcc
	;; [unrolled: 4-line block ×6, first 2 shown]
	v_cmp_gt_f32_e64 s[0:1], v7, v14
	s_and_b64 vcc, exec, s[2:3]
	s_nop 0
	v_cndmask_b32_e64 v12, v12, 7, s[0:1]
	v_cndmask_b32_e64 v14, v14, v7, s[0:1]
	s_cbranch_vccnz .LBB373_25
; %bb.24:                               ;   in Loop: Header=BB373_23 Depth=1
	v_lshl_add_u64 v[16:17], v[12:13], 2, s[10:11]
	global_load_dword v15, v[16:17], off
	s_waitcnt vmcnt(0)
	v_sub_f32_e32 v14, v14, v15
.LBB373_25:                             ;   in Loop: Header=BB373_23 Depth=1
	v_add_u32_e32 v16, s25, v10
	v_cmp_le_i32_e32 vcc, s13, v12
	v_cmp_gt_i32_e64 s[0:1], s14, v12
	v_ashrrev_i32_e32 v17, 31, v16
	s_and_b64 s[0:1], vcc, s[0:1]
	v_lshlrev_b64 v[16:17], 2, v[16:17]
	v_lshl_add_u64 v[18:19], s[20:21], 0, v[16:17]
	v_subrev_u32_e32 v15, s13, v12
	s_and_b64 vcc, s[6:7], s[0:1]
	s_add_i32 s25, s25, 1
	global_store_dword v[18:19], v14, off
	v_cndmask_b32_e32 v15, 8, v15, vcc
	s_waitcnt lgkmcnt(0)
	v_lshl_add_u64 v[18:19], s[16:17], 0, v[16:17]
	v_lshl_add_u64 v[16:17], s[18:19], 0, v[16:17]
	s_cmp_ge_i32 s25, s12
	global_store_dword v[18:19], v15, off
	global_store_dword v[16:17], v8, off
	s_cbranch_scc1 .LBB373_22
; %bb.26:                               ;   in Loop: Header=BB373_23 Depth=1
	v_cmp_ne_u32_e32 vcc, 7, v12
	s_nop 1
	v_cndmask_b32_e32 v7, v11, v7, vcc
	v_cmp_ne_u32_e32 vcc, 6, v12
	s_nop 1
	v_cndmask_b32_e32 v6, v11, v6, vcc
	;; [unrolled: 3-line block ×8, first 2 shown]
	s_branch .LBB373_22
.LBB373_27:
	v_mov_b32_e32 v9, 0
.LBB373_28:
	s_andn2_b64 vcc, exec, s[4:5]
	v_cvt_f32_f64_e32 v0, s[8:9]
	s_cbranch_vccnz .LBB373_30
; %bb.29:
	v_cmp_lt_f32_e32 vcc, 0, v9
	s_nop 1
	v_cndmask_b32_e32 v1, 1.0, v9, vcc
	v_div_scale_f32 v2, s[0:1], v1, v1, v0
	v_rcp_f32_e32 v3, v2
	s_nop 0
	v_fma_f32 v4, -v2, v3, 1.0
	v_fmac_f32_e32 v3, v4, v3
	v_div_scale_f32 v4, vcc, v0, v1, v0
	v_mul_f32_e32 v5, v4, v3
	v_fma_f32 v6, -v2, v5, v4
	v_fmac_f32_e32 v5, v6, v3
	v_fma_f32 v2, -v2, v5, v4
	v_div_fmas_f32 v2, v2, v3, v5
	v_div_fixup_f32 v0, v2, v1, v0
.LBB373_30:
	s_andn2_b64 vcc, exec, s[22:23]
	s_cbranch_vccnz .LBB373_40
; %bb.31:
	s_cmp_gt_u32 s12, 3
	v_ashrrev_i32_e32 v11, 31, v10
	s_cbranch_scc0 .LBB373_35
; %bb.32:
	s_and_b32 s0, s12, 0x7ffffffc
	v_lshl_add_u64 v[2:3], v[10:11], 2, s[20:21]
	v_mov_b32_e32 v1, v0
	v_lshl_add_u64 v[2:3], v[2:3], 0, 8
	s_mov_b32 s1, s0
.LBB373_33:                             ; =>This Inner Loop Header: Depth=1
	global_load_dwordx4 v[4:7], v[2:3], off offset:-8
	s_add_i32 s1, s1, -4
	s_cmp_lg_u32 s1, 0
	s_waitcnt vmcnt(0)
	v_pk_mul_f32 v[4:5], v[0:1], v[4:5]
	v_pk_mul_f32 v[6:7], v[0:1], v[6:7]
	global_store_dwordx4 v[2:3], v[4:7], off offset:-8
	v_lshl_add_u64 v[2:3], v[2:3], 0, 16
	s_cbranch_scc1 .LBB373_33
; %bb.34:
	s_cmp_lg_u32 s0, s12
	s_cselect_b64 s[2:3], -1, 0
	s_branch .LBB373_37
.LBB373_35:
	s_mov_b64 s[2:3], 0
                                        ; implicit-def: $sgpr0
	s_cbranch_execz .LBB373_37
; %bb.36:
	s_mov_b64 s[2:3], -1
	s_mov_b32 s0, 0
.LBB373_37:
	s_andn2_b64 vcc, exec, s[2:3]
	s_cbranch_vccnz .LBB373_40
; %bb.38:
	s_mov_b32 s1, 0
	v_lshl_add_u64 v[2:3], v[10:11], 0, s[0:1]
	s_sub_i32 s2, s12, s0
	v_lshl_add_u64 v[2:3], v[2:3], 2, s[20:21]
.LBB373_39:                             ; =>This Inner Loop Header: Depth=1
	global_load_dword v1, v[2:3], off
	s_add_i32 s2, s2, -1
	s_cmp_lg_u32 s2, 0
	s_waitcnt vmcnt(0)
	v_mul_f32_e32 v1, v0, v1
	global_store_dword v[2:3], v1, off
	v_lshl_add_u64 v[2:3], v[2:3], 0, 4
	s_cbranch_scc1 .LBB373_39
.LBB373_40:
	s_endpgm
	.section	.rodata,"a",@progbits
	.p2align	6, 0x0
	.amdhsa_kernel _ZN4vllm3moe22topkGatingSoftplusSqrtILi8ELi8ELi4ELi16ELi64ELb0Ei14__hip_bfloat16EEvPKT6_PKbPfiPT5_PiiiibdPKfPKS9_SF_
		.amdhsa_group_segment_fixed_size 0
		.amdhsa_private_segment_fixed_size 0
		.amdhsa_kernarg_size 96
		.amdhsa_user_sgpr_count 2
		.amdhsa_user_sgpr_dispatch_ptr 0
		.amdhsa_user_sgpr_queue_ptr 0
		.amdhsa_user_sgpr_kernarg_segment_ptr 1
		.amdhsa_user_sgpr_dispatch_id 0
		.amdhsa_user_sgpr_kernarg_preload_length 0
		.amdhsa_user_sgpr_kernarg_preload_offset 0
		.amdhsa_user_sgpr_private_segment_size 0
		.amdhsa_uses_dynamic_stack 0
		.amdhsa_enable_private_segment 0
		.amdhsa_system_sgpr_workgroup_id_x 1
		.amdhsa_system_sgpr_workgroup_id_y 0
		.amdhsa_system_sgpr_workgroup_id_z 0
		.amdhsa_system_sgpr_workgroup_info 0
		.amdhsa_system_vgpr_workitem_id 1
		.amdhsa_next_free_vgpr 20
		.amdhsa_next_free_sgpr 26
		.amdhsa_accum_offset 20
		.amdhsa_reserve_vcc 1
		.amdhsa_float_round_mode_32 0
		.amdhsa_float_round_mode_16_64 0
		.amdhsa_float_denorm_mode_32 3
		.amdhsa_float_denorm_mode_16_64 3
		.amdhsa_dx10_clamp 1
		.amdhsa_ieee_mode 1
		.amdhsa_fp16_overflow 0
		.amdhsa_tg_split 0
		.amdhsa_exception_fp_ieee_invalid_op 0
		.amdhsa_exception_fp_denorm_src 0
		.amdhsa_exception_fp_ieee_div_zero 0
		.amdhsa_exception_fp_ieee_overflow 0
		.amdhsa_exception_fp_ieee_underflow 0
		.amdhsa_exception_fp_ieee_inexact 0
		.amdhsa_exception_int_div_zero 0
	.end_amdhsa_kernel
	.section	.text._ZN4vllm3moe22topkGatingSoftplusSqrtILi8ELi8ELi4ELi16ELi64ELb0Ei14__hip_bfloat16EEvPKT6_PKbPfiPT5_PiiiibdPKfPKS9_SF_,"axG",@progbits,_ZN4vllm3moe22topkGatingSoftplusSqrtILi8ELi8ELi4ELi16ELi64ELb0Ei14__hip_bfloat16EEvPKT6_PKbPfiPT5_PiiiibdPKfPKS9_SF_,comdat
.Lfunc_end373:
	.size	_ZN4vllm3moe22topkGatingSoftplusSqrtILi8ELi8ELi4ELi16ELi64ELb0Ei14__hip_bfloat16EEvPKT6_PKbPfiPT5_PiiiibdPKfPKS9_SF_, .Lfunc_end373-_ZN4vllm3moe22topkGatingSoftplusSqrtILi8ELi8ELi4ELi16ELi64ELb0Ei14__hip_bfloat16EEvPKT6_PKbPfiPT5_PiiiibdPKfPKS9_SF_
                                        ; -- End function
	.section	.AMDGPU.csdata,"",@progbits
; Kernel info:
; codeLenInByte = 3276
; NumSgprs: 32
; NumVgprs: 20
; NumAgprs: 0
; TotalNumVgprs: 20
; ScratchSize: 0
; MemoryBound: 0
; FloatMode: 240
; IeeeMode: 1
; LDSByteSize: 0 bytes/workgroup (compile time only)
; SGPRBlocks: 3
; VGPRBlocks: 2
; NumSGPRsForWavesPerEU: 32
; NumVGPRsForWavesPerEU: 20
; AccumOffset: 20
; Occupancy: 8
; WaveLimiterHint : 0
; COMPUTE_PGM_RSRC2:SCRATCH_EN: 0
; COMPUTE_PGM_RSRC2:USER_SGPR: 2
; COMPUTE_PGM_RSRC2:TRAP_HANDLER: 0
; COMPUTE_PGM_RSRC2:TGID_X_EN: 1
; COMPUTE_PGM_RSRC2:TGID_Y_EN: 0
; COMPUTE_PGM_RSRC2:TGID_Z_EN: 0
; COMPUTE_PGM_RSRC2:TIDIG_COMP_CNT: 1
; COMPUTE_PGM_RSRC3_GFX90A:ACCUM_OFFSET: 4
; COMPUTE_PGM_RSRC3_GFX90A:TG_SPLIT: 0
	.section	.text._ZN4vllm3moe22topkGatingSoftplusSqrtILi8ELi8ELi4ELi16ELi32ELb1Ei14__hip_bfloat16EEvPKT6_PKbPfiPT5_PiiiibdPKfPKS9_SF_,"axG",@progbits,_ZN4vllm3moe22topkGatingSoftplusSqrtILi8ELi8ELi4ELi16ELi32ELb1Ei14__hip_bfloat16EEvPKT6_PKbPfiPT5_PiiiibdPKfPKS9_SF_,comdat
	.protected	_ZN4vllm3moe22topkGatingSoftplusSqrtILi8ELi8ELi4ELi16ELi32ELb1Ei14__hip_bfloat16EEvPKT6_PKbPfiPT5_PiiiibdPKfPKS9_SF_ ; -- Begin function _ZN4vllm3moe22topkGatingSoftplusSqrtILi8ELi8ELi4ELi16ELi32ELb1Ei14__hip_bfloat16EEvPKT6_PKbPfiPT5_PiiiibdPKfPKS9_SF_
	.globl	_ZN4vllm3moe22topkGatingSoftplusSqrtILi8ELi8ELi4ELi16ELi32ELb1Ei14__hip_bfloat16EEvPKT6_PKbPfiPT5_PiiiibdPKfPKS9_SF_
	.p2align	8
	.type	_ZN4vllm3moe22topkGatingSoftplusSqrtILi8ELi8ELi4ELi16ELi32ELb1Ei14__hip_bfloat16EEvPKT6_PKbPfiPT5_PiiiibdPKfPKS9_SF_,@function
_ZN4vllm3moe22topkGatingSoftplusSqrtILi8ELi8ELi4ELi16ELi32ELb1Ei14__hip_bfloat16EEvPKT6_PKbPfiPT5_PiiiibdPKfPKS9_SF_: ; @_ZN4vllm3moe22topkGatingSoftplusSqrtILi8ELi8ELi4ELi16ELi32ELb1Ei14__hip_bfloat16EEvPKT6_PKbPfiPT5_PiiiibdPKfPKS9_SF_
; %bb.0:
	s_load_dword s3, s[0:1], 0x18
	v_bfe_u32 v1, v0, 10, 10
	s_lshl_b32 s2, s2, 7
	v_lshlrev_b32_e32 v1, 5, v1
	v_and_b32_e32 v0, 0x3ff, v0
	v_add3_u32 v6, v1, v0, s2
	s_waitcnt lgkmcnt(0)
	v_cmp_gt_i32_e32 vcc, s3, v6
	s_and_saveexec_b64 s[2:3], vcc
	s_cbranch_execz .LBB374_56
; %bb.1:
	s_load_dwordx2 s[2:3], s[0:1], 0x0
	s_load_dword s16, s[0:1], 0x30
	v_lshlrev_b32_e32 v0, 3, v6
	v_ashrrev_i32_e32 v1, 31, v0
	s_load_dwordx4 s[8:11], s[0:1], 0x50
	s_waitcnt lgkmcnt(0)
	v_lshl_add_u64 v[0:1], v[0:1], 1, s[2:3]
	global_load_dwordx4 v[0:3], v[0:1], off
	v_ashrrev_i32_e32 v7, 31, v6
	s_mov_b32 s15, 0x800000
	v_mov_b32_e32 v4, s8
	v_mov_b32_e32 v5, s9
	v_lshl_add_u64 v[4:5], v[6:7], 2, v[4:5]
	global_load_dword v7, v[4:5], off
	v_mov_b32_e32 v17, 0x4f800000
	s_mov_b32 s13, 0x3f317217
	s_mov_b32 s14, 0x7f800000
	v_mov_b32_e32 v18, 0x41b17218
	s_mov_b32 s9, 0x41a00000
	s_mov_b32 s12, 0xf800000
	v_mov_b32_e32 v19, 0x260
	s_cmp_gt_i32 s16, 0
	s_mov_b32 s8, 0
	v_mov_b32_e32 v16, 0
	s_waitcnt vmcnt(1)
	v_and_b32_e32 v10, 0xffff0000, v0
	v_lshlrev_b32_e32 v11, 16, v0
	v_and_b32_e32 v12, 0xffff0000, v1
	v_lshlrev_b32_e32 v13, 16, v1
	v_mul_f32_e32 v0, 0x3fb8aa3b, v11
	v_mul_f32_e32 v1, 0x3fb8aa3b, v10
	v_exp_f32_e32 v4, v0
	v_exp_f32_e32 v5, v1
	v_mul_f32_e32 v8, 0x3fb8aa3b, v13
	v_mul_f32_e32 v9, 0x3fb8aa3b, v12
	v_exp_f32_e32 v8, v8
	v_exp_f32_e32 v9, v9
	v_pk_add_f32 v[4:5], v[4:5], 1.0 op_sel_hi:[1,0]
	s_waitcnt vmcnt(0)
	v_mul_lo_u32 v0, v7, s16
	v_cmp_gt_f32_e32 vcc, s15, v5
	v_pk_add_f32 v[8:9], v[8:9], 1.0 op_sel_hi:[1,0]
	v_cmp_gt_f32_e64 s[2:3], s15, v4
	v_cndmask_b32_e32 v7, 1.0, v17, vcc
	v_cmp_gt_f32_e64 s[4:5], s15, v9
	v_cndmask_b32_e64 v14, 1.0, v17, s[2:3]
	v_mul_f32_e32 v5, v5, v7
	v_cndmask_b32_e64 v15, 1.0, v17, s[4:5]
	v_mul_f32_e32 v4, v4, v14
	v_log_f32_e32 v5, v5
	v_mul_f32_e32 v9, v9, v15
	v_log_f32_e32 v4, v4
	v_cmp_gt_f32_e64 s[6:7], s15, v8
	v_log_f32_e32 v9, v9
	v_cndmask_b32_e32 v7, 0, v18, vcc
	v_cndmask_b32_e64 v20, 1.0, v17, s[6:7]
	v_mul_f32_e32 v8, v8, v20
	v_mul_f32_e32 v20, 0x3f317217, v5
	;; [unrolled: 1-line block ×3, first 2 shown]
	v_fma_f32 v20, v5, s13, -v20
	v_mul_f32_e32 v22, 0x3f317217, v9
	v_fma_f32 v21, v4, s13, -v21
	v_fmac_f32_e32 v20, 0x3377d1cf, v5
	v_fma_f32 v22, v9, s13, -v22
	v_fmac_f32_e32 v21, 0x3377d1cf, v4
	v_fmac_f32_e32 v20, 0x3f317217, v5
	v_cmp_lt_f32_e64 vcc, |v5|, s14
	v_fmac_f32_e32 v22, 0x3377d1cf, v9
	v_fmac_f32_e32 v21, 0x3f317217, v4
	v_cndmask_b32_e32 v5, v5, v20, vcc
	v_cmp_lt_f32_e64 vcc, |v4|, s14
	v_cndmask_b32_e64 v14, 0, v18, s[2:3]
	v_fmac_f32_e32 v22, 0x3f317217, v9
	v_cndmask_b32_e32 v4, v4, v21, vcc
	v_cmp_lt_f32_e64 vcc, |v9|, s14
	v_sub_f32_e32 v4, v4, v14
	v_sub_f32_e32 v5, v5, v7
	v_cndmask_b32_e32 v9, v9, v22, vcc
	v_cmp_lt_f32_e32 vcc, s9, v11
	v_cndmask_b32_e64 v15, 0, v18, s[4:5]
	v_sub_f32_e32 v9, v9, v15
	v_cndmask_b32_e32 v4, v4, v11, vcc
	v_cmp_lt_f32_e32 vcc, s9, v10
	v_cmp_gt_f32_e64 s[2:3], s12, v4
	v_log_f32_e32 v8, v8
	v_cndmask_b32_e32 v5, v5, v10, vcc
	v_mul_f32_e32 v7, 0x4f800000, v5
	v_cmp_gt_f32_e32 vcc, s12, v5
	v_mul_f32_e32 v10, 0x4f800000, v4
	v_cndmask_b32_e64 v4, v4, v10, s[2:3]
	v_cndmask_b32_e32 v5, v5, v7, vcc
	v_sqrt_f32_e32 v7, v5
	v_sqrt_f32_e32 v10, v4
	v_mul_f32_e32 v23, 0x3f317217, v8
	v_fma_f32 v23, v8, s13, -v23
	v_add_u32_e32 v11, -1, v7
	v_add_u32_e32 v15, -1, v10
	v_fma_f32 v21, -v11, v7, v5
	v_add_u32_e32 v14, 1, v7
	v_fma_f32 v24, -v15, v10, v4
	v_cmp_ge_f32_e64 s[4:5], 0, v21
	v_add_u32_e32 v20, 1, v10
	v_fma_f32 v22, -v14, v7, v5
	v_cndmask_b32_e64 v7, v7, v11, s[4:5]
	v_cmp_ge_f32_e64 s[4:5], 0, v24
	v_fma_f32 v25, -v20, v10, v4
	v_fmac_f32_e32 v23, 0x3377d1cf, v8
	v_cndmask_b32_e64 v10, v10, v15, s[4:5]
	v_cmp_lt_f32_e64 s[4:5], 0, v22
	v_fmac_f32_e32 v23, 0x3f317217, v8
	v_ashrrev_i32_e32 v1, 31, v0
	v_cndmask_b32_e64 v7, v7, v14, s[4:5]
	v_cmp_lt_f32_e64 s[4:5], 0, v25
	v_mul_f32_e32 v11, 0x37800000, v7
	v_cndmask_b32_e32 v7, v7, v11, vcc
	v_cndmask_b32_e64 v10, v10, v20, s[4:5]
	v_mul_f32_e32 v14, 0x37800000, v10
	v_cmp_class_f32_e32 vcc, v5, v19
	v_cndmask_b32_e64 v11, v10, v14, s[2:3]
	v_cmp_lt_f32_e64 s[2:3], s9, v13
	v_cndmask_b32_e32 v10, v7, v5, vcc
	v_cmp_class_f32_e32 vcc, v4, v19
	v_cndmask_b32_e64 v5, 0, v18, s[6:7]
	v_and_b32_e32 v14, 0xffff0000, v2
	v_cndmask_b32_e32 v11, v11, v4, vcc
	v_cmp_lt_f32_e64 vcc, |v8|, s14
	v_lshlrev_b32_e32 v2, 16, v2
	v_lshlrev_b32_e32 v20, 16, v3
	v_cndmask_b32_e32 v4, v8, v23, vcc
	v_cmp_lt_f32_e32 vcc, s9, v12
	v_sub_f32_e32 v4, v4, v5
	v_cndmask_b32_e64 v4, v4, v13, s[2:3]
	v_cndmask_b32_e32 v7, v9, v12, vcc
	v_mul_f32_e32 v8, 0x4f800000, v7
	v_cmp_gt_f32_e32 vcc, s12, v7
	s_nop 1
	v_cndmask_b32_e32 v7, v7, v8, vcc
	v_sqrt_f32_e32 v8, v7
	s_nop 0
	v_add_u32_e32 v5, -1, v8
	v_fma_f32 v9, -v5, v8, v7
	v_cmp_ge_f32_e64 s[2:3], 0, v9
	v_add_u32_e32 v9, 1, v8
	s_nop 0
	v_cndmask_b32_e64 v5, v8, v5, s[2:3]
	v_fma_f32 v8, -v9, v8, v7
	v_cmp_lt_f32_e64 s[2:3], 0, v8
	s_nop 1
	v_cndmask_b32_e64 v5, v5, v9, s[2:3]
	v_mul_f32_e32 v9, 0x4f800000, v4
	v_cmp_gt_f32_e64 s[2:3], s12, v4
	v_mul_f32_e32 v8, 0x37800000, v5
	v_cndmask_b32_e32 v5, v5, v8, vcc
	v_cndmask_b32_e64 v9, v4, v9, s[2:3]
	v_sqrt_f32_e32 v4, v9
	v_cmp_class_f32_e32 vcc, v7, v19
	v_add_u32_e32 v8, 1, v4
	s_nop 0
	v_cndmask_b32_e32 v12, v5, v7, vcc
	v_add_u32_e32 v5, -1, v4
	v_fma_f32 v7, -v5, v4, v9
	v_cmp_ge_f32_e32 vcc, 0, v7
	v_fma_f32 v13, -v8, v4, v9
	s_nop 0
	v_cndmask_b32_e32 v7, v4, v5, vcc
	v_mul_f32_e32 v4, 0x3fb8aa3b, v2
	v_mul_f32_e32 v5, 0x3fb8aa3b, v14
	v_exp_f32_e32 v4, v4
	v_exp_f32_e32 v5, v5
	v_cmp_lt_f32_e32 vcc, 0, v13
	v_pk_add_f32 v[4:5], v[4:5], 1.0 op_sel_hi:[1,0]
	s_nop 0
	v_cndmask_b32_e32 v7, v7, v8, vcc
	v_cmp_gt_f32_e32 vcc, s15, v5
	v_mul_f32_e32 v8, 0x37800000, v7
	v_cndmask_b32_e64 v7, v7, v8, s[2:3]
	v_cndmask_b32_e32 v13, 1.0, v17, vcc
	v_mul_f32_e32 v5, v5, v13
	v_log_f32_e32 v5, v5
	v_cmp_class_f32_e64 s[2:3], v9, v19
	v_cmp_lt_f32_e64 s[4:5], |v5|, s14
	s_nop 0
	v_cndmask_b32_e64 v13, v7, v9, s[2:3]
	v_cmp_gt_f32_e64 s[2:3], s15, v4
	v_mul_f32_e32 v7, 0x3f317217, v5
	v_fma_f32 v7, v5, s13, -v7
	v_cndmask_b32_e64 v8, 1.0, v17, s[2:3]
	v_mul_f32_e32 v4, v4, v8
	v_log_f32_e32 v4, v4
	v_fmac_f32_e32 v7, 0x3377d1cf, v5
	v_fmac_f32_e32 v7, 0x3f317217, v5
	v_cndmask_b32_e64 v5, v5, v7, s[4:5]
	v_cndmask_b32_e32 v7, 0, v18, vcc
	v_sub_f32_e32 v5, v5, v7
	v_mul_f32_e32 v7, 0x3f317217, v4
	v_fma_f32 v7, v4, s13, -v7
	v_fmac_f32_e32 v7, 0x3377d1cf, v4
	v_fmac_f32_e32 v7, 0x3f317217, v4
	v_cmp_lt_f32_e64 vcc, |v4|, s14
	v_and_b32_e32 v9, 0xffff0000, v3
	v_mul_f32_e32 v3, 0x3fb8aa3b, v9
	v_cndmask_b32_e32 v4, v4, v7, vcc
	v_cmp_lt_f32_e32 vcc, s9, v14
	v_cndmask_b32_e64 v7, 0, v18, s[2:3]
	v_sub_f32_e32 v4, v4, v7
	v_cndmask_b32_e32 v5, v5, v14, vcc
	v_mul_f32_e32 v8, 0x4f800000, v5
	v_cmp_gt_f32_e32 vcc, s12, v5
	v_cmp_lt_f32_e64 s[2:3], s9, v2
	v_exp_f32_e32 v3, v3
	v_cndmask_b32_e32 v5, v5, v8, vcc
	v_sqrt_f32_e32 v8, v5
	v_cndmask_b32_e64 v2, v4, v2, s[2:3]
	v_add_u32_e32 v4, -1, v8
	v_fma_f32 v7, -v4, v8, v5
	v_cmp_ge_f32_e64 s[2:3], 0, v7
	v_add_u32_e32 v7, 1, v8
	s_nop 0
	v_cndmask_b32_e64 v4, v8, v4, s[2:3]
	v_fma_f32 v8, -v7, v8, v5
	v_cmp_lt_f32_e64 s[2:3], 0, v8
	v_mul_f32_e32 v8, 0x4f800000, v2
	s_nop 0
	v_cndmask_b32_e64 v4, v4, v7, s[2:3]
	v_cmp_gt_f32_e64 s[2:3], s12, v2
	v_mul_f32_e32 v7, 0x37800000, v4
	v_cndmask_b32_e32 v4, v4, v7, vcc
	v_cndmask_b32_e64 v8, v2, v8, s[2:3]
	v_sqrt_f32_e32 v2, v8
	v_cmp_class_f32_e32 vcc, v5, v19
	s_nop 1
	v_cndmask_b32_e32 v14, v4, v5, vcc
	v_add_u32_e32 v4, -1, v2
	v_fma_f32 v5, -v4, v2, v8
	v_cmp_ge_f32_e32 vcc, 0, v5
	v_add_u32_e32 v5, 1, v2
	v_fma_f32 v7, -v5, v2, v8
	v_cndmask_b32_e32 v4, v2, v4, vcc
	v_mul_f32_e32 v2, 0x3fb8aa3b, v20
	v_exp_f32_e32 v2, v2
	v_cmp_lt_f32_e32 vcc, 0, v7
	v_pk_add_f32 v[2:3], v[2:3], 1.0 op_sel_hi:[1,0]
	s_nop 0
	v_cndmask_b32_e32 v4, v4, v5, vcc
	v_cmp_gt_f32_e32 vcc, s15, v3
	v_mul_f32_e32 v5, 0x37800000, v4
	v_cndmask_b32_e64 v4, v4, v5, s[2:3]
	v_cndmask_b32_e32 v7, 1.0, v17, vcc
	v_mul_f32_e32 v3, v3, v7
	v_log_f32_e32 v3, v3
	v_cmp_class_f32_e64 s[2:3], v8, v19
	v_cmp_lt_f32_e64 s[4:5], |v3|, s14
	s_nop 0
	v_cndmask_b32_e64 v15, v4, v8, s[2:3]
	v_cmp_gt_f32_e64 s[2:3], s15, v2
	v_mul_f32_e32 v4, 0x3f317217, v3
	v_fma_f32 v4, v3, s13, -v4
	v_cndmask_b32_e64 v5, 1.0, v17, s[2:3]
	v_mul_f32_e32 v2, v2, v5
	v_log_f32_e32 v2, v2
	v_fmac_f32_e32 v4, 0x3377d1cf, v3
	v_fmac_f32_e32 v4, 0x3f317217, v3
	v_cndmask_b32_e64 v3, v3, v4, s[4:5]
	v_cndmask_b32_e32 v4, 0, v18, vcc
	v_sub_f32_e32 v3, v3, v4
	v_mul_f32_e32 v4, 0x3f317217, v2
	v_fma_f32 v4, v2, s13, -v4
	v_fmac_f32_e32 v4, 0x3377d1cf, v2
	v_fmac_f32_e32 v4, 0x3f317217, v2
	v_cmp_lt_f32_e64 vcc, |v2|, s14
	s_nop 1
	v_cndmask_b32_e32 v2, v2, v4, vcc
	v_cmp_lt_f32_e32 vcc, s9, v9
	v_cndmask_b32_e64 v4, 0, v18, s[2:3]
	v_sub_f32_e32 v2, v2, v4
	v_cndmask_b32_e32 v3, v3, v9, vcc
	v_mul_f32_e32 v5, 0x4f800000, v3
	v_cmp_gt_f32_e32 vcc, s12, v3
	v_cmp_lt_f32_e64 s[2:3], s9, v20
	s_nop 0
	v_cndmask_b32_e32 v3, v3, v5, vcc
	v_sqrt_f32_e32 v5, v3
	v_cndmask_b32_e64 v2, v2, v20, s[2:3]
	v_add_u32_e32 v4, -1, v5
	v_fma_f32 v7, -v4, v5, v3
	v_cmp_ge_f32_e64 s[2:3], 0, v7
	v_add_u32_e32 v7, 1, v5
	s_nop 0
	v_cndmask_b32_e64 v4, v5, v4, s[2:3]
	v_fma_f32 v5, -v7, v5, v3
	v_cmp_lt_f32_e64 s[2:3], 0, v5
	s_nop 1
	v_cndmask_b32_e64 v4, v4, v7, s[2:3]
	v_mul_f32_e32 v7, 0x4f800000, v2
	v_cmp_gt_f32_e64 s[2:3], s12, v2
	v_mul_f32_e32 v5, 0x37800000, v4
	v_cndmask_b32_e32 v4, v4, v5, vcc
	v_cndmask_b32_e64 v2, v2, v7, s[2:3]
	v_sqrt_f32_e32 v7, v2
	v_cmp_class_f32_e32 vcc, v3, v19
	s_nop 1
	v_cndmask_b32_e32 v17, v4, v3, vcc
	v_add_u32_e32 v3, -1, v7
	v_fma_f32 v4, -v3, v7, v2
	v_cmp_ge_f32_e32 vcc, 0, v4
	v_add_u32_e32 v4, 1, v7
	v_fma_f32 v5, -v4, v7, v2
	v_cndmask_b32_e32 v3, v7, v3, vcc
	v_cmp_lt_f32_e32 vcc, 0, v5
	s_nop 1
	v_cndmask_b32_e32 v3, v3, v4, vcc
	v_mul_f32_e32 v4, 0x37800000, v3
	v_cndmask_b32_e64 v3, v3, v4, s[2:3]
	v_cmp_class_f32_e32 vcc, v2, v19
	v_lshl_add_u64 v[4:5], v[0:1], 2, s[10:11]
	s_cselect_b64 s[2:3], -1, 0
	v_cndmask_b32_e32 v18, v3, v2, vcc
	s_cmp_lt_i32 s16, 1
	v_mul_lo_u32 v2, v6, s16
	s_cbranch_scc1 .LBB374_29
; %bb.2:
	s_load_dwordx2 s[4:5], s[0:1], 0x20
	s_cmp_lt_u32 s16, 4
	s_cbranch_scc1 .LBB374_21
; %bb.3:
	s_mov_b32 s7, 0
	s_and_b32 s8, s16, 0x7ffffffc
	v_ashrrev_i32_e32 v3, 31, v2
	v_mov_b32_e32 v16, 0
	s_mov_b32 s6, s7
	s_branch .LBB374_5
.LBB374_4:                              ;   in Loop: Header=BB374_5 Depth=1
	s_or_b64 exec, exec, s[12:13]
	s_add_i32 s6, s6, 4
	s_cmp_eq_u32 s6, s8
	s_cbranch_scc1 .LBB374_22
.LBB374_5:                              ; =>This Loop Header: Depth=1
                                        ;     Child Loop BB374_7 Depth 2
                                        ;     Child Loop BB374_11 Depth 2
	;; [unrolled: 1-line block ×4, first 2 shown]
	v_lshl_add_u64 v[6:7], s[6:7], 2, v[4:5]
	global_load_dword v19, v[6:7], off
	v_add_u32_e32 v8, s6, v2
	v_ashrrev_i32_e32 v9, 31, v8
	s_mov_b64 s[12:13], 0
	s_waitcnt lgkmcnt(0)
	v_lshl_add_u64 v[8:9], v[8:9], 2, s[4:5]
	s_mov_b32 s9, 0
	s_waitcnt vmcnt(0)
	v_cmp_eq_u32_e32 vcc, 1, v19
	s_nop 1
	v_cndmask_b32_e32 v21, v11, v10, vcc
	v_cmp_eq_u32_e32 vcc, 2, v19
	v_min_u32_e32 v20, 7, v19
	v_add_u32_e32 v20, 1, v20
	v_cndmask_b32_e32 v21, v21, v13, vcc
	v_cmp_eq_u32_e32 vcc, 3, v19
	s_nop 1
	v_cndmask_b32_e32 v21, v21, v12, vcc
	v_cmp_eq_u32_e32 vcc, 4, v19
	s_nop 1
	;; [unrolled: 3-line block ×5, first 2 shown]
	v_cndmask_b32_e32 v21, v21, v17, vcc
	s_branch .LBB374_7
.LBB374_6:                              ;   in Loop: Header=BB374_7 Depth=2
	s_or_b64 exec, exec, s[14:15]
	s_add_i32 s9, s9, 1
	v_cmp_eq_u32_e32 vcc, s9, v20
	s_or_b64 s[12:13], vcc, s[12:13]
	s_andn2_b64 exec, exec, s[12:13]
	s_cbranch_execz .LBB374_9
.LBB374_7:                              ;   Parent Loop BB374_5 Depth=1
                                        ; =>  This Inner Loop Header: Depth=2
	v_cmp_eq_u32_e32 vcc, s9, v19
	s_and_saveexec_b64 s[14:15], vcc
	s_cbranch_execz .LBB374_6
; %bb.8:                                ;   in Loop: Header=BB374_7 Depth=2
	v_add_f32_e32 v16, v16, v21
	global_store_dword v[8:9], v19, off
	s_branch .LBB374_6
.LBB374_9:                              ;   in Loop: Header=BB374_5 Depth=1
	s_or_b64 exec, exec, s[12:13]
	global_load_dword v19, v[6:7], off offset:4
	s_ashr_i32 s13, s6, 31
	s_mov_b32 s12, s6
	v_lshl_add_u64 v[8:9], s[12:13], 0, v[2:3]
	s_mov_b32 s9, 0
	v_lshl_add_u64 v[8:9], v[8:9], 2, s[4:5]
	s_mov_b64 s[12:13], 0
	s_waitcnt vmcnt(0)
	v_cmp_eq_u32_e32 vcc, 1, v19
	s_nop 1
	v_cndmask_b32_e32 v21, v11, v10, vcc
	v_cmp_eq_u32_e32 vcc, 2, v19
	v_min_u32_e32 v20, 7, v19
	v_add_u32_e32 v20, 1, v20
	v_cndmask_b32_e32 v21, v21, v13, vcc
	v_cmp_eq_u32_e32 vcc, 3, v19
	s_nop 1
	v_cndmask_b32_e32 v21, v21, v12, vcc
	v_cmp_eq_u32_e32 vcc, 4, v19
	s_nop 1
	;; [unrolled: 3-line block ×5, first 2 shown]
	v_cndmask_b32_e32 v21, v21, v17, vcc
	s_branch .LBB374_11
.LBB374_10:                             ;   in Loop: Header=BB374_11 Depth=2
	s_or_b64 exec, exec, s[14:15]
	s_add_i32 s9, s9, 1
	v_cmp_eq_u32_e32 vcc, s9, v20
	s_or_b64 s[12:13], vcc, s[12:13]
	s_andn2_b64 exec, exec, s[12:13]
	s_cbranch_execz .LBB374_13
.LBB374_11:                             ;   Parent Loop BB374_5 Depth=1
                                        ; =>  This Inner Loop Header: Depth=2
	v_cmp_eq_u32_e32 vcc, s9, v19
	s_and_saveexec_b64 s[14:15], vcc
	s_cbranch_execz .LBB374_10
; %bb.12:                               ;   in Loop: Header=BB374_11 Depth=2
	v_add_f32_e32 v16, v16, v21
	global_store_dword v[8:9], v19, off offset:4
	s_branch .LBB374_10
.LBB374_13:                             ;   in Loop: Header=BB374_5 Depth=1
	s_or_b64 exec, exec, s[12:13]
	global_load_dword v19, v[6:7], off offset:8
	s_mov_b32 s9, 0
	s_mov_b64 s[12:13], 0
	s_waitcnt vmcnt(0)
	v_cmp_eq_u32_e32 vcc, 1, v19
	s_nop 1
	v_cndmask_b32_e32 v21, v11, v10, vcc
	v_cmp_eq_u32_e32 vcc, 2, v19
	v_min_u32_e32 v20, 7, v19
	v_add_u32_e32 v20, 1, v20
	v_cndmask_b32_e32 v21, v21, v13, vcc
	v_cmp_eq_u32_e32 vcc, 3, v19
	s_nop 1
	v_cndmask_b32_e32 v21, v21, v12, vcc
	v_cmp_eq_u32_e32 vcc, 4, v19
	s_nop 1
	;; [unrolled: 3-line block ×5, first 2 shown]
	v_cndmask_b32_e32 v21, v21, v17, vcc
	s_branch .LBB374_15
.LBB374_14:                             ;   in Loop: Header=BB374_15 Depth=2
	s_or_b64 exec, exec, s[14:15]
	s_add_i32 s9, s9, 1
	v_cmp_eq_u32_e32 vcc, s9, v20
	s_or_b64 s[12:13], vcc, s[12:13]
	s_andn2_b64 exec, exec, s[12:13]
	s_cbranch_execz .LBB374_17
.LBB374_15:                             ;   Parent Loop BB374_5 Depth=1
                                        ; =>  This Inner Loop Header: Depth=2
	v_cmp_eq_u32_e32 vcc, s9, v19
	s_and_saveexec_b64 s[14:15], vcc
	s_cbranch_execz .LBB374_14
; %bb.16:                               ;   in Loop: Header=BB374_15 Depth=2
	v_add_f32_e32 v16, v16, v21
	global_store_dword v[8:9], v19, off offset:8
	s_branch .LBB374_14
.LBB374_17:                             ;   in Loop: Header=BB374_5 Depth=1
	s_or_b64 exec, exec, s[12:13]
	global_load_dword v6, v[6:7], off offset:12
	s_mov_b32 s9, 0
	s_mov_b64 s[12:13], 0
	s_waitcnt vmcnt(0)
	v_cmp_eq_u32_e32 vcc, 1, v6
	s_nop 1
	v_cndmask_b32_e32 v19, v11, v10, vcc
	v_cmp_eq_u32_e32 vcc, 2, v6
	v_min_u32_e32 v7, 7, v6
	v_add_u32_e32 v7, 1, v7
	v_cndmask_b32_e32 v19, v19, v13, vcc
	v_cmp_eq_u32_e32 vcc, 3, v6
	s_nop 1
	v_cndmask_b32_e32 v19, v19, v12, vcc
	v_cmp_eq_u32_e32 vcc, 4, v6
	s_nop 1
	;; [unrolled: 3-line block ×5, first 2 shown]
	v_cndmask_b32_e32 v19, v19, v17, vcc
	s_branch .LBB374_19
.LBB374_18:                             ;   in Loop: Header=BB374_19 Depth=2
	s_or_b64 exec, exec, s[14:15]
	s_add_i32 s9, s9, 1
	v_cmp_eq_u32_e32 vcc, s9, v7
	s_or_b64 s[12:13], vcc, s[12:13]
	s_andn2_b64 exec, exec, s[12:13]
	s_cbranch_execz .LBB374_4
.LBB374_19:                             ;   Parent Loop BB374_5 Depth=1
                                        ; =>  This Inner Loop Header: Depth=2
	v_cmp_eq_u32_e32 vcc, s9, v6
	s_and_saveexec_b64 s[14:15], vcc
	s_cbranch_execz .LBB374_18
; %bb.20:                               ;   in Loop: Header=BB374_19 Depth=2
	v_add_f32_e32 v16, v16, v19
	global_store_dword v[8:9], v6, off offset:12
	s_branch .LBB374_18
.LBB374_21:
	v_mov_b32_e32 v16, 0
.LBB374_22:
	s_and_b32 s14, s16, 3
	s_cmp_eq_u32 s14, 0
	s_mov_b32 s9, 0
	s_cbranch_scc1 .LBB374_29
; %bb.23:
	s_mov_b32 s15, s9
	s_branch .LBB374_25
.LBB374_24:                             ;   in Loop: Header=BB374_25 Depth=1
	s_or_b64 exec, exec, s[6:7]
	s_add_i32 s8, s8, 1
	s_add_i32 s15, s15, 1
	s_cmp_lg_u32 s15, s14
	s_cbranch_scc0 .LBB374_29
.LBB374_25:                             ; =>This Loop Header: Depth=1
                                        ;     Child Loop BB374_27 Depth 2
	v_lshl_add_u64 v[6:7], s[8:9], 2, v[4:5]
	global_load_dword v3, v[6:7], off
	v_add_u32_e32 v6, s8, v2
	v_ashrrev_i32_e32 v7, 31, v6
	s_mov_b32 s17, 0
	s_waitcnt lgkmcnt(0)
	v_lshl_add_u64 v[6:7], v[6:7], 2, s[4:5]
	s_mov_b64 s[6:7], 0
	s_waitcnt vmcnt(0)
	v_cmp_eq_u32_e32 vcc, 1, v3
	s_nop 1
	v_cndmask_b32_e32 v9, v11, v10, vcc
	v_cmp_eq_u32_e32 vcc, 2, v3
	v_min_u32_e32 v8, 7, v3
	v_add_u32_e32 v8, 1, v8
	v_cndmask_b32_e32 v9, v9, v13, vcc
	v_cmp_eq_u32_e32 vcc, 3, v3
	s_nop 1
	v_cndmask_b32_e32 v9, v9, v12, vcc
	v_cmp_eq_u32_e32 vcc, 4, v3
	s_nop 1
	;; [unrolled: 3-line block ×5, first 2 shown]
	v_cndmask_b32_e32 v9, v9, v17, vcc
	s_branch .LBB374_27
.LBB374_26:                             ;   in Loop: Header=BB374_27 Depth=2
	s_or_b64 exec, exec, s[12:13]
	s_add_i32 s17, s17, 1
	v_cmp_eq_u32_e32 vcc, s17, v8
	s_or_b64 s[6:7], vcc, s[6:7]
	s_andn2_b64 exec, exec, s[6:7]
	s_cbranch_execz .LBB374_24
.LBB374_27:                             ;   Parent Loop BB374_25 Depth=1
                                        ; =>  This Inner Loop Header: Depth=2
	v_cmp_eq_u32_e32 vcc, s17, v3
	s_and_saveexec_b64 s[12:13], vcc
	s_cbranch_execz .LBB374_26
; %bb.28:                               ;   in Loop: Header=BB374_27 Depth=2
	v_add_f32_e32 v16, v16, v9
	global_store_dword v[6:7], v3, off
	s_branch .LBB374_26
.LBB374_29:
	s_load_dword s6, s[0:1], 0x3c
	s_waitcnt lgkmcnt(0)
	s_load_dwordx2 s[4:5], s[0:1], 0x40
	s_bitcmp1_b32 s6, 0
	s_cselect_b64 s[6:7], -1, 0
	s_waitcnt lgkmcnt(0)
	v_cvt_f32_f64_e32 v19, s[4:5]
	s_and_b64 vcc, exec, s[6:7]
	s_cbranch_vccz .LBB374_31
; %bb.30:
	v_cmp_lt_f32_e32 vcc, 0, v16
	s_nop 1
	v_cndmask_b32_e32 v3, 1.0, v16, vcc
	v_div_scale_f32 v6, s[4:5], v3, v3, v19
	v_rcp_f32_e32 v7, v6
	s_nop 0
	v_fma_f32 v8, -v6, v7, 1.0
	v_fmac_f32_e32 v7, v8, v7
	v_div_scale_f32 v8, vcc, v19, v3, v19
	v_mul_f32_e32 v9, v8, v7
	v_fma_f32 v16, -v6, v9, v8
	v_fmac_f32_e32 v9, v16, v7
	v_fma_f32 v6, -v6, v9, v8
	v_div_fmas_f32 v6, v6, v7, v9
	v_div_fixup_f32 v19, v6, v3, v19
.LBB374_31:
	s_andn2_b64 vcc, exec, s[2:3]
	s_cbranch_vccnz .LBB374_56
; %bb.32:
	s_load_dwordx2 s[0:1], s[0:1], 0x10
	s_cmp_lt_u32 s16, 8
	s_mov_b32 s2, 0
	s_cbranch_scc1 .LBB374_51
; %bb.33:
	v_ashrrev_i32_e32 v3, 31, v2
	s_and_b32 s2, s16, 0x7ffffff8
	s_waitcnt lgkmcnt(0)
	v_lshl_add_u64 v[6:7], v[2:3], 2, s[0:1]
	s_mov_b32 s3, 0
	s_mov_b64 s[4:5], 0
	s_branch .LBB374_35
.LBB374_34:                             ;   in Loop: Header=BB374_35 Depth=1
	s_or_b64 exec, exec, s[6:7]
	s_add_i32 s3, s3, 8
	s_add_u32 s4, s4, 32
	s_addc_u32 s5, s5, 0
	s_cmp_eq_u32 s2, s3
	s_cbranch_scc1 .LBB374_51
.LBB374_35:                             ; =>This Inner Loop Header: Depth=1
	v_lshl_add_u64 v[8:9], v[4:5], 0, s[4:5]
	global_load_dword v3, v[8:9], off
	s_waitcnt vmcnt(0)
	v_cmp_gt_u32_e32 vcc, 8, v3
	s_and_saveexec_b64 s[6:7], vcc
	s_cbranch_execz .LBB374_37
; %bb.36:                               ;   in Loop: Header=BB374_35 Depth=1
	v_cmp_eq_u32_e32 vcc, 1, v3
	v_add_u32_e32 v20, s3, v2
	v_ashrrev_i32_e32 v21, 31, v20
	v_cndmask_b32_e32 v16, v11, v10, vcc
	v_cmp_eq_u32_e32 vcc, 2, v3
	v_lshl_add_u64 v[20:21], v[20:21], 2, s[0:1]
	s_nop 0
	v_cndmask_b32_e32 v16, v16, v13, vcc
	v_cmp_eq_u32_e32 vcc, 3, v3
	s_nop 1
	v_cndmask_b32_e32 v16, v16, v12, vcc
	v_cmp_eq_u32_e32 vcc, 4, v3
	;; [unrolled: 3-line block ×5, first 2 shown]
	s_nop 1
	v_cndmask_b32_e32 v3, v16, v17, vcc
	v_mul_f32_e32 v3, v19, v3
	global_store_dword v[20:21], v3, off
.LBB374_37:                             ;   in Loop: Header=BB374_35 Depth=1
	s_or_b64 exec, exec, s[6:7]
	global_load_dword v3, v[8:9], off offset:4
	s_waitcnt vmcnt(0)
	v_cmp_gt_u32_e32 vcc, 8, v3
	s_and_saveexec_b64 s[6:7], vcc
	s_cbranch_execz .LBB374_39
; %bb.38:                               ;   in Loop: Header=BB374_35 Depth=1
	v_cmp_eq_u32_e32 vcc, 1, v3
	v_lshl_add_u64 v[20:21], v[6:7], 0, s[4:5]
	s_nop 0
	v_cndmask_b32_e32 v16, v11, v10, vcc
	v_cmp_eq_u32_e32 vcc, 2, v3
	s_nop 1
	v_cndmask_b32_e32 v16, v16, v13, vcc
	v_cmp_eq_u32_e32 vcc, 3, v3
	s_nop 1
	v_cndmask_b32_e32 v16, v16, v12, vcc
	v_cmp_eq_u32_e32 vcc, 4, v3
	s_nop 1
	v_cndmask_b32_e32 v16, v16, v15, vcc
	v_cmp_eq_u32_e32 vcc, 5, v3
	s_nop 1
	v_cndmask_b32_e32 v16, v16, v14, vcc
	v_cmp_eq_u32_e32 vcc, 6, v3
	s_nop 1
	v_cndmask_b32_e32 v16, v16, v18, vcc
	v_cmp_eq_u32_e32 vcc, 7, v3
	s_nop 1
	v_cndmask_b32_e32 v3, v16, v17, vcc
	v_mul_f32_e32 v3, v19, v3
	global_store_dword v[20:21], v3, off offset:4
.LBB374_39:                             ;   in Loop: Header=BB374_35 Depth=1
	s_or_b64 exec, exec, s[6:7]
	global_load_dword v3, v[8:9], off offset:8
	s_waitcnt vmcnt(0)
	v_cmp_gt_u32_e32 vcc, 8, v3
	s_and_saveexec_b64 s[6:7], vcc
	s_cbranch_execz .LBB374_41
; %bb.40:                               ;   in Loop: Header=BB374_35 Depth=1
	v_cmp_eq_u32_e32 vcc, 1, v3
	v_lshl_add_u64 v[20:21], v[6:7], 0, s[4:5]
	s_nop 0
	v_cndmask_b32_e32 v16, v11, v10, vcc
	v_cmp_eq_u32_e32 vcc, 2, v3
	s_nop 1
	v_cndmask_b32_e32 v16, v16, v13, vcc
	v_cmp_eq_u32_e32 vcc, 3, v3
	s_nop 1
	v_cndmask_b32_e32 v16, v16, v12, vcc
	v_cmp_eq_u32_e32 vcc, 4, v3
	s_nop 1
	v_cndmask_b32_e32 v16, v16, v15, vcc
	v_cmp_eq_u32_e32 vcc, 5, v3
	s_nop 1
	v_cndmask_b32_e32 v16, v16, v14, vcc
	v_cmp_eq_u32_e32 vcc, 6, v3
	s_nop 1
	v_cndmask_b32_e32 v16, v16, v18, vcc
	v_cmp_eq_u32_e32 vcc, 7, v3
	s_nop 1
	v_cndmask_b32_e32 v3, v16, v17, vcc
	v_mul_f32_e32 v3, v19, v3
	global_store_dword v[20:21], v3, off offset:8
.LBB374_41:                             ;   in Loop: Header=BB374_35 Depth=1
	;; [unrolled: 32-line block ×6, first 2 shown]
	s_or_b64 exec, exec, s[6:7]
	global_load_dword v3, v[8:9], off offset:28
	s_waitcnt vmcnt(0)
	v_cmp_gt_u32_e32 vcc, 8, v3
	s_and_saveexec_b64 s[6:7], vcc
	s_cbranch_execz .LBB374_34
; %bb.50:                               ;   in Loop: Header=BB374_35 Depth=1
	v_cmp_eq_u32_e32 vcc, 1, v3
	s_nop 1
	v_cndmask_b32_e32 v8, v11, v10, vcc
	v_cmp_eq_u32_e32 vcc, 2, v3
	s_nop 1
	v_cndmask_b32_e32 v8, v8, v13, vcc
	;; [unrolled: 3-line block ×7, first 2 shown]
	v_mul_f32_e32 v3, v19, v3
	v_lshl_add_u64 v[8:9], v[6:7], 0, s[4:5]
	global_store_dword v[8:9], v3, off offset:28
	s_branch .LBB374_34
.LBB374_51:
	s_and_b32 s4, s16, 7
	s_cmp_eq_u32 s4, 0
	s_mov_b32 s3, 0
	s_cbranch_scc1 .LBB374_56
; %bb.52:
	v_add_u32_e32 v2, s2, v2
	s_lshl_b64 s[2:3], s[2:3], 2
	s_add_u32 s2, s10, s2
	s_addc_u32 s3, s11, s3
	v_lshl_add_u64 v[0:1], v[0:1], 2, s[2:3]
	s_branch .LBB374_54
.LBB374_53:                             ;   in Loop: Header=BB374_54 Depth=1
	s_or_b64 exec, exec, s[2:3]
	s_add_i32 s4, s4, -1
	v_add_u32_e32 v2, 1, v2
	s_cmp_eq_u32 s4, 0
	v_lshl_add_u64 v[0:1], v[0:1], 0, 4
	s_cbranch_scc1 .LBB374_56
.LBB374_54:                             ; =>This Inner Loop Header: Depth=1
	global_load_dword v3, v[0:1], off
	s_waitcnt vmcnt(0)
	v_cmp_gt_u32_e32 vcc, 8, v3
	s_and_saveexec_b64 s[2:3], vcc
	s_cbranch_execz .LBB374_53
; %bb.55:                               ;   in Loop: Header=BB374_54 Depth=1
	v_cmp_eq_u32_e32 vcc, 1, v3
	s_nop 1
	v_cndmask_b32_e32 v4, v11, v10, vcc
	v_cmp_eq_u32_e32 vcc, 2, v3
	s_nop 1
	v_cndmask_b32_e32 v4, v4, v13, vcc
	;; [unrolled: 3-line block ×7, first 2 shown]
	v_mul_f32_e32 v6, v19, v3
	v_ashrrev_i32_e32 v3, 31, v2
	s_waitcnt lgkmcnt(0)
	v_lshl_add_u64 v[4:5], v[2:3], 2, s[0:1]
	global_store_dword v[4:5], v6, off
	s_branch .LBB374_53
.LBB374_56:
	s_endpgm
	.section	.rodata,"a",@progbits
	.p2align	6, 0x0
	.amdhsa_kernel _ZN4vllm3moe22topkGatingSoftplusSqrtILi8ELi8ELi4ELi16ELi32ELb1Ei14__hip_bfloat16EEvPKT6_PKbPfiPT5_PiiiibdPKfPKS9_SF_
		.amdhsa_group_segment_fixed_size 0
		.amdhsa_private_segment_fixed_size 0
		.amdhsa_kernarg_size 96
		.amdhsa_user_sgpr_count 2
		.amdhsa_user_sgpr_dispatch_ptr 0
		.amdhsa_user_sgpr_queue_ptr 0
		.amdhsa_user_sgpr_kernarg_segment_ptr 1
		.amdhsa_user_sgpr_dispatch_id 0
		.amdhsa_user_sgpr_kernarg_preload_length 0
		.amdhsa_user_sgpr_kernarg_preload_offset 0
		.amdhsa_user_sgpr_private_segment_size 0
		.amdhsa_uses_dynamic_stack 0
		.amdhsa_enable_private_segment 0
		.amdhsa_system_sgpr_workgroup_id_x 1
		.amdhsa_system_sgpr_workgroup_id_y 0
		.amdhsa_system_sgpr_workgroup_id_z 0
		.amdhsa_system_sgpr_workgroup_info 0
		.amdhsa_system_vgpr_workitem_id 1
		.amdhsa_next_free_vgpr 26
		.amdhsa_next_free_sgpr 18
		.amdhsa_accum_offset 28
		.amdhsa_reserve_vcc 1
		.amdhsa_float_round_mode_32 0
		.amdhsa_float_round_mode_16_64 0
		.amdhsa_float_denorm_mode_32 3
		.amdhsa_float_denorm_mode_16_64 3
		.amdhsa_dx10_clamp 1
		.amdhsa_ieee_mode 1
		.amdhsa_fp16_overflow 0
		.amdhsa_tg_split 0
		.amdhsa_exception_fp_ieee_invalid_op 0
		.amdhsa_exception_fp_denorm_src 0
		.amdhsa_exception_fp_ieee_div_zero 0
		.amdhsa_exception_fp_ieee_overflow 0
		.amdhsa_exception_fp_ieee_underflow 0
		.amdhsa_exception_fp_ieee_inexact 0
		.amdhsa_exception_int_div_zero 0
	.end_amdhsa_kernel
	.section	.text._ZN4vllm3moe22topkGatingSoftplusSqrtILi8ELi8ELi4ELi16ELi32ELb1Ei14__hip_bfloat16EEvPKT6_PKbPfiPT5_PiiiibdPKfPKS9_SF_,"axG",@progbits,_ZN4vllm3moe22topkGatingSoftplusSqrtILi8ELi8ELi4ELi16ELi32ELb1Ei14__hip_bfloat16EEvPKT6_PKbPfiPT5_PiiiibdPKfPKS9_SF_,comdat
.Lfunc_end374:
	.size	_ZN4vllm3moe22topkGatingSoftplusSqrtILi8ELi8ELi4ELi16ELi32ELb1Ei14__hip_bfloat16EEvPKT6_PKbPfiPT5_PiiiibdPKfPKS9_SF_, .Lfunc_end374-_ZN4vllm3moe22topkGatingSoftplusSqrtILi8ELi8ELi4ELi16ELi32ELb1Ei14__hip_bfloat16EEvPKT6_PKbPfiPT5_PiiiibdPKfPKS9_SF_
                                        ; -- End function
	.section	.AMDGPU.csdata,"",@progbits
; Kernel info:
; codeLenInByte = 4520
; NumSgprs: 24
; NumVgprs: 26
; NumAgprs: 0
; TotalNumVgprs: 26
; ScratchSize: 0
; MemoryBound: 0
; FloatMode: 240
; IeeeMode: 1
; LDSByteSize: 0 bytes/workgroup (compile time only)
; SGPRBlocks: 2
; VGPRBlocks: 3
; NumSGPRsForWavesPerEU: 24
; NumVGPRsForWavesPerEU: 26
; AccumOffset: 28
; Occupancy: 8
; WaveLimiterHint : 1
; COMPUTE_PGM_RSRC2:SCRATCH_EN: 0
; COMPUTE_PGM_RSRC2:USER_SGPR: 2
; COMPUTE_PGM_RSRC2:TRAP_HANDLER: 0
; COMPUTE_PGM_RSRC2:TGID_X_EN: 1
; COMPUTE_PGM_RSRC2:TGID_Y_EN: 0
; COMPUTE_PGM_RSRC2:TGID_Z_EN: 0
; COMPUTE_PGM_RSRC2:TIDIG_COMP_CNT: 1
; COMPUTE_PGM_RSRC3_GFX90A:ACCUM_OFFSET: 6
; COMPUTE_PGM_RSRC3_GFX90A:TG_SPLIT: 0
	.section	.text._ZN4vllm3moe22topkGatingSoftplusSqrtILi8ELi8ELi4ELi16ELi32ELb0Ei14__hip_bfloat16EEvPKT6_PKbPfiPT5_PiiiibdPKfPKS9_SF_,"axG",@progbits,_ZN4vllm3moe22topkGatingSoftplusSqrtILi8ELi8ELi4ELi16ELi32ELb0Ei14__hip_bfloat16EEvPKT6_PKbPfiPT5_PiiiibdPKfPKS9_SF_,comdat
	.protected	_ZN4vllm3moe22topkGatingSoftplusSqrtILi8ELi8ELi4ELi16ELi32ELb0Ei14__hip_bfloat16EEvPKT6_PKbPfiPT5_PiiiibdPKfPKS9_SF_ ; -- Begin function _ZN4vllm3moe22topkGatingSoftplusSqrtILi8ELi8ELi4ELi16ELi32ELb0Ei14__hip_bfloat16EEvPKT6_PKbPfiPT5_PiiiibdPKfPKS9_SF_
	.globl	_ZN4vllm3moe22topkGatingSoftplusSqrtILi8ELi8ELi4ELi16ELi32ELb0Ei14__hip_bfloat16EEvPKT6_PKbPfiPT5_PiiiibdPKfPKS9_SF_
	.p2align	8
	.type	_ZN4vllm3moe22topkGatingSoftplusSqrtILi8ELi8ELi4ELi16ELi32ELb0Ei14__hip_bfloat16EEvPKT6_PKbPfiPT5_PiiiibdPKfPKS9_SF_,@function
_ZN4vllm3moe22topkGatingSoftplusSqrtILi8ELi8ELi4ELi16ELi32ELb0Ei14__hip_bfloat16EEvPKT6_PKbPfiPT5_PiiiibdPKfPKS9_SF_: ; @_ZN4vllm3moe22topkGatingSoftplusSqrtILi8ELi8ELi4ELi16ELi32ELb0Ei14__hip_bfloat16EEvPKT6_PKbPfiPT5_PiiiibdPKfPKS9_SF_
; %bb.0:
	s_load_dword s24, s[0:1], 0x18
	v_bfe_u32 v1, v0, 10, 10
	s_lshl_b32 s2, s2, 7
	v_lshlrev_b32_e32 v1, 5, v1
	v_and_b32_e32 v0, 0x3ff, v0
	v_add3_u32 v8, v1, v0, s2
	s_waitcnt lgkmcnt(0)
	v_cmp_gt_i32_e32 vcc, s24, v8
	s_and_saveexec_b64 s[2:3], vcc
	s_cbranch_execz .LBB375_40
; %bb.1:
	s_load_dwordx4 s[4:7], s[0:1], 0x0
	s_load_dwordx2 s[20:21], s[0:1], 0x10
	s_waitcnt lgkmcnt(0)
	s_cmp_eq_u64 s[6:7], 0
	s_cbranch_scc1 .LBB375_3
; %bb.2:
	v_ashrrev_i32_e32 v9, 31, v8
	v_lshl_add_u64 v[0:1], s[6:7], 0, v[8:9]
	global_load_ubyte v0, v[0:1], off
	s_waitcnt vmcnt(0)
	v_and_b32_e32 v0, 1, v0
	v_cmp_eq_u32_e32 vcc, 1, v0
	s_xor_b64 s[2:3], vcc, -1
	s_orn2_b64 s[6:7], s[2:3], exec
	s_branch .LBB375_4
.LBB375_3:
	s_mov_b64 s[6:7], -1
.LBB375_4:
	v_lshlrev_b32_e32 v2, 3, v8
	v_mov_b32_e32 v0, s4
	v_mov_b32_e32 v1, s5
	v_ashrrev_i32_e32 v3, 31, v2
	v_lshl_add_u64 v[0:1], v[2:3], 1, v[0:1]
	global_load_dwordx4 v[4:7], v[0:1], off
	s_mov_b32 s18, 0x800000
	v_mov_b32_e32 v2, 0x4f800000
	s_mov_b32 s15, 0x3f317217
	s_mov_b32 s16, 0x7f800000
	v_mov_b32_e32 v3, 0x41b17218
	s_mov_b32 s14, 0x41a00000
	s_mov_b32 s17, 0xf800000
	s_load_dwordx4 s[8:11], s[0:1], 0x40
	s_waitcnt lgkmcnt(0)
	s_cmp_lg_u64 s[10:11], 0
	s_cselect_b64 s[12:13], -1, 0
	s_and_b64 s[2:3], exec, s[12:13]
	s_waitcnt vmcnt(0)
	v_lshlrev_b32_e32 v0, 16, v4
	v_mul_f32_e32 v1, 0x3fb8aa3b, v0
	v_exp_f32_e32 v1, v1
	s_nop 0
	v_add_f32_e32 v1, 1.0, v1
	v_cmp_gt_f32_e32 vcc, s18, v1
	s_nop 1
	v_cndmask_b32_e32 v9, 1.0, v2, vcc
	v_mul_f32_e32 v1, v1, v9
	v_log_f32_e32 v9, v1
	v_cndmask_b32_e32 v10, 0, v3, vcc
	v_mov_b32_e32 v1, 0x260
	v_mul_f32_e32 v11, 0x3f317217, v9
	v_fma_f32 v11, v9, s15, -v11
	v_fmac_f32_e32 v11, 0x3377d1cf, v9
	v_fmac_f32_e32 v11, 0x3f317217, v9
	v_cmp_lt_f32_e64 vcc, |v9|, s16
	s_nop 1
	v_cndmask_b32_e32 v9, v9, v11, vcc
	v_sub_f32_e32 v9, v9, v10
	v_cmp_lt_f32_e32 vcc, s14, v0
	s_nop 1
	v_cndmask_b32_e32 v0, v9, v0, vcc
	v_mul_f32_e32 v9, 0x4f800000, v0
	v_cmp_gt_f32_e32 vcc, s17, v0
	s_nop 1
	v_cndmask_b32_e32 v0, v0, v9, vcc
	v_sqrt_f32_e32 v9, v0
	s_nop 0
	v_add_u32_e32 v10, -1, v9
	v_add_u32_e32 v11, 1, v9
	v_fma_f32 v12, -v10, v9, v0
	v_fma_f32 v13, -v11, v9, v0
	v_cmp_ge_f32_e64 s[4:5], 0, v12
	s_nop 1
	v_cndmask_b32_e64 v9, v9, v10, s[4:5]
	v_cmp_lt_f32_e64 s[4:5], 0, v13
	s_nop 1
	v_cndmask_b32_e64 v9, v9, v11, s[4:5]
	v_mul_f32_e32 v10, 0x37800000, v9
	v_cndmask_b32_e32 v9, v9, v10, vcc
	v_cmp_class_f32_e32 vcc, v0, v1
	s_nop 1
	v_cndmask_b32_e32 v0, v9, v0, vcc
	s_mov_b64 vcc, s[2:3]
	s_cbranch_vccz .LBB375_6
; %bb.5:
	s_load_dword s2, s[10:11], 0x0
	s_waitcnt lgkmcnt(0)
	v_add_f32_e32 v0, s2, v0
.LBB375_6:
	v_and_b32_e32 v4, 0xffff0000, v4
	v_mul_f32_e32 v9, 0x3fb8aa3b, v4
	v_exp_f32_e32 v9, v9
	s_nop 0
	v_add_f32_e32 v9, 1.0, v9
	v_cmp_gt_f32_e32 vcc, s18, v9
	s_nop 1
	v_cndmask_b32_e32 v2, 1.0, v2, vcc
	v_mul_f32_e32 v2, v9, v2
	v_log_f32_e32 v2, v2
	v_cndmask_b32_e32 v3, 0, v3, vcc
	v_mul_f32_e32 v9, 0x3f317217, v2
	v_fma_f32 v9, v2, s15, -v9
	v_fmac_f32_e32 v9, 0x3377d1cf, v2
	v_fmac_f32_e32 v9, 0x3f317217, v2
	v_cmp_lt_f32_e64 vcc, |v2|, s16
	s_nop 1
	v_cndmask_b32_e32 v2, v2, v9, vcc
	v_sub_f32_e32 v2, v2, v3
	v_cmp_lt_f32_e32 vcc, s14, v4
	s_nop 1
	v_cndmask_b32_e32 v2, v2, v4, vcc
	v_mul_f32_e32 v3, 0x4f800000, v2
	v_cmp_gt_f32_e32 vcc, s17, v2
	s_nop 1
	v_cndmask_b32_e32 v2, v2, v3, vcc
	v_sqrt_f32_e32 v3, v2
	v_cmp_class_f32_e64 s[4:5], v2, v1
	v_add_u32_e32 v4, -1, v3
	v_add_u32_e32 v9, 1, v3
	v_fma_f32 v10, -v4, v3, v2
	v_fma_f32 v11, -v9, v3, v2
	v_cmp_ge_f32_e64 s[2:3], 0, v10
	s_nop 1
	v_cndmask_b32_e64 v3, v3, v4, s[2:3]
	v_cmp_lt_f32_e64 s[2:3], 0, v11
	s_nop 1
	v_cndmask_b32_e64 v3, v3, v9, s[2:3]
	v_mul_f32_e32 v4, 0x37800000, v3
	v_cndmask_b32_e32 v3, v3, v4, vcc
	v_cndmask_b32_e64 v4, 0, 1, s[12:13]
	v_cmp_ne_u32_e64 s[2:3], 1, v4
	s_andn2_b64 vcc, exec, s[12:13]
	v_cndmask_b32_e64 v1, v3, v2, s[4:5]
	s_cbranch_vccnz .LBB375_8
; %bb.7:
	s_load_dword s4, s[10:11], 0x4
	s_waitcnt lgkmcnt(0)
	v_add_f32_e32 v1, s4, v1
.LBB375_8:
	v_lshlrev_b32_e32 v2, 16, v5
	v_mul_f32_e32 v3, 0x3fb8aa3b, v2
	v_exp_f32_e32 v3, v3
	s_mov_b32 s16, 0x800000
	v_mov_b32_e32 v4, 0x4f800000
	s_mov_b32 s13, 0x3f317217
	v_add_f32_e32 v3, 1.0, v3
	v_cmp_gt_f32_e32 vcc, s16, v3
	s_mov_b32 s14, 0x7f800000
	s_mov_b32 s12, 0x41a00000
	v_cndmask_b32_e32 v9, 1.0, v4, vcc
	v_mul_f32_e32 v3, v3, v9
	v_log_f32_e32 v3, v3
	s_mov_b32 s15, 0xf800000
	v_mul_f32_e32 v9, 0x3f317217, v3
	v_fma_f32 v9, v3, s13, -v9
	v_fmac_f32_e32 v9, 0x3377d1cf, v3
	v_fmac_f32_e32 v9, 0x3f317217, v3
	v_cmp_lt_f32_e64 s[4:5], |v3|, s14
	s_nop 1
	v_cndmask_b32_e64 v3, v3, v9, s[4:5]
	v_mov_b32_e32 v9, 0x41b17218
	v_cndmask_b32_e32 v10, 0, v9, vcc
	v_sub_f32_e32 v3, v3, v10
	v_cmp_lt_f32_e32 vcc, s12, v2
	s_nop 1
	v_cndmask_b32_e32 v2, v3, v2, vcc
	v_mul_f32_e32 v3, 0x4f800000, v2
	v_cmp_gt_f32_e32 vcc, s15, v2
	s_nop 1
	v_cndmask_b32_e32 v2, v2, v3, vcc
	v_sqrt_f32_e32 v3, v2
	s_nop 0
	v_add_u32_e32 v10, -1, v3
	v_fma_f32 v11, -v10, v3, v2
	v_cmp_ge_f32_e64 s[4:5], 0, v11
	v_add_u32_e32 v11, 1, v3
	s_nop 0
	v_cndmask_b32_e64 v10, v3, v10, s[4:5]
	v_fma_f32 v3, -v11, v3, v2
	v_cmp_lt_f32_e64 s[4:5], 0, v3
	s_nop 1
	v_cndmask_b32_e64 v3, v10, v11, s[4:5]
	v_mul_f32_e32 v10, 0x37800000, v3
	v_cndmask_b32_e32 v10, v3, v10, vcc
	v_mov_b32_e32 v3, 0x260
	v_cmp_class_f32_e64 s[4:5], v2, v3
	s_and_b64 vcc, exec, s[2:3]
	s_nop 0
	v_cndmask_b32_e64 v2, v10, v2, s[4:5]
	s_cbranch_vccnz .LBB375_10
; %bb.9:
	s_load_dword s4, s[10:11], 0x8
	s_waitcnt lgkmcnt(0)
	v_add_f32_e32 v2, s4, v2
.LBB375_10:
	v_and_b32_e32 v5, 0xffff0000, v5
	v_mul_f32_e32 v10, 0x3fb8aa3b, v5
	v_exp_f32_e32 v10, v10
	s_nop 0
	v_add_f32_e32 v10, 1.0, v10
	v_cmp_gt_f32_e32 vcc, s16, v10
	s_nop 1
	v_cndmask_b32_e32 v4, 1.0, v4, vcc
	v_mul_f32_e32 v4, v10, v4
	v_log_f32_e32 v4, v4
	v_cndmask_b32_e32 v9, 0, v9, vcc
	v_mul_f32_e32 v10, 0x3f317217, v4
	v_fma_f32 v10, v4, s13, -v10
	v_fmac_f32_e32 v10, 0x3377d1cf, v4
	v_fmac_f32_e32 v10, 0x3f317217, v4
	v_cmp_lt_f32_e64 vcc, |v4|, s14
	s_nop 1
	v_cndmask_b32_e32 v4, v4, v10, vcc
	v_sub_f32_e32 v4, v4, v9
	v_cmp_lt_f32_e32 vcc, s12, v5
	s_nop 1
	v_cndmask_b32_e32 v4, v4, v5, vcc
	v_mul_f32_e32 v5, 0x4f800000, v4
	v_cmp_gt_f32_e32 vcc, s15, v4
	s_nop 1
	v_cndmask_b32_e32 v4, v4, v5, vcc
	v_sqrt_f32_e32 v5, v4
	s_nop 0
	v_add_u32_e32 v9, -1, v5
	v_add_u32_e32 v10, 1, v5
	v_fma_f32 v11, -v9, v5, v4
	v_fma_f32 v12, -v10, v5, v4
	v_cmp_ge_f32_e64 s[4:5], 0, v11
	s_nop 1
	v_cndmask_b32_e64 v5, v5, v9, s[4:5]
	v_cmp_lt_f32_e64 s[4:5], 0, v12
	s_nop 1
	v_cndmask_b32_e64 v5, v5, v10, s[4:5]
	v_mul_f32_e32 v9, 0x37800000, v5
	v_cndmask_b32_e32 v5, v5, v9, vcc
	v_cmp_class_f32_e64 s[4:5], v4, v3
	s_and_b64 vcc, exec, s[2:3]
	s_nop 0
	v_cndmask_b32_e64 v3, v5, v4, s[4:5]
	s_cbranch_vccnz .LBB375_12
; %bb.11:
	s_load_dword s4, s[10:11], 0xc
	s_waitcnt lgkmcnt(0)
	v_add_f32_e32 v3, s4, v3
.LBB375_12:
	v_lshlrev_b32_e32 v4, 16, v6
	v_mul_f32_e32 v5, 0x3fb8aa3b, v4
	v_exp_f32_e32 v5, v5
	v_mov_b32_e32 v9, 0x4f800000
	v_add_f32_e32 v5, 1.0, v5
	v_cmp_gt_f32_e32 vcc, s16, v5
	s_nop 1
	v_cndmask_b32_e32 v10, 1.0, v9, vcc
	v_mul_f32_e32 v5, v5, v10
	v_log_f32_e32 v5, v5
	s_nop 0
	v_mul_f32_e32 v10, 0x3f317217, v5
	v_fma_f32 v10, v5, s13, -v10
	v_fmac_f32_e32 v10, 0x3377d1cf, v5
	v_fmac_f32_e32 v10, 0x3f317217, v5
	v_cmp_lt_f32_e64 s[4:5], |v5|, s14
	s_nop 1
	v_cndmask_b32_e64 v5, v5, v10, s[4:5]
	v_mov_b32_e32 v10, 0x41b17218
	v_cndmask_b32_e32 v11, 0, v10, vcc
	v_sub_f32_e32 v5, v5, v11
	v_cmp_lt_f32_e32 vcc, s12, v4
	s_nop 1
	v_cndmask_b32_e32 v4, v5, v4, vcc
	v_mul_f32_e32 v5, 0x4f800000, v4
	v_cmp_gt_f32_e32 vcc, s15, v4
	s_nop 1
	v_cndmask_b32_e32 v4, v4, v5, vcc
	v_sqrt_f32_e32 v5, v4
	s_nop 0
	v_add_u32_e32 v11, -1, v5
	v_fma_f32 v12, -v11, v5, v4
	v_cmp_ge_f32_e64 s[4:5], 0, v12
	v_add_u32_e32 v12, 1, v5
	s_nop 0
	v_cndmask_b32_e64 v11, v5, v11, s[4:5]
	v_fma_f32 v5, -v12, v5, v4
	v_cmp_lt_f32_e64 s[4:5], 0, v5
	s_nop 1
	v_cndmask_b32_e64 v5, v11, v12, s[4:5]
	v_mul_f32_e32 v11, 0x37800000, v5
	v_cndmask_b32_e32 v11, v5, v11, vcc
	v_mov_b32_e32 v5, 0x260
	v_cmp_class_f32_e64 s[4:5], v4, v5
	s_and_b64 vcc, exec, s[2:3]
	s_nop 0
	v_cndmask_b32_e64 v4, v11, v4, s[4:5]
	s_cbranch_vccnz .LBB375_14
; %bb.13:
	s_load_dword s4, s[10:11], 0x10
	s_waitcnt lgkmcnt(0)
	v_add_f32_e32 v4, s4, v4
.LBB375_14:
	v_and_b32_e32 v6, 0xffff0000, v6
	v_mul_f32_e32 v11, 0x3fb8aa3b, v6
	v_exp_f32_e32 v11, v11
	s_nop 0
	v_add_f32_e32 v11, 1.0, v11
	v_cmp_gt_f32_e32 vcc, s16, v11
	s_nop 1
	v_cndmask_b32_e32 v9, 1.0, v9, vcc
	v_mul_f32_e32 v9, v11, v9
	v_log_f32_e32 v9, v9
	v_cndmask_b32_e32 v10, 0, v10, vcc
	v_mul_f32_e32 v11, 0x3f317217, v9
	v_fma_f32 v11, v9, s13, -v11
	v_fmac_f32_e32 v11, 0x3377d1cf, v9
	v_fmac_f32_e32 v11, 0x3f317217, v9
	v_cmp_lt_f32_e64 vcc, |v9|, s14
	s_nop 1
	v_cndmask_b32_e32 v9, v9, v11, vcc
	v_sub_f32_e32 v9, v9, v10
	v_cmp_lt_f32_e32 vcc, s12, v6
	s_nop 1
	v_cndmask_b32_e32 v6, v9, v6, vcc
	v_mul_f32_e32 v9, 0x4f800000, v6
	v_cmp_gt_f32_e32 vcc, s15, v6
	s_nop 1
	v_cndmask_b32_e32 v6, v6, v9, vcc
	v_sqrt_f32_e32 v9, v6
	s_nop 0
	v_add_u32_e32 v10, -1, v9
	v_add_u32_e32 v11, 1, v9
	v_fma_f32 v12, -v10, v9, v6
	v_fma_f32 v13, -v11, v9, v6
	v_cmp_ge_f32_e64 s[4:5], 0, v12
	s_nop 1
	v_cndmask_b32_e64 v9, v9, v10, s[4:5]
	v_cmp_lt_f32_e64 s[4:5], 0, v13
	s_nop 1
	v_cndmask_b32_e64 v9, v9, v11, s[4:5]
	v_mul_f32_e32 v10, 0x37800000, v9
	v_cndmask_b32_e32 v9, v9, v10, vcc
	v_cmp_class_f32_e64 s[4:5], v6, v5
	s_and_b64 vcc, exec, s[2:3]
	s_nop 0
	v_cndmask_b32_e64 v5, v9, v6, s[4:5]
	s_cbranch_vccnz .LBB375_16
; %bb.15:
	s_load_dword s4, s[10:11], 0x14
	s_waitcnt lgkmcnt(0)
	v_add_f32_e32 v5, s4, v5
.LBB375_16:
	v_lshlrev_b32_e32 v6, 16, v7
	v_mul_f32_e32 v9, 0x3fb8aa3b, v6
	v_exp_f32_e32 v9, v9
	v_mov_b32_e32 v10, 0x4f800000
	v_add_f32_e32 v9, 1.0, v9
	v_cmp_gt_f32_e32 vcc, s16, v9
	s_nop 1
	v_cndmask_b32_e32 v11, 1.0, v10, vcc
	v_mul_f32_e32 v9, v9, v11
	v_log_f32_e32 v9, v9
	s_nop 0
	v_mul_f32_e32 v11, 0x3f317217, v9
	v_fma_f32 v11, v9, s13, -v11
	v_fmac_f32_e32 v11, 0x3377d1cf, v9
	v_fmac_f32_e32 v11, 0x3f317217, v9
	v_cmp_lt_f32_e64 s[4:5], |v9|, s14
	s_nop 1
	v_cndmask_b32_e64 v9, v9, v11, s[4:5]
	v_mov_b32_e32 v11, 0x41b17218
	v_cndmask_b32_e32 v12, 0, v11, vcc
	v_sub_f32_e32 v9, v9, v12
	v_cmp_lt_f32_e32 vcc, s12, v6
	s_nop 1
	v_cndmask_b32_e32 v6, v9, v6, vcc
	v_mul_f32_e32 v9, 0x4f800000, v6
	v_cmp_gt_f32_e32 vcc, s15, v6
	s_nop 1
	v_cndmask_b32_e32 v6, v6, v9, vcc
	v_sqrt_f32_e32 v9, v6
	s_nop 0
	v_add_u32_e32 v12, -1, v9
	v_fma_f32 v13, -v12, v9, v6
	v_cmp_ge_f32_e64 s[4:5], 0, v13
	v_add_u32_e32 v13, 1, v9
	s_nop 0
	v_cndmask_b32_e64 v12, v9, v12, s[4:5]
	v_fma_f32 v9, -v13, v9, v6
	v_cmp_lt_f32_e64 s[4:5], 0, v9
	s_nop 1
	v_cndmask_b32_e64 v9, v12, v13, s[4:5]
	v_mul_f32_e32 v12, 0x37800000, v9
	v_cndmask_b32_e32 v12, v9, v12, vcc
	v_mov_b32_e32 v9, 0x260
	v_cmp_class_f32_e64 s[4:5], v6, v9
	s_and_b64 vcc, exec, s[2:3]
	s_nop 0
	v_cndmask_b32_e64 v6, v12, v6, s[4:5]
	s_cbranch_vccnz .LBB375_18
; %bb.17:
	s_load_dword s4, s[10:11], 0x18
	s_waitcnt lgkmcnt(0)
	v_add_f32_e32 v6, s4, v6
.LBB375_18:
	v_and_b32_e32 v7, 0xffff0000, v7
	v_mul_f32_e32 v12, 0x3fb8aa3b, v7
	v_exp_f32_e32 v12, v12
	s_nop 0
	v_add_f32_e32 v12, 1.0, v12
	v_cmp_gt_f32_e32 vcc, s16, v12
	s_nop 1
	v_cndmask_b32_e32 v10, 1.0, v10, vcc
	v_mul_f32_e32 v10, v12, v10
	v_log_f32_e32 v10, v10
	v_cndmask_b32_e32 v11, 0, v11, vcc
	v_mul_f32_e32 v12, 0x3f317217, v10
	v_fma_f32 v12, v10, s13, -v12
	v_fmac_f32_e32 v12, 0x3377d1cf, v10
	v_fmac_f32_e32 v12, 0x3f317217, v10
	v_cmp_lt_f32_e64 vcc, |v10|, s14
	s_nop 1
	v_cndmask_b32_e32 v10, v10, v12, vcc
	v_sub_f32_e32 v10, v10, v11
	v_cmp_lt_f32_e32 vcc, s12, v7
	s_nop 1
	v_cndmask_b32_e32 v7, v10, v7, vcc
	v_mul_f32_e32 v10, 0x4f800000, v7
	v_cmp_gt_f32_e32 vcc, s15, v7
	s_nop 1
	v_cndmask_b32_e32 v7, v7, v10, vcc
	v_sqrt_f32_e32 v10, v7
	s_nop 0
	v_add_u32_e32 v11, -1, v10
	v_add_u32_e32 v12, 1, v10
	v_fma_f32 v13, -v11, v10, v7
	v_fma_f32 v14, -v12, v10, v7
	v_cmp_ge_f32_e64 s[4:5], 0, v13
	s_nop 1
	v_cndmask_b32_e64 v10, v10, v11, s[4:5]
	v_cmp_lt_f32_e64 s[4:5], 0, v14
	s_nop 1
	v_cndmask_b32_e64 v10, v10, v12, s[4:5]
	v_mul_f32_e32 v11, 0x37800000, v10
	v_cndmask_b32_e32 v10, v10, v11, vcc
	v_cmp_class_f32_e64 s[4:5], v7, v9
	s_and_b64 vcc, exec, s[2:3]
	s_nop 0
	v_cndmask_b32_e64 v7, v10, v7, s[4:5]
	s_cbranch_vccnz .LBB375_20
; %bb.19:
	s_load_dword s4, s[10:11], 0x1c
	s_waitcnt lgkmcnt(0)
	v_add_f32_e32 v7, s4, v7
.LBB375_20:
	s_load_dwordx4 s[12:15], s[0:1], 0x30
	s_mov_b32 s25, 0
	s_waitcnt lgkmcnt(0)
	s_bitcmp1_b32 s15, 0
	s_cselect_b64 s[4:5], -1, 0
	s_cmp_gt_i32 s12, 0
	s_cselect_b64 s[22:23], -1, 0
	s_and_b64 vcc, exec, s[22:23]
	v_mul_lo_u32 v10, v8, s12
	s_cbranch_vccz .LBB375_27
; %bb.21:
	s_load_dwordx4 s[16:19], s[0:1], 0x20
	v_mov_b32_e32 v13, 0
	v_mov_b32_e32 v11, 0xc61c4000
	;; [unrolled: 1-line block ×3, first 2 shown]
	s_branch .LBB375_23
.LBB375_22:                             ;   in Loop: Header=BB375_23 Depth=1
	v_add_f32_e32 v12, v9, v14
	v_cndmask_b32_e64 v9, v9, v12, s[4:5]
	s_cmp_lg_u32 s12, s25
	v_add_u32_e32 v8, s24, v8
	s_cbranch_scc0 .LBB375_28
.LBB375_23:                             ; =>This Inner Loop Header: Depth=1
	v_cmp_gt_f32_e32 vcc, v1, v0
	s_nop 1
	v_cndmask_b32_e32 v14, v0, v1, vcc
	v_cndmask_b32_e64 v12, 0, 1, vcc
	v_cmp_gt_f32_e32 vcc, v2, v14
	s_nop 1
	v_cndmask_b32_e32 v14, v14, v2, vcc
	v_cndmask_b32_e64 v12, v12, 2, vcc
	;; [unrolled: 4-line block ×6, first 2 shown]
	v_cmp_gt_f32_e64 s[0:1], v7, v14
	s_and_b64 vcc, exec, s[2:3]
	s_nop 0
	v_cndmask_b32_e64 v12, v12, 7, s[0:1]
	v_cndmask_b32_e64 v14, v14, v7, s[0:1]
	s_cbranch_vccnz .LBB375_25
; %bb.24:                               ;   in Loop: Header=BB375_23 Depth=1
	v_lshl_add_u64 v[16:17], v[12:13], 2, s[10:11]
	global_load_dword v15, v[16:17], off
	s_waitcnt vmcnt(0)
	v_sub_f32_e32 v14, v14, v15
.LBB375_25:                             ;   in Loop: Header=BB375_23 Depth=1
	v_add_u32_e32 v16, s25, v10
	v_cmp_le_i32_e32 vcc, s13, v12
	v_cmp_gt_i32_e64 s[0:1], s14, v12
	v_ashrrev_i32_e32 v17, 31, v16
	s_and_b64 s[0:1], vcc, s[0:1]
	v_lshlrev_b64 v[16:17], 2, v[16:17]
	v_lshl_add_u64 v[18:19], s[20:21], 0, v[16:17]
	v_subrev_u32_e32 v15, s13, v12
	s_and_b64 vcc, s[6:7], s[0:1]
	s_add_i32 s25, s25, 1
	global_store_dword v[18:19], v14, off
	v_cndmask_b32_e32 v15, 8, v15, vcc
	s_waitcnt lgkmcnt(0)
	v_lshl_add_u64 v[18:19], s[16:17], 0, v[16:17]
	v_lshl_add_u64 v[16:17], s[18:19], 0, v[16:17]
	s_cmp_ge_i32 s25, s12
	global_store_dword v[18:19], v15, off
	global_store_dword v[16:17], v8, off
	s_cbranch_scc1 .LBB375_22
; %bb.26:                               ;   in Loop: Header=BB375_23 Depth=1
	v_cmp_ne_u32_e32 vcc, 7, v12
	s_nop 1
	v_cndmask_b32_e32 v7, v11, v7, vcc
	v_cmp_ne_u32_e32 vcc, 6, v12
	s_nop 1
	v_cndmask_b32_e32 v6, v11, v6, vcc
	;; [unrolled: 3-line block ×8, first 2 shown]
	s_branch .LBB375_22
.LBB375_27:
	v_mov_b32_e32 v9, 0
.LBB375_28:
	s_andn2_b64 vcc, exec, s[4:5]
	v_cvt_f32_f64_e32 v0, s[8:9]
	s_cbranch_vccnz .LBB375_30
; %bb.29:
	v_cmp_lt_f32_e32 vcc, 0, v9
	s_nop 1
	v_cndmask_b32_e32 v1, 1.0, v9, vcc
	v_div_scale_f32 v2, s[0:1], v1, v1, v0
	v_rcp_f32_e32 v3, v2
	s_nop 0
	v_fma_f32 v4, -v2, v3, 1.0
	v_fmac_f32_e32 v3, v4, v3
	v_div_scale_f32 v4, vcc, v0, v1, v0
	v_mul_f32_e32 v5, v4, v3
	v_fma_f32 v6, -v2, v5, v4
	v_fmac_f32_e32 v5, v6, v3
	v_fma_f32 v2, -v2, v5, v4
	v_div_fmas_f32 v2, v2, v3, v5
	v_div_fixup_f32 v0, v2, v1, v0
.LBB375_30:
	s_andn2_b64 vcc, exec, s[22:23]
	s_cbranch_vccnz .LBB375_40
; %bb.31:
	s_cmp_gt_u32 s12, 3
	v_ashrrev_i32_e32 v11, 31, v10
	s_cbranch_scc0 .LBB375_35
; %bb.32:
	s_and_b32 s0, s12, 0x7ffffffc
	v_lshl_add_u64 v[2:3], v[10:11], 2, s[20:21]
	v_mov_b32_e32 v1, v0
	v_lshl_add_u64 v[2:3], v[2:3], 0, 8
	s_mov_b32 s1, s0
.LBB375_33:                             ; =>This Inner Loop Header: Depth=1
	global_load_dwordx4 v[4:7], v[2:3], off offset:-8
	s_add_i32 s1, s1, -4
	s_cmp_lg_u32 s1, 0
	s_waitcnt vmcnt(0)
	v_pk_mul_f32 v[4:5], v[0:1], v[4:5]
	v_pk_mul_f32 v[6:7], v[0:1], v[6:7]
	global_store_dwordx4 v[2:3], v[4:7], off offset:-8
	v_lshl_add_u64 v[2:3], v[2:3], 0, 16
	s_cbranch_scc1 .LBB375_33
; %bb.34:
	s_cmp_lg_u32 s0, s12
	s_cselect_b64 s[2:3], -1, 0
	s_branch .LBB375_37
.LBB375_35:
	s_mov_b64 s[2:3], 0
                                        ; implicit-def: $sgpr0
	s_cbranch_execz .LBB375_37
; %bb.36:
	s_mov_b64 s[2:3], -1
	s_mov_b32 s0, 0
.LBB375_37:
	s_andn2_b64 vcc, exec, s[2:3]
	s_cbranch_vccnz .LBB375_40
; %bb.38:
	s_mov_b32 s1, 0
	v_lshl_add_u64 v[2:3], v[10:11], 0, s[0:1]
	s_sub_i32 s2, s12, s0
	v_lshl_add_u64 v[2:3], v[2:3], 2, s[20:21]
.LBB375_39:                             ; =>This Inner Loop Header: Depth=1
	global_load_dword v1, v[2:3], off
	s_add_i32 s2, s2, -1
	s_cmp_lg_u32 s2, 0
	s_waitcnt vmcnt(0)
	v_mul_f32_e32 v1, v0, v1
	global_store_dword v[2:3], v1, off
	v_lshl_add_u64 v[2:3], v[2:3], 0, 4
	s_cbranch_scc1 .LBB375_39
.LBB375_40:
	s_endpgm
	.section	.rodata,"a",@progbits
	.p2align	6, 0x0
	.amdhsa_kernel _ZN4vllm3moe22topkGatingSoftplusSqrtILi8ELi8ELi4ELi16ELi32ELb0Ei14__hip_bfloat16EEvPKT6_PKbPfiPT5_PiiiibdPKfPKS9_SF_
		.amdhsa_group_segment_fixed_size 0
		.amdhsa_private_segment_fixed_size 0
		.amdhsa_kernarg_size 96
		.amdhsa_user_sgpr_count 2
		.amdhsa_user_sgpr_dispatch_ptr 0
		.amdhsa_user_sgpr_queue_ptr 0
		.amdhsa_user_sgpr_kernarg_segment_ptr 1
		.amdhsa_user_sgpr_dispatch_id 0
		.amdhsa_user_sgpr_kernarg_preload_length 0
		.amdhsa_user_sgpr_kernarg_preload_offset 0
		.amdhsa_user_sgpr_private_segment_size 0
		.amdhsa_uses_dynamic_stack 0
		.amdhsa_enable_private_segment 0
		.amdhsa_system_sgpr_workgroup_id_x 1
		.amdhsa_system_sgpr_workgroup_id_y 0
		.amdhsa_system_sgpr_workgroup_id_z 0
		.amdhsa_system_sgpr_workgroup_info 0
		.amdhsa_system_vgpr_workitem_id 1
		.amdhsa_next_free_vgpr 20
		.amdhsa_next_free_sgpr 26
		.amdhsa_accum_offset 20
		.amdhsa_reserve_vcc 1
		.amdhsa_float_round_mode_32 0
		.amdhsa_float_round_mode_16_64 0
		.amdhsa_float_denorm_mode_32 3
		.amdhsa_float_denorm_mode_16_64 3
		.amdhsa_dx10_clamp 1
		.amdhsa_ieee_mode 1
		.amdhsa_fp16_overflow 0
		.amdhsa_tg_split 0
		.amdhsa_exception_fp_ieee_invalid_op 0
		.amdhsa_exception_fp_denorm_src 0
		.amdhsa_exception_fp_ieee_div_zero 0
		.amdhsa_exception_fp_ieee_overflow 0
		.amdhsa_exception_fp_ieee_underflow 0
		.amdhsa_exception_fp_ieee_inexact 0
		.amdhsa_exception_int_div_zero 0
	.end_amdhsa_kernel
	.section	.text._ZN4vllm3moe22topkGatingSoftplusSqrtILi8ELi8ELi4ELi16ELi32ELb0Ei14__hip_bfloat16EEvPKT6_PKbPfiPT5_PiiiibdPKfPKS9_SF_,"axG",@progbits,_ZN4vllm3moe22topkGatingSoftplusSqrtILi8ELi8ELi4ELi16ELi32ELb0Ei14__hip_bfloat16EEvPKT6_PKbPfiPT5_PiiiibdPKfPKS9_SF_,comdat
.Lfunc_end375:
	.size	_ZN4vllm3moe22topkGatingSoftplusSqrtILi8ELi8ELi4ELi16ELi32ELb0Ei14__hip_bfloat16EEvPKT6_PKbPfiPT5_PiiiibdPKfPKS9_SF_, .Lfunc_end375-_ZN4vllm3moe22topkGatingSoftplusSqrtILi8ELi8ELi4ELi16ELi32ELb0Ei14__hip_bfloat16EEvPKT6_PKbPfiPT5_PiiiibdPKfPKS9_SF_
                                        ; -- End function
	.section	.AMDGPU.csdata,"",@progbits
; Kernel info:
; codeLenInByte = 3276
; NumSgprs: 32
; NumVgprs: 20
; NumAgprs: 0
; TotalNumVgprs: 20
; ScratchSize: 0
; MemoryBound: 0
; FloatMode: 240
; IeeeMode: 1
; LDSByteSize: 0 bytes/workgroup (compile time only)
; SGPRBlocks: 3
; VGPRBlocks: 2
; NumSGPRsForWavesPerEU: 32
; NumVGPRsForWavesPerEU: 20
; AccumOffset: 20
; Occupancy: 8
; WaveLimiterHint : 0
; COMPUTE_PGM_RSRC2:SCRATCH_EN: 0
; COMPUTE_PGM_RSRC2:USER_SGPR: 2
; COMPUTE_PGM_RSRC2:TRAP_HANDLER: 0
; COMPUTE_PGM_RSRC2:TGID_X_EN: 1
; COMPUTE_PGM_RSRC2:TGID_Y_EN: 0
; COMPUTE_PGM_RSRC2:TGID_Z_EN: 0
; COMPUTE_PGM_RSRC2:TIDIG_COMP_CNT: 1
; COMPUTE_PGM_RSRC3_GFX90A:ACCUM_OFFSET: 4
; COMPUTE_PGM_RSRC3_GFX90A:TG_SPLIT: 0
	.section	.text._ZN4vllm3moe22topkGatingSoftplusSqrtILi8ELi16ELi4ELi16ELi64ELb1Ei14__hip_bfloat16EEvPKT6_PKbPfiPT5_PiiiibdPKfPKS9_SF_,"axG",@progbits,_ZN4vllm3moe22topkGatingSoftplusSqrtILi8ELi16ELi4ELi16ELi64ELb1Ei14__hip_bfloat16EEvPKT6_PKbPfiPT5_PiiiibdPKfPKS9_SF_,comdat
	.protected	_ZN4vllm3moe22topkGatingSoftplusSqrtILi8ELi16ELi4ELi16ELi64ELb1Ei14__hip_bfloat16EEvPKT6_PKbPfiPT5_PiiiibdPKfPKS9_SF_ ; -- Begin function _ZN4vllm3moe22topkGatingSoftplusSqrtILi8ELi16ELi4ELi16ELi64ELb1Ei14__hip_bfloat16EEvPKT6_PKbPfiPT5_PiiiibdPKfPKS9_SF_
	.globl	_ZN4vllm3moe22topkGatingSoftplusSqrtILi8ELi16ELi4ELi16ELi64ELb1Ei14__hip_bfloat16EEvPKT6_PKbPfiPT5_PiiiibdPKfPKS9_SF_
	.p2align	8
	.type	_ZN4vllm3moe22topkGatingSoftplusSqrtILi8ELi16ELi4ELi16ELi64ELb1Ei14__hip_bfloat16EEvPKT6_PKbPfiPT5_PiiiibdPKfPKS9_SF_,@function
_ZN4vllm3moe22topkGatingSoftplusSqrtILi8ELi16ELi4ELi16ELi64ELb1Ei14__hip_bfloat16EEvPKT6_PKbPfiPT5_PiiiibdPKfPKS9_SF_: ; @_ZN4vllm3moe22topkGatingSoftplusSqrtILi8ELi16ELi4ELi16ELi64ELb1Ei14__hip_bfloat16EEvPKT6_PKbPfiPT5_PiiiibdPKfPKS9_SF_
; %bb.0:
	s_load_dword s3, s[0:1], 0x18
	v_bfe_u32 v1, v0, 10, 10
	v_and_b32_e32 v8, 0x3ff, v0
	s_lshl_b32 s2, s2, 7
	v_lshlrev_b32_e32 v1, 5, v1
	v_lshrrev_b32_e32 v0, 1, v8
	v_add3_u32 v6, s2, v1, v0
	s_waitcnt lgkmcnt(0)
	v_cmp_gt_i32_e32 vcc, s3, v6
	s_and_saveexec_b64 s[2:3], vcc
	s_cbranch_execz .LBB376_31
; %bb.1:
	s_load_dwordx2 s[2:3], s[0:1], 0x0
	s_load_dword s33, s[0:1], 0x30
	v_lshlrev_b32_e32 v0, 4, v6
	v_lshlrev_b32_e32 v2, 3, v8
	v_ashrrev_i32_e32 v1, 31, v0
	v_and_b32_e32 v10, 8, v2
	s_waitcnt lgkmcnt(0)
	v_lshl_add_u64 v[0:1], v[0:1], 1, s[2:3]
	v_lshlrev_b32_e32 v4, 1, v10
	v_mov_b32_e32 v5, 0
	v_lshl_add_u64 v[0:1], v[0:1], 0, v[4:5]
	global_load_dwordx4 v[0:3], v[0:1], off
	s_load_dwordx4 s[8:11], s[0:1], 0x50
	v_ashrrev_i32_e32 v7, 31, v6
	s_mov_b32 s15, 0x800000
	s_mov_b32 s13, 0x3f317217
	;; [unrolled: 1-line block ×3, first 2 shown]
	s_waitcnt lgkmcnt(0)
	v_mov_b32_e32 v12, s8
	v_mov_b32_e32 v13, s9
	v_lshl_add_u64 v[12:13], v[6:7], 2, v[12:13]
	global_load_dword v4, v[12:13], off
	v_mov_b32_e32 v7, 0x4f800000
	v_mov_b32_e32 v9, 0x41b17218
	s_mov_b32 s9, 0x41a00000
	s_mov_b32 s12, 0xf800000
	v_mov_b32_e32 v11, 0x260
	s_cmp_gt_i32 s33, 0
	s_mov_b32 s8, 0
	s_waitcnt vmcnt(1)
	v_and_b32_e32 v16, 0xffff0000, v0
	v_lshlrev_b32_e32 v17, 16, v0
	v_and_b32_e32 v18, 0xffff0000, v1
	v_lshlrev_b32_e32 v19, 16, v1
	v_mul_f32_e32 v0, 0x3fb8aa3b, v17
	v_mul_f32_e32 v1, 0x3fb8aa3b, v16
	v_exp_f32_e32 v12, v0
	v_exp_f32_e32 v13, v1
	v_mul_f32_e32 v14, 0x3fb8aa3b, v19
	v_mul_f32_e32 v15, 0x3fb8aa3b, v18
	v_exp_f32_e32 v14, v14
	v_exp_f32_e32 v15, v15
	v_pk_add_f32 v[12:13], v[12:13], 1.0 op_sel_hi:[1,0]
	s_waitcnt vmcnt(0)
	v_mul_lo_u32 v0, v4, s33
	v_cmp_gt_f32_e32 vcc, s15, v13
	v_pk_add_f32 v[14:15], v[14:15], 1.0 op_sel_hi:[1,0]
	v_cmp_gt_f32_e64 s[2:3], s15, v12
	v_cndmask_b32_e32 v4, 1.0, v7, vcc
	v_cmp_gt_f32_e64 s[4:5], s15, v15
	v_cndmask_b32_e64 v20, 1.0, v7, s[2:3]
	v_mul_f32_e32 v4, v13, v4
	v_cndmask_b32_e64 v21, 1.0, v7, s[4:5]
	v_mul_f32_e32 v12, v12, v20
	v_log_f32_e32 v4, v4
	v_mul_f32_e32 v15, v15, v21
	v_log_f32_e32 v12, v12
	v_cmp_gt_f32_e64 s[6:7], s15, v14
	v_log_f32_e32 v15, v15
	v_cndmask_b32_e32 v13, 0, v9, vcc
	v_cndmask_b32_e64 v22, 1.0, v7, s[6:7]
	v_mul_f32_e32 v14, v14, v22
	v_mul_f32_e32 v22, 0x3f317217, v4
	;; [unrolled: 1-line block ×3, first 2 shown]
	v_fma_f32 v22, v4, s13, -v22
	v_mul_f32_e32 v24, 0x3f317217, v15
	v_fma_f32 v23, v12, s13, -v23
	v_fmac_f32_e32 v22, 0x3377d1cf, v4
	v_fma_f32 v24, v15, s13, -v24
	v_fmac_f32_e32 v23, 0x3377d1cf, v12
	v_fmac_f32_e32 v22, 0x3f317217, v4
	v_cmp_lt_f32_e64 vcc, |v4|, s14
	v_fmac_f32_e32 v24, 0x3377d1cf, v15
	v_fmac_f32_e32 v23, 0x3f317217, v12
	v_cndmask_b32_e32 v4, v4, v22, vcc
	v_cmp_lt_f32_e64 vcc, |v12|, s14
	v_cndmask_b32_e64 v20, 0, v9, s[2:3]
	v_fmac_f32_e32 v24, 0x3f317217, v15
	v_cndmask_b32_e32 v12, v12, v23, vcc
	v_cmp_lt_f32_e64 vcc, |v15|, s14
	v_sub_f32_e32 v12, v12, v20
	v_sub_f32_e32 v4, v4, v13
	v_cndmask_b32_e32 v15, v15, v24, vcc
	v_cmp_lt_f32_e32 vcc, s9, v17
	v_cndmask_b32_e64 v21, 0, v9, s[4:5]
	v_sub_f32_e32 v15, v15, v21
	v_cndmask_b32_e32 v12, v12, v17, vcc
	v_cmp_lt_f32_e32 vcc, s9, v16
	v_cmp_gt_f32_e64 s[2:3], s12, v12
	v_log_f32_e32 v14, v14
	v_cndmask_b32_e32 v4, v4, v16, vcc
	v_mul_f32_e32 v13, 0x4f800000, v4
	v_cmp_gt_f32_e32 vcc, s12, v4
	v_mul_f32_e32 v16, 0x4f800000, v12
	v_cndmask_b32_e64 v12, v12, v16, s[2:3]
	v_cndmask_b32_e32 v4, v4, v13, vcc
	v_sqrt_f32_e32 v13, v4
	v_sqrt_f32_e32 v16, v12
	v_mul_f32_e32 v25, 0x3f317217, v14
	v_fma_f32 v25, v14, s13, -v25
	v_add_u32_e32 v17, -1, v13
	v_add_u32_e32 v21, -1, v16
	v_fma_f32 v23, -v17, v13, v4
	v_add_u32_e32 v20, 1, v13
	v_fma_f32 v26, -v21, v16, v12
	v_cmp_ge_f32_e64 s[4:5], 0, v23
	v_add_u32_e32 v22, 1, v16
	v_fma_f32 v24, -v20, v13, v4
	v_cndmask_b32_e64 v13, v13, v17, s[4:5]
	v_cmp_ge_f32_e64 s[4:5], 0, v26
	v_fma_f32 v27, -v22, v16, v12
	v_fmac_f32_e32 v25, 0x3377d1cf, v14
	v_cndmask_b32_e64 v16, v16, v21, s[4:5]
	v_cmp_lt_f32_e64 s[4:5], 0, v24
	v_fmac_f32_e32 v25, 0x3f317217, v14
	v_ashrrev_i32_e32 v1, 31, v0
	v_cndmask_b32_e64 v13, v13, v20, s[4:5]
	v_cmp_lt_f32_e64 s[4:5], 0, v27
	v_mul_f32_e32 v17, 0x37800000, v13
	v_cndmask_b32_e32 v13, v13, v17, vcc
	v_cndmask_b32_e64 v16, v16, v22, s[4:5]
	v_mul_f32_e32 v20, 0x37800000, v16
	v_cmp_class_f32_e32 vcc, v4, v11
	v_cndmask_b32_e64 v16, v16, v20, s[2:3]
	v_cmp_lt_f32_e64 s[2:3], s9, v19
	v_cndmask_b32_e32 v13, v13, v4, vcc
	v_cmp_class_f32_e32 vcc, v12, v11
	v_and_b32_e32 v20, 0xffff0000, v2
	v_lshlrev_b32_e32 v2, 16, v2
	v_cndmask_b32_e32 v12, v16, v12, vcc
	v_cmp_lt_f32_e64 vcc, |v14|, s14
	s_nop 1
	v_cndmask_b32_e32 v4, v14, v25, vcc
	v_cmp_lt_f32_e32 vcc, s9, v18
	v_cndmask_b32_e64 v14, 0, v9, s[6:7]
	v_sub_f32_e32 v4, v4, v14
	v_cndmask_b32_e32 v15, v15, v18, vcc
	v_mul_f32_e32 v16, 0x4f800000, v15
	v_cmp_gt_f32_e32 vcc, s12, v15
	v_cndmask_b32_e64 v4, v4, v19, s[2:3]
	s_nop 0
	v_cndmask_b32_e32 v15, v15, v16, vcc
	v_sqrt_f32_e32 v16, v15
	s_nop 0
	v_add_u32_e32 v14, -1, v16
	v_fma_f32 v17, -v14, v16, v15
	v_cmp_ge_f32_e64 s[2:3], 0, v17
	v_add_u32_e32 v17, 1, v16
	s_nop 0
	v_cndmask_b32_e64 v14, v16, v14, s[2:3]
	v_fma_f32 v16, -v17, v16, v15
	v_cmp_lt_f32_e64 s[2:3], 0, v16
	s_nop 1
	v_cndmask_b32_e64 v14, v14, v17, s[2:3]
	v_mul_f32_e32 v17, 0x4f800000, v4
	v_cmp_gt_f32_e64 s[2:3], s12, v4
	v_mul_f32_e32 v16, 0x37800000, v14
	v_cndmask_b32_e32 v14, v14, v16, vcc
	v_cndmask_b32_e64 v4, v4, v17, s[2:3]
	v_sqrt_f32_e32 v17, v4
	v_cmp_class_f32_e32 vcc, v15, v11
	v_add_u32_e32 v18, 1, v17
	s_nop 0
	v_cndmask_b32_e32 v15, v14, v15, vcc
	v_add_u32_e32 v14, -1, v17
	v_fma_f32 v16, -v14, v17, v4
	v_cmp_ge_f32_e32 vcc, 0, v16
	v_fma_f32 v19, -v18, v17, v4
	v_mul_f32_e32 v16, 0x3fb8aa3b, v2
	v_cndmask_b32_e32 v14, v17, v14, vcc
	v_mul_f32_e32 v17, 0x3fb8aa3b, v20
	v_exp_f32_e32 v16, v16
	v_exp_f32_e32 v17, v17
	v_cmp_lt_f32_e32 vcc, 0, v19
	v_pk_add_f32 v[16:17], v[16:17], 1.0 op_sel_hi:[1,0]
	s_nop 0
	v_cndmask_b32_e32 v14, v14, v18, vcc
	v_mul_f32_e32 v18, 0x37800000, v14
	v_cmp_gt_f32_e32 vcc, s15, v17
	v_cndmask_b32_e64 v14, v14, v18, s[2:3]
	v_cmp_class_f32_e64 s[2:3], v4, v11
	v_cndmask_b32_e32 v18, 1.0, v7, vcc
	v_mul_f32_e32 v17, v17, v18
	v_log_f32_e32 v17, v17
	v_cndmask_b32_e64 v14, v14, v4, s[2:3]
	v_cmp_gt_f32_e64 s[2:3], s15, v16
	scratch_store_dwordx4 off, v[12:15], off
	v_mul_f32_e32 v4, 0x3f317217, v17
	v_fma_f32 v4, v17, s13, -v4
	v_cndmask_b32_e64 v12, 1.0, v7, s[2:3]
	v_mul_f32_e32 v12, v16, v12
	v_log_f32_e32 v12, v12
	v_fmac_f32_e32 v4, 0x3377d1cf, v17
	v_fmac_f32_e32 v4, 0x3f317217, v17
	v_cmp_lt_f32_e64 s[4:5], |v17|, s14
	v_cndmask_b32_e32 v13, 0, v9, vcc
	v_cmp_lt_f32_e64 vcc, |v12|, s14
	v_cndmask_b32_e64 v4, v17, v4, s[4:5]
	v_sub_f32_e32 v4, v4, v13
	v_mul_f32_e32 v13, 0x3f317217, v12
	v_fma_f32 v13, v12, s13, -v13
	v_fmac_f32_e32 v13, 0x3377d1cf, v12
	v_fmac_f32_e32 v13, 0x3f317217, v12
	v_cndmask_b32_e32 v12, v12, v13, vcc
	v_cmp_lt_f32_e32 vcc, s9, v20
	v_cndmask_b32_e64 v13, 0, v9, s[2:3]
	v_sub_f32_e32 v12, v12, v13
	v_cndmask_b32_e32 v4, v4, v20, vcc
	v_mul_f32_e32 v14, 0x4f800000, v4
	v_cmp_gt_f32_e32 vcc, s12, v4
	v_cmp_lt_f32_e64 s[2:3], s9, v2
	v_and_b32_e32 v16, 0xffff0000, v3
	v_cndmask_b32_e32 v4, v4, v14, vcc
	v_sqrt_f32_e32 v14, v4
	v_cndmask_b32_e64 v2, v12, v2, s[2:3]
	v_lshlrev_b32_e32 v17, 16, v3
	v_mul_f32_e32 v3, 0x3fb8aa3b, v16
	v_add_u32_e32 v12, -1, v14
	v_fma_f32 v13, -v12, v14, v4
	v_cmp_ge_f32_e64 s[2:3], 0, v13
	v_add_u32_e32 v13, 1, v14
	v_exp_f32_e32 v3, v3
	v_cndmask_b32_e64 v12, v14, v12, s[2:3]
	v_fma_f32 v14, -v13, v14, v4
	v_cmp_lt_f32_e64 s[2:3], 0, v14
	v_mul_f32_e32 v14, 0x4f800000, v2
	s_nop 0
	v_cndmask_b32_e64 v12, v12, v13, s[2:3]
	v_cmp_gt_f32_e64 s[2:3], s12, v2
	v_mul_f32_e32 v13, 0x37800000, v12
	v_cndmask_b32_e32 v12, v12, v13, vcc
	v_cndmask_b32_e64 v14, v2, v14, s[2:3]
	v_sqrt_f32_e32 v2, v14
	v_cmp_class_f32_e32 vcc, v4, v11
	s_nop 1
	v_cndmask_b32_e32 v13, v12, v4, vcc
	v_add_u32_e32 v4, -1, v2
	v_fma_f32 v12, -v4, v2, v14
	v_cmp_ge_f32_e32 vcc, 0, v12
	v_add_u32_e32 v12, 1, v2
	v_fma_f32 v15, -v12, v2, v14
	v_cndmask_b32_e32 v4, v2, v4, vcc
	v_mul_f32_e32 v2, 0x3fb8aa3b, v17
	v_exp_f32_e32 v2, v2
	v_cmp_lt_f32_e32 vcc, 0, v15
	v_pk_add_f32 v[2:3], v[2:3], 1.0 op_sel_hi:[1,0]
	s_nop 0
	v_cndmask_b32_e32 v4, v4, v12, vcc
	v_cmp_gt_f32_e32 vcc, s15, v3
	v_mul_f32_e32 v12, 0x37800000, v4
	v_cndmask_b32_e64 v4, v4, v12, s[2:3]
	v_cndmask_b32_e32 v15, 1.0, v7, vcc
	v_mul_f32_e32 v3, v3, v15
	v_log_f32_e32 v3, v3
	v_cmp_class_f32_e64 s[2:3], v14, v11
	v_cmp_lt_f32_e64 s[4:5], |v3|, s14
	s_nop 0
	v_cndmask_b32_e64 v12, v4, v14, s[2:3]
	v_cmp_gt_f32_e64 s[2:3], s15, v2
	v_mul_f32_e32 v4, 0x3f317217, v3
	v_fma_f32 v4, v3, s13, -v4
	v_cndmask_b32_e64 v7, 1.0, v7, s[2:3]
	v_mul_f32_e32 v2, v2, v7
	v_log_f32_e32 v2, v2
	v_fmac_f32_e32 v4, 0x3377d1cf, v3
	v_fmac_f32_e32 v4, 0x3f317217, v3
	v_cndmask_b32_e64 v3, v3, v4, s[4:5]
	v_cndmask_b32_e32 v4, 0, v9, vcc
	v_sub_f32_e32 v3, v3, v4
	v_mul_f32_e32 v4, 0x3f317217, v2
	v_fma_f32 v4, v2, s13, -v4
	v_fmac_f32_e32 v4, 0x3377d1cf, v2
	v_fmac_f32_e32 v4, 0x3f317217, v2
	v_cmp_lt_f32_e64 vcc, |v2|, s14
	s_cselect_b64 s[4:5], -1, 0
	s_cmp_lt_i32 s33, 1
	v_cndmask_b32_e32 v2, v2, v4, vcc
	v_cmp_lt_f32_e32 vcc, s9, v16
	v_cndmask_b32_e64 v4, 0, v9, s[2:3]
	v_sub_f32_e32 v2, v2, v4
	v_cndmask_b32_e32 v3, v3, v16, vcc
	v_mul_f32_e32 v7, 0x4f800000, v3
	v_cmp_gt_f32_e32 vcc, s12, v3
	v_cmp_lt_f32_e64 s[2:3], s9, v17
	s_nop 0
	v_cndmask_b32_e32 v3, v3, v7, vcc
	v_sqrt_f32_e32 v7, v3
	v_cndmask_b32_e64 v2, v2, v17, s[2:3]
	v_add_u32_e32 v4, -1, v7
	v_fma_f32 v9, -v4, v7, v3
	v_cmp_ge_f32_e64 s[2:3], 0, v9
	v_add_u32_e32 v9, 1, v7
	s_nop 0
	v_cndmask_b32_e64 v4, v7, v4, s[2:3]
	v_fma_f32 v7, -v9, v7, v3
	v_cmp_lt_f32_e64 s[2:3], 0, v7
	s_nop 1
	v_cndmask_b32_e64 v4, v4, v9, s[2:3]
	v_mul_f32_e32 v9, 0x4f800000, v2
	v_cmp_gt_f32_e64 s[2:3], s12, v2
	v_mul_f32_e32 v7, 0x37800000, v4
	v_cndmask_b32_e32 v4, v4, v7, vcc
	v_cndmask_b32_e64 v2, v2, v9, s[2:3]
	v_sqrt_f32_e32 v9, v2
	v_cmp_class_f32_e32 vcc, v3, v11
	s_nop 1
	v_cndmask_b32_e32 v15, v4, v3, vcc
	v_add_u32_e32 v3, -1, v9
	v_fma_f32 v4, -v3, v9, v2
	v_cmp_ge_f32_e32 vcc, 0, v4
	v_add_u32_e32 v4, 1, v9
	v_fma_f32 v7, -v4, v9, v2
	v_cndmask_b32_e32 v3, v9, v3, vcc
	v_cmp_lt_f32_e32 vcc, 0, v7
	s_nop 1
	v_cndmask_b32_e32 v3, v3, v4, vcc
	v_mul_f32_e32 v4, 0x37800000, v3
	v_cndmask_b32_e64 v3, v3, v4, s[2:3]
	v_cmp_class_f32_e32 vcc, v2, v11
	s_nop 1
	v_cndmask_b32_e32 v14, v3, v2, vcc
	v_lshl_add_u64 v[2:3], v[0:1], 2, s[10:11]
	v_mul_lo_u32 v0, v6, s33
	scratch_store_dwordx4 off, v[12:15], off offset:16
	s_cbranch_scc1 .LBB376_28
; %bb.2:
	s_load_dwordx2 s[6:7], s[0:1], 0x20
	s_cmp_lt_u32 s33, 4
	v_and_b32_e32 v4, 1, v8
	s_cbranch_scc1 .LBB376_21
; %bb.3:
	v_lshlrev_b32_e32 v5, 3, v4
	s_mov_b32 s11, 0
	s_and_b32 s8, s33, 0x7ffffffc
	v_ashrrev_i32_e32 v1, 31, v0
	v_sub_u32_e32 v11, 0, v5
	v_mov_b32_e32 v5, 0
	s_mov_b32 s10, s11
	s_branch .LBB376_5
.LBB376_4:                              ;   in Loop: Header=BB376_5 Depth=1
	s_or_b64 exec, exec, s[12:13]
	s_add_i32 s10, s10, 4
	s_cmp_eq_u32 s10, s8
	s_cbranch_scc1 .LBB376_21
.LBB376_5:                              ; =>This Loop Header: Depth=1
                                        ;     Child Loop BB376_7 Depth 2
                                        ;     Child Loop BB376_11 Depth 2
	;; [unrolled: 1-line block ×4, first 2 shown]
	v_lshl_add_u64 v[6:7], s[10:11], 2, v[2:3]
	global_load_dword v12, v[6:7], off
	v_add_u32_e32 v8, s10, v0
	v_ashrrev_i32_e32 v9, 31, v8
	v_mov_b32_e32 v13, 0
	s_mov_b64 s[12:13], 0
	s_waitcnt lgkmcnt(0)
	v_lshl_add_u64 v[8:9], v[8:9], 2, s[6:7]
	s_mov_b32 s9, 0
	s_waitcnt vmcnt(0)
	v_add_u32_e32 v14, v11, v12
	s_branch .LBB376_7
.LBB376_6:                              ;   in Loop: Header=BB376_7 Depth=2
	s_or_b64 exec, exec, s[14:15]
	s_add_i32 s16, s9, 1
	s_cmp_gt_u32 s9, 6
	s_cselect_b64 s[2:3], -1, 0
	s_xor_b64 s[14:15], vcc, -1
	s_or_b64 s[2:3], s[14:15], s[2:3]
	s_and_b64 s[2:3], exec, s[2:3]
	v_add_u32_e32 v13, 4, v13
	s_or_b64 s[12:13], s[2:3], s[12:13]
	s_mov_b32 s9, s16
	s_andn2_b64 exec, exec, s[12:13]
	s_cbranch_execz .LBB376_9
.LBB376_7:                              ;   Parent Loop BB376_5 Depth=1
                                        ; =>  This Inner Loop Header: Depth=2
	v_cmp_ne_u32_e32 vcc, s9, v14
	v_cmp_eq_u32_e64 s[2:3], s9, v14
	s_and_saveexec_b64 s[14:15], s[2:3]
	s_cbranch_execz .LBB376_6
; %bb.8:                                ;   in Loop: Header=BB376_7 Depth=2
	scratch_load_dword v15, v13, off
	s_waitcnt vmcnt(0)
	v_add_f32_e32 v5, v5, v15
	global_store_dword v[8:9], v12, off
	s_branch .LBB376_6
.LBB376_9:                              ;   in Loop: Header=BB376_5 Depth=1
	s_or_b64 exec, exec, s[12:13]
	global_load_dword v12, v[6:7], off offset:4
	s_ashr_i32 s3, s10, 31
	s_mov_b32 s2, s10
	v_lshl_add_u64 v[8:9], s[2:3], 0, v[0:1]
	v_mov_b32_e32 v13, 0
	s_mov_b32 s9, 0
	v_lshl_add_u64 v[8:9], v[8:9], 2, s[6:7]
	s_mov_b64 s[12:13], 0
	s_waitcnt vmcnt(0)
	v_add_u32_e32 v14, v11, v12
	s_branch .LBB376_11
.LBB376_10:                             ;   in Loop: Header=BB376_11 Depth=2
	s_or_b64 exec, exec, s[14:15]
	s_add_i32 s16, s9, 1
	s_cmp_gt_u32 s9, 6
	s_cselect_b64 s[2:3], -1, 0
	s_xor_b64 s[14:15], vcc, -1
	s_or_b64 s[2:3], s[14:15], s[2:3]
	s_and_b64 s[2:3], exec, s[2:3]
	v_add_u32_e32 v13, 4, v13
	s_or_b64 s[12:13], s[2:3], s[12:13]
	s_mov_b32 s9, s16
	s_andn2_b64 exec, exec, s[12:13]
	s_cbranch_execz .LBB376_13
.LBB376_11:                             ;   Parent Loop BB376_5 Depth=1
                                        ; =>  This Inner Loop Header: Depth=2
	v_cmp_ne_u32_e32 vcc, s9, v14
	v_cmp_eq_u32_e64 s[2:3], s9, v14
	s_and_saveexec_b64 s[14:15], s[2:3]
	s_cbranch_execz .LBB376_10
; %bb.12:                               ;   in Loop: Header=BB376_11 Depth=2
	scratch_load_dword v15, v13, off
	s_waitcnt vmcnt(0)
	v_add_f32_e32 v5, v5, v15
	global_store_dword v[8:9], v12, off offset:4
	s_branch .LBB376_10
.LBB376_13:                             ;   in Loop: Header=BB376_5 Depth=1
	s_or_b64 exec, exec, s[12:13]
	global_load_dword v12, v[6:7], off offset:8
	v_mov_b32_e32 v13, 0
	s_mov_b32 s9, 0
	s_mov_b64 s[12:13], 0
	s_waitcnt vmcnt(0)
	v_add_u32_e32 v14, v11, v12
	s_branch .LBB376_15
.LBB376_14:                             ;   in Loop: Header=BB376_15 Depth=2
	s_or_b64 exec, exec, s[14:15]
	s_add_i32 s16, s9, 1
	s_cmp_gt_u32 s9, 6
	s_cselect_b64 s[2:3], -1, 0
	s_xor_b64 s[14:15], vcc, -1
	s_or_b64 s[2:3], s[14:15], s[2:3]
	s_and_b64 s[2:3], exec, s[2:3]
	v_add_u32_e32 v13, 4, v13
	s_or_b64 s[12:13], s[2:3], s[12:13]
	s_mov_b32 s9, s16
	s_andn2_b64 exec, exec, s[12:13]
	s_cbranch_execz .LBB376_17
.LBB376_15:                             ;   Parent Loop BB376_5 Depth=1
                                        ; =>  This Inner Loop Header: Depth=2
	v_cmp_ne_u32_e32 vcc, s9, v14
	v_cmp_eq_u32_e64 s[2:3], s9, v14
	s_and_saveexec_b64 s[14:15], s[2:3]
	s_cbranch_execz .LBB376_14
; %bb.16:                               ;   in Loop: Header=BB376_15 Depth=2
	scratch_load_dword v15, v13, off
	s_waitcnt vmcnt(0)
	v_add_f32_e32 v5, v5, v15
	global_store_dword v[8:9], v12, off offset:8
	s_branch .LBB376_14
.LBB376_17:                             ;   in Loop: Header=BB376_5 Depth=1
	s_or_b64 exec, exec, s[12:13]
	global_load_dword v6, v[6:7], off offset:12
	v_mov_b32_e32 v7, 0
	s_mov_b32 s9, 0
	s_mov_b64 s[12:13], 0
	s_waitcnt vmcnt(0)
	v_add_u32_e32 v12, v11, v6
	s_branch .LBB376_19
.LBB376_18:                             ;   in Loop: Header=BB376_19 Depth=2
	s_or_b64 exec, exec, s[14:15]
	s_add_i32 s16, s9, 1
	s_cmp_gt_u32 s9, 6
	s_cselect_b64 s[2:3], -1, 0
	s_xor_b64 s[14:15], vcc, -1
	s_or_b64 s[2:3], s[14:15], s[2:3]
	s_and_b64 s[2:3], exec, s[2:3]
	v_add_u32_e32 v7, 4, v7
	s_or_b64 s[12:13], s[2:3], s[12:13]
	s_mov_b32 s9, s16
	s_andn2_b64 exec, exec, s[12:13]
	s_cbranch_execz .LBB376_4
.LBB376_19:                             ;   Parent Loop BB376_5 Depth=1
                                        ; =>  This Inner Loop Header: Depth=2
	v_cmp_ne_u32_e32 vcc, s9, v12
	v_cmp_eq_u32_e64 s[2:3], s9, v12
	s_and_saveexec_b64 s[14:15], s[2:3]
	s_cbranch_execz .LBB376_18
; %bb.20:                               ;   in Loop: Header=BB376_19 Depth=2
	scratch_load_dword v13, v7, off
	s_waitcnt vmcnt(0)
	v_add_f32_e32 v5, v5, v13
	global_store_dword v[8:9], v6, off offset:12
	s_branch .LBB376_18
.LBB376_21:
	s_and_b32 s14, s33, 3
	s_cmp_eq_u32 s14, 0
	s_mov_b32 s9, 0
	s_cbranch_scc1 .LBB376_28
; %bb.22:
	v_lshlrev_b32_e32 v1, 3, v4
	v_sub_u32_e32 v1, 0, v1
	s_mov_b32 s15, s9
	s_branch .LBB376_24
.LBB376_23:                             ;   in Loop: Header=BB376_24 Depth=1
	s_or_b64 exec, exec, s[10:11]
	s_add_i32 s8, s8, 1
	s_add_i32 s15, s15, 1
	s_cmp_lg_u32 s15, s14
	s_cbranch_scc0 .LBB376_28
.LBB376_24:                             ; =>This Loop Header: Depth=1
                                        ;     Child Loop BB376_26 Depth 2
	v_lshl_add_u64 v[6:7], s[8:9], 2, v[2:3]
	global_load_dword v4, v[6:7], off
	v_add_u32_e32 v6, s8, v0
	v_ashrrev_i32_e32 v7, 31, v6
	v_mov_b32_e32 v8, 0
	s_mov_b32 s16, 0
	s_waitcnt lgkmcnt(0)
	v_lshl_add_u64 v[6:7], v[6:7], 2, s[6:7]
	s_mov_b64 s[10:11], 0
	s_waitcnt vmcnt(0)
	v_add_u32_e32 v9, v1, v4
	s_branch .LBB376_26
.LBB376_25:                             ;   in Loop: Header=BB376_26 Depth=2
	s_or_b64 exec, exec, s[12:13]
	s_add_i32 s17, s16, 1
	s_cmp_gt_u32 s16, 6
	s_cselect_b64 s[2:3], -1, 0
	s_xor_b64 s[12:13], vcc, -1
	s_or_b64 s[2:3], s[12:13], s[2:3]
	s_and_b64 s[2:3], exec, s[2:3]
	v_add_u32_e32 v8, 4, v8
	s_or_b64 s[10:11], s[2:3], s[10:11]
	s_mov_b32 s16, s17
	s_andn2_b64 exec, exec, s[10:11]
	s_cbranch_execz .LBB376_23
.LBB376_26:                             ;   Parent Loop BB376_24 Depth=1
                                        ; =>  This Inner Loop Header: Depth=2
	v_cmp_ne_u32_e32 vcc, s16, v9
	v_cmp_eq_u32_e64 s[2:3], s16, v9
	s_and_saveexec_b64 s[12:13], s[2:3]
	s_cbranch_execz .LBB376_25
; %bb.27:                               ;   in Loop: Header=BB376_26 Depth=2
	scratch_load_dword v11, v8, off
	s_waitcnt vmcnt(0)
	v_add_f32_e32 v5, v5, v11
	global_store_dword v[6:7], v4, off
	s_branch .LBB376_25
.LBB376_28:
	s_waitcnt lgkmcnt(0)
	s_load_dword s6, s[0:1], 0x3c
	s_waitcnt lgkmcnt(0)
	s_bitcmp1_b32 s6, 0
	s_cselect_b64 s[2:3], -1, 0
	s_bitcmp0_b32 s6, 0
	s_cbranch_scc0 .LBB376_32
; %bb.29:
	s_load_dwordx2 s[6:7], s[0:1], 0x40
	s_andn2_b64 vcc, exec, s[2:3]
	s_waitcnt lgkmcnt(0)
	v_cvt_f32_f64_e32 v8, s[6:7]
	s_cbranch_vccz .LBB376_33
.LBB376_30:
	s_andn2_b64 vcc, exec, s[4:5]
	s_cbranch_vccz .LBB376_34
.LBB376_31:
	s_endpgm
.LBB376_32:
	v_mbcnt_lo_u32_b32 v1, -1, 0
	v_mbcnt_hi_u32_b32 v1, -1, v1
	v_and_b32_e32 v6, 0x7e, v1
	v_xor_b32_e32 v4, 1, v1
	v_add_u32_e32 v6, 2, v6
	v_cmp_lt_i32_e32 vcc, v4, v6
	s_nop 1
	v_cndmask_b32_e32 v1, v1, v4, vcc
	v_lshlrev_b32_e32 v1, 2, v1
	ds_bpermute_b32 v1, v1, v5
	s_waitcnt lgkmcnt(0)
	v_add_f32_e32 v5, v5, v1
	s_load_dwordx2 s[6:7], s[0:1], 0x40
	s_andn2_b64 vcc, exec, s[2:3]
	s_waitcnt lgkmcnt(0)
	v_cvt_f32_f64_e32 v8, s[6:7]
	s_cbranch_vccnz .LBB376_30
.LBB376_33:
	v_cmp_lt_f32_e32 vcc, 0, v5
	s_nop 1
	v_cndmask_b32_e32 v1, 1.0, v5, vcc
	v_div_scale_f32 v4, s[2:3], v1, v1, v8
	v_rcp_f32_e32 v5, v4
	s_nop 0
	v_fma_f32 v6, -v4, v5, 1.0
	v_fmac_f32_e32 v5, v6, v5
	v_div_scale_f32 v6, vcc, v8, v1, v8
	v_mul_f32_e32 v7, v6, v5
	v_fma_f32 v9, -v4, v7, v6
	v_fmac_f32_e32 v7, v9, v5
	v_fma_f32 v4, -v4, v7, v6
	v_div_fmas_f32 v4, v4, v5, v7
	v_div_fixup_f32 v8, v4, v1, v8
	s_andn2_b64 vcc, exec, s[4:5]
	s_cbranch_vccnz .LBB376_31
.LBB376_34:
	s_load_dwordx2 s[12:13], s[0:1], 0x10
	v_mov_b32_e32 v1, 0
	v_or_b32_e32 v20, 4, v1
	v_or_b32_e32 v18, 8, v1
	;; [unrolled: 1-line block ×3, first 2 shown]
	v_add_u32_e32 v14, 16, v1
	v_add_u32_e32 v12, 20, v1
	v_add_u32_e32 v9, 24, v1
	v_add_u32_e32 v11, 28, v1
	v_or_b32_e32 v23, 1, v10
	v_or_b32_e32 v22, 2, v10
	;; [unrolled: 1-line block ×7, first 2 shown]
	s_cmp_eq_u32 s33, 1
	s_mov_b32 s14, 0
	s_cbranch_scc1 .LBB376_69
; %bb.35:
	v_ashrrev_i32_e32 v1, 31, v0
	s_waitcnt lgkmcnt(0)
	v_lshl_add_u64 v[4:5], v[0:1], 2, s[12:13]
	s_and_b32 s14, s33, 0x7ffffffe
	v_lshl_add_u64 v[4:5], v[4:5], 0, 4
	v_lshl_add_u64 v[6:7], v[2:3], 0, 4
	s_mov_b32 s15, 0
	s_branch .LBB376_37
.LBB376_36:                             ;   in Loop: Header=BB376_37 Depth=1
	s_or_b64 exec, exec, s[0:1]
	s_add_i32 s15, s15, 2
	v_lshl_add_u64 v[4:5], v[4:5], 0, 8
	s_cmp_eq_u32 s14, s15
	v_lshl_add_u64 v[6:7], v[6:7], 0, 8
	s_cbranch_scc1 .LBB376_69
.LBB376_37:                             ; =>This Inner Loop Header: Depth=1
	global_load_dword v24, v[6:7], off offset:-4
	v_mov_b32_e32 v1, 0
	s_waitcnt vmcnt(0)
	v_cmp_eq_u32_e32 vcc, v24, v10
	v_cmp_ne_u32_e64 s[0:1], v24, v10
	s_and_saveexec_b64 s[16:17], s[0:1]
	s_cbranch_execz .LBB376_51
; %bb.38:                               ;   in Loop: Header=BB376_37 Depth=1
	v_cmp_eq_u32_e64 s[0:1], v24, v23
	v_cmp_ne_u32_e64 s[2:3], v24, v23
	v_mov_b32_e32 v1, v20
	s_and_saveexec_b64 s[18:19], s[2:3]
	s_cbranch_execz .LBB376_50
; %bb.39:                               ;   in Loop: Header=BB376_37 Depth=1
	v_cmp_eq_u32_e64 s[2:3], v24, v22
	v_cmp_ne_u32_e64 s[4:5], v24, v22
	v_mov_b32_e32 v1, v18
	;; [unrolled: 6-line block ×6, first 2 shown]
	s_and_saveexec_b64 s[30:31], s[10:11]
	s_xor_b64 s[30:31], exec, s[30:31]
; %bb.44:                               ;   in Loop: Header=BB376_37 Depth=1
	v_cmp_eq_u32_e64 s[10:11], v24, v13
	s_andn2_b64 s[28:29], s[28:29], exec
	s_and_b64 s[10:11], s[10:11], exec
	s_or_b64 s[28:29], s[28:29], s[10:11]
	v_mov_b32_e32 v1, v11
; %bb.45:                               ;   in Loop: Header=BB376_37 Depth=1
	s_or_b64 exec, exec, s[30:31]
	s_andn2_b64 s[8:9], s[8:9], exec
	s_and_b64 s[10:11], s[28:29], exec
	s_or_b64 s[8:9], s[8:9], s[10:11]
.LBB376_46:                             ;   in Loop: Header=BB376_37 Depth=1
	s_or_b64 exec, exec, s[26:27]
	s_andn2_b64 s[6:7], s[6:7], exec
	s_and_b64 s[8:9], s[8:9], exec
	s_or_b64 s[6:7], s[6:7], s[8:9]
.LBB376_47:                             ;   in Loop: Header=BB376_37 Depth=1
	s_or_b64 exec, exec, s[24:25]
	s_andn2_b64 s[4:5], s[4:5], exec
	s_and_b64 s[6:7], s[6:7], exec
	s_or_b64 s[4:5], s[4:5], s[6:7]
.LBB376_48:                             ;   in Loop: Header=BB376_37 Depth=1
	s_or_b64 exec, exec, s[22:23]
	s_andn2_b64 s[2:3], s[2:3], exec
	s_and_b64 s[4:5], s[4:5], exec
	s_or_b64 s[2:3], s[2:3], s[4:5]
.LBB376_49:                             ;   in Loop: Header=BB376_37 Depth=1
	s_or_b64 exec, exec, s[20:21]
	s_andn2_b64 s[0:1], s[0:1], exec
	s_and_b64 s[2:3], s[2:3], exec
	s_or_b64 s[0:1], s[0:1], s[2:3]
.LBB376_50:                             ;   in Loop: Header=BB376_37 Depth=1
	s_or_b64 exec, exec, s[18:19]
	s_andn2_b64 s[2:3], vcc, exec
	s_and_b64 s[0:1], s[0:1], exec
	s_or_b64 vcc, s[2:3], s[0:1]
.LBB376_51:                             ;   in Loop: Header=BB376_37 Depth=1
	s_or_b64 exec, exec, s[16:17]
	s_and_saveexec_b64 s[0:1], vcc
	s_cbranch_execz .LBB376_53
; %bb.52:                               ;   in Loop: Header=BB376_37 Depth=1
	scratch_load_dword v1, v1, off
	v_add_u32_e32 v24, s15, v0
	v_ashrrev_i32_e32 v25, 31, v24
	v_lshl_add_u64 v[24:25], v[24:25], 2, s[12:13]
	s_waitcnt vmcnt(0)
	v_mul_f32_e32 v1, v8, v1
	global_store_dword v[24:25], v1, off
.LBB376_53:                             ;   in Loop: Header=BB376_37 Depth=1
	s_or_b64 exec, exec, s[0:1]
	global_load_dword v24, v[6:7], off
	v_mov_b32_e32 v1, 0
	s_waitcnt vmcnt(0)
	v_cmp_eq_u32_e64 s[8:9], v24, v10
	v_cmp_ne_u32_e32 vcc, v24, v10
	s_and_saveexec_b64 s[10:11], vcc
	s_cbranch_execz .LBB376_67
; %bb.54:                               ;   in Loop: Header=BB376_37 Depth=1
	v_cmp_eq_u32_e32 vcc, v24, v23
	v_cmp_ne_u32_e64 s[0:1], v24, v23
	v_mov_b32_e32 v1, v20
	s_and_saveexec_b64 s[16:17], s[0:1]
	s_cbranch_execz .LBB376_66
; %bb.55:                               ;   in Loop: Header=BB376_37 Depth=1
	v_cmp_eq_u32_e64 s[0:1], v24, v22
	v_cmp_ne_u32_e64 s[2:3], v24, v22
	v_mov_b32_e32 v1, v18
	s_and_saveexec_b64 s[18:19], s[2:3]
	s_cbranch_execz .LBB376_65
; %bb.56:                               ;   in Loop: Header=BB376_37 Depth=1
	v_cmp_eq_u32_e64 s[2:3], v24, v21
	;; [unrolled: 6-line block ×5, first 2 shown]
	v_cmp_ne_u32_e64 s[6:7], v24, v15
	v_mov_b32_e32 v1, v9
	s_and_saveexec_b64 s[30:31], s[6:7]
; %bb.60:                               ;   in Loop: Header=BB376_37 Depth=1
	v_cmp_eq_u32_e64 s[6:7], v24, v13
	s_andn2_b64 s[28:29], s[28:29], exec
	s_and_b64 s[6:7], s[6:7], exec
	s_or_b64 s[28:29], s[28:29], s[6:7]
	v_mov_b32_e32 v1, v11
; %bb.61:                               ;   in Loop: Header=BB376_37 Depth=1
	s_or_b64 exec, exec, s[30:31]
	s_andn2_b64 s[6:7], s[24:25], exec
	s_and_b64 s[24:25], s[28:29], exec
	s_or_b64 s[24:25], s[6:7], s[24:25]
.LBB376_62:                             ;   in Loop: Header=BB376_37 Depth=1
	s_or_b64 exec, exec, s[26:27]
	s_andn2_b64 s[4:5], s[4:5], exec
	s_and_b64 s[6:7], s[24:25], exec
	s_or_b64 s[4:5], s[4:5], s[6:7]
.LBB376_63:                             ;   in Loop: Header=BB376_37 Depth=1
	s_or_b64 exec, exec, s[22:23]
	s_andn2_b64 s[2:3], s[2:3], exec
	s_and_b64 s[4:5], s[4:5], exec
	s_or_b64 s[2:3], s[2:3], s[4:5]
.LBB376_64:                             ;   in Loop: Header=BB376_37 Depth=1
	s_or_b64 exec, exec, s[20:21]
	s_andn2_b64 s[0:1], s[0:1], exec
	s_and_b64 s[2:3], s[2:3], exec
	s_or_b64 s[0:1], s[0:1], s[2:3]
.LBB376_65:                             ;   in Loop: Header=BB376_37 Depth=1
	s_or_b64 exec, exec, s[18:19]
	s_andn2_b64 s[2:3], vcc, exec
	s_and_b64 s[0:1], s[0:1], exec
	s_or_b64 vcc, s[2:3], s[0:1]
.LBB376_66:                             ;   in Loop: Header=BB376_37 Depth=1
	s_or_b64 exec, exec, s[16:17]
	s_andn2_b64 s[0:1], s[8:9], exec
	s_and_b64 s[2:3], vcc, exec
	s_or_b64 s[8:9], s[0:1], s[2:3]
.LBB376_67:                             ;   in Loop: Header=BB376_37 Depth=1
	s_or_b64 exec, exec, s[10:11]
	s_and_saveexec_b64 s[0:1], s[8:9]
	s_cbranch_execz .LBB376_36
; %bb.68:                               ;   in Loop: Header=BB376_37 Depth=1
	scratch_load_dword v1, v1, off
	s_waitcnt vmcnt(0)
	v_mul_f32_e32 v1, v8, v1
	global_store_dword v[4:5], v1, off
	s_branch .LBB376_36
.LBB376_69:
	s_bitcmp0_b32 s33, 0
	s_mov_b32 s15, 0
	s_cbranch_scc1 .LBB376_31
; %bb.70:
	v_lshl_add_u64 v[2:3], s[14:15], 2, v[2:3]
	global_load_dword v1, v[2:3], off
	v_mov_b32_e32 v2, 0
	s_waitcnt vmcnt(0)
	v_cmp_eq_u32_e64 s[8:9], v1, v10
	v_cmp_ne_u32_e32 vcc, v1, v10
	s_and_saveexec_b64 s[10:11], vcc
	s_cbranch_execz .LBB376_84
; %bb.71:
	v_cmp_eq_u32_e32 vcc, v1, v23
	v_cmp_ne_u32_e64 s[0:1], v1, v23
	s_and_saveexec_b64 s[16:17], s[0:1]
	s_cbranch_execz .LBB376_83
; %bb.72:
	v_cmp_eq_u32_e64 s[0:1], v1, v22
	v_cmp_ne_u32_e64 s[2:3], v1, v22
	s_and_saveexec_b64 s[18:19], s[2:3]
	s_cbranch_execz .LBB376_82
; %bb.73:
	v_cmp_eq_u32_e64 s[2:3], v1, v21
	;; [unrolled: 5-line block ×5, first 2 shown]
	v_cmp_ne_u32_e64 s[6:7], v1, v15
	s_and_saveexec_b64 s[30:31], s[6:7]
; %bb.77:
	v_cmp_eq_u32_e64 s[6:7], v1, v13
	s_andn2_b64 s[28:29], s[28:29], exec
	s_and_b64 s[6:7], s[6:7], exec
	s_or_b64 s[28:29], s[28:29], s[6:7]
	v_mov_b32_e32 v9, v11
; %bb.78:
	s_or_b64 exec, exec, s[30:31]
	s_andn2_b64 s[6:7], s[24:25], exec
	s_and_b64 s[24:25], s[28:29], exec
	s_or_b64 s[24:25], s[6:7], s[24:25]
	v_mov_b32_e32 v12, v9
.LBB376_79:
	s_or_b64 exec, exec, s[26:27]
	s_andn2_b64 s[4:5], s[4:5], exec
	s_and_b64 s[6:7], s[24:25], exec
	s_or_b64 s[4:5], s[4:5], s[6:7]
	v_mov_b32_e32 v14, v12
.LBB376_80:
	s_or_b64 exec, exec, s[22:23]
	s_andn2_b64 s[2:3], s[2:3], exec
	s_and_b64 s[4:5], s[4:5], exec
	s_or_b64 s[2:3], s[2:3], s[4:5]
	v_mov_b32_e32 v16, v14
.LBB376_81:
	s_or_b64 exec, exec, s[20:21]
	s_andn2_b64 s[0:1], s[0:1], exec
	s_and_b64 s[2:3], s[2:3], exec
	s_or_b64 s[0:1], s[0:1], s[2:3]
	v_mov_b32_e32 v18, v16
.LBB376_82:
	s_or_b64 exec, exec, s[18:19]
	s_andn2_b64 s[2:3], vcc, exec
	s_and_b64 s[0:1], s[0:1], exec
	s_or_b64 vcc, s[2:3], s[0:1]
	v_mov_b32_e32 v20, v18
.LBB376_83:
	s_or_b64 exec, exec, s[16:17]
	s_andn2_b64 s[0:1], s[8:9], exec
	s_and_b64 s[2:3], vcc, exec
	s_or_b64 s[8:9], s[0:1], s[2:3]
	v_mov_b32_e32 v2, v20
.LBB376_84:
	s_or_b64 exec, exec, s[10:11]
	s_and_b64 exec, exec, s[8:9]
	s_cbranch_execz .LBB376_31
; %bb.85:
	scratch_load_dword v2, v2, off
	v_add_u32_e32 v0, s14, v0
	v_ashrrev_i32_e32 v1, 31, v0
	s_waitcnt lgkmcnt(0)
	v_lshl_add_u64 v[0:1], v[0:1], 2, s[12:13]
	s_waitcnt vmcnt(0)
	v_mul_f32_e32 v2, v8, v2
	global_store_dword v[0:1], v2, off
	s_endpgm
	.section	.rodata,"a",@progbits
	.p2align	6, 0x0
	.amdhsa_kernel _ZN4vllm3moe22topkGatingSoftplusSqrtILi8ELi16ELi4ELi16ELi64ELb1Ei14__hip_bfloat16EEvPKT6_PKbPfiPT5_PiiiibdPKfPKS9_SF_
		.amdhsa_group_segment_fixed_size 0
		.amdhsa_private_segment_fixed_size 48
		.amdhsa_kernarg_size 96
		.amdhsa_user_sgpr_count 2
		.amdhsa_user_sgpr_dispatch_ptr 0
		.amdhsa_user_sgpr_queue_ptr 0
		.amdhsa_user_sgpr_kernarg_segment_ptr 1
		.amdhsa_user_sgpr_dispatch_id 0
		.amdhsa_user_sgpr_kernarg_preload_length 0
		.amdhsa_user_sgpr_kernarg_preload_offset 0
		.amdhsa_user_sgpr_private_segment_size 0
		.amdhsa_uses_dynamic_stack 0
		.amdhsa_enable_private_segment 1
		.amdhsa_system_sgpr_workgroup_id_x 1
		.amdhsa_system_sgpr_workgroup_id_y 0
		.amdhsa_system_sgpr_workgroup_id_z 0
		.amdhsa_system_sgpr_workgroup_info 0
		.amdhsa_system_vgpr_workitem_id 1
		.amdhsa_next_free_vgpr 28
		.amdhsa_next_free_sgpr 34
		.amdhsa_accum_offset 28
		.amdhsa_reserve_vcc 1
		.amdhsa_float_round_mode_32 0
		.amdhsa_float_round_mode_16_64 0
		.amdhsa_float_denorm_mode_32 3
		.amdhsa_float_denorm_mode_16_64 3
		.amdhsa_dx10_clamp 1
		.amdhsa_ieee_mode 1
		.amdhsa_fp16_overflow 0
		.amdhsa_tg_split 0
		.amdhsa_exception_fp_ieee_invalid_op 0
		.amdhsa_exception_fp_denorm_src 0
		.amdhsa_exception_fp_ieee_div_zero 0
		.amdhsa_exception_fp_ieee_overflow 0
		.amdhsa_exception_fp_ieee_underflow 0
		.amdhsa_exception_fp_ieee_inexact 0
		.amdhsa_exception_int_div_zero 0
	.end_amdhsa_kernel
	.section	.text._ZN4vllm3moe22topkGatingSoftplusSqrtILi8ELi16ELi4ELi16ELi64ELb1Ei14__hip_bfloat16EEvPKT6_PKbPfiPT5_PiiiibdPKfPKS9_SF_,"axG",@progbits,_ZN4vllm3moe22topkGatingSoftplusSqrtILi8ELi16ELi4ELi16ELi64ELb1Ei14__hip_bfloat16EEvPKT6_PKbPfiPT5_PiiiibdPKfPKS9_SF_,comdat
.Lfunc_end376:
	.size	_ZN4vllm3moe22topkGatingSoftplusSqrtILi8ELi16ELi4ELi16ELi64ELb1Ei14__hip_bfloat16EEvPKT6_PKbPfiPT5_PiiiibdPKfPKS9_SF_, .Lfunc_end376-_ZN4vllm3moe22topkGatingSoftplusSqrtILi8ELi16ELi4ELi16ELi64ELb1Ei14__hip_bfloat16EEvPKT6_PKbPfiPT5_PiiiibdPKfPKS9_SF_
                                        ; -- End function
	.section	.AMDGPU.csdata,"",@progbits
; Kernel info:
; codeLenInByte = 4432
; NumSgprs: 40
; NumVgprs: 28
; NumAgprs: 0
; TotalNumVgprs: 28
; ScratchSize: 48
; MemoryBound: 0
; FloatMode: 240
; IeeeMode: 1
; LDSByteSize: 0 bytes/workgroup (compile time only)
; SGPRBlocks: 4
; VGPRBlocks: 3
; NumSGPRsForWavesPerEU: 40
; NumVGPRsForWavesPerEU: 28
; AccumOffset: 28
; Occupancy: 8
; WaveLimiterHint : 1
; COMPUTE_PGM_RSRC2:SCRATCH_EN: 1
; COMPUTE_PGM_RSRC2:USER_SGPR: 2
; COMPUTE_PGM_RSRC2:TRAP_HANDLER: 0
; COMPUTE_PGM_RSRC2:TGID_X_EN: 1
; COMPUTE_PGM_RSRC2:TGID_Y_EN: 0
; COMPUTE_PGM_RSRC2:TGID_Z_EN: 0
; COMPUTE_PGM_RSRC2:TIDIG_COMP_CNT: 1
; COMPUTE_PGM_RSRC3_GFX90A:ACCUM_OFFSET: 6
; COMPUTE_PGM_RSRC3_GFX90A:TG_SPLIT: 0
	.section	.text._ZN4vllm3moe22topkGatingSoftplusSqrtILi8ELi16ELi4ELi16ELi64ELb0Ei14__hip_bfloat16EEvPKT6_PKbPfiPT5_PiiiibdPKfPKS9_SF_,"axG",@progbits,_ZN4vllm3moe22topkGatingSoftplusSqrtILi8ELi16ELi4ELi16ELi64ELb0Ei14__hip_bfloat16EEvPKT6_PKbPfiPT5_PiiiibdPKfPKS9_SF_,comdat
	.protected	_ZN4vllm3moe22topkGatingSoftplusSqrtILi8ELi16ELi4ELi16ELi64ELb0Ei14__hip_bfloat16EEvPKT6_PKbPfiPT5_PiiiibdPKfPKS9_SF_ ; -- Begin function _ZN4vllm3moe22topkGatingSoftplusSqrtILi8ELi16ELi4ELi16ELi64ELb0Ei14__hip_bfloat16EEvPKT6_PKbPfiPT5_PiiiibdPKfPKS9_SF_
	.globl	_ZN4vllm3moe22topkGatingSoftplusSqrtILi8ELi16ELi4ELi16ELi64ELb0Ei14__hip_bfloat16EEvPKT6_PKbPfiPT5_PiiiibdPKfPKS9_SF_
	.p2align	8
	.type	_ZN4vllm3moe22topkGatingSoftplusSqrtILi8ELi16ELi4ELi16ELi64ELb0Ei14__hip_bfloat16EEvPKT6_PKbPfiPT5_PiiiibdPKfPKS9_SF_,@function
_ZN4vllm3moe22topkGatingSoftplusSqrtILi8ELi16ELi4ELi16ELi64ELb0Ei14__hip_bfloat16EEvPKT6_PKbPfiPT5_PiiiibdPKfPKS9_SF_: ; @_ZN4vllm3moe22topkGatingSoftplusSqrtILi8ELi16ELi4ELi16ELi64ELb0Ei14__hip_bfloat16EEvPKT6_PKbPfiPT5_PiiiibdPKfPKS9_SF_
; %bb.0:
	s_load_dword s33, s[0:1], 0x18
	v_bfe_u32 v1, v0, 10, 10
	v_and_b32_e32 v0, 0x3ff, v0
	s_lshl_b32 s2, s2, 7
	v_lshlrev_b32_e32 v1, 5, v1
	v_lshrrev_b32_e32 v2, 1, v0
	v_add3_u32 v8, s2, v1, v2
	s_waitcnt lgkmcnt(0)
	v_cmp_gt_i32_e32 vcc, s33, v8
	s_and_saveexec_b64 s[2:3], vcc
	s_cbranch_execz .LBB377_49
; %bb.1:
	s_load_dwordx4 s[4:7], s[0:1], 0x0
	s_load_dwordx2 s[34:35], s[0:1], 0x10
	s_waitcnt lgkmcnt(0)
	s_cmp_eq_u64 s[6:7], 0
	s_cbranch_scc1 .LBB377_3
; %bb.2:
	v_ashrrev_i32_e32 v9, 31, v8
	v_lshl_add_u64 v[2:3], s[6:7], 0, v[8:9]
	global_load_ubyte v1, v[2:3], off
	s_waitcnt vmcnt(0)
	v_and_b32_e32 v1, 1, v1
	v_cmp_eq_u32_e32 vcc, 1, v1
	s_xor_b64 s[2:3], vcc, -1
	s_orn2_b64 s[36:37], s[2:3], exec
	s_branch .LBB377_4
.LBB377_3:
	s_mov_b64 s[36:37], -1
.LBB377_4:
	v_lshlrev_b32_e32 v4, 4, v8
	v_mov_b32_e32 v2, s4
	v_mov_b32_e32 v3, s5
	v_ashrrev_i32_e32 v5, 31, v4
	v_and_b32_e32 v9, 1, v0
	v_lshl_add_u64 v[2:3], v[4:5], 1, v[2:3]
	v_mov_b32_e32 v1, 0
	v_lshlrev_b32_e32 v0, 4, v9
	v_lshl_add_u64 v[0:1], v[2:3], 0, v[0:1]
	global_load_dwordx4 v[4:7], v[0:1], off
	s_mov_b32 s12, 0x800000
	v_mov_b32_e32 v2, 0x4f800000
	s_mov_b32 s9, 0x3f317217
	s_mov_b32 s10, 0x7f800000
	v_mov_b32_e32 v3, 0x41b17218
	s_mov_b32 s8, 0x41a00000
	s_mov_b32 s11, 0xf800000
	s_load_dwordx4 s[20:23], s[0:1], 0x40
	v_lshlrev_b32_e32 v12, 3, v9
	s_waitcnt lgkmcnt(0)
	s_cmp_lg_u64 s[22:23], 0
	s_cselect_b64 s[6:7], -1, 0
	s_and_b64 s[2:3], exec, s[6:7]
	s_waitcnt vmcnt(0)
	v_lshlrev_b32_e32 v0, 16, v4
	v_mul_f32_e32 v1, 0x3fb8aa3b, v0
	v_exp_f32_e32 v10, v1
	v_mov_b32_e32 v1, 0x260
	v_add_f32_e32 v10, 1.0, v10
	v_cmp_gt_f32_e32 vcc, s12, v10
	s_nop 1
	v_cndmask_b32_e32 v11, 1.0, v2, vcc
	v_mul_f32_e32 v10, v10, v11
	v_log_f32_e32 v11, v10
	v_cndmask_b32_e32 v13, 0, v3, vcc
	v_lshlrev_b32_e32 v10, 2, v12
	v_mul_f32_e32 v14, 0x3f317217, v11
	v_fma_f32 v14, v11, s9, -v14
	v_fmac_f32_e32 v14, 0x3377d1cf, v11
	v_fmac_f32_e32 v14, 0x3f317217, v11
	v_cmp_lt_f32_e64 vcc, |v11|, s10
	s_nop 1
	v_cndmask_b32_e32 v11, v11, v14, vcc
	v_sub_f32_e32 v11, v11, v13
	v_cmp_lt_f32_e32 vcc, s8, v0
	s_nop 1
	v_cndmask_b32_e32 v0, v11, v0, vcc
	v_mul_f32_e32 v11, 0x4f800000, v0
	v_cmp_gt_f32_e32 vcc, s11, v0
	s_nop 1
	v_cndmask_b32_e32 v0, v0, v11, vcc
	v_sqrt_f32_e32 v11, v0
	s_nop 0
	v_add_u32_e32 v13, -1, v11
	v_add_u32_e32 v14, 1, v11
	v_fma_f32 v15, -v13, v11, v0
	v_fma_f32 v16, -v14, v11, v0
	v_cmp_ge_f32_e64 s[4:5], 0, v15
	s_nop 1
	v_cndmask_b32_e64 v11, v11, v13, s[4:5]
	v_cmp_lt_f32_e64 s[4:5], 0, v16
	s_nop 1
	v_cndmask_b32_e64 v11, v11, v14, s[4:5]
	v_mul_f32_e32 v13, 0x37800000, v11
	v_cndmask_b32_e32 v11, v11, v13, vcc
	v_cmp_class_f32_e32 vcc, v0, v1
	s_nop 1
	v_cndmask_b32_e32 v0, v11, v0, vcc
	s_mov_b64 vcc, s[2:3]
	s_cbranch_vccz .LBB377_6
; %bb.5:
	global_load_dword v11, v10, s[22:23]
	s_waitcnt vmcnt(0)
	v_add_f32_e32 v0, v0, v11
.LBB377_6:
	v_and_b32_e32 v4, 0xffff0000, v4
	v_mul_f32_e32 v11, 0x3fb8aa3b, v4
	v_exp_f32_e32 v11, v11
	s_nop 0
	v_add_f32_e32 v11, 1.0, v11
	v_cmp_gt_f32_e32 vcc, s12, v11
	s_nop 1
	v_cndmask_b32_e32 v2, 1.0, v2, vcc
	v_mul_f32_e32 v2, v11, v2
	v_log_f32_e32 v2, v2
	v_cndmask_b32_e32 v3, 0, v3, vcc
	v_mul_f32_e32 v11, 0x3f317217, v2
	v_fma_f32 v11, v2, s9, -v11
	v_fmac_f32_e32 v11, 0x3377d1cf, v2
	v_fmac_f32_e32 v11, 0x3f317217, v2
	v_cmp_lt_f32_e64 vcc, |v2|, s10
	s_nop 1
	v_cndmask_b32_e32 v2, v2, v11, vcc
	v_sub_f32_e32 v2, v2, v3
	v_cmp_lt_f32_e32 vcc, s8, v4
	s_nop 1
	v_cndmask_b32_e32 v2, v2, v4, vcc
	v_mul_f32_e32 v3, 0x4f800000, v2
	v_cmp_gt_f32_e32 vcc, s11, v2
	s_nop 1
	v_cndmask_b32_e32 v2, v2, v3, vcc
	v_sqrt_f32_e32 v3, v2
	v_cmp_class_f32_e64 s[4:5], v2, v1
	v_add_u32_e32 v4, -1, v3
	v_add_u32_e32 v11, 1, v3
	v_fma_f32 v13, -v4, v3, v2
	v_fma_f32 v14, -v11, v3, v2
	v_cmp_ge_f32_e64 s[2:3], 0, v13
	s_nop 1
	v_cndmask_b32_e64 v3, v3, v4, s[2:3]
	v_cmp_lt_f32_e64 s[2:3], 0, v14
	s_nop 1
	v_cndmask_b32_e64 v3, v3, v11, s[2:3]
	v_mul_f32_e32 v4, 0x37800000, v3
	v_cndmask_b32_e32 v3, v3, v4, vcc
	v_cndmask_b32_e64 v4, 0, 1, s[6:7]
	v_cmp_ne_u32_e64 s[2:3], 1, v4
	s_andn2_b64 vcc, exec, s[6:7]
	v_cndmask_b32_e64 v1, v3, v2, s[4:5]
	s_cbranch_vccnz .LBB377_8
; %bb.7:
	global_load_dword v2, v10, s[22:23] offset:4
	s_waitcnt vmcnt(0)
	v_add_f32_e32 v1, v1, v2
.LBB377_8:
	v_lshlrev_b32_e32 v2, 16, v5
	v_mul_f32_e32 v3, 0x3fb8aa3b, v2
	v_exp_f32_e32 v3, v3
	s_mov_b32 s10, 0x800000
	v_mov_b32_e32 v4, 0x4f800000
	s_mov_b32 s7, 0x3f317217
	v_add_f32_e32 v3, 1.0, v3
	v_cmp_gt_f32_e32 vcc, s10, v3
	s_mov_b32 s8, 0x7f800000
	s_mov_b32 s6, 0x41a00000
	v_cndmask_b32_e32 v11, 1.0, v4, vcc
	v_mul_f32_e32 v3, v3, v11
	v_log_f32_e32 v3, v3
	s_mov_b32 s9, 0xf800000
	v_mul_f32_e32 v11, 0x3f317217, v3
	v_fma_f32 v11, v3, s7, -v11
	v_fmac_f32_e32 v11, 0x3377d1cf, v3
	v_fmac_f32_e32 v11, 0x3f317217, v3
	v_cmp_lt_f32_e64 s[4:5], |v3|, s8
	s_nop 1
	v_cndmask_b32_e64 v3, v3, v11, s[4:5]
	v_mov_b32_e32 v11, 0x41b17218
	v_cndmask_b32_e32 v13, 0, v11, vcc
	v_sub_f32_e32 v3, v3, v13
	v_cmp_lt_f32_e32 vcc, s6, v2
	s_nop 1
	v_cndmask_b32_e32 v2, v3, v2, vcc
	v_mul_f32_e32 v3, 0x4f800000, v2
	v_cmp_gt_f32_e32 vcc, s9, v2
	s_nop 1
	v_cndmask_b32_e32 v2, v2, v3, vcc
	v_sqrt_f32_e32 v3, v2
	s_nop 0
	v_add_u32_e32 v13, -1, v3
	v_fma_f32 v14, -v13, v3, v2
	v_cmp_ge_f32_e64 s[4:5], 0, v14
	v_add_u32_e32 v14, 1, v3
	s_nop 0
	v_cndmask_b32_e64 v13, v3, v13, s[4:5]
	v_fma_f32 v3, -v14, v3, v2
	v_cmp_lt_f32_e64 s[4:5], 0, v3
	s_nop 1
	v_cndmask_b32_e64 v3, v13, v14, s[4:5]
	v_mul_f32_e32 v13, 0x37800000, v3
	v_cndmask_b32_e32 v13, v3, v13, vcc
	v_mov_b32_e32 v3, 0x260
	v_cmp_class_f32_e64 s[4:5], v2, v3
	s_and_b64 vcc, exec, s[2:3]
	s_nop 0
	v_cndmask_b32_e64 v2, v13, v2, s[4:5]
	s_cbranch_vccnz .LBB377_10
; %bb.9:
	global_load_dword v13, v10, s[22:23] offset:8
	s_waitcnt vmcnt(0)
	v_add_f32_e32 v2, v2, v13
.LBB377_10:
	v_and_b32_e32 v5, 0xffff0000, v5
	v_mul_f32_e32 v13, 0x3fb8aa3b, v5
	v_exp_f32_e32 v13, v13
	s_nop 0
	v_add_f32_e32 v13, 1.0, v13
	v_cmp_gt_f32_e32 vcc, s10, v13
	s_nop 1
	v_cndmask_b32_e32 v4, 1.0, v4, vcc
	v_mul_f32_e32 v4, v13, v4
	v_log_f32_e32 v4, v4
	v_cndmask_b32_e32 v11, 0, v11, vcc
	v_mul_f32_e32 v13, 0x3f317217, v4
	v_fma_f32 v13, v4, s7, -v13
	v_fmac_f32_e32 v13, 0x3377d1cf, v4
	v_fmac_f32_e32 v13, 0x3f317217, v4
	v_cmp_lt_f32_e64 vcc, |v4|, s8
	s_nop 1
	v_cndmask_b32_e32 v4, v4, v13, vcc
	v_sub_f32_e32 v4, v4, v11
	v_cmp_lt_f32_e32 vcc, s6, v5
	s_nop 1
	v_cndmask_b32_e32 v4, v4, v5, vcc
	v_mul_f32_e32 v5, 0x4f800000, v4
	v_cmp_gt_f32_e32 vcc, s9, v4
	s_nop 1
	v_cndmask_b32_e32 v4, v4, v5, vcc
	v_sqrt_f32_e32 v5, v4
	s_nop 0
	v_add_u32_e32 v11, -1, v5
	v_add_u32_e32 v13, 1, v5
	v_fma_f32 v14, -v11, v5, v4
	v_fma_f32 v15, -v13, v5, v4
	v_cmp_ge_f32_e64 s[4:5], 0, v14
	s_nop 1
	v_cndmask_b32_e64 v5, v5, v11, s[4:5]
	v_cmp_lt_f32_e64 s[4:5], 0, v15
	s_nop 1
	v_cndmask_b32_e64 v5, v5, v13, s[4:5]
	v_mul_f32_e32 v11, 0x37800000, v5
	v_cndmask_b32_e32 v5, v5, v11, vcc
	v_cmp_class_f32_e64 s[4:5], v4, v3
	s_and_b64 vcc, exec, s[2:3]
	s_nop 0
	v_cndmask_b32_e64 v3, v5, v4, s[4:5]
	s_cbranch_vccnz .LBB377_12
; %bb.11:
	global_load_dword v4, v10, s[22:23] offset:12
	s_waitcnt vmcnt(0)
	v_add_f32_e32 v3, v3, v4
.LBB377_12:
	v_lshlrev_b32_e32 v4, 16, v6
	v_mul_f32_e32 v5, 0x3fb8aa3b, v4
	v_exp_f32_e32 v5, v5
	v_mov_b32_e32 v11, 0x4f800000
	v_add_f32_e32 v5, 1.0, v5
	v_cmp_gt_f32_e32 vcc, s10, v5
	s_nop 1
	v_cndmask_b32_e32 v13, 1.0, v11, vcc
	v_mul_f32_e32 v5, v5, v13
	v_log_f32_e32 v5, v5
	s_nop 0
	v_mul_f32_e32 v13, 0x3f317217, v5
	v_fma_f32 v13, v5, s7, -v13
	v_fmac_f32_e32 v13, 0x3377d1cf, v5
	v_fmac_f32_e32 v13, 0x3f317217, v5
	v_cmp_lt_f32_e64 s[4:5], |v5|, s8
	s_nop 1
	v_cndmask_b32_e64 v5, v5, v13, s[4:5]
	v_mov_b32_e32 v13, 0x41b17218
	v_cndmask_b32_e32 v14, 0, v13, vcc
	v_sub_f32_e32 v5, v5, v14
	v_cmp_lt_f32_e32 vcc, s6, v4
	s_nop 1
	v_cndmask_b32_e32 v4, v5, v4, vcc
	v_mul_f32_e32 v5, 0x4f800000, v4
	v_cmp_gt_f32_e32 vcc, s9, v4
	s_nop 1
	v_cndmask_b32_e32 v4, v4, v5, vcc
	v_sqrt_f32_e32 v5, v4
	s_nop 0
	v_add_u32_e32 v14, -1, v5
	v_fma_f32 v15, -v14, v5, v4
	v_cmp_ge_f32_e64 s[4:5], 0, v15
	v_add_u32_e32 v15, 1, v5
	s_nop 0
	v_cndmask_b32_e64 v14, v5, v14, s[4:5]
	v_fma_f32 v5, -v15, v5, v4
	v_cmp_lt_f32_e64 s[4:5], 0, v5
	s_nop 1
	v_cndmask_b32_e64 v5, v14, v15, s[4:5]
	v_mul_f32_e32 v14, 0x37800000, v5
	v_cndmask_b32_e32 v14, v5, v14, vcc
	v_mov_b32_e32 v5, 0x260
	v_cmp_class_f32_e64 s[4:5], v4, v5
	s_and_b64 vcc, exec, s[2:3]
	s_nop 0
	v_cndmask_b32_e64 v4, v14, v4, s[4:5]
	s_cbranch_vccnz .LBB377_14
; %bb.13:
	global_load_dword v14, v10, s[22:23] offset:16
	s_waitcnt vmcnt(0)
	v_add_f32_e32 v4, v4, v14
.LBB377_14:
	v_and_b32_e32 v6, 0xffff0000, v6
	v_mul_f32_e32 v14, 0x3fb8aa3b, v6
	v_exp_f32_e32 v14, v14
	s_nop 0
	v_add_f32_e32 v14, 1.0, v14
	v_cmp_gt_f32_e32 vcc, s10, v14
	s_nop 1
	v_cndmask_b32_e32 v11, 1.0, v11, vcc
	v_mul_f32_e32 v11, v14, v11
	v_log_f32_e32 v11, v11
	v_cndmask_b32_e32 v13, 0, v13, vcc
	v_mul_f32_e32 v14, 0x3f317217, v11
	v_fma_f32 v14, v11, s7, -v14
	v_fmac_f32_e32 v14, 0x3377d1cf, v11
	v_fmac_f32_e32 v14, 0x3f317217, v11
	v_cmp_lt_f32_e64 vcc, |v11|, s8
	s_nop 1
	v_cndmask_b32_e32 v11, v11, v14, vcc
	v_sub_f32_e32 v11, v11, v13
	v_cmp_lt_f32_e32 vcc, s6, v6
	s_nop 1
	v_cndmask_b32_e32 v6, v11, v6, vcc
	v_mul_f32_e32 v11, 0x4f800000, v6
	v_cmp_gt_f32_e32 vcc, s9, v6
	s_nop 1
	v_cndmask_b32_e32 v6, v6, v11, vcc
	v_sqrt_f32_e32 v11, v6
	s_nop 0
	v_add_u32_e32 v13, -1, v11
	v_add_u32_e32 v14, 1, v11
	v_fma_f32 v15, -v13, v11, v6
	v_fma_f32 v16, -v14, v11, v6
	v_cmp_ge_f32_e64 s[4:5], 0, v15
	s_nop 1
	v_cndmask_b32_e64 v11, v11, v13, s[4:5]
	v_cmp_lt_f32_e64 s[4:5], 0, v16
	s_nop 1
	v_cndmask_b32_e64 v11, v11, v14, s[4:5]
	v_mul_f32_e32 v13, 0x37800000, v11
	v_cndmask_b32_e32 v11, v11, v13, vcc
	v_cmp_class_f32_e64 s[4:5], v6, v5
	s_and_b64 vcc, exec, s[2:3]
	s_nop 0
	v_cndmask_b32_e64 v5, v11, v6, s[4:5]
	s_cbranch_vccnz .LBB377_16
; %bb.15:
	global_load_dword v6, v10, s[22:23] offset:20
	s_waitcnt vmcnt(0)
	v_add_f32_e32 v5, v5, v6
.LBB377_16:
	v_lshlrev_b32_e32 v6, 16, v7
	v_mul_f32_e32 v11, 0x3fb8aa3b, v6
	v_exp_f32_e32 v11, v11
	v_mov_b32_e32 v13, 0x4f800000
	v_add_f32_e32 v11, 1.0, v11
	v_cmp_gt_f32_e32 vcc, s10, v11
	s_nop 1
	v_cndmask_b32_e32 v14, 1.0, v13, vcc
	v_mul_f32_e32 v11, v11, v14
	v_log_f32_e32 v11, v11
	s_nop 0
	v_mul_f32_e32 v14, 0x3f317217, v11
	v_fma_f32 v14, v11, s7, -v14
	v_fmac_f32_e32 v14, 0x3377d1cf, v11
	v_fmac_f32_e32 v14, 0x3f317217, v11
	v_cmp_lt_f32_e64 s[4:5], |v11|, s8
	s_nop 1
	v_cndmask_b32_e64 v11, v11, v14, s[4:5]
	v_mov_b32_e32 v14, 0x41b17218
	v_cndmask_b32_e32 v15, 0, v14, vcc
	v_sub_f32_e32 v11, v11, v15
	v_cmp_lt_f32_e32 vcc, s6, v6
	s_nop 1
	v_cndmask_b32_e32 v6, v11, v6, vcc
	v_mul_f32_e32 v11, 0x4f800000, v6
	v_cmp_gt_f32_e32 vcc, s9, v6
	s_nop 1
	v_cndmask_b32_e32 v6, v6, v11, vcc
	v_sqrt_f32_e32 v11, v6
	s_nop 0
	v_add_u32_e32 v15, -1, v11
	v_fma_f32 v16, -v15, v11, v6
	v_cmp_ge_f32_e64 s[4:5], 0, v16
	v_add_u32_e32 v16, 1, v11
	s_nop 0
	v_cndmask_b32_e64 v15, v11, v15, s[4:5]
	v_fma_f32 v11, -v16, v11, v6
	v_cmp_lt_f32_e64 s[4:5], 0, v11
	s_nop 1
	v_cndmask_b32_e64 v11, v15, v16, s[4:5]
	v_mul_f32_e32 v15, 0x37800000, v11
	v_cndmask_b32_e32 v15, v11, v15, vcc
	v_mov_b32_e32 v11, 0x260
	v_cmp_class_f32_e64 s[4:5], v6, v11
	s_and_b64 vcc, exec, s[2:3]
	s_nop 0
	v_cndmask_b32_e64 v6, v15, v6, s[4:5]
	s_cbranch_vccnz .LBB377_18
; %bb.17:
	global_load_dword v15, v10, s[22:23] offset:24
	s_waitcnt vmcnt(0)
	v_add_f32_e32 v6, v6, v15
.LBB377_18:
	v_and_b32_e32 v7, 0xffff0000, v7
	v_mul_f32_e32 v15, 0x3fb8aa3b, v7
	v_exp_f32_e32 v15, v15
	s_nop 0
	v_add_f32_e32 v15, 1.0, v15
	v_cmp_gt_f32_e32 vcc, s10, v15
	s_nop 1
	v_cndmask_b32_e32 v13, 1.0, v13, vcc
	v_mul_f32_e32 v13, v15, v13
	v_log_f32_e32 v13, v13
	v_cndmask_b32_e32 v14, 0, v14, vcc
	v_mul_f32_e32 v15, 0x3f317217, v13
	v_fma_f32 v15, v13, s7, -v15
	v_fmac_f32_e32 v15, 0x3377d1cf, v13
	v_fmac_f32_e32 v15, 0x3f317217, v13
	v_cmp_lt_f32_e64 vcc, |v13|, s8
	s_nop 1
	v_cndmask_b32_e32 v13, v13, v15, vcc
	v_sub_f32_e32 v13, v13, v14
	v_cmp_lt_f32_e32 vcc, s6, v7
	s_nop 1
	v_cndmask_b32_e32 v7, v13, v7, vcc
	v_mul_f32_e32 v13, 0x4f800000, v7
	v_cmp_gt_f32_e32 vcc, s9, v7
	s_nop 1
	v_cndmask_b32_e32 v7, v7, v13, vcc
	v_sqrt_f32_e32 v13, v7
	s_nop 0
	v_add_u32_e32 v14, -1, v13
	v_add_u32_e32 v15, 1, v13
	v_fma_f32 v16, -v14, v13, v7
	v_fma_f32 v17, -v15, v13, v7
	v_cmp_ge_f32_e64 s[4:5], 0, v16
	s_nop 1
	v_cndmask_b32_e64 v13, v13, v14, s[4:5]
	v_cmp_lt_f32_e64 s[4:5], 0, v17
	s_nop 1
	v_cndmask_b32_e64 v13, v13, v15, s[4:5]
	v_mul_f32_e32 v14, 0x37800000, v13
	v_cndmask_b32_e32 v13, v13, v14, vcc
	v_cmp_class_f32_e64 s[4:5], v7, v11
	s_and_b64 vcc, exec, s[2:3]
	s_nop 0
	v_cndmask_b32_e64 v7, v13, v7, s[4:5]
	s_cbranch_vccnz .LBB377_20
; %bb.19:
	global_load_dword v10, v10, s[22:23] offset:28
	s_waitcnt vmcnt(0)
	v_add_f32_e32 v7, v7, v10
.LBB377_20:
	s_load_dwordx4 s[24:27], s[0:1], 0x30
	s_mov_b32 s42, 0
	v_cmp_eq_u32_e64 s[6:7], 0, v9
	s_waitcnt lgkmcnt(0)
	s_bitcmp1_b32 s27, 0
	s_cselect_b64 s[4:5], -1, 0
	s_cmp_gt_i32 s24, 0
	s_cselect_b64 s[38:39], -1, 0
	s_and_b64 vcc, exec, s[38:39]
	s_cbranch_vccz .LBB377_35
; %bb.21:
	v_mbcnt_lo_u32_b32 v10, -1, 0
	v_mbcnt_hi_u32_b32 v10, -1, v10
	s_load_dwordx4 s[28:31], s[0:1], 0x20
	v_and_b32_e32 v13, 0x7e, v10
	v_xor_b32_e32 v11, 1, v10
	v_add_u32_e32 v13, 2, v13
	v_cmp_lt_i32_e32 vcc, v11, v13
	v_mul_lo_u32 v15, v8, s24
	v_mov_b32_e32 v13, 0
	v_cndmask_b32_e32 v10, v10, v11, vcc
	v_lshlrev_b32_e32 v14, 2, v10
	v_mov_b32_e32 v16, 0xc61c4000
	v_mov_b32_e32 v17, v8
	s_branch .LBB377_24
.LBB377_22:                             ;   in Loop: Header=BB377_24 Depth=1
	s_or_b64 exec, exec, s[40:41]
.LBB377_23:                             ;   in Loop: Header=BB377_24 Depth=1
	s_cmp_eq_u32 s24, s42
	v_add_u32_e32 v17, s33, v17
	s_cbranch_scc1 .LBB377_36
.LBB377_24:                             ; =>This Inner Loop Header: Depth=1
	v_cmp_gt_f32_e32 vcc, v1, v0
	s_nop 1
	v_cndmask_b32_e32 v11, v0, v1, vcc
	v_cndmask_b32_e64 v10, 0, 1, vcc
	v_cmp_gt_f32_e32 vcc, v2, v11
	s_nop 1
	v_cndmask_b32_e32 v11, v11, v2, vcc
	v_cndmask_b32_e64 v10, v10, 2, vcc
	;; [unrolled: 4-line block ×6, first 2 shown]
	v_cmp_gt_f32_e32 vcc, v7, v11
	s_nop 1
	v_cndmask_b32_e64 v10, v10, 7, vcc
	v_cndmask_b32_e32 v18, v11, v7, vcc
	ds_bpermute_b32 v11, v14, v18
	v_or_b32_e32 v10, v12, v10
	ds_bpermute_b32 v19, v14, v10
	s_waitcnt lgkmcnt(0)
	v_cmp_lt_f32_e64 s[8:9], v18, v11
	v_cmp_nlt_f32_e32 vcc, v18, v11
	s_and_saveexec_b64 s[10:11], vcc
	s_cbranch_execnz .LBB377_28
; %bb.25:                               ;   in Loop: Header=BB377_24 Depth=1
	s_or_b64 exec, exec, s[10:11]
	s_and_saveexec_b64 s[0:1], s[8:9]
	s_cbranch_execnz .LBB377_29
.LBB377_26:                             ;   in Loop: Header=BB377_24 Depth=1
	s_or_b64 exec, exec, s[0:1]
	s_and_saveexec_b64 s[8:9], s[6:7]
	s_cbranch_execnz .LBB377_30
.LBB377_27:                             ;   in Loop: Header=BB377_24 Depth=1
	s_or_b64 exec, exec, s[8:9]
	s_add_i32 s42, s42, 1
	s_cmp_ge_i32 s42, s24
	s_cbranch_scc1 .LBB377_23
	s_branch .LBB377_33
.LBB377_28:                             ;   in Loop: Header=BB377_24 Depth=1
	v_cmp_eq_f32_e32 vcc, v18, v11
	v_cmp_lt_i32_e64 s[0:1], v19, v10
	s_and_b64 s[0:1], vcc, s[0:1]
	s_andn2_b64 s[8:9], s[8:9], exec
	s_and_b64 s[0:1], s[0:1], exec
	s_or_b64 s[8:9], s[8:9], s[0:1]
	s_or_b64 exec, exec, s[10:11]
	s_and_saveexec_b64 s[0:1], s[8:9]
	s_cbranch_execz .LBB377_26
.LBB377_29:                             ;   in Loop: Header=BB377_24 Depth=1
	v_mov_b32_e32 v10, v19
	v_mov_b32_e32 v18, v11
	s_or_b64 exec, exec, s[0:1]
	s_and_saveexec_b64 s[8:9], s[6:7]
	s_cbranch_execz .LBB377_27
.LBB377_30:                             ;   in Loop: Header=BB377_24 Depth=1
	s_and_b64 vcc, exec, s[2:3]
	s_cbranch_vccnz .LBB377_32
; %bb.31:                               ;   in Loop: Header=BB377_24 Depth=1
	v_ashrrev_i32_e32 v11, 31, v10
	v_lshl_add_u64 v[20:21], v[10:11], 2, s[22:23]
	global_load_dword v11, v[20:21], off
	s_waitcnt vmcnt(0)
	v_sub_f32_e32 v18, v18, v11
.LBB377_32:                             ;   in Loop: Header=BB377_24 Depth=1
	v_add_u32_e32 v20, s42, v15
	v_cmp_le_i32_e32 vcc, s25, v10
	v_cmp_gt_i32_e64 s[0:1], s26, v10
	v_ashrrev_i32_e32 v21, 31, v20
	s_and_b64 s[0:1], vcc, s[0:1]
	v_lshlrev_b64 v[20:21], 2, v[20:21]
	v_lshl_add_u64 v[22:23], s[34:35], 0, v[20:21]
	v_subrev_u32_e32 v11, s25, v10
	s_and_b64 vcc, s[36:37], s[0:1]
	global_store_dword v[22:23], v18, off
	v_cndmask_b32_e32 v11, 16, v11, vcc
	v_lshl_add_u64 v[22:23], s[28:29], 0, v[20:21]
	global_store_dword v[22:23], v11, off
	v_add_f32_e32 v11, v13, v18
	v_lshl_add_u64 v[20:21], s[30:31], 0, v[20:21]
	v_cndmask_b32_e64 v13, v13, v11, s[4:5]
	global_store_dword v[20:21], v17, off
	s_or_b64 exec, exec, s[8:9]
	s_add_i32 s42, s42, 1
	s_cmp_ge_i32 s42, s24
	s_cbranch_scc1 .LBB377_23
.LBB377_33:                             ;   in Loop: Header=BB377_24 Depth=1
	v_ashrrev_i32_e32 v18, 31, v10
	v_lshrrev_b32_e32 v11, 29, v18
	v_add_u32_e32 v19, v10, v11
	v_ashrrev_i32_e32 v11, 3, v19
	v_lshrrev_b32_e32 v19, 31, v19
	v_add_u32_e32 v19, v11, v19
	v_and_b32_e32 v19, -2, v19
	v_sub_u32_e32 v19, v11, v19
	v_cmp_eq_u32_e32 vcc, v9, v19
	s_and_saveexec_b64 s[40:41], vcc
	s_cbranch_execz .LBB377_22
; %bb.34:                               ;   in Loop: Header=BB377_24 Depth=1
	v_lshrrev_b32_e32 v18, 28, v18
	v_add_u32_e32 v18, v10, v18
	v_lshlrev_b32_e32 v11, 3, v11
	v_sub_u32_e32 v10, v10, v11
	v_ashrrev_i32_e32 v11, 4, v18
	v_lshl_add_u32 v10, v11, 3, v10
	v_cmp_ne_u32_e32 vcc, 6, v10
	v_cmp_ne_u32_e64 s[0:1], 5, v10
	v_cmp_ne_u32_e64 s[8:9], 4, v10
	;; [unrolled: 1-line block ×7, first 2 shown]
	v_cndmask_b32_e32 v6, v16, v6, vcc
	v_cndmask_b32_e64 v5, v16, v5, s[0:1]
	v_cndmask_b32_e64 v7, v16, v7, s[18:19]
	;; [unrolled: 1-line block ×7, first 2 shown]
	s_branch .LBB377_22
.LBB377_35:
	v_mov_b32_e32 v13, 0
.LBB377_36:
	v_cmp_eq_u32_e32 vcc, 0, v9
	s_and_b64 exec, exec, vcc
	s_cbranch_execz .LBB377_49
; %bb.37:
	s_andn2_b64 vcc, exec, s[4:5]
	v_cvt_f32_f64_e32 v0, s[20:21]
	s_cbranch_vccnz .LBB377_39
; %bb.38:
	v_cmp_lt_f32_e32 vcc, 0, v13
	s_nop 1
	v_cndmask_b32_e32 v1, 1.0, v13, vcc
	v_div_scale_f32 v2, s[0:1], v1, v1, v0
	v_rcp_f32_e32 v3, v2
	s_nop 0
	v_fma_f32 v4, -v2, v3, 1.0
	v_fmac_f32_e32 v3, v4, v3
	v_div_scale_f32 v4, vcc, v0, v1, v0
	v_mul_f32_e32 v5, v4, v3
	v_fma_f32 v6, -v2, v5, v4
	v_fmac_f32_e32 v5, v6, v3
	v_fma_f32 v2, -v2, v5, v4
	v_div_fmas_f32 v2, v2, v3, v5
	v_div_fixup_f32 v0, v2, v1, v0
.LBB377_39:
	s_andn2_b64 vcc, exec, s[38:39]
	s_cbranch_vccnz .LBB377_49
; %bb.40:
	v_mul_lo_u32 v2, v8, s24
	s_cmp_gt_u32 s24, 3
	v_ashrrev_i32_e32 v3, 31, v2
	s_cbranch_scc0 .LBB377_44
; %bb.41:
	s_and_b32 s0, s24, 0x7ffffffc
	v_lshl_add_u64 v[4:5], v[2:3], 2, s[34:35]
	v_mov_b32_e32 v1, v0
	v_lshl_add_u64 v[4:5], v[4:5], 0, 8
	s_mov_b32 s1, s0
.LBB377_42:                             ; =>This Inner Loop Header: Depth=1
	global_load_dwordx4 v[6:9], v[4:5], off offset:-8
	s_add_i32 s1, s1, -4
	s_cmp_lg_u32 s1, 0
	s_waitcnt vmcnt(0)
	v_pk_mul_f32 v[6:7], v[0:1], v[6:7]
	v_pk_mul_f32 v[8:9], v[0:1], v[8:9]
	global_store_dwordx4 v[4:5], v[6:9], off offset:-8
	v_lshl_add_u64 v[4:5], v[4:5], 0, 16
	s_cbranch_scc1 .LBB377_42
; %bb.43:
	s_cmp_lg_u32 s0, s24
	s_cselect_b64 s[2:3], -1, 0
	s_branch .LBB377_46
.LBB377_44:
	s_mov_b64 s[2:3], 0
                                        ; implicit-def: $sgpr0
	s_cbranch_execz .LBB377_46
; %bb.45:
	s_mov_b64 s[2:3], -1
	s_mov_b32 s0, 0
.LBB377_46:
	s_andn2_b64 vcc, exec, s[2:3]
	s_cbranch_vccnz .LBB377_49
; %bb.47:
	s_mov_b32 s1, 0
	v_lshl_add_u64 v[2:3], v[2:3], 0, s[0:1]
	s_sub_i32 s2, s24, s0
	v_lshl_add_u64 v[2:3], v[2:3], 2, s[34:35]
.LBB377_48:                             ; =>This Inner Loop Header: Depth=1
	global_load_dword v1, v[2:3], off
	s_add_i32 s2, s2, -1
	s_cmp_lg_u32 s2, 0
	s_waitcnt vmcnt(0)
	v_mul_f32_e32 v1, v0, v1
	global_store_dword v[2:3], v1, off
	v_lshl_add_u64 v[2:3], v[2:3], 0, 4
	s_cbranch_scc1 .LBB377_48
.LBB377_49:
	s_endpgm
	.section	.rodata,"a",@progbits
	.p2align	6, 0x0
	.amdhsa_kernel _ZN4vllm3moe22topkGatingSoftplusSqrtILi8ELi16ELi4ELi16ELi64ELb0Ei14__hip_bfloat16EEvPKT6_PKbPfiPT5_PiiiibdPKfPKS9_SF_
		.amdhsa_group_segment_fixed_size 0
		.amdhsa_private_segment_fixed_size 0
		.amdhsa_kernarg_size 96
		.amdhsa_user_sgpr_count 2
		.amdhsa_user_sgpr_dispatch_ptr 0
		.amdhsa_user_sgpr_queue_ptr 0
		.amdhsa_user_sgpr_kernarg_segment_ptr 1
		.amdhsa_user_sgpr_dispatch_id 0
		.amdhsa_user_sgpr_kernarg_preload_length 0
		.amdhsa_user_sgpr_kernarg_preload_offset 0
		.amdhsa_user_sgpr_private_segment_size 0
		.amdhsa_uses_dynamic_stack 0
		.amdhsa_enable_private_segment 0
		.amdhsa_system_sgpr_workgroup_id_x 1
		.amdhsa_system_sgpr_workgroup_id_y 0
		.amdhsa_system_sgpr_workgroup_id_z 0
		.amdhsa_system_sgpr_workgroup_info 0
		.amdhsa_system_vgpr_workitem_id 1
		.amdhsa_next_free_vgpr 24
		.amdhsa_next_free_sgpr 43
		.amdhsa_accum_offset 24
		.amdhsa_reserve_vcc 1
		.amdhsa_float_round_mode_32 0
		.amdhsa_float_round_mode_16_64 0
		.amdhsa_float_denorm_mode_32 3
		.amdhsa_float_denorm_mode_16_64 3
		.amdhsa_dx10_clamp 1
		.amdhsa_ieee_mode 1
		.amdhsa_fp16_overflow 0
		.amdhsa_tg_split 0
		.amdhsa_exception_fp_ieee_invalid_op 0
		.amdhsa_exception_fp_denorm_src 0
		.amdhsa_exception_fp_ieee_div_zero 0
		.amdhsa_exception_fp_ieee_overflow 0
		.amdhsa_exception_fp_ieee_underflow 0
		.amdhsa_exception_fp_ieee_inexact 0
		.amdhsa_exception_int_div_zero 0
	.end_amdhsa_kernel
	.section	.text._ZN4vllm3moe22topkGatingSoftplusSqrtILi8ELi16ELi4ELi16ELi64ELb0Ei14__hip_bfloat16EEvPKT6_PKbPfiPT5_PiiiibdPKfPKS9_SF_,"axG",@progbits,_ZN4vllm3moe22topkGatingSoftplusSqrtILi8ELi16ELi4ELi16ELi64ELb0Ei14__hip_bfloat16EEvPKT6_PKbPfiPT5_PiiiibdPKfPKS9_SF_,comdat
.Lfunc_end377:
	.size	_ZN4vllm3moe22topkGatingSoftplusSqrtILi8ELi16ELi4ELi16ELi64ELb0Ei14__hip_bfloat16EEvPKT6_PKbPfiPT5_PiiiibdPKfPKS9_SF_, .Lfunc_end377-_ZN4vllm3moe22topkGatingSoftplusSqrtILi8ELi16ELi4ELi16ELi64ELb0Ei14__hip_bfloat16EEvPKT6_PKbPfiPT5_PiiiibdPKfPKS9_SF_
                                        ; -- End function
	.section	.AMDGPU.csdata,"",@progbits
; Kernel info:
; codeLenInByte = 3620
; NumSgprs: 49
; NumVgprs: 24
; NumAgprs: 0
; TotalNumVgprs: 24
; ScratchSize: 0
; MemoryBound: 0
; FloatMode: 240
; IeeeMode: 1
; LDSByteSize: 0 bytes/workgroup (compile time only)
; SGPRBlocks: 6
; VGPRBlocks: 2
; NumSGPRsForWavesPerEU: 49
; NumVGPRsForWavesPerEU: 24
; AccumOffset: 24
; Occupancy: 8
; WaveLimiterHint : 0
; COMPUTE_PGM_RSRC2:SCRATCH_EN: 0
; COMPUTE_PGM_RSRC2:USER_SGPR: 2
; COMPUTE_PGM_RSRC2:TRAP_HANDLER: 0
; COMPUTE_PGM_RSRC2:TGID_X_EN: 1
; COMPUTE_PGM_RSRC2:TGID_Y_EN: 0
; COMPUTE_PGM_RSRC2:TGID_Z_EN: 0
; COMPUTE_PGM_RSRC2:TIDIG_COMP_CNT: 1
; COMPUTE_PGM_RSRC3_GFX90A:ACCUM_OFFSET: 5
; COMPUTE_PGM_RSRC3_GFX90A:TG_SPLIT: 0
	.section	.text._ZN4vllm3moe22topkGatingSoftplusSqrtILi8ELi16ELi4ELi16ELi32ELb1Ei14__hip_bfloat16EEvPKT6_PKbPfiPT5_PiiiibdPKfPKS9_SF_,"axG",@progbits,_ZN4vllm3moe22topkGatingSoftplusSqrtILi8ELi16ELi4ELi16ELi32ELb1Ei14__hip_bfloat16EEvPKT6_PKbPfiPT5_PiiiibdPKfPKS9_SF_,comdat
	.protected	_ZN4vllm3moe22topkGatingSoftplusSqrtILi8ELi16ELi4ELi16ELi32ELb1Ei14__hip_bfloat16EEvPKT6_PKbPfiPT5_PiiiibdPKfPKS9_SF_ ; -- Begin function _ZN4vllm3moe22topkGatingSoftplusSqrtILi8ELi16ELi4ELi16ELi32ELb1Ei14__hip_bfloat16EEvPKT6_PKbPfiPT5_PiiiibdPKfPKS9_SF_
	.globl	_ZN4vllm3moe22topkGatingSoftplusSqrtILi8ELi16ELi4ELi16ELi32ELb1Ei14__hip_bfloat16EEvPKT6_PKbPfiPT5_PiiiibdPKfPKS9_SF_
	.p2align	8
	.type	_ZN4vllm3moe22topkGatingSoftplusSqrtILi8ELi16ELi4ELi16ELi32ELb1Ei14__hip_bfloat16EEvPKT6_PKbPfiPT5_PiiiibdPKfPKS9_SF_,@function
_ZN4vllm3moe22topkGatingSoftplusSqrtILi8ELi16ELi4ELi16ELi32ELb1Ei14__hip_bfloat16EEvPKT6_PKbPfiPT5_PiiiibdPKfPKS9_SF_: ; @_ZN4vllm3moe22topkGatingSoftplusSqrtILi8ELi16ELi4ELi16ELi32ELb1Ei14__hip_bfloat16EEvPKT6_PKbPfiPT5_PiiiibdPKfPKS9_SF_
; %bb.0:
	s_load_dword s3, s[0:1], 0x18
	v_bfe_u32 v1, v0, 10, 10
	v_and_b32_e32 v8, 0x3ff, v0
	s_lshl_b32 s2, s2, 6
	v_lshlrev_b32_e32 v1, 4, v1
	v_lshrrev_b32_e32 v0, 1, v8
	v_add3_u32 v6, s2, v1, v0
	s_waitcnt lgkmcnt(0)
	v_cmp_gt_i32_e32 vcc, s3, v6
	s_and_saveexec_b64 s[2:3], vcc
	s_cbranch_execz .LBB378_31
; %bb.1:
	s_load_dwordx2 s[2:3], s[0:1], 0x0
	s_load_dword s33, s[0:1], 0x30
	v_lshlrev_b32_e32 v0, 4, v6
	v_lshlrev_b32_e32 v2, 3, v8
	v_ashrrev_i32_e32 v1, 31, v0
	v_and_b32_e32 v10, 8, v2
	s_waitcnt lgkmcnt(0)
	v_lshl_add_u64 v[0:1], v[0:1], 1, s[2:3]
	v_lshlrev_b32_e32 v4, 1, v10
	v_mov_b32_e32 v5, 0
	v_lshl_add_u64 v[0:1], v[0:1], 0, v[4:5]
	global_load_dwordx4 v[0:3], v[0:1], off
	s_load_dwordx4 s[8:11], s[0:1], 0x50
	v_ashrrev_i32_e32 v7, 31, v6
	s_mov_b32 s15, 0x800000
	s_mov_b32 s13, 0x3f317217
	;; [unrolled: 1-line block ×3, first 2 shown]
	s_waitcnt lgkmcnt(0)
	v_mov_b32_e32 v12, s8
	v_mov_b32_e32 v13, s9
	v_lshl_add_u64 v[12:13], v[6:7], 2, v[12:13]
	global_load_dword v4, v[12:13], off
	v_mov_b32_e32 v7, 0x4f800000
	v_mov_b32_e32 v9, 0x41b17218
	s_mov_b32 s9, 0x41a00000
	s_mov_b32 s12, 0xf800000
	v_mov_b32_e32 v11, 0x260
	s_cmp_gt_i32 s33, 0
	s_mov_b32 s8, 0
	s_waitcnt vmcnt(1)
	v_and_b32_e32 v16, 0xffff0000, v0
	v_lshlrev_b32_e32 v17, 16, v0
	v_and_b32_e32 v18, 0xffff0000, v1
	v_lshlrev_b32_e32 v19, 16, v1
	v_mul_f32_e32 v0, 0x3fb8aa3b, v17
	v_mul_f32_e32 v1, 0x3fb8aa3b, v16
	v_exp_f32_e32 v12, v0
	v_exp_f32_e32 v13, v1
	v_mul_f32_e32 v14, 0x3fb8aa3b, v19
	v_mul_f32_e32 v15, 0x3fb8aa3b, v18
	v_exp_f32_e32 v14, v14
	v_exp_f32_e32 v15, v15
	v_pk_add_f32 v[12:13], v[12:13], 1.0 op_sel_hi:[1,0]
	s_waitcnt vmcnt(0)
	v_mul_lo_u32 v0, v4, s33
	v_cmp_gt_f32_e32 vcc, s15, v13
	v_pk_add_f32 v[14:15], v[14:15], 1.0 op_sel_hi:[1,0]
	v_cmp_gt_f32_e64 s[2:3], s15, v12
	v_cndmask_b32_e32 v4, 1.0, v7, vcc
	v_cmp_gt_f32_e64 s[4:5], s15, v15
	v_cndmask_b32_e64 v20, 1.0, v7, s[2:3]
	v_mul_f32_e32 v4, v13, v4
	v_cndmask_b32_e64 v21, 1.0, v7, s[4:5]
	v_mul_f32_e32 v12, v12, v20
	v_log_f32_e32 v4, v4
	v_mul_f32_e32 v15, v15, v21
	v_log_f32_e32 v12, v12
	v_cmp_gt_f32_e64 s[6:7], s15, v14
	v_log_f32_e32 v15, v15
	v_cndmask_b32_e32 v13, 0, v9, vcc
	v_cndmask_b32_e64 v22, 1.0, v7, s[6:7]
	v_mul_f32_e32 v14, v14, v22
	v_mul_f32_e32 v22, 0x3f317217, v4
	;; [unrolled: 1-line block ×3, first 2 shown]
	v_fma_f32 v22, v4, s13, -v22
	v_mul_f32_e32 v24, 0x3f317217, v15
	v_fma_f32 v23, v12, s13, -v23
	v_fmac_f32_e32 v22, 0x3377d1cf, v4
	v_fma_f32 v24, v15, s13, -v24
	v_fmac_f32_e32 v23, 0x3377d1cf, v12
	v_fmac_f32_e32 v22, 0x3f317217, v4
	v_cmp_lt_f32_e64 vcc, |v4|, s14
	v_fmac_f32_e32 v24, 0x3377d1cf, v15
	v_fmac_f32_e32 v23, 0x3f317217, v12
	v_cndmask_b32_e32 v4, v4, v22, vcc
	v_cmp_lt_f32_e64 vcc, |v12|, s14
	v_cndmask_b32_e64 v20, 0, v9, s[2:3]
	v_fmac_f32_e32 v24, 0x3f317217, v15
	v_cndmask_b32_e32 v12, v12, v23, vcc
	v_cmp_lt_f32_e64 vcc, |v15|, s14
	v_sub_f32_e32 v12, v12, v20
	v_sub_f32_e32 v4, v4, v13
	v_cndmask_b32_e32 v15, v15, v24, vcc
	v_cmp_lt_f32_e32 vcc, s9, v17
	v_cndmask_b32_e64 v21, 0, v9, s[4:5]
	v_sub_f32_e32 v15, v15, v21
	v_cndmask_b32_e32 v12, v12, v17, vcc
	v_cmp_lt_f32_e32 vcc, s9, v16
	v_cmp_gt_f32_e64 s[2:3], s12, v12
	v_log_f32_e32 v14, v14
	v_cndmask_b32_e32 v4, v4, v16, vcc
	v_mul_f32_e32 v13, 0x4f800000, v4
	v_cmp_gt_f32_e32 vcc, s12, v4
	v_mul_f32_e32 v16, 0x4f800000, v12
	v_cndmask_b32_e64 v12, v12, v16, s[2:3]
	v_cndmask_b32_e32 v4, v4, v13, vcc
	v_sqrt_f32_e32 v13, v4
	v_sqrt_f32_e32 v16, v12
	v_mul_f32_e32 v25, 0x3f317217, v14
	v_fma_f32 v25, v14, s13, -v25
	v_add_u32_e32 v17, -1, v13
	v_add_u32_e32 v21, -1, v16
	v_fma_f32 v23, -v17, v13, v4
	v_add_u32_e32 v20, 1, v13
	v_fma_f32 v26, -v21, v16, v12
	v_cmp_ge_f32_e64 s[4:5], 0, v23
	v_add_u32_e32 v22, 1, v16
	v_fma_f32 v24, -v20, v13, v4
	v_cndmask_b32_e64 v13, v13, v17, s[4:5]
	v_cmp_ge_f32_e64 s[4:5], 0, v26
	v_fma_f32 v27, -v22, v16, v12
	v_fmac_f32_e32 v25, 0x3377d1cf, v14
	v_cndmask_b32_e64 v16, v16, v21, s[4:5]
	v_cmp_lt_f32_e64 s[4:5], 0, v24
	v_fmac_f32_e32 v25, 0x3f317217, v14
	v_ashrrev_i32_e32 v1, 31, v0
	v_cndmask_b32_e64 v13, v13, v20, s[4:5]
	v_cmp_lt_f32_e64 s[4:5], 0, v27
	v_mul_f32_e32 v17, 0x37800000, v13
	v_cndmask_b32_e32 v13, v13, v17, vcc
	v_cndmask_b32_e64 v16, v16, v22, s[4:5]
	v_mul_f32_e32 v20, 0x37800000, v16
	v_cmp_class_f32_e32 vcc, v4, v11
	v_cndmask_b32_e64 v16, v16, v20, s[2:3]
	v_cmp_lt_f32_e64 s[2:3], s9, v19
	v_cndmask_b32_e32 v13, v13, v4, vcc
	v_cmp_class_f32_e32 vcc, v12, v11
	v_and_b32_e32 v20, 0xffff0000, v2
	v_lshlrev_b32_e32 v2, 16, v2
	v_cndmask_b32_e32 v12, v16, v12, vcc
	v_cmp_lt_f32_e64 vcc, |v14|, s14
	s_nop 1
	v_cndmask_b32_e32 v4, v14, v25, vcc
	v_cmp_lt_f32_e32 vcc, s9, v18
	v_cndmask_b32_e64 v14, 0, v9, s[6:7]
	v_sub_f32_e32 v4, v4, v14
	v_cndmask_b32_e32 v15, v15, v18, vcc
	v_mul_f32_e32 v16, 0x4f800000, v15
	v_cmp_gt_f32_e32 vcc, s12, v15
	v_cndmask_b32_e64 v4, v4, v19, s[2:3]
	s_nop 0
	v_cndmask_b32_e32 v15, v15, v16, vcc
	v_sqrt_f32_e32 v16, v15
	s_nop 0
	v_add_u32_e32 v14, -1, v16
	v_fma_f32 v17, -v14, v16, v15
	v_cmp_ge_f32_e64 s[2:3], 0, v17
	v_add_u32_e32 v17, 1, v16
	s_nop 0
	v_cndmask_b32_e64 v14, v16, v14, s[2:3]
	v_fma_f32 v16, -v17, v16, v15
	v_cmp_lt_f32_e64 s[2:3], 0, v16
	s_nop 1
	v_cndmask_b32_e64 v14, v14, v17, s[2:3]
	v_mul_f32_e32 v17, 0x4f800000, v4
	v_cmp_gt_f32_e64 s[2:3], s12, v4
	v_mul_f32_e32 v16, 0x37800000, v14
	v_cndmask_b32_e32 v14, v14, v16, vcc
	v_cndmask_b32_e64 v4, v4, v17, s[2:3]
	v_sqrt_f32_e32 v17, v4
	v_cmp_class_f32_e32 vcc, v15, v11
	v_add_u32_e32 v18, 1, v17
	s_nop 0
	v_cndmask_b32_e32 v15, v14, v15, vcc
	v_add_u32_e32 v14, -1, v17
	v_fma_f32 v16, -v14, v17, v4
	v_cmp_ge_f32_e32 vcc, 0, v16
	v_fma_f32 v19, -v18, v17, v4
	v_mul_f32_e32 v16, 0x3fb8aa3b, v2
	v_cndmask_b32_e32 v14, v17, v14, vcc
	v_mul_f32_e32 v17, 0x3fb8aa3b, v20
	v_exp_f32_e32 v16, v16
	v_exp_f32_e32 v17, v17
	v_cmp_lt_f32_e32 vcc, 0, v19
	v_pk_add_f32 v[16:17], v[16:17], 1.0 op_sel_hi:[1,0]
	s_nop 0
	v_cndmask_b32_e32 v14, v14, v18, vcc
	v_mul_f32_e32 v18, 0x37800000, v14
	v_cmp_gt_f32_e32 vcc, s15, v17
	v_cndmask_b32_e64 v14, v14, v18, s[2:3]
	v_cmp_class_f32_e64 s[2:3], v4, v11
	v_cndmask_b32_e32 v18, 1.0, v7, vcc
	v_mul_f32_e32 v17, v17, v18
	v_log_f32_e32 v17, v17
	v_cndmask_b32_e64 v14, v14, v4, s[2:3]
	v_cmp_gt_f32_e64 s[2:3], s15, v16
	scratch_store_dwordx4 off, v[12:15], off
	v_mul_f32_e32 v4, 0x3f317217, v17
	v_fma_f32 v4, v17, s13, -v4
	v_cndmask_b32_e64 v12, 1.0, v7, s[2:3]
	v_mul_f32_e32 v12, v16, v12
	v_log_f32_e32 v12, v12
	v_fmac_f32_e32 v4, 0x3377d1cf, v17
	v_fmac_f32_e32 v4, 0x3f317217, v17
	v_cmp_lt_f32_e64 s[4:5], |v17|, s14
	v_cndmask_b32_e32 v13, 0, v9, vcc
	v_cmp_lt_f32_e64 vcc, |v12|, s14
	v_cndmask_b32_e64 v4, v17, v4, s[4:5]
	v_sub_f32_e32 v4, v4, v13
	v_mul_f32_e32 v13, 0x3f317217, v12
	v_fma_f32 v13, v12, s13, -v13
	v_fmac_f32_e32 v13, 0x3377d1cf, v12
	v_fmac_f32_e32 v13, 0x3f317217, v12
	v_cndmask_b32_e32 v12, v12, v13, vcc
	v_cmp_lt_f32_e32 vcc, s9, v20
	v_cndmask_b32_e64 v13, 0, v9, s[2:3]
	v_sub_f32_e32 v12, v12, v13
	v_cndmask_b32_e32 v4, v4, v20, vcc
	v_mul_f32_e32 v14, 0x4f800000, v4
	v_cmp_gt_f32_e32 vcc, s12, v4
	v_cmp_lt_f32_e64 s[2:3], s9, v2
	v_and_b32_e32 v16, 0xffff0000, v3
	v_cndmask_b32_e32 v4, v4, v14, vcc
	v_sqrt_f32_e32 v14, v4
	v_cndmask_b32_e64 v2, v12, v2, s[2:3]
	v_lshlrev_b32_e32 v17, 16, v3
	v_mul_f32_e32 v3, 0x3fb8aa3b, v16
	v_add_u32_e32 v12, -1, v14
	v_fma_f32 v13, -v12, v14, v4
	v_cmp_ge_f32_e64 s[2:3], 0, v13
	v_add_u32_e32 v13, 1, v14
	v_exp_f32_e32 v3, v3
	v_cndmask_b32_e64 v12, v14, v12, s[2:3]
	v_fma_f32 v14, -v13, v14, v4
	v_cmp_lt_f32_e64 s[2:3], 0, v14
	v_mul_f32_e32 v14, 0x4f800000, v2
	s_nop 0
	v_cndmask_b32_e64 v12, v12, v13, s[2:3]
	v_cmp_gt_f32_e64 s[2:3], s12, v2
	v_mul_f32_e32 v13, 0x37800000, v12
	v_cndmask_b32_e32 v12, v12, v13, vcc
	v_cndmask_b32_e64 v14, v2, v14, s[2:3]
	v_sqrt_f32_e32 v2, v14
	v_cmp_class_f32_e32 vcc, v4, v11
	s_nop 1
	v_cndmask_b32_e32 v13, v12, v4, vcc
	v_add_u32_e32 v4, -1, v2
	v_fma_f32 v12, -v4, v2, v14
	v_cmp_ge_f32_e32 vcc, 0, v12
	v_add_u32_e32 v12, 1, v2
	v_fma_f32 v15, -v12, v2, v14
	v_cndmask_b32_e32 v4, v2, v4, vcc
	v_mul_f32_e32 v2, 0x3fb8aa3b, v17
	v_exp_f32_e32 v2, v2
	v_cmp_lt_f32_e32 vcc, 0, v15
	v_pk_add_f32 v[2:3], v[2:3], 1.0 op_sel_hi:[1,0]
	s_nop 0
	v_cndmask_b32_e32 v4, v4, v12, vcc
	v_cmp_gt_f32_e32 vcc, s15, v3
	v_mul_f32_e32 v12, 0x37800000, v4
	v_cndmask_b32_e64 v4, v4, v12, s[2:3]
	v_cndmask_b32_e32 v15, 1.0, v7, vcc
	v_mul_f32_e32 v3, v3, v15
	v_log_f32_e32 v3, v3
	v_cmp_class_f32_e64 s[2:3], v14, v11
	v_cmp_lt_f32_e64 s[4:5], |v3|, s14
	s_nop 0
	v_cndmask_b32_e64 v12, v4, v14, s[2:3]
	v_cmp_gt_f32_e64 s[2:3], s15, v2
	v_mul_f32_e32 v4, 0x3f317217, v3
	v_fma_f32 v4, v3, s13, -v4
	v_cndmask_b32_e64 v7, 1.0, v7, s[2:3]
	v_mul_f32_e32 v2, v2, v7
	v_log_f32_e32 v2, v2
	v_fmac_f32_e32 v4, 0x3377d1cf, v3
	v_fmac_f32_e32 v4, 0x3f317217, v3
	v_cndmask_b32_e64 v3, v3, v4, s[4:5]
	v_cndmask_b32_e32 v4, 0, v9, vcc
	v_sub_f32_e32 v3, v3, v4
	v_mul_f32_e32 v4, 0x3f317217, v2
	v_fma_f32 v4, v2, s13, -v4
	v_fmac_f32_e32 v4, 0x3377d1cf, v2
	v_fmac_f32_e32 v4, 0x3f317217, v2
	v_cmp_lt_f32_e64 vcc, |v2|, s14
	s_cselect_b64 s[4:5], -1, 0
	s_cmp_lt_i32 s33, 1
	v_cndmask_b32_e32 v2, v2, v4, vcc
	v_cmp_lt_f32_e32 vcc, s9, v16
	v_cndmask_b32_e64 v4, 0, v9, s[2:3]
	v_sub_f32_e32 v2, v2, v4
	v_cndmask_b32_e32 v3, v3, v16, vcc
	v_mul_f32_e32 v7, 0x4f800000, v3
	v_cmp_gt_f32_e32 vcc, s12, v3
	v_cmp_lt_f32_e64 s[2:3], s9, v17
	s_nop 0
	v_cndmask_b32_e32 v3, v3, v7, vcc
	v_sqrt_f32_e32 v7, v3
	v_cndmask_b32_e64 v2, v2, v17, s[2:3]
	v_add_u32_e32 v4, -1, v7
	v_fma_f32 v9, -v4, v7, v3
	v_cmp_ge_f32_e64 s[2:3], 0, v9
	v_add_u32_e32 v9, 1, v7
	s_nop 0
	v_cndmask_b32_e64 v4, v7, v4, s[2:3]
	v_fma_f32 v7, -v9, v7, v3
	v_cmp_lt_f32_e64 s[2:3], 0, v7
	s_nop 1
	v_cndmask_b32_e64 v4, v4, v9, s[2:3]
	v_mul_f32_e32 v9, 0x4f800000, v2
	v_cmp_gt_f32_e64 s[2:3], s12, v2
	v_mul_f32_e32 v7, 0x37800000, v4
	v_cndmask_b32_e32 v4, v4, v7, vcc
	v_cndmask_b32_e64 v2, v2, v9, s[2:3]
	v_sqrt_f32_e32 v9, v2
	v_cmp_class_f32_e32 vcc, v3, v11
	s_nop 1
	v_cndmask_b32_e32 v15, v4, v3, vcc
	v_add_u32_e32 v3, -1, v9
	v_fma_f32 v4, -v3, v9, v2
	v_cmp_ge_f32_e32 vcc, 0, v4
	v_add_u32_e32 v4, 1, v9
	v_fma_f32 v7, -v4, v9, v2
	v_cndmask_b32_e32 v3, v9, v3, vcc
	v_cmp_lt_f32_e32 vcc, 0, v7
	s_nop 1
	v_cndmask_b32_e32 v3, v3, v4, vcc
	v_mul_f32_e32 v4, 0x37800000, v3
	v_cndmask_b32_e64 v3, v3, v4, s[2:3]
	v_cmp_class_f32_e32 vcc, v2, v11
	s_nop 1
	v_cndmask_b32_e32 v14, v3, v2, vcc
	v_lshl_add_u64 v[2:3], v[0:1], 2, s[10:11]
	v_mul_lo_u32 v0, v6, s33
	scratch_store_dwordx4 off, v[12:15], off offset:16
	s_cbranch_scc1 .LBB378_28
; %bb.2:
	s_load_dwordx2 s[6:7], s[0:1], 0x20
	s_cmp_lt_u32 s33, 4
	v_and_b32_e32 v4, 1, v8
	s_cbranch_scc1 .LBB378_21
; %bb.3:
	v_lshlrev_b32_e32 v5, 3, v4
	s_mov_b32 s11, 0
	s_and_b32 s8, s33, 0x7ffffffc
	v_ashrrev_i32_e32 v1, 31, v0
	v_sub_u32_e32 v11, 0, v5
	v_mov_b32_e32 v5, 0
	s_mov_b32 s10, s11
	s_branch .LBB378_5
.LBB378_4:                              ;   in Loop: Header=BB378_5 Depth=1
	s_or_b64 exec, exec, s[12:13]
	s_add_i32 s10, s10, 4
	s_cmp_eq_u32 s10, s8
	s_cbranch_scc1 .LBB378_21
.LBB378_5:                              ; =>This Loop Header: Depth=1
                                        ;     Child Loop BB378_7 Depth 2
                                        ;     Child Loop BB378_11 Depth 2
	;; [unrolled: 1-line block ×4, first 2 shown]
	v_lshl_add_u64 v[6:7], s[10:11], 2, v[2:3]
	global_load_dword v12, v[6:7], off
	v_add_u32_e32 v8, s10, v0
	v_ashrrev_i32_e32 v9, 31, v8
	v_mov_b32_e32 v13, 0
	s_mov_b64 s[12:13], 0
	s_waitcnt lgkmcnt(0)
	v_lshl_add_u64 v[8:9], v[8:9], 2, s[6:7]
	s_mov_b32 s9, 0
	s_waitcnt vmcnt(0)
	v_add_u32_e32 v14, v11, v12
	s_branch .LBB378_7
.LBB378_6:                              ;   in Loop: Header=BB378_7 Depth=2
	s_or_b64 exec, exec, s[14:15]
	s_add_i32 s16, s9, 1
	s_cmp_gt_u32 s9, 6
	s_cselect_b64 s[2:3], -1, 0
	s_xor_b64 s[14:15], vcc, -1
	s_or_b64 s[2:3], s[14:15], s[2:3]
	s_and_b64 s[2:3], exec, s[2:3]
	v_add_u32_e32 v13, 4, v13
	s_or_b64 s[12:13], s[2:3], s[12:13]
	s_mov_b32 s9, s16
	s_andn2_b64 exec, exec, s[12:13]
	s_cbranch_execz .LBB378_9
.LBB378_7:                              ;   Parent Loop BB378_5 Depth=1
                                        ; =>  This Inner Loop Header: Depth=2
	v_cmp_ne_u32_e32 vcc, s9, v14
	v_cmp_eq_u32_e64 s[2:3], s9, v14
	s_and_saveexec_b64 s[14:15], s[2:3]
	s_cbranch_execz .LBB378_6
; %bb.8:                                ;   in Loop: Header=BB378_7 Depth=2
	scratch_load_dword v15, v13, off
	s_waitcnt vmcnt(0)
	v_add_f32_e32 v5, v5, v15
	global_store_dword v[8:9], v12, off
	s_branch .LBB378_6
.LBB378_9:                              ;   in Loop: Header=BB378_5 Depth=1
	s_or_b64 exec, exec, s[12:13]
	global_load_dword v12, v[6:7], off offset:4
	s_ashr_i32 s3, s10, 31
	s_mov_b32 s2, s10
	v_lshl_add_u64 v[8:9], s[2:3], 0, v[0:1]
	v_mov_b32_e32 v13, 0
	s_mov_b32 s9, 0
	v_lshl_add_u64 v[8:9], v[8:9], 2, s[6:7]
	s_mov_b64 s[12:13], 0
	s_waitcnt vmcnt(0)
	v_add_u32_e32 v14, v11, v12
	s_branch .LBB378_11
.LBB378_10:                             ;   in Loop: Header=BB378_11 Depth=2
	s_or_b64 exec, exec, s[14:15]
	s_add_i32 s16, s9, 1
	s_cmp_gt_u32 s9, 6
	s_cselect_b64 s[2:3], -1, 0
	s_xor_b64 s[14:15], vcc, -1
	s_or_b64 s[2:3], s[14:15], s[2:3]
	s_and_b64 s[2:3], exec, s[2:3]
	v_add_u32_e32 v13, 4, v13
	s_or_b64 s[12:13], s[2:3], s[12:13]
	s_mov_b32 s9, s16
	s_andn2_b64 exec, exec, s[12:13]
	s_cbranch_execz .LBB378_13
.LBB378_11:                             ;   Parent Loop BB378_5 Depth=1
                                        ; =>  This Inner Loop Header: Depth=2
	v_cmp_ne_u32_e32 vcc, s9, v14
	v_cmp_eq_u32_e64 s[2:3], s9, v14
	s_and_saveexec_b64 s[14:15], s[2:3]
	s_cbranch_execz .LBB378_10
; %bb.12:                               ;   in Loop: Header=BB378_11 Depth=2
	scratch_load_dword v15, v13, off
	s_waitcnt vmcnt(0)
	v_add_f32_e32 v5, v5, v15
	global_store_dword v[8:9], v12, off offset:4
	s_branch .LBB378_10
.LBB378_13:                             ;   in Loop: Header=BB378_5 Depth=1
	s_or_b64 exec, exec, s[12:13]
	global_load_dword v12, v[6:7], off offset:8
	v_mov_b32_e32 v13, 0
	s_mov_b32 s9, 0
	s_mov_b64 s[12:13], 0
	s_waitcnt vmcnt(0)
	v_add_u32_e32 v14, v11, v12
	s_branch .LBB378_15
.LBB378_14:                             ;   in Loop: Header=BB378_15 Depth=2
	s_or_b64 exec, exec, s[14:15]
	s_add_i32 s16, s9, 1
	s_cmp_gt_u32 s9, 6
	s_cselect_b64 s[2:3], -1, 0
	s_xor_b64 s[14:15], vcc, -1
	s_or_b64 s[2:3], s[14:15], s[2:3]
	s_and_b64 s[2:3], exec, s[2:3]
	v_add_u32_e32 v13, 4, v13
	s_or_b64 s[12:13], s[2:3], s[12:13]
	s_mov_b32 s9, s16
	s_andn2_b64 exec, exec, s[12:13]
	s_cbranch_execz .LBB378_17
.LBB378_15:                             ;   Parent Loop BB378_5 Depth=1
                                        ; =>  This Inner Loop Header: Depth=2
	v_cmp_ne_u32_e32 vcc, s9, v14
	v_cmp_eq_u32_e64 s[2:3], s9, v14
	s_and_saveexec_b64 s[14:15], s[2:3]
	s_cbranch_execz .LBB378_14
; %bb.16:                               ;   in Loop: Header=BB378_15 Depth=2
	scratch_load_dword v15, v13, off
	s_waitcnt vmcnt(0)
	v_add_f32_e32 v5, v5, v15
	global_store_dword v[8:9], v12, off offset:8
	s_branch .LBB378_14
.LBB378_17:                             ;   in Loop: Header=BB378_5 Depth=1
	s_or_b64 exec, exec, s[12:13]
	global_load_dword v6, v[6:7], off offset:12
	v_mov_b32_e32 v7, 0
	s_mov_b32 s9, 0
	s_mov_b64 s[12:13], 0
	s_waitcnt vmcnt(0)
	v_add_u32_e32 v12, v11, v6
	s_branch .LBB378_19
.LBB378_18:                             ;   in Loop: Header=BB378_19 Depth=2
	s_or_b64 exec, exec, s[14:15]
	s_add_i32 s16, s9, 1
	s_cmp_gt_u32 s9, 6
	s_cselect_b64 s[2:3], -1, 0
	s_xor_b64 s[14:15], vcc, -1
	s_or_b64 s[2:3], s[14:15], s[2:3]
	s_and_b64 s[2:3], exec, s[2:3]
	v_add_u32_e32 v7, 4, v7
	s_or_b64 s[12:13], s[2:3], s[12:13]
	s_mov_b32 s9, s16
	s_andn2_b64 exec, exec, s[12:13]
	s_cbranch_execz .LBB378_4
.LBB378_19:                             ;   Parent Loop BB378_5 Depth=1
                                        ; =>  This Inner Loop Header: Depth=2
	v_cmp_ne_u32_e32 vcc, s9, v12
	v_cmp_eq_u32_e64 s[2:3], s9, v12
	s_and_saveexec_b64 s[14:15], s[2:3]
	s_cbranch_execz .LBB378_18
; %bb.20:                               ;   in Loop: Header=BB378_19 Depth=2
	scratch_load_dword v13, v7, off
	s_waitcnt vmcnt(0)
	v_add_f32_e32 v5, v5, v13
	global_store_dword v[8:9], v6, off offset:12
	s_branch .LBB378_18
.LBB378_21:
	s_and_b32 s14, s33, 3
	s_cmp_eq_u32 s14, 0
	s_mov_b32 s9, 0
	s_cbranch_scc1 .LBB378_28
; %bb.22:
	v_lshlrev_b32_e32 v1, 3, v4
	v_sub_u32_e32 v1, 0, v1
	s_mov_b32 s15, s9
	s_branch .LBB378_24
.LBB378_23:                             ;   in Loop: Header=BB378_24 Depth=1
	s_or_b64 exec, exec, s[10:11]
	s_add_i32 s8, s8, 1
	s_add_i32 s15, s15, 1
	s_cmp_lg_u32 s15, s14
	s_cbranch_scc0 .LBB378_28
.LBB378_24:                             ; =>This Loop Header: Depth=1
                                        ;     Child Loop BB378_26 Depth 2
	v_lshl_add_u64 v[6:7], s[8:9], 2, v[2:3]
	global_load_dword v4, v[6:7], off
	v_add_u32_e32 v6, s8, v0
	v_ashrrev_i32_e32 v7, 31, v6
	v_mov_b32_e32 v8, 0
	s_mov_b32 s16, 0
	s_waitcnt lgkmcnt(0)
	v_lshl_add_u64 v[6:7], v[6:7], 2, s[6:7]
	s_mov_b64 s[10:11], 0
	s_waitcnt vmcnt(0)
	v_add_u32_e32 v9, v1, v4
	s_branch .LBB378_26
.LBB378_25:                             ;   in Loop: Header=BB378_26 Depth=2
	s_or_b64 exec, exec, s[12:13]
	s_add_i32 s17, s16, 1
	s_cmp_gt_u32 s16, 6
	s_cselect_b64 s[2:3], -1, 0
	s_xor_b64 s[12:13], vcc, -1
	s_or_b64 s[2:3], s[12:13], s[2:3]
	s_and_b64 s[2:3], exec, s[2:3]
	v_add_u32_e32 v8, 4, v8
	s_or_b64 s[10:11], s[2:3], s[10:11]
	s_mov_b32 s16, s17
	s_andn2_b64 exec, exec, s[10:11]
	s_cbranch_execz .LBB378_23
.LBB378_26:                             ;   Parent Loop BB378_24 Depth=1
                                        ; =>  This Inner Loop Header: Depth=2
	v_cmp_ne_u32_e32 vcc, s16, v9
	v_cmp_eq_u32_e64 s[2:3], s16, v9
	s_and_saveexec_b64 s[12:13], s[2:3]
	s_cbranch_execz .LBB378_25
; %bb.27:                               ;   in Loop: Header=BB378_26 Depth=2
	scratch_load_dword v11, v8, off
	s_waitcnt vmcnt(0)
	v_add_f32_e32 v5, v5, v11
	global_store_dword v[6:7], v4, off
	s_branch .LBB378_25
.LBB378_28:
	s_waitcnt lgkmcnt(0)
	s_load_dword s6, s[0:1], 0x3c
	s_waitcnt lgkmcnt(0)
	s_bitcmp1_b32 s6, 0
	s_cselect_b64 s[2:3], -1, 0
	s_bitcmp0_b32 s6, 0
	s_cbranch_scc0 .LBB378_32
; %bb.29:
	s_load_dwordx2 s[6:7], s[0:1], 0x40
	s_andn2_b64 vcc, exec, s[2:3]
	s_waitcnt lgkmcnt(0)
	v_cvt_f32_f64_e32 v8, s[6:7]
	s_cbranch_vccz .LBB378_33
.LBB378_30:
	s_andn2_b64 vcc, exec, s[4:5]
	s_cbranch_vccz .LBB378_34
.LBB378_31:
	s_endpgm
.LBB378_32:
	v_mbcnt_lo_u32_b32 v1, -1, 0
	v_mbcnt_hi_u32_b32 v1, -1, v1
	v_and_b32_e32 v6, 0x7e, v1
	v_xor_b32_e32 v4, 1, v1
	v_add_u32_e32 v6, 2, v6
	v_cmp_lt_i32_e32 vcc, v4, v6
	s_nop 1
	v_cndmask_b32_e32 v1, v1, v4, vcc
	v_lshlrev_b32_e32 v1, 2, v1
	ds_bpermute_b32 v1, v1, v5
	s_waitcnt lgkmcnt(0)
	v_add_f32_e32 v5, v5, v1
	s_load_dwordx2 s[6:7], s[0:1], 0x40
	s_andn2_b64 vcc, exec, s[2:3]
	s_waitcnt lgkmcnt(0)
	v_cvt_f32_f64_e32 v8, s[6:7]
	s_cbranch_vccnz .LBB378_30
.LBB378_33:
	v_cmp_lt_f32_e32 vcc, 0, v5
	s_nop 1
	v_cndmask_b32_e32 v1, 1.0, v5, vcc
	v_div_scale_f32 v4, s[2:3], v1, v1, v8
	v_rcp_f32_e32 v5, v4
	s_nop 0
	v_fma_f32 v6, -v4, v5, 1.0
	v_fmac_f32_e32 v5, v6, v5
	v_div_scale_f32 v6, vcc, v8, v1, v8
	v_mul_f32_e32 v7, v6, v5
	v_fma_f32 v9, -v4, v7, v6
	v_fmac_f32_e32 v7, v9, v5
	v_fma_f32 v4, -v4, v7, v6
	v_div_fmas_f32 v4, v4, v5, v7
	v_div_fixup_f32 v8, v4, v1, v8
	s_andn2_b64 vcc, exec, s[4:5]
	s_cbranch_vccnz .LBB378_31
.LBB378_34:
	s_load_dwordx2 s[12:13], s[0:1], 0x10
	v_mov_b32_e32 v1, 0
	v_or_b32_e32 v20, 4, v1
	v_or_b32_e32 v18, 8, v1
	;; [unrolled: 1-line block ×3, first 2 shown]
	v_add_u32_e32 v14, 16, v1
	v_add_u32_e32 v12, 20, v1
	;; [unrolled: 1-line block ×4, first 2 shown]
	v_or_b32_e32 v23, 1, v10
	v_or_b32_e32 v22, 2, v10
	;; [unrolled: 1-line block ×7, first 2 shown]
	s_cmp_eq_u32 s33, 1
	s_mov_b32 s14, 0
	s_cbranch_scc1 .LBB378_69
; %bb.35:
	v_ashrrev_i32_e32 v1, 31, v0
	s_waitcnt lgkmcnt(0)
	v_lshl_add_u64 v[4:5], v[0:1], 2, s[12:13]
	s_and_b32 s14, s33, 0x7ffffffe
	v_lshl_add_u64 v[4:5], v[4:5], 0, 4
	v_lshl_add_u64 v[6:7], v[2:3], 0, 4
	s_mov_b32 s15, 0
	s_branch .LBB378_37
.LBB378_36:                             ;   in Loop: Header=BB378_37 Depth=1
	s_or_b64 exec, exec, s[0:1]
	s_add_i32 s15, s15, 2
	v_lshl_add_u64 v[4:5], v[4:5], 0, 8
	s_cmp_eq_u32 s14, s15
	v_lshl_add_u64 v[6:7], v[6:7], 0, 8
	s_cbranch_scc1 .LBB378_69
.LBB378_37:                             ; =>This Inner Loop Header: Depth=1
	global_load_dword v24, v[6:7], off offset:-4
	v_mov_b32_e32 v1, 0
	s_waitcnt vmcnt(0)
	v_cmp_eq_u32_e32 vcc, v24, v10
	v_cmp_ne_u32_e64 s[0:1], v24, v10
	s_and_saveexec_b64 s[16:17], s[0:1]
	s_cbranch_execz .LBB378_51
; %bb.38:                               ;   in Loop: Header=BB378_37 Depth=1
	v_cmp_eq_u32_e64 s[0:1], v24, v23
	v_cmp_ne_u32_e64 s[2:3], v24, v23
	v_mov_b32_e32 v1, v20
	s_and_saveexec_b64 s[18:19], s[2:3]
	s_cbranch_execz .LBB378_50
; %bb.39:                               ;   in Loop: Header=BB378_37 Depth=1
	v_cmp_eq_u32_e64 s[2:3], v24, v22
	v_cmp_ne_u32_e64 s[4:5], v24, v22
	v_mov_b32_e32 v1, v18
	;; [unrolled: 6-line block ×6, first 2 shown]
	s_and_saveexec_b64 s[30:31], s[10:11]
	s_xor_b64 s[30:31], exec, s[30:31]
; %bb.44:                               ;   in Loop: Header=BB378_37 Depth=1
	v_cmp_eq_u32_e64 s[10:11], v24, v13
	s_andn2_b64 s[28:29], s[28:29], exec
	s_and_b64 s[10:11], s[10:11], exec
	s_or_b64 s[28:29], s[28:29], s[10:11]
	v_mov_b32_e32 v1, v11
; %bb.45:                               ;   in Loop: Header=BB378_37 Depth=1
	s_or_b64 exec, exec, s[30:31]
	s_andn2_b64 s[8:9], s[8:9], exec
	s_and_b64 s[10:11], s[28:29], exec
	s_or_b64 s[8:9], s[8:9], s[10:11]
.LBB378_46:                             ;   in Loop: Header=BB378_37 Depth=1
	s_or_b64 exec, exec, s[26:27]
	s_andn2_b64 s[6:7], s[6:7], exec
	s_and_b64 s[8:9], s[8:9], exec
	s_or_b64 s[6:7], s[6:7], s[8:9]
.LBB378_47:                             ;   in Loop: Header=BB378_37 Depth=1
	s_or_b64 exec, exec, s[24:25]
	s_andn2_b64 s[4:5], s[4:5], exec
	s_and_b64 s[6:7], s[6:7], exec
	s_or_b64 s[4:5], s[4:5], s[6:7]
.LBB378_48:                             ;   in Loop: Header=BB378_37 Depth=1
	s_or_b64 exec, exec, s[22:23]
	s_andn2_b64 s[2:3], s[2:3], exec
	s_and_b64 s[4:5], s[4:5], exec
	s_or_b64 s[2:3], s[2:3], s[4:5]
.LBB378_49:                             ;   in Loop: Header=BB378_37 Depth=1
	s_or_b64 exec, exec, s[20:21]
	s_andn2_b64 s[0:1], s[0:1], exec
	s_and_b64 s[2:3], s[2:3], exec
	s_or_b64 s[0:1], s[0:1], s[2:3]
.LBB378_50:                             ;   in Loop: Header=BB378_37 Depth=1
	s_or_b64 exec, exec, s[18:19]
	s_andn2_b64 s[2:3], vcc, exec
	s_and_b64 s[0:1], s[0:1], exec
	s_or_b64 vcc, s[2:3], s[0:1]
.LBB378_51:                             ;   in Loop: Header=BB378_37 Depth=1
	s_or_b64 exec, exec, s[16:17]
	s_and_saveexec_b64 s[0:1], vcc
	s_cbranch_execz .LBB378_53
; %bb.52:                               ;   in Loop: Header=BB378_37 Depth=1
	scratch_load_dword v1, v1, off
	v_add_u32_e32 v24, s15, v0
	v_ashrrev_i32_e32 v25, 31, v24
	v_lshl_add_u64 v[24:25], v[24:25], 2, s[12:13]
	s_waitcnt vmcnt(0)
	v_mul_f32_e32 v1, v8, v1
	global_store_dword v[24:25], v1, off
.LBB378_53:                             ;   in Loop: Header=BB378_37 Depth=1
	s_or_b64 exec, exec, s[0:1]
	global_load_dword v24, v[6:7], off
	v_mov_b32_e32 v1, 0
	s_waitcnt vmcnt(0)
	v_cmp_eq_u32_e64 s[8:9], v24, v10
	v_cmp_ne_u32_e32 vcc, v24, v10
	s_and_saveexec_b64 s[10:11], vcc
	s_cbranch_execz .LBB378_67
; %bb.54:                               ;   in Loop: Header=BB378_37 Depth=1
	v_cmp_eq_u32_e32 vcc, v24, v23
	v_cmp_ne_u32_e64 s[0:1], v24, v23
	v_mov_b32_e32 v1, v20
	s_and_saveexec_b64 s[16:17], s[0:1]
	s_cbranch_execz .LBB378_66
; %bb.55:                               ;   in Loop: Header=BB378_37 Depth=1
	v_cmp_eq_u32_e64 s[0:1], v24, v22
	v_cmp_ne_u32_e64 s[2:3], v24, v22
	v_mov_b32_e32 v1, v18
	s_and_saveexec_b64 s[18:19], s[2:3]
	s_cbranch_execz .LBB378_65
; %bb.56:                               ;   in Loop: Header=BB378_37 Depth=1
	v_cmp_eq_u32_e64 s[2:3], v24, v21
	;; [unrolled: 6-line block ×5, first 2 shown]
	v_cmp_ne_u32_e64 s[6:7], v24, v15
	v_mov_b32_e32 v1, v9
	s_and_saveexec_b64 s[30:31], s[6:7]
; %bb.60:                               ;   in Loop: Header=BB378_37 Depth=1
	v_cmp_eq_u32_e64 s[6:7], v24, v13
	s_andn2_b64 s[28:29], s[28:29], exec
	s_and_b64 s[6:7], s[6:7], exec
	s_or_b64 s[28:29], s[28:29], s[6:7]
	v_mov_b32_e32 v1, v11
; %bb.61:                               ;   in Loop: Header=BB378_37 Depth=1
	s_or_b64 exec, exec, s[30:31]
	s_andn2_b64 s[6:7], s[24:25], exec
	s_and_b64 s[24:25], s[28:29], exec
	s_or_b64 s[24:25], s[6:7], s[24:25]
.LBB378_62:                             ;   in Loop: Header=BB378_37 Depth=1
	s_or_b64 exec, exec, s[26:27]
	s_andn2_b64 s[4:5], s[4:5], exec
	s_and_b64 s[6:7], s[24:25], exec
	s_or_b64 s[4:5], s[4:5], s[6:7]
.LBB378_63:                             ;   in Loop: Header=BB378_37 Depth=1
	s_or_b64 exec, exec, s[22:23]
	s_andn2_b64 s[2:3], s[2:3], exec
	s_and_b64 s[4:5], s[4:5], exec
	s_or_b64 s[2:3], s[2:3], s[4:5]
.LBB378_64:                             ;   in Loop: Header=BB378_37 Depth=1
	s_or_b64 exec, exec, s[20:21]
	s_andn2_b64 s[0:1], s[0:1], exec
	s_and_b64 s[2:3], s[2:3], exec
	s_or_b64 s[0:1], s[0:1], s[2:3]
.LBB378_65:                             ;   in Loop: Header=BB378_37 Depth=1
	s_or_b64 exec, exec, s[18:19]
	s_andn2_b64 s[2:3], vcc, exec
	s_and_b64 s[0:1], s[0:1], exec
	s_or_b64 vcc, s[2:3], s[0:1]
.LBB378_66:                             ;   in Loop: Header=BB378_37 Depth=1
	s_or_b64 exec, exec, s[16:17]
	s_andn2_b64 s[0:1], s[8:9], exec
	s_and_b64 s[2:3], vcc, exec
	s_or_b64 s[8:9], s[0:1], s[2:3]
.LBB378_67:                             ;   in Loop: Header=BB378_37 Depth=1
	s_or_b64 exec, exec, s[10:11]
	s_and_saveexec_b64 s[0:1], s[8:9]
	s_cbranch_execz .LBB378_36
; %bb.68:                               ;   in Loop: Header=BB378_37 Depth=1
	scratch_load_dword v1, v1, off
	s_waitcnt vmcnt(0)
	v_mul_f32_e32 v1, v8, v1
	global_store_dword v[4:5], v1, off
	s_branch .LBB378_36
.LBB378_69:
	s_bitcmp0_b32 s33, 0
	s_mov_b32 s15, 0
	s_cbranch_scc1 .LBB378_31
; %bb.70:
	v_lshl_add_u64 v[2:3], s[14:15], 2, v[2:3]
	global_load_dword v1, v[2:3], off
	v_mov_b32_e32 v2, 0
	s_waitcnt vmcnt(0)
	v_cmp_eq_u32_e64 s[8:9], v1, v10
	v_cmp_ne_u32_e32 vcc, v1, v10
	s_and_saveexec_b64 s[10:11], vcc
	s_cbranch_execz .LBB378_84
; %bb.71:
	v_cmp_eq_u32_e32 vcc, v1, v23
	v_cmp_ne_u32_e64 s[0:1], v1, v23
	s_and_saveexec_b64 s[16:17], s[0:1]
	s_cbranch_execz .LBB378_83
; %bb.72:
	v_cmp_eq_u32_e64 s[0:1], v1, v22
	v_cmp_ne_u32_e64 s[2:3], v1, v22
	s_and_saveexec_b64 s[18:19], s[2:3]
	s_cbranch_execz .LBB378_82
; %bb.73:
	v_cmp_eq_u32_e64 s[2:3], v1, v21
	;; [unrolled: 5-line block ×5, first 2 shown]
	v_cmp_ne_u32_e64 s[6:7], v1, v15
	s_and_saveexec_b64 s[30:31], s[6:7]
; %bb.77:
	v_cmp_eq_u32_e64 s[6:7], v1, v13
	s_andn2_b64 s[28:29], s[28:29], exec
	s_and_b64 s[6:7], s[6:7], exec
	s_or_b64 s[28:29], s[28:29], s[6:7]
	v_mov_b32_e32 v9, v11
; %bb.78:
	s_or_b64 exec, exec, s[30:31]
	s_andn2_b64 s[6:7], s[24:25], exec
	s_and_b64 s[24:25], s[28:29], exec
	s_or_b64 s[24:25], s[6:7], s[24:25]
	v_mov_b32_e32 v12, v9
.LBB378_79:
	s_or_b64 exec, exec, s[26:27]
	s_andn2_b64 s[4:5], s[4:5], exec
	s_and_b64 s[6:7], s[24:25], exec
	s_or_b64 s[4:5], s[4:5], s[6:7]
	v_mov_b32_e32 v14, v12
.LBB378_80:
	s_or_b64 exec, exec, s[22:23]
	s_andn2_b64 s[2:3], s[2:3], exec
	s_and_b64 s[4:5], s[4:5], exec
	s_or_b64 s[2:3], s[2:3], s[4:5]
	v_mov_b32_e32 v16, v14
.LBB378_81:
	s_or_b64 exec, exec, s[20:21]
	s_andn2_b64 s[0:1], s[0:1], exec
	s_and_b64 s[2:3], s[2:3], exec
	s_or_b64 s[0:1], s[0:1], s[2:3]
	v_mov_b32_e32 v18, v16
.LBB378_82:
	s_or_b64 exec, exec, s[18:19]
	s_andn2_b64 s[2:3], vcc, exec
	s_and_b64 s[0:1], s[0:1], exec
	s_or_b64 vcc, s[2:3], s[0:1]
	v_mov_b32_e32 v20, v18
.LBB378_83:
	s_or_b64 exec, exec, s[16:17]
	s_andn2_b64 s[0:1], s[8:9], exec
	s_and_b64 s[2:3], vcc, exec
	s_or_b64 s[8:9], s[0:1], s[2:3]
	v_mov_b32_e32 v2, v20
.LBB378_84:
	s_or_b64 exec, exec, s[10:11]
	s_and_b64 exec, exec, s[8:9]
	s_cbranch_execz .LBB378_31
; %bb.85:
	scratch_load_dword v2, v2, off
	v_add_u32_e32 v0, s14, v0
	v_ashrrev_i32_e32 v1, 31, v0
	s_waitcnt lgkmcnt(0)
	v_lshl_add_u64 v[0:1], v[0:1], 2, s[12:13]
	s_waitcnt vmcnt(0)
	v_mul_f32_e32 v2, v8, v2
	global_store_dword v[0:1], v2, off
	s_endpgm
	.section	.rodata,"a",@progbits
	.p2align	6, 0x0
	.amdhsa_kernel _ZN4vllm3moe22topkGatingSoftplusSqrtILi8ELi16ELi4ELi16ELi32ELb1Ei14__hip_bfloat16EEvPKT6_PKbPfiPT5_PiiiibdPKfPKS9_SF_
		.amdhsa_group_segment_fixed_size 0
		.amdhsa_private_segment_fixed_size 48
		.amdhsa_kernarg_size 96
		.amdhsa_user_sgpr_count 2
		.amdhsa_user_sgpr_dispatch_ptr 0
		.amdhsa_user_sgpr_queue_ptr 0
		.amdhsa_user_sgpr_kernarg_segment_ptr 1
		.amdhsa_user_sgpr_dispatch_id 0
		.amdhsa_user_sgpr_kernarg_preload_length 0
		.amdhsa_user_sgpr_kernarg_preload_offset 0
		.amdhsa_user_sgpr_private_segment_size 0
		.amdhsa_uses_dynamic_stack 0
		.amdhsa_enable_private_segment 1
		.amdhsa_system_sgpr_workgroup_id_x 1
		.amdhsa_system_sgpr_workgroup_id_y 0
		.amdhsa_system_sgpr_workgroup_id_z 0
		.amdhsa_system_sgpr_workgroup_info 0
		.amdhsa_system_vgpr_workitem_id 1
		.amdhsa_next_free_vgpr 28
		.amdhsa_next_free_sgpr 34
		.amdhsa_accum_offset 28
		.amdhsa_reserve_vcc 1
		.amdhsa_float_round_mode_32 0
		.amdhsa_float_round_mode_16_64 0
		.amdhsa_float_denorm_mode_32 3
		.amdhsa_float_denorm_mode_16_64 3
		.amdhsa_dx10_clamp 1
		.amdhsa_ieee_mode 1
		.amdhsa_fp16_overflow 0
		.amdhsa_tg_split 0
		.amdhsa_exception_fp_ieee_invalid_op 0
		.amdhsa_exception_fp_denorm_src 0
		.amdhsa_exception_fp_ieee_div_zero 0
		.amdhsa_exception_fp_ieee_overflow 0
		.amdhsa_exception_fp_ieee_underflow 0
		.amdhsa_exception_fp_ieee_inexact 0
		.amdhsa_exception_int_div_zero 0
	.end_amdhsa_kernel
	.section	.text._ZN4vllm3moe22topkGatingSoftplusSqrtILi8ELi16ELi4ELi16ELi32ELb1Ei14__hip_bfloat16EEvPKT6_PKbPfiPT5_PiiiibdPKfPKS9_SF_,"axG",@progbits,_ZN4vllm3moe22topkGatingSoftplusSqrtILi8ELi16ELi4ELi16ELi32ELb1Ei14__hip_bfloat16EEvPKT6_PKbPfiPT5_PiiiibdPKfPKS9_SF_,comdat
.Lfunc_end378:
	.size	_ZN4vllm3moe22topkGatingSoftplusSqrtILi8ELi16ELi4ELi16ELi32ELb1Ei14__hip_bfloat16EEvPKT6_PKbPfiPT5_PiiiibdPKfPKS9_SF_, .Lfunc_end378-_ZN4vllm3moe22topkGatingSoftplusSqrtILi8ELi16ELi4ELi16ELi32ELb1Ei14__hip_bfloat16EEvPKT6_PKbPfiPT5_PiiiibdPKfPKS9_SF_
                                        ; -- End function
	.section	.AMDGPU.csdata,"",@progbits
; Kernel info:
; codeLenInByte = 4432
; NumSgprs: 40
; NumVgprs: 28
; NumAgprs: 0
; TotalNumVgprs: 28
; ScratchSize: 48
; MemoryBound: 0
; FloatMode: 240
; IeeeMode: 1
; LDSByteSize: 0 bytes/workgroup (compile time only)
; SGPRBlocks: 4
; VGPRBlocks: 3
; NumSGPRsForWavesPerEU: 40
; NumVGPRsForWavesPerEU: 28
; AccumOffset: 28
; Occupancy: 8
; WaveLimiterHint : 1
; COMPUTE_PGM_RSRC2:SCRATCH_EN: 1
; COMPUTE_PGM_RSRC2:USER_SGPR: 2
; COMPUTE_PGM_RSRC2:TRAP_HANDLER: 0
; COMPUTE_PGM_RSRC2:TGID_X_EN: 1
; COMPUTE_PGM_RSRC2:TGID_Y_EN: 0
; COMPUTE_PGM_RSRC2:TGID_Z_EN: 0
; COMPUTE_PGM_RSRC2:TIDIG_COMP_CNT: 1
; COMPUTE_PGM_RSRC3_GFX90A:ACCUM_OFFSET: 6
; COMPUTE_PGM_RSRC3_GFX90A:TG_SPLIT: 0
	.section	.text._ZN4vllm3moe22topkGatingSoftplusSqrtILi8ELi16ELi4ELi16ELi32ELb0Ei14__hip_bfloat16EEvPKT6_PKbPfiPT5_PiiiibdPKfPKS9_SF_,"axG",@progbits,_ZN4vllm3moe22topkGatingSoftplusSqrtILi8ELi16ELi4ELi16ELi32ELb0Ei14__hip_bfloat16EEvPKT6_PKbPfiPT5_PiiiibdPKfPKS9_SF_,comdat
	.protected	_ZN4vllm3moe22topkGatingSoftplusSqrtILi8ELi16ELi4ELi16ELi32ELb0Ei14__hip_bfloat16EEvPKT6_PKbPfiPT5_PiiiibdPKfPKS9_SF_ ; -- Begin function _ZN4vllm3moe22topkGatingSoftplusSqrtILi8ELi16ELi4ELi16ELi32ELb0Ei14__hip_bfloat16EEvPKT6_PKbPfiPT5_PiiiibdPKfPKS9_SF_
	.globl	_ZN4vllm3moe22topkGatingSoftplusSqrtILi8ELi16ELi4ELi16ELi32ELb0Ei14__hip_bfloat16EEvPKT6_PKbPfiPT5_PiiiibdPKfPKS9_SF_
	.p2align	8
	.type	_ZN4vllm3moe22topkGatingSoftplusSqrtILi8ELi16ELi4ELi16ELi32ELb0Ei14__hip_bfloat16EEvPKT6_PKbPfiPT5_PiiiibdPKfPKS9_SF_,@function
_ZN4vllm3moe22topkGatingSoftplusSqrtILi8ELi16ELi4ELi16ELi32ELb0Ei14__hip_bfloat16EEvPKT6_PKbPfiPT5_PiiiibdPKfPKS9_SF_: ; @_ZN4vllm3moe22topkGatingSoftplusSqrtILi8ELi16ELi4ELi16ELi32ELb0Ei14__hip_bfloat16EEvPKT6_PKbPfiPT5_PiiiibdPKfPKS9_SF_
; %bb.0:
	s_load_dword s33, s[0:1], 0x18
	v_bfe_u32 v1, v0, 10, 10
	v_and_b32_e32 v0, 0x3ff, v0
	s_lshl_b32 s2, s2, 6
	v_lshlrev_b32_e32 v1, 4, v1
	v_lshrrev_b32_e32 v2, 1, v0
	v_add3_u32 v8, s2, v1, v2
	s_waitcnt lgkmcnt(0)
	v_cmp_gt_i32_e32 vcc, s33, v8
	s_and_saveexec_b64 s[2:3], vcc
	s_cbranch_execz .LBB379_49
; %bb.1:
	s_load_dwordx4 s[4:7], s[0:1], 0x0
	s_load_dwordx2 s[34:35], s[0:1], 0x10
	s_waitcnt lgkmcnt(0)
	s_cmp_eq_u64 s[6:7], 0
	s_cbranch_scc1 .LBB379_3
; %bb.2:
	v_ashrrev_i32_e32 v9, 31, v8
	v_lshl_add_u64 v[2:3], s[6:7], 0, v[8:9]
	global_load_ubyte v1, v[2:3], off
	s_waitcnt vmcnt(0)
	v_and_b32_e32 v1, 1, v1
	v_cmp_eq_u32_e32 vcc, 1, v1
	s_xor_b64 s[2:3], vcc, -1
	s_orn2_b64 s[36:37], s[2:3], exec
	s_branch .LBB379_4
.LBB379_3:
	s_mov_b64 s[36:37], -1
.LBB379_4:
	v_lshlrev_b32_e32 v4, 4, v8
	v_mov_b32_e32 v2, s4
	v_mov_b32_e32 v3, s5
	v_ashrrev_i32_e32 v5, 31, v4
	v_and_b32_e32 v9, 1, v0
	v_lshl_add_u64 v[2:3], v[4:5], 1, v[2:3]
	v_mov_b32_e32 v1, 0
	v_lshlrev_b32_e32 v0, 4, v9
	v_lshl_add_u64 v[0:1], v[2:3], 0, v[0:1]
	global_load_dwordx4 v[4:7], v[0:1], off
	s_mov_b32 s12, 0x800000
	v_mov_b32_e32 v2, 0x4f800000
	s_mov_b32 s9, 0x3f317217
	s_mov_b32 s10, 0x7f800000
	v_mov_b32_e32 v3, 0x41b17218
	s_mov_b32 s8, 0x41a00000
	s_mov_b32 s11, 0xf800000
	s_load_dwordx4 s[20:23], s[0:1], 0x40
	v_lshlrev_b32_e32 v12, 3, v9
	s_waitcnt lgkmcnt(0)
	s_cmp_lg_u64 s[22:23], 0
	s_cselect_b64 s[6:7], -1, 0
	s_and_b64 s[2:3], exec, s[6:7]
	s_waitcnt vmcnt(0)
	v_lshlrev_b32_e32 v0, 16, v4
	v_mul_f32_e32 v1, 0x3fb8aa3b, v0
	v_exp_f32_e32 v10, v1
	v_mov_b32_e32 v1, 0x260
	v_add_f32_e32 v10, 1.0, v10
	v_cmp_gt_f32_e32 vcc, s12, v10
	s_nop 1
	v_cndmask_b32_e32 v11, 1.0, v2, vcc
	v_mul_f32_e32 v10, v10, v11
	v_log_f32_e32 v11, v10
	v_cndmask_b32_e32 v13, 0, v3, vcc
	v_lshlrev_b32_e32 v10, 2, v12
	v_mul_f32_e32 v14, 0x3f317217, v11
	v_fma_f32 v14, v11, s9, -v14
	v_fmac_f32_e32 v14, 0x3377d1cf, v11
	v_fmac_f32_e32 v14, 0x3f317217, v11
	v_cmp_lt_f32_e64 vcc, |v11|, s10
	s_nop 1
	v_cndmask_b32_e32 v11, v11, v14, vcc
	v_sub_f32_e32 v11, v11, v13
	v_cmp_lt_f32_e32 vcc, s8, v0
	s_nop 1
	v_cndmask_b32_e32 v0, v11, v0, vcc
	v_mul_f32_e32 v11, 0x4f800000, v0
	v_cmp_gt_f32_e32 vcc, s11, v0
	s_nop 1
	v_cndmask_b32_e32 v0, v0, v11, vcc
	v_sqrt_f32_e32 v11, v0
	s_nop 0
	v_add_u32_e32 v13, -1, v11
	v_add_u32_e32 v14, 1, v11
	v_fma_f32 v15, -v13, v11, v0
	v_fma_f32 v16, -v14, v11, v0
	v_cmp_ge_f32_e64 s[4:5], 0, v15
	s_nop 1
	v_cndmask_b32_e64 v11, v11, v13, s[4:5]
	v_cmp_lt_f32_e64 s[4:5], 0, v16
	s_nop 1
	v_cndmask_b32_e64 v11, v11, v14, s[4:5]
	v_mul_f32_e32 v13, 0x37800000, v11
	v_cndmask_b32_e32 v11, v11, v13, vcc
	v_cmp_class_f32_e32 vcc, v0, v1
	s_nop 1
	v_cndmask_b32_e32 v0, v11, v0, vcc
	s_mov_b64 vcc, s[2:3]
	s_cbranch_vccz .LBB379_6
; %bb.5:
	global_load_dword v11, v10, s[22:23]
	s_waitcnt vmcnt(0)
	v_add_f32_e32 v0, v0, v11
.LBB379_6:
	v_and_b32_e32 v4, 0xffff0000, v4
	v_mul_f32_e32 v11, 0x3fb8aa3b, v4
	v_exp_f32_e32 v11, v11
	s_nop 0
	v_add_f32_e32 v11, 1.0, v11
	v_cmp_gt_f32_e32 vcc, s12, v11
	s_nop 1
	v_cndmask_b32_e32 v2, 1.0, v2, vcc
	v_mul_f32_e32 v2, v11, v2
	v_log_f32_e32 v2, v2
	v_cndmask_b32_e32 v3, 0, v3, vcc
	v_mul_f32_e32 v11, 0x3f317217, v2
	v_fma_f32 v11, v2, s9, -v11
	v_fmac_f32_e32 v11, 0x3377d1cf, v2
	v_fmac_f32_e32 v11, 0x3f317217, v2
	v_cmp_lt_f32_e64 vcc, |v2|, s10
	s_nop 1
	v_cndmask_b32_e32 v2, v2, v11, vcc
	v_sub_f32_e32 v2, v2, v3
	v_cmp_lt_f32_e32 vcc, s8, v4
	s_nop 1
	v_cndmask_b32_e32 v2, v2, v4, vcc
	v_mul_f32_e32 v3, 0x4f800000, v2
	v_cmp_gt_f32_e32 vcc, s11, v2
	s_nop 1
	v_cndmask_b32_e32 v2, v2, v3, vcc
	v_sqrt_f32_e32 v3, v2
	v_cmp_class_f32_e64 s[4:5], v2, v1
	v_add_u32_e32 v4, -1, v3
	v_add_u32_e32 v11, 1, v3
	v_fma_f32 v13, -v4, v3, v2
	v_fma_f32 v14, -v11, v3, v2
	v_cmp_ge_f32_e64 s[2:3], 0, v13
	s_nop 1
	v_cndmask_b32_e64 v3, v3, v4, s[2:3]
	v_cmp_lt_f32_e64 s[2:3], 0, v14
	s_nop 1
	v_cndmask_b32_e64 v3, v3, v11, s[2:3]
	v_mul_f32_e32 v4, 0x37800000, v3
	v_cndmask_b32_e32 v3, v3, v4, vcc
	v_cndmask_b32_e64 v4, 0, 1, s[6:7]
	v_cmp_ne_u32_e64 s[2:3], 1, v4
	s_andn2_b64 vcc, exec, s[6:7]
	v_cndmask_b32_e64 v1, v3, v2, s[4:5]
	s_cbranch_vccnz .LBB379_8
; %bb.7:
	global_load_dword v2, v10, s[22:23] offset:4
	s_waitcnt vmcnt(0)
	v_add_f32_e32 v1, v1, v2
.LBB379_8:
	v_lshlrev_b32_e32 v2, 16, v5
	v_mul_f32_e32 v3, 0x3fb8aa3b, v2
	v_exp_f32_e32 v3, v3
	s_mov_b32 s10, 0x800000
	v_mov_b32_e32 v4, 0x4f800000
	s_mov_b32 s7, 0x3f317217
	v_add_f32_e32 v3, 1.0, v3
	v_cmp_gt_f32_e32 vcc, s10, v3
	s_mov_b32 s8, 0x7f800000
	s_mov_b32 s6, 0x41a00000
	v_cndmask_b32_e32 v11, 1.0, v4, vcc
	v_mul_f32_e32 v3, v3, v11
	v_log_f32_e32 v3, v3
	s_mov_b32 s9, 0xf800000
	v_mul_f32_e32 v11, 0x3f317217, v3
	v_fma_f32 v11, v3, s7, -v11
	v_fmac_f32_e32 v11, 0x3377d1cf, v3
	v_fmac_f32_e32 v11, 0x3f317217, v3
	v_cmp_lt_f32_e64 s[4:5], |v3|, s8
	s_nop 1
	v_cndmask_b32_e64 v3, v3, v11, s[4:5]
	v_mov_b32_e32 v11, 0x41b17218
	v_cndmask_b32_e32 v13, 0, v11, vcc
	v_sub_f32_e32 v3, v3, v13
	v_cmp_lt_f32_e32 vcc, s6, v2
	s_nop 1
	v_cndmask_b32_e32 v2, v3, v2, vcc
	v_mul_f32_e32 v3, 0x4f800000, v2
	v_cmp_gt_f32_e32 vcc, s9, v2
	s_nop 1
	v_cndmask_b32_e32 v2, v2, v3, vcc
	v_sqrt_f32_e32 v3, v2
	s_nop 0
	v_add_u32_e32 v13, -1, v3
	v_fma_f32 v14, -v13, v3, v2
	v_cmp_ge_f32_e64 s[4:5], 0, v14
	v_add_u32_e32 v14, 1, v3
	s_nop 0
	v_cndmask_b32_e64 v13, v3, v13, s[4:5]
	v_fma_f32 v3, -v14, v3, v2
	v_cmp_lt_f32_e64 s[4:5], 0, v3
	s_nop 1
	v_cndmask_b32_e64 v3, v13, v14, s[4:5]
	v_mul_f32_e32 v13, 0x37800000, v3
	v_cndmask_b32_e32 v13, v3, v13, vcc
	v_mov_b32_e32 v3, 0x260
	v_cmp_class_f32_e64 s[4:5], v2, v3
	s_and_b64 vcc, exec, s[2:3]
	s_nop 0
	v_cndmask_b32_e64 v2, v13, v2, s[4:5]
	s_cbranch_vccnz .LBB379_10
; %bb.9:
	global_load_dword v13, v10, s[22:23] offset:8
	s_waitcnt vmcnt(0)
	v_add_f32_e32 v2, v2, v13
.LBB379_10:
	v_and_b32_e32 v5, 0xffff0000, v5
	v_mul_f32_e32 v13, 0x3fb8aa3b, v5
	v_exp_f32_e32 v13, v13
	s_nop 0
	v_add_f32_e32 v13, 1.0, v13
	v_cmp_gt_f32_e32 vcc, s10, v13
	s_nop 1
	v_cndmask_b32_e32 v4, 1.0, v4, vcc
	v_mul_f32_e32 v4, v13, v4
	v_log_f32_e32 v4, v4
	v_cndmask_b32_e32 v11, 0, v11, vcc
	v_mul_f32_e32 v13, 0x3f317217, v4
	v_fma_f32 v13, v4, s7, -v13
	v_fmac_f32_e32 v13, 0x3377d1cf, v4
	v_fmac_f32_e32 v13, 0x3f317217, v4
	v_cmp_lt_f32_e64 vcc, |v4|, s8
	s_nop 1
	v_cndmask_b32_e32 v4, v4, v13, vcc
	v_sub_f32_e32 v4, v4, v11
	v_cmp_lt_f32_e32 vcc, s6, v5
	s_nop 1
	v_cndmask_b32_e32 v4, v4, v5, vcc
	v_mul_f32_e32 v5, 0x4f800000, v4
	v_cmp_gt_f32_e32 vcc, s9, v4
	s_nop 1
	v_cndmask_b32_e32 v4, v4, v5, vcc
	v_sqrt_f32_e32 v5, v4
	s_nop 0
	v_add_u32_e32 v11, -1, v5
	v_add_u32_e32 v13, 1, v5
	v_fma_f32 v14, -v11, v5, v4
	v_fma_f32 v15, -v13, v5, v4
	v_cmp_ge_f32_e64 s[4:5], 0, v14
	s_nop 1
	v_cndmask_b32_e64 v5, v5, v11, s[4:5]
	v_cmp_lt_f32_e64 s[4:5], 0, v15
	s_nop 1
	v_cndmask_b32_e64 v5, v5, v13, s[4:5]
	v_mul_f32_e32 v11, 0x37800000, v5
	v_cndmask_b32_e32 v5, v5, v11, vcc
	v_cmp_class_f32_e64 s[4:5], v4, v3
	s_and_b64 vcc, exec, s[2:3]
	s_nop 0
	v_cndmask_b32_e64 v3, v5, v4, s[4:5]
	s_cbranch_vccnz .LBB379_12
; %bb.11:
	global_load_dword v4, v10, s[22:23] offset:12
	s_waitcnt vmcnt(0)
	v_add_f32_e32 v3, v3, v4
.LBB379_12:
	v_lshlrev_b32_e32 v4, 16, v6
	v_mul_f32_e32 v5, 0x3fb8aa3b, v4
	v_exp_f32_e32 v5, v5
	v_mov_b32_e32 v11, 0x4f800000
	v_add_f32_e32 v5, 1.0, v5
	v_cmp_gt_f32_e32 vcc, s10, v5
	s_nop 1
	v_cndmask_b32_e32 v13, 1.0, v11, vcc
	v_mul_f32_e32 v5, v5, v13
	v_log_f32_e32 v5, v5
	s_nop 0
	v_mul_f32_e32 v13, 0x3f317217, v5
	v_fma_f32 v13, v5, s7, -v13
	v_fmac_f32_e32 v13, 0x3377d1cf, v5
	v_fmac_f32_e32 v13, 0x3f317217, v5
	v_cmp_lt_f32_e64 s[4:5], |v5|, s8
	s_nop 1
	v_cndmask_b32_e64 v5, v5, v13, s[4:5]
	v_mov_b32_e32 v13, 0x41b17218
	v_cndmask_b32_e32 v14, 0, v13, vcc
	v_sub_f32_e32 v5, v5, v14
	v_cmp_lt_f32_e32 vcc, s6, v4
	s_nop 1
	v_cndmask_b32_e32 v4, v5, v4, vcc
	v_mul_f32_e32 v5, 0x4f800000, v4
	v_cmp_gt_f32_e32 vcc, s9, v4
	s_nop 1
	v_cndmask_b32_e32 v4, v4, v5, vcc
	v_sqrt_f32_e32 v5, v4
	s_nop 0
	v_add_u32_e32 v14, -1, v5
	v_fma_f32 v15, -v14, v5, v4
	v_cmp_ge_f32_e64 s[4:5], 0, v15
	v_add_u32_e32 v15, 1, v5
	s_nop 0
	v_cndmask_b32_e64 v14, v5, v14, s[4:5]
	v_fma_f32 v5, -v15, v5, v4
	v_cmp_lt_f32_e64 s[4:5], 0, v5
	s_nop 1
	v_cndmask_b32_e64 v5, v14, v15, s[4:5]
	v_mul_f32_e32 v14, 0x37800000, v5
	v_cndmask_b32_e32 v14, v5, v14, vcc
	v_mov_b32_e32 v5, 0x260
	v_cmp_class_f32_e64 s[4:5], v4, v5
	s_and_b64 vcc, exec, s[2:3]
	s_nop 0
	v_cndmask_b32_e64 v4, v14, v4, s[4:5]
	s_cbranch_vccnz .LBB379_14
; %bb.13:
	global_load_dword v14, v10, s[22:23] offset:16
	s_waitcnt vmcnt(0)
	v_add_f32_e32 v4, v4, v14
.LBB379_14:
	v_and_b32_e32 v6, 0xffff0000, v6
	v_mul_f32_e32 v14, 0x3fb8aa3b, v6
	v_exp_f32_e32 v14, v14
	s_nop 0
	v_add_f32_e32 v14, 1.0, v14
	v_cmp_gt_f32_e32 vcc, s10, v14
	s_nop 1
	v_cndmask_b32_e32 v11, 1.0, v11, vcc
	v_mul_f32_e32 v11, v14, v11
	v_log_f32_e32 v11, v11
	v_cndmask_b32_e32 v13, 0, v13, vcc
	v_mul_f32_e32 v14, 0x3f317217, v11
	v_fma_f32 v14, v11, s7, -v14
	v_fmac_f32_e32 v14, 0x3377d1cf, v11
	v_fmac_f32_e32 v14, 0x3f317217, v11
	v_cmp_lt_f32_e64 vcc, |v11|, s8
	s_nop 1
	v_cndmask_b32_e32 v11, v11, v14, vcc
	v_sub_f32_e32 v11, v11, v13
	v_cmp_lt_f32_e32 vcc, s6, v6
	s_nop 1
	v_cndmask_b32_e32 v6, v11, v6, vcc
	v_mul_f32_e32 v11, 0x4f800000, v6
	v_cmp_gt_f32_e32 vcc, s9, v6
	s_nop 1
	v_cndmask_b32_e32 v6, v6, v11, vcc
	v_sqrt_f32_e32 v11, v6
	s_nop 0
	v_add_u32_e32 v13, -1, v11
	v_add_u32_e32 v14, 1, v11
	v_fma_f32 v15, -v13, v11, v6
	v_fma_f32 v16, -v14, v11, v6
	v_cmp_ge_f32_e64 s[4:5], 0, v15
	s_nop 1
	v_cndmask_b32_e64 v11, v11, v13, s[4:5]
	v_cmp_lt_f32_e64 s[4:5], 0, v16
	s_nop 1
	v_cndmask_b32_e64 v11, v11, v14, s[4:5]
	v_mul_f32_e32 v13, 0x37800000, v11
	v_cndmask_b32_e32 v11, v11, v13, vcc
	v_cmp_class_f32_e64 s[4:5], v6, v5
	s_and_b64 vcc, exec, s[2:3]
	s_nop 0
	v_cndmask_b32_e64 v5, v11, v6, s[4:5]
	s_cbranch_vccnz .LBB379_16
; %bb.15:
	global_load_dword v6, v10, s[22:23] offset:20
	s_waitcnt vmcnt(0)
	v_add_f32_e32 v5, v5, v6
.LBB379_16:
	v_lshlrev_b32_e32 v6, 16, v7
	v_mul_f32_e32 v11, 0x3fb8aa3b, v6
	v_exp_f32_e32 v11, v11
	v_mov_b32_e32 v13, 0x4f800000
	v_add_f32_e32 v11, 1.0, v11
	v_cmp_gt_f32_e32 vcc, s10, v11
	s_nop 1
	v_cndmask_b32_e32 v14, 1.0, v13, vcc
	v_mul_f32_e32 v11, v11, v14
	v_log_f32_e32 v11, v11
	s_nop 0
	v_mul_f32_e32 v14, 0x3f317217, v11
	v_fma_f32 v14, v11, s7, -v14
	v_fmac_f32_e32 v14, 0x3377d1cf, v11
	v_fmac_f32_e32 v14, 0x3f317217, v11
	v_cmp_lt_f32_e64 s[4:5], |v11|, s8
	s_nop 1
	v_cndmask_b32_e64 v11, v11, v14, s[4:5]
	v_mov_b32_e32 v14, 0x41b17218
	v_cndmask_b32_e32 v15, 0, v14, vcc
	v_sub_f32_e32 v11, v11, v15
	v_cmp_lt_f32_e32 vcc, s6, v6
	s_nop 1
	v_cndmask_b32_e32 v6, v11, v6, vcc
	v_mul_f32_e32 v11, 0x4f800000, v6
	v_cmp_gt_f32_e32 vcc, s9, v6
	s_nop 1
	v_cndmask_b32_e32 v6, v6, v11, vcc
	v_sqrt_f32_e32 v11, v6
	s_nop 0
	v_add_u32_e32 v15, -1, v11
	v_fma_f32 v16, -v15, v11, v6
	v_cmp_ge_f32_e64 s[4:5], 0, v16
	v_add_u32_e32 v16, 1, v11
	s_nop 0
	v_cndmask_b32_e64 v15, v11, v15, s[4:5]
	v_fma_f32 v11, -v16, v11, v6
	v_cmp_lt_f32_e64 s[4:5], 0, v11
	s_nop 1
	v_cndmask_b32_e64 v11, v15, v16, s[4:5]
	v_mul_f32_e32 v15, 0x37800000, v11
	v_cndmask_b32_e32 v15, v11, v15, vcc
	v_mov_b32_e32 v11, 0x260
	v_cmp_class_f32_e64 s[4:5], v6, v11
	s_and_b64 vcc, exec, s[2:3]
	s_nop 0
	v_cndmask_b32_e64 v6, v15, v6, s[4:5]
	s_cbranch_vccnz .LBB379_18
; %bb.17:
	global_load_dword v15, v10, s[22:23] offset:24
	s_waitcnt vmcnt(0)
	v_add_f32_e32 v6, v6, v15
.LBB379_18:
	v_and_b32_e32 v7, 0xffff0000, v7
	v_mul_f32_e32 v15, 0x3fb8aa3b, v7
	v_exp_f32_e32 v15, v15
	s_nop 0
	v_add_f32_e32 v15, 1.0, v15
	v_cmp_gt_f32_e32 vcc, s10, v15
	s_nop 1
	v_cndmask_b32_e32 v13, 1.0, v13, vcc
	v_mul_f32_e32 v13, v15, v13
	v_log_f32_e32 v13, v13
	v_cndmask_b32_e32 v14, 0, v14, vcc
	v_mul_f32_e32 v15, 0x3f317217, v13
	v_fma_f32 v15, v13, s7, -v15
	v_fmac_f32_e32 v15, 0x3377d1cf, v13
	v_fmac_f32_e32 v15, 0x3f317217, v13
	v_cmp_lt_f32_e64 vcc, |v13|, s8
	s_nop 1
	v_cndmask_b32_e32 v13, v13, v15, vcc
	v_sub_f32_e32 v13, v13, v14
	v_cmp_lt_f32_e32 vcc, s6, v7
	s_nop 1
	v_cndmask_b32_e32 v7, v13, v7, vcc
	v_mul_f32_e32 v13, 0x4f800000, v7
	v_cmp_gt_f32_e32 vcc, s9, v7
	s_nop 1
	v_cndmask_b32_e32 v7, v7, v13, vcc
	v_sqrt_f32_e32 v13, v7
	s_nop 0
	v_add_u32_e32 v14, -1, v13
	v_add_u32_e32 v15, 1, v13
	v_fma_f32 v16, -v14, v13, v7
	v_fma_f32 v17, -v15, v13, v7
	v_cmp_ge_f32_e64 s[4:5], 0, v16
	s_nop 1
	v_cndmask_b32_e64 v13, v13, v14, s[4:5]
	v_cmp_lt_f32_e64 s[4:5], 0, v17
	s_nop 1
	v_cndmask_b32_e64 v13, v13, v15, s[4:5]
	v_mul_f32_e32 v14, 0x37800000, v13
	v_cndmask_b32_e32 v13, v13, v14, vcc
	v_cmp_class_f32_e64 s[4:5], v7, v11
	s_and_b64 vcc, exec, s[2:3]
	s_nop 0
	v_cndmask_b32_e64 v7, v13, v7, s[4:5]
	s_cbranch_vccnz .LBB379_20
; %bb.19:
	global_load_dword v10, v10, s[22:23] offset:28
	s_waitcnt vmcnt(0)
	v_add_f32_e32 v7, v7, v10
.LBB379_20:
	s_load_dwordx4 s[24:27], s[0:1], 0x30
	s_mov_b32 s42, 0
	v_cmp_eq_u32_e64 s[6:7], 0, v9
	s_waitcnt lgkmcnt(0)
	s_bitcmp1_b32 s27, 0
	s_cselect_b64 s[4:5], -1, 0
	s_cmp_gt_i32 s24, 0
	s_cselect_b64 s[38:39], -1, 0
	s_and_b64 vcc, exec, s[38:39]
	s_cbranch_vccz .LBB379_35
; %bb.21:
	v_mbcnt_lo_u32_b32 v10, -1, 0
	v_mbcnt_hi_u32_b32 v10, -1, v10
	s_load_dwordx4 s[28:31], s[0:1], 0x20
	v_and_b32_e32 v13, 0x7e, v10
	v_xor_b32_e32 v11, 1, v10
	v_add_u32_e32 v13, 2, v13
	v_cmp_lt_i32_e32 vcc, v11, v13
	v_mul_lo_u32 v15, v8, s24
	v_mov_b32_e32 v13, 0
	v_cndmask_b32_e32 v10, v10, v11, vcc
	v_lshlrev_b32_e32 v14, 2, v10
	v_mov_b32_e32 v16, 0xc61c4000
	v_mov_b32_e32 v17, v8
	s_branch .LBB379_24
.LBB379_22:                             ;   in Loop: Header=BB379_24 Depth=1
	s_or_b64 exec, exec, s[40:41]
.LBB379_23:                             ;   in Loop: Header=BB379_24 Depth=1
	s_cmp_eq_u32 s24, s42
	v_add_u32_e32 v17, s33, v17
	s_cbranch_scc1 .LBB379_36
.LBB379_24:                             ; =>This Inner Loop Header: Depth=1
	v_cmp_gt_f32_e32 vcc, v1, v0
	s_nop 1
	v_cndmask_b32_e32 v11, v0, v1, vcc
	v_cndmask_b32_e64 v10, 0, 1, vcc
	v_cmp_gt_f32_e32 vcc, v2, v11
	s_nop 1
	v_cndmask_b32_e32 v11, v11, v2, vcc
	v_cndmask_b32_e64 v10, v10, 2, vcc
	;; [unrolled: 4-line block ×6, first 2 shown]
	v_cmp_gt_f32_e32 vcc, v7, v11
	s_nop 1
	v_cndmask_b32_e64 v10, v10, 7, vcc
	v_cndmask_b32_e32 v18, v11, v7, vcc
	ds_bpermute_b32 v11, v14, v18
	v_or_b32_e32 v10, v12, v10
	ds_bpermute_b32 v19, v14, v10
	s_waitcnt lgkmcnt(0)
	v_cmp_lt_f32_e64 s[8:9], v18, v11
	v_cmp_nlt_f32_e32 vcc, v18, v11
	s_and_saveexec_b64 s[10:11], vcc
	s_cbranch_execnz .LBB379_28
; %bb.25:                               ;   in Loop: Header=BB379_24 Depth=1
	s_or_b64 exec, exec, s[10:11]
	s_and_saveexec_b64 s[0:1], s[8:9]
	s_cbranch_execnz .LBB379_29
.LBB379_26:                             ;   in Loop: Header=BB379_24 Depth=1
	s_or_b64 exec, exec, s[0:1]
	s_and_saveexec_b64 s[8:9], s[6:7]
	s_cbranch_execnz .LBB379_30
.LBB379_27:                             ;   in Loop: Header=BB379_24 Depth=1
	s_or_b64 exec, exec, s[8:9]
	s_add_i32 s42, s42, 1
	s_cmp_ge_i32 s42, s24
	s_cbranch_scc1 .LBB379_23
	s_branch .LBB379_33
.LBB379_28:                             ;   in Loop: Header=BB379_24 Depth=1
	v_cmp_eq_f32_e32 vcc, v18, v11
	v_cmp_lt_i32_e64 s[0:1], v19, v10
	s_and_b64 s[0:1], vcc, s[0:1]
	s_andn2_b64 s[8:9], s[8:9], exec
	s_and_b64 s[0:1], s[0:1], exec
	s_or_b64 s[8:9], s[8:9], s[0:1]
	s_or_b64 exec, exec, s[10:11]
	s_and_saveexec_b64 s[0:1], s[8:9]
	s_cbranch_execz .LBB379_26
.LBB379_29:                             ;   in Loop: Header=BB379_24 Depth=1
	v_mov_b32_e32 v10, v19
	v_mov_b32_e32 v18, v11
	s_or_b64 exec, exec, s[0:1]
	s_and_saveexec_b64 s[8:9], s[6:7]
	s_cbranch_execz .LBB379_27
.LBB379_30:                             ;   in Loop: Header=BB379_24 Depth=1
	s_and_b64 vcc, exec, s[2:3]
	s_cbranch_vccnz .LBB379_32
; %bb.31:                               ;   in Loop: Header=BB379_24 Depth=1
	v_ashrrev_i32_e32 v11, 31, v10
	v_lshl_add_u64 v[20:21], v[10:11], 2, s[22:23]
	global_load_dword v11, v[20:21], off
	s_waitcnt vmcnt(0)
	v_sub_f32_e32 v18, v18, v11
.LBB379_32:                             ;   in Loop: Header=BB379_24 Depth=1
	v_add_u32_e32 v20, s42, v15
	v_cmp_le_i32_e32 vcc, s25, v10
	v_cmp_gt_i32_e64 s[0:1], s26, v10
	v_ashrrev_i32_e32 v21, 31, v20
	s_and_b64 s[0:1], vcc, s[0:1]
	v_lshlrev_b64 v[20:21], 2, v[20:21]
	v_lshl_add_u64 v[22:23], s[34:35], 0, v[20:21]
	v_subrev_u32_e32 v11, s25, v10
	s_and_b64 vcc, s[36:37], s[0:1]
	global_store_dword v[22:23], v18, off
	v_cndmask_b32_e32 v11, 16, v11, vcc
	v_lshl_add_u64 v[22:23], s[28:29], 0, v[20:21]
	global_store_dword v[22:23], v11, off
	v_add_f32_e32 v11, v13, v18
	v_lshl_add_u64 v[20:21], s[30:31], 0, v[20:21]
	v_cndmask_b32_e64 v13, v13, v11, s[4:5]
	global_store_dword v[20:21], v17, off
	s_or_b64 exec, exec, s[8:9]
	s_add_i32 s42, s42, 1
	s_cmp_ge_i32 s42, s24
	s_cbranch_scc1 .LBB379_23
.LBB379_33:                             ;   in Loop: Header=BB379_24 Depth=1
	v_ashrrev_i32_e32 v18, 31, v10
	v_lshrrev_b32_e32 v11, 29, v18
	v_add_u32_e32 v19, v10, v11
	v_ashrrev_i32_e32 v11, 3, v19
	v_lshrrev_b32_e32 v19, 31, v19
	v_add_u32_e32 v19, v11, v19
	v_and_b32_e32 v19, -2, v19
	v_sub_u32_e32 v19, v11, v19
	v_cmp_eq_u32_e32 vcc, v9, v19
	s_and_saveexec_b64 s[40:41], vcc
	s_cbranch_execz .LBB379_22
; %bb.34:                               ;   in Loop: Header=BB379_24 Depth=1
	v_lshrrev_b32_e32 v18, 28, v18
	v_add_u32_e32 v18, v10, v18
	v_lshlrev_b32_e32 v11, 3, v11
	v_sub_u32_e32 v10, v10, v11
	v_ashrrev_i32_e32 v11, 4, v18
	v_lshl_add_u32 v10, v11, 3, v10
	v_cmp_ne_u32_e32 vcc, 6, v10
	v_cmp_ne_u32_e64 s[0:1], 5, v10
	v_cmp_ne_u32_e64 s[8:9], 4, v10
	v_cmp_ne_u32_e64 s[10:11], 3, v10
	v_cmp_ne_u32_e64 s[12:13], 2, v10
	v_cmp_ne_u32_e64 s[14:15], 1, v10
	v_cmp_ne_u32_e64 s[16:17], 0, v10
	v_cmp_ne_u32_e64 s[18:19], 7, v10
	v_cndmask_b32_e32 v6, v16, v6, vcc
	v_cndmask_b32_e64 v5, v16, v5, s[0:1]
	v_cndmask_b32_e64 v7, v16, v7, s[18:19]
	;; [unrolled: 1-line block ×7, first 2 shown]
	s_branch .LBB379_22
.LBB379_35:
	v_mov_b32_e32 v13, 0
.LBB379_36:
	v_cmp_eq_u32_e32 vcc, 0, v9
	s_and_b64 exec, exec, vcc
	s_cbranch_execz .LBB379_49
; %bb.37:
	s_andn2_b64 vcc, exec, s[4:5]
	v_cvt_f32_f64_e32 v0, s[20:21]
	s_cbranch_vccnz .LBB379_39
; %bb.38:
	v_cmp_lt_f32_e32 vcc, 0, v13
	s_nop 1
	v_cndmask_b32_e32 v1, 1.0, v13, vcc
	v_div_scale_f32 v2, s[0:1], v1, v1, v0
	v_rcp_f32_e32 v3, v2
	s_nop 0
	v_fma_f32 v4, -v2, v3, 1.0
	v_fmac_f32_e32 v3, v4, v3
	v_div_scale_f32 v4, vcc, v0, v1, v0
	v_mul_f32_e32 v5, v4, v3
	v_fma_f32 v6, -v2, v5, v4
	v_fmac_f32_e32 v5, v6, v3
	v_fma_f32 v2, -v2, v5, v4
	v_div_fmas_f32 v2, v2, v3, v5
	v_div_fixup_f32 v0, v2, v1, v0
.LBB379_39:
	s_andn2_b64 vcc, exec, s[38:39]
	s_cbranch_vccnz .LBB379_49
; %bb.40:
	v_mul_lo_u32 v2, v8, s24
	s_cmp_gt_u32 s24, 3
	v_ashrrev_i32_e32 v3, 31, v2
	s_cbranch_scc0 .LBB379_44
; %bb.41:
	s_and_b32 s0, s24, 0x7ffffffc
	v_lshl_add_u64 v[4:5], v[2:3], 2, s[34:35]
	v_mov_b32_e32 v1, v0
	v_lshl_add_u64 v[4:5], v[4:5], 0, 8
	s_mov_b32 s1, s0
.LBB379_42:                             ; =>This Inner Loop Header: Depth=1
	global_load_dwordx4 v[6:9], v[4:5], off offset:-8
	s_add_i32 s1, s1, -4
	s_cmp_lg_u32 s1, 0
	s_waitcnt vmcnt(0)
	v_pk_mul_f32 v[6:7], v[0:1], v[6:7]
	v_pk_mul_f32 v[8:9], v[0:1], v[8:9]
	global_store_dwordx4 v[4:5], v[6:9], off offset:-8
	v_lshl_add_u64 v[4:5], v[4:5], 0, 16
	s_cbranch_scc1 .LBB379_42
; %bb.43:
	s_cmp_lg_u32 s0, s24
	s_cselect_b64 s[2:3], -1, 0
	s_branch .LBB379_46
.LBB379_44:
	s_mov_b64 s[2:3], 0
                                        ; implicit-def: $sgpr0
	s_cbranch_execz .LBB379_46
; %bb.45:
	s_mov_b64 s[2:3], -1
	s_mov_b32 s0, 0
.LBB379_46:
	s_andn2_b64 vcc, exec, s[2:3]
	s_cbranch_vccnz .LBB379_49
; %bb.47:
	s_mov_b32 s1, 0
	v_lshl_add_u64 v[2:3], v[2:3], 0, s[0:1]
	s_sub_i32 s2, s24, s0
	v_lshl_add_u64 v[2:3], v[2:3], 2, s[34:35]
.LBB379_48:                             ; =>This Inner Loop Header: Depth=1
	global_load_dword v1, v[2:3], off
	s_add_i32 s2, s2, -1
	s_cmp_lg_u32 s2, 0
	s_waitcnt vmcnt(0)
	v_mul_f32_e32 v1, v0, v1
	global_store_dword v[2:3], v1, off
	v_lshl_add_u64 v[2:3], v[2:3], 0, 4
	s_cbranch_scc1 .LBB379_48
.LBB379_49:
	s_endpgm
	.section	.rodata,"a",@progbits
	.p2align	6, 0x0
	.amdhsa_kernel _ZN4vllm3moe22topkGatingSoftplusSqrtILi8ELi16ELi4ELi16ELi32ELb0Ei14__hip_bfloat16EEvPKT6_PKbPfiPT5_PiiiibdPKfPKS9_SF_
		.amdhsa_group_segment_fixed_size 0
		.amdhsa_private_segment_fixed_size 0
		.amdhsa_kernarg_size 96
		.amdhsa_user_sgpr_count 2
		.amdhsa_user_sgpr_dispatch_ptr 0
		.amdhsa_user_sgpr_queue_ptr 0
		.amdhsa_user_sgpr_kernarg_segment_ptr 1
		.amdhsa_user_sgpr_dispatch_id 0
		.amdhsa_user_sgpr_kernarg_preload_length 0
		.amdhsa_user_sgpr_kernarg_preload_offset 0
		.amdhsa_user_sgpr_private_segment_size 0
		.amdhsa_uses_dynamic_stack 0
		.amdhsa_enable_private_segment 0
		.amdhsa_system_sgpr_workgroup_id_x 1
		.amdhsa_system_sgpr_workgroup_id_y 0
		.amdhsa_system_sgpr_workgroup_id_z 0
		.amdhsa_system_sgpr_workgroup_info 0
		.amdhsa_system_vgpr_workitem_id 1
		.amdhsa_next_free_vgpr 24
		.amdhsa_next_free_sgpr 43
		.amdhsa_accum_offset 24
		.amdhsa_reserve_vcc 1
		.amdhsa_float_round_mode_32 0
		.amdhsa_float_round_mode_16_64 0
		.amdhsa_float_denorm_mode_32 3
		.amdhsa_float_denorm_mode_16_64 3
		.amdhsa_dx10_clamp 1
		.amdhsa_ieee_mode 1
		.amdhsa_fp16_overflow 0
		.amdhsa_tg_split 0
		.amdhsa_exception_fp_ieee_invalid_op 0
		.amdhsa_exception_fp_denorm_src 0
		.amdhsa_exception_fp_ieee_div_zero 0
		.amdhsa_exception_fp_ieee_overflow 0
		.amdhsa_exception_fp_ieee_underflow 0
		.amdhsa_exception_fp_ieee_inexact 0
		.amdhsa_exception_int_div_zero 0
	.end_amdhsa_kernel
	.section	.text._ZN4vllm3moe22topkGatingSoftplusSqrtILi8ELi16ELi4ELi16ELi32ELb0Ei14__hip_bfloat16EEvPKT6_PKbPfiPT5_PiiiibdPKfPKS9_SF_,"axG",@progbits,_ZN4vllm3moe22topkGatingSoftplusSqrtILi8ELi16ELi4ELi16ELi32ELb0Ei14__hip_bfloat16EEvPKT6_PKbPfiPT5_PiiiibdPKfPKS9_SF_,comdat
.Lfunc_end379:
	.size	_ZN4vllm3moe22topkGatingSoftplusSqrtILi8ELi16ELi4ELi16ELi32ELb0Ei14__hip_bfloat16EEvPKT6_PKbPfiPT5_PiiiibdPKfPKS9_SF_, .Lfunc_end379-_ZN4vllm3moe22topkGatingSoftplusSqrtILi8ELi16ELi4ELi16ELi32ELb0Ei14__hip_bfloat16EEvPKT6_PKbPfiPT5_PiiiibdPKfPKS9_SF_
                                        ; -- End function
	.section	.AMDGPU.csdata,"",@progbits
; Kernel info:
; codeLenInByte = 3620
; NumSgprs: 49
; NumVgprs: 24
; NumAgprs: 0
; TotalNumVgprs: 24
; ScratchSize: 0
; MemoryBound: 0
; FloatMode: 240
; IeeeMode: 1
; LDSByteSize: 0 bytes/workgroup (compile time only)
; SGPRBlocks: 6
; VGPRBlocks: 2
; NumSGPRsForWavesPerEU: 49
; NumVGPRsForWavesPerEU: 24
; AccumOffset: 24
; Occupancy: 8
; WaveLimiterHint : 0
; COMPUTE_PGM_RSRC2:SCRATCH_EN: 0
; COMPUTE_PGM_RSRC2:USER_SGPR: 2
; COMPUTE_PGM_RSRC2:TRAP_HANDLER: 0
; COMPUTE_PGM_RSRC2:TGID_X_EN: 1
; COMPUTE_PGM_RSRC2:TGID_Y_EN: 0
; COMPUTE_PGM_RSRC2:TGID_Z_EN: 0
; COMPUTE_PGM_RSRC2:TIDIG_COMP_CNT: 1
; COMPUTE_PGM_RSRC3_GFX90A:ACCUM_OFFSET: 5
; COMPUTE_PGM_RSRC3_GFX90A:TG_SPLIT: 0
	.section	.text._ZN4vllm3moe22topkGatingSoftplusSqrtILi8ELi32ELi4ELi16ELi64ELb1Ei14__hip_bfloat16EEvPKT6_PKbPfiPT5_PiiiibdPKfPKS9_SF_,"axG",@progbits,_ZN4vllm3moe22topkGatingSoftplusSqrtILi8ELi32ELi4ELi16ELi64ELb1Ei14__hip_bfloat16EEvPKT6_PKbPfiPT5_PiiiibdPKfPKS9_SF_,comdat
	.protected	_ZN4vllm3moe22topkGatingSoftplusSqrtILi8ELi32ELi4ELi16ELi64ELb1Ei14__hip_bfloat16EEvPKT6_PKbPfiPT5_PiiiibdPKfPKS9_SF_ ; -- Begin function _ZN4vllm3moe22topkGatingSoftplusSqrtILi8ELi32ELi4ELi16ELi64ELb1Ei14__hip_bfloat16EEvPKT6_PKbPfiPT5_PiiiibdPKfPKS9_SF_
	.globl	_ZN4vllm3moe22topkGatingSoftplusSqrtILi8ELi32ELi4ELi16ELi64ELb1Ei14__hip_bfloat16EEvPKT6_PKbPfiPT5_PiiiibdPKfPKS9_SF_
	.p2align	8
	.type	_ZN4vllm3moe22topkGatingSoftplusSqrtILi8ELi32ELi4ELi16ELi64ELb1Ei14__hip_bfloat16EEvPKT6_PKbPfiPT5_PiiiibdPKfPKS9_SF_,@function
_ZN4vllm3moe22topkGatingSoftplusSqrtILi8ELi32ELi4ELi16ELi64ELb1Ei14__hip_bfloat16EEvPKT6_PKbPfiPT5_PiiiibdPKfPKS9_SF_: ; @_ZN4vllm3moe22topkGatingSoftplusSqrtILi8ELi32ELi4ELi16ELi64ELb1Ei14__hip_bfloat16EEvPKT6_PKbPfiPT5_PiiiibdPKfPKS9_SF_
; %bb.0:
	s_load_dword s3, s[0:1], 0x18
	v_bfe_u32 v1, v0, 10, 10
	v_and_b32_e32 v8, 0x3ff, v0
	s_lshl_b32 s2, s2, 6
	v_lshlrev_b32_e32 v1, 4, v1
	v_lshrrev_b32_e32 v0, 2, v8
	v_add3_u32 v6, s2, v1, v0
	s_waitcnt lgkmcnt(0)
	v_cmp_gt_i32_e32 vcc, s3, v6
	s_and_saveexec_b64 s[2:3], vcc
	s_cbranch_execz .LBB380_31
; %bb.1:
	s_load_dwordx2 s[2:3], s[0:1], 0x0
	s_load_dword s33, s[0:1], 0x30
	v_lshlrev_b32_e32 v0, 5, v6
	v_lshlrev_b32_e32 v2, 3, v8
	v_ashrrev_i32_e32 v1, 31, v0
	v_and_b32_e32 v10, 24, v2
	s_waitcnt lgkmcnt(0)
	v_lshl_add_u64 v[0:1], v[0:1], 1, s[2:3]
	v_lshlrev_b32_e32 v4, 1, v10
	v_mov_b32_e32 v5, 0
	v_lshl_add_u64 v[0:1], v[0:1], 0, v[4:5]
	global_load_dwordx4 v[0:3], v[0:1], off
	s_load_dwordx4 s[8:11], s[0:1], 0x50
	v_ashrrev_i32_e32 v7, 31, v6
	s_mov_b32 s15, 0x800000
	s_mov_b32 s13, 0x3f317217
	s_mov_b32 s14, 0x7f800000
	s_waitcnt lgkmcnt(0)
	v_mov_b32_e32 v12, s8
	v_mov_b32_e32 v13, s9
	v_lshl_add_u64 v[12:13], v[6:7], 2, v[12:13]
	global_load_dword v4, v[12:13], off
	v_mov_b32_e32 v7, 0x4f800000
	v_mov_b32_e32 v9, 0x41b17218
	s_mov_b32 s9, 0x41a00000
	s_mov_b32 s12, 0xf800000
	v_mov_b32_e32 v11, 0x260
	s_cmp_gt_i32 s33, 0
	s_mov_b32 s8, 0
	s_waitcnt vmcnt(1)
	v_and_b32_e32 v16, 0xffff0000, v0
	v_lshlrev_b32_e32 v17, 16, v0
	v_and_b32_e32 v18, 0xffff0000, v1
	v_lshlrev_b32_e32 v19, 16, v1
	v_mul_f32_e32 v0, 0x3fb8aa3b, v17
	v_mul_f32_e32 v1, 0x3fb8aa3b, v16
	v_exp_f32_e32 v12, v0
	v_exp_f32_e32 v13, v1
	v_mul_f32_e32 v14, 0x3fb8aa3b, v19
	v_mul_f32_e32 v15, 0x3fb8aa3b, v18
	v_exp_f32_e32 v14, v14
	v_exp_f32_e32 v15, v15
	v_pk_add_f32 v[12:13], v[12:13], 1.0 op_sel_hi:[1,0]
	s_waitcnt vmcnt(0)
	v_mul_lo_u32 v0, v4, s33
	v_cmp_gt_f32_e32 vcc, s15, v13
	v_pk_add_f32 v[14:15], v[14:15], 1.0 op_sel_hi:[1,0]
	v_cmp_gt_f32_e64 s[2:3], s15, v12
	v_cndmask_b32_e32 v4, 1.0, v7, vcc
	v_cmp_gt_f32_e64 s[4:5], s15, v15
	v_cndmask_b32_e64 v20, 1.0, v7, s[2:3]
	v_mul_f32_e32 v4, v13, v4
	v_cndmask_b32_e64 v21, 1.0, v7, s[4:5]
	v_mul_f32_e32 v12, v12, v20
	v_log_f32_e32 v4, v4
	v_mul_f32_e32 v15, v15, v21
	v_log_f32_e32 v12, v12
	v_cmp_gt_f32_e64 s[6:7], s15, v14
	v_log_f32_e32 v15, v15
	v_cndmask_b32_e32 v13, 0, v9, vcc
	v_cndmask_b32_e64 v22, 1.0, v7, s[6:7]
	v_mul_f32_e32 v14, v14, v22
	v_mul_f32_e32 v22, 0x3f317217, v4
	v_mul_f32_e32 v23, 0x3f317217, v12
	v_fma_f32 v22, v4, s13, -v22
	v_mul_f32_e32 v24, 0x3f317217, v15
	v_fma_f32 v23, v12, s13, -v23
	v_fmac_f32_e32 v22, 0x3377d1cf, v4
	v_fma_f32 v24, v15, s13, -v24
	v_fmac_f32_e32 v23, 0x3377d1cf, v12
	v_fmac_f32_e32 v22, 0x3f317217, v4
	v_cmp_lt_f32_e64 vcc, |v4|, s14
	v_fmac_f32_e32 v24, 0x3377d1cf, v15
	v_fmac_f32_e32 v23, 0x3f317217, v12
	v_cndmask_b32_e32 v4, v4, v22, vcc
	v_cmp_lt_f32_e64 vcc, |v12|, s14
	v_cndmask_b32_e64 v20, 0, v9, s[2:3]
	v_fmac_f32_e32 v24, 0x3f317217, v15
	v_cndmask_b32_e32 v12, v12, v23, vcc
	v_cmp_lt_f32_e64 vcc, |v15|, s14
	v_sub_f32_e32 v12, v12, v20
	v_sub_f32_e32 v4, v4, v13
	v_cndmask_b32_e32 v15, v15, v24, vcc
	v_cmp_lt_f32_e32 vcc, s9, v17
	v_cndmask_b32_e64 v21, 0, v9, s[4:5]
	v_sub_f32_e32 v15, v15, v21
	v_cndmask_b32_e32 v12, v12, v17, vcc
	v_cmp_lt_f32_e32 vcc, s9, v16
	v_cmp_gt_f32_e64 s[2:3], s12, v12
	v_log_f32_e32 v14, v14
	v_cndmask_b32_e32 v4, v4, v16, vcc
	v_mul_f32_e32 v13, 0x4f800000, v4
	v_cmp_gt_f32_e32 vcc, s12, v4
	v_mul_f32_e32 v16, 0x4f800000, v12
	v_cndmask_b32_e64 v12, v12, v16, s[2:3]
	v_cndmask_b32_e32 v4, v4, v13, vcc
	v_sqrt_f32_e32 v13, v4
	v_sqrt_f32_e32 v16, v12
	v_mul_f32_e32 v25, 0x3f317217, v14
	v_fma_f32 v25, v14, s13, -v25
	v_add_u32_e32 v17, -1, v13
	v_add_u32_e32 v21, -1, v16
	v_fma_f32 v23, -v17, v13, v4
	v_add_u32_e32 v20, 1, v13
	v_fma_f32 v26, -v21, v16, v12
	v_cmp_ge_f32_e64 s[4:5], 0, v23
	v_add_u32_e32 v22, 1, v16
	v_fma_f32 v24, -v20, v13, v4
	v_cndmask_b32_e64 v13, v13, v17, s[4:5]
	v_cmp_ge_f32_e64 s[4:5], 0, v26
	v_fma_f32 v27, -v22, v16, v12
	v_fmac_f32_e32 v25, 0x3377d1cf, v14
	v_cndmask_b32_e64 v16, v16, v21, s[4:5]
	v_cmp_lt_f32_e64 s[4:5], 0, v24
	v_fmac_f32_e32 v25, 0x3f317217, v14
	v_ashrrev_i32_e32 v1, 31, v0
	v_cndmask_b32_e64 v13, v13, v20, s[4:5]
	v_cmp_lt_f32_e64 s[4:5], 0, v27
	v_mul_f32_e32 v17, 0x37800000, v13
	v_cndmask_b32_e32 v13, v13, v17, vcc
	v_cndmask_b32_e64 v16, v16, v22, s[4:5]
	v_mul_f32_e32 v20, 0x37800000, v16
	v_cmp_class_f32_e32 vcc, v4, v11
	v_cndmask_b32_e64 v16, v16, v20, s[2:3]
	v_cmp_lt_f32_e64 s[2:3], s9, v19
	v_cndmask_b32_e32 v13, v13, v4, vcc
	v_cmp_class_f32_e32 vcc, v12, v11
	v_and_b32_e32 v20, 0xffff0000, v2
	v_lshlrev_b32_e32 v2, 16, v2
	v_cndmask_b32_e32 v12, v16, v12, vcc
	v_cmp_lt_f32_e64 vcc, |v14|, s14
	s_nop 1
	v_cndmask_b32_e32 v4, v14, v25, vcc
	v_cmp_lt_f32_e32 vcc, s9, v18
	v_cndmask_b32_e64 v14, 0, v9, s[6:7]
	v_sub_f32_e32 v4, v4, v14
	v_cndmask_b32_e32 v15, v15, v18, vcc
	v_mul_f32_e32 v16, 0x4f800000, v15
	v_cmp_gt_f32_e32 vcc, s12, v15
	v_cndmask_b32_e64 v4, v4, v19, s[2:3]
	s_nop 0
	v_cndmask_b32_e32 v15, v15, v16, vcc
	v_sqrt_f32_e32 v16, v15
	s_nop 0
	v_add_u32_e32 v14, -1, v16
	v_fma_f32 v17, -v14, v16, v15
	v_cmp_ge_f32_e64 s[2:3], 0, v17
	v_add_u32_e32 v17, 1, v16
	s_nop 0
	v_cndmask_b32_e64 v14, v16, v14, s[2:3]
	v_fma_f32 v16, -v17, v16, v15
	v_cmp_lt_f32_e64 s[2:3], 0, v16
	s_nop 1
	v_cndmask_b32_e64 v14, v14, v17, s[2:3]
	v_mul_f32_e32 v17, 0x4f800000, v4
	v_cmp_gt_f32_e64 s[2:3], s12, v4
	v_mul_f32_e32 v16, 0x37800000, v14
	v_cndmask_b32_e32 v14, v14, v16, vcc
	v_cndmask_b32_e64 v4, v4, v17, s[2:3]
	v_sqrt_f32_e32 v17, v4
	v_cmp_class_f32_e32 vcc, v15, v11
	v_add_u32_e32 v18, 1, v17
	s_nop 0
	v_cndmask_b32_e32 v15, v14, v15, vcc
	v_add_u32_e32 v14, -1, v17
	v_fma_f32 v16, -v14, v17, v4
	v_cmp_ge_f32_e32 vcc, 0, v16
	v_fma_f32 v19, -v18, v17, v4
	v_mul_f32_e32 v16, 0x3fb8aa3b, v2
	v_cndmask_b32_e32 v14, v17, v14, vcc
	v_mul_f32_e32 v17, 0x3fb8aa3b, v20
	v_exp_f32_e32 v16, v16
	v_exp_f32_e32 v17, v17
	v_cmp_lt_f32_e32 vcc, 0, v19
	v_pk_add_f32 v[16:17], v[16:17], 1.0 op_sel_hi:[1,0]
	s_nop 0
	v_cndmask_b32_e32 v14, v14, v18, vcc
	v_mul_f32_e32 v18, 0x37800000, v14
	v_cmp_gt_f32_e32 vcc, s15, v17
	v_cndmask_b32_e64 v14, v14, v18, s[2:3]
	v_cmp_class_f32_e64 s[2:3], v4, v11
	v_cndmask_b32_e32 v18, 1.0, v7, vcc
	v_mul_f32_e32 v17, v17, v18
	v_log_f32_e32 v17, v17
	v_cndmask_b32_e64 v14, v14, v4, s[2:3]
	v_cmp_gt_f32_e64 s[2:3], s15, v16
	scratch_store_dwordx4 off, v[12:15], off
	v_mul_f32_e32 v4, 0x3f317217, v17
	v_fma_f32 v4, v17, s13, -v4
	v_cndmask_b32_e64 v12, 1.0, v7, s[2:3]
	v_mul_f32_e32 v12, v16, v12
	v_log_f32_e32 v12, v12
	v_fmac_f32_e32 v4, 0x3377d1cf, v17
	v_fmac_f32_e32 v4, 0x3f317217, v17
	v_cmp_lt_f32_e64 s[4:5], |v17|, s14
	v_cndmask_b32_e32 v13, 0, v9, vcc
	v_cmp_lt_f32_e64 vcc, |v12|, s14
	v_cndmask_b32_e64 v4, v17, v4, s[4:5]
	v_sub_f32_e32 v4, v4, v13
	v_mul_f32_e32 v13, 0x3f317217, v12
	v_fma_f32 v13, v12, s13, -v13
	v_fmac_f32_e32 v13, 0x3377d1cf, v12
	v_fmac_f32_e32 v13, 0x3f317217, v12
	v_cndmask_b32_e32 v12, v12, v13, vcc
	v_cmp_lt_f32_e32 vcc, s9, v20
	v_cndmask_b32_e64 v13, 0, v9, s[2:3]
	v_sub_f32_e32 v12, v12, v13
	v_cndmask_b32_e32 v4, v4, v20, vcc
	v_mul_f32_e32 v14, 0x4f800000, v4
	v_cmp_gt_f32_e32 vcc, s12, v4
	v_cmp_lt_f32_e64 s[2:3], s9, v2
	v_and_b32_e32 v16, 0xffff0000, v3
	v_cndmask_b32_e32 v4, v4, v14, vcc
	v_sqrt_f32_e32 v14, v4
	v_cndmask_b32_e64 v2, v12, v2, s[2:3]
	v_lshlrev_b32_e32 v17, 16, v3
	v_mul_f32_e32 v3, 0x3fb8aa3b, v16
	v_add_u32_e32 v12, -1, v14
	v_fma_f32 v13, -v12, v14, v4
	v_cmp_ge_f32_e64 s[2:3], 0, v13
	v_add_u32_e32 v13, 1, v14
	v_exp_f32_e32 v3, v3
	v_cndmask_b32_e64 v12, v14, v12, s[2:3]
	v_fma_f32 v14, -v13, v14, v4
	v_cmp_lt_f32_e64 s[2:3], 0, v14
	v_mul_f32_e32 v14, 0x4f800000, v2
	s_nop 0
	v_cndmask_b32_e64 v12, v12, v13, s[2:3]
	v_cmp_gt_f32_e64 s[2:3], s12, v2
	v_mul_f32_e32 v13, 0x37800000, v12
	v_cndmask_b32_e32 v12, v12, v13, vcc
	v_cndmask_b32_e64 v14, v2, v14, s[2:3]
	v_sqrt_f32_e32 v2, v14
	v_cmp_class_f32_e32 vcc, v4, v11
	s_nop 1
	v_cndmask_b32_e32 v13, v12, v4, vcc
	v_add_u32_e32 v4, -1, v2
	v_fma_f32 v12, -v4, v2, v14
	v_cmp_ge_f32_e32 vcc, 0, v12
	v_add_u32_e32 v12, 1, v2
	v_fma_f32 v15, -v12, v2, v14
	v_cndmask_b32_e32 v4, v2, v4, vcc
	v_mul_f32_e32 v2, 0x3fb8aa3b, v17
	v_exp_f32_e32 v2, v2
	v_cmp_lt_f32_e32 vcc, 0, v15
	v_pk_add_f32 v[2:3], v[2:3], 1.0 op_sel_hi:[1,0]
	s_nop 0
	v_cndmask_b32_e32 v4, v4, v12, vcc
	v_cmp_gt_f32_e32 vcc, s15, v3
	v_mul_f32_e32 v12, 0x37800000, v4
	v_cndmask_b32_e64 v4, v4, v12, s[2:3]
	v_cndmask_b32_e32 v15, 1.0, v7, vcc
	v_mul_f32_e32 v3, v3, v15
	v_log_f32_e32 v3, v3
	v_cmp_class_f32_e64 s[2:3], v14, v11
	v_cmp_lt_f32_e64 s[4:5], |v3|, s14
	s_nop 0
	v_cndmask_b32_e64 v12, v4, v14, s[2:3]
	v_cmp_gt_f32_e64 s[2:3], s15, v2
	v_mul_f32_e32 v4, 0x3f317217, v3
	v_fma_f32 v4, v3, s13, -v4
	v_cndmask_b32_e64 v7, 1.0, v7, s[2:3]
	v_mul_f32_e32 v2, v2, v7
	v_log_f32_e32 v2, v2
	v_fmac_f32_e32 v4, 0x3377d1cf, v3
	v_fmac_f32_e32 v4, 0x3f317217, v3
	v_cndmask_b32_e64 v3, v3, v4, s[4:5]
	v_cndmask_b32_e32 v4, 0, v9, vcc
	v_sub_f32_e32 v3, v3, v4
	v_mul_f32_e32 v4, 0x3f317217, v2
	v_fma_f32 v4, v2, s13, -v4
	v_fmac_f32_e32 v4, 0x3377d1cf, v2
	v_fmac_f32_e32 v4, 0x3f317217, v2
	v_cmp_lt_f32_e64 vcc, |v2|, s14
	s_cselect_b64 s[4:5], -1, 0
	s_cmp_lt_i32 s33, 1
	v_cndmask_b32_e32 v2, v2, v4, vcc
	v_cmp_lt_f32_e32 vcc, s9, v16
	v_cndmask_b32_e64 v4, 0, v9, s[2:3]
	v_sub_f32_e32 v2, v2, v4
	v_cndmask_b32_e32 v3, v3, v16, vcc
	v_mul_f32_e32 v7, 0x4f800000, v3
	v_cmp_gt_f32_e32 vcc, s12, v3
	v_cmp_lt_f32_e64 s[2:3], s9, v17
	s_nop 0
	v_cndmask_b32_e32 v3, v3, v7, vcc
	v_sqrt_f32_e32 v7, v3
	v_cndmask_b32_e64 v2, v2, v17, s[2:3]
	v_add_u32_e32 v4, -1, v7
	v_fma_f32 v9, -v4, v7, v3
	v_cmp_ge_f32_e64 s[2:3], 0, v9
	v_add_u32_e32 v9, 1, v7
	s_nop 0
	v_cndmask_b32_e64 v4, v7, v4, s[2:3]
	v_fma_f32 v7, -v9, v7, v3
	v_cmp_lt_f32_e64 s[2:3], 0, v7
	s_nop 1
	v_cndmask_b32_e64 v4, v4, v9, s[2:3]
	v_mul_f32_e32 v9, 0x4f800000, v2
	v_cmp_gt_f32_e64 s[2:3], s12, v2
	v_mul_f32_e32 v7, 0x37800000, v4
	v_cndmask_b32_e32 v4, v4, v7, vcc
	v_cndmask_b32_e64 v2, v2, v9, s[2:3]
	v_sqrt_f32_e32 v9, v2
	v_cmp_class_f32_e32 vcc, v3, v11
	s_nop 1
	v_cndmask_b32_e32 v15, v4, v3, vcc
	v_add_u32_e32 v3, -1, v9
	v_fma_f32 v4, -v3, v9, v2
	v_cmp_ge_f32_e32 vcc, 0, v4
	v_add_u32_e32 v4, 1, v9
	v_fma_f32 v7, -v4, v9, v2
	v_cndmask_b32_e32 v3, v9, v3, vcc
	v_cmp_lt_f32_e32 vcc, 0, v7
	s_nop 1
	v_cndmask_b32_e32 v3, v3, v4, vcc
	v_mul_f32_e32 v4, 0x37800000, v3
	v_cndmask_b32_e64 v3, v3, v4, s[2:3]
	v_cmp_class_f32_e32 vcc, v2, v11
	s_nop 1
	v_cndmask_b32_e32 v14, v3, v2, vcc
	v_lshl_add_u64 v[2:3], v[0:1], 2, s[10:11]
	v_mul_lo_u32 v0, v6, s33
	scratch_store_dwordx4 off, v[12:15], off offset:16
	s_cbranch_scc1 .LBB380_28
; %bb.2:
	s_load_dwordx2 s[6:7], s[0:1], 0x20
	s_cmp_lt_u32 s33, 4
	v_and_b32_e32 v4, 3, v8
	s_cbranch_scc1 .LBB380_21
; %bb.3:
	v_lshlrev_b32_e32 v5, 3, v4
	s_mov_b32 s11, 0
	s_and_b32 s8, s33, 0x7ffffffc
	v_ashrrev_i32_e32 v1, 31, v0
	v_sub_u32_e32 v11, 0, v5
	v_mov_b32_e32 v5, 0
	s_mov_b32 s10, s11
	s_branch .LBB380_5
.LBB380_4:                              ;   in Loop: Header=BB380_5 Depth=1
	s_or_b64 exec, exec, s[12:13]
	s_add_i32 s10, s10, 4
	s_cmp_eq_u32 s10, s8
	s_cbranch_scc1 .LBB380_21
.LBB380_5:                              ; =>This Loop Header: Depth=1
                                        ;     Child Loop BB380_7 Depth 2
                                        ;     Child Loop BB380_11 Depth 2
                                        ;     Child Loop BB380_15 Depth 2
                                        ;     Child Loop BB380_19 Depth 2
	v_lshl_add_u64 v[6:7], s[10:11], 2, v[2:3]
	global_load_dword v12, v[6:7], off
	v_add_u32_e32 v8, s10, v0
	v_ashrrev_i32_e32 v9, 31, v8
	v_mov_b32_e32 v13, 0
	s_mov_b64 s[12:13], 0
	s_waitcnt lgkmcnt(0)
	v_lshl_add_u64 v[8:9], v[8:9], 2, s[6:7]
	s_mov_b32 s9, 0
	s_waitcnt vmcnt(0)
	v_add_u32_e32 v14, v11, v12
	s_branch .LBB380_7
.LBB380_6:                              ;   in Loop: Header=BB380_7 Depth=2
	s_or_b64 exec, exec, s[14:15]
	s_add_i32 s16, s9, 1
	s_cmp_gt_u32 s9, 6
	s_cselect_b64 s[2:3], -1, 0
	s_xor_b64 s[14:15], vcc, -1
	s_or_b64 s[2:3], s[14:15], s[2:3]
	s_and_b64 s[2:3], exec, s[2:3]
	v_add_u32_e32 v13, 4, v13
	s_or_b64 s[12:13], s[2:3], s[12:13]
	s_mov_b32 s9, s16
	s_andn2_b64 exec, exec, s[12:13]
	s_cbranch_execz .LBB380_9
.LBB380_7:                              ;   Parent Loop BB380_5 Depth=1
                                        ; =>  This Inner Loop Header: Depth=2
	v_cmp_ne_u32_e32 vcc, s9, v14
	v_cmp_eq_u32_e64 s[2:3], s9, v14
	s_and_saveexec_b64 s[14:15], s[2:3]
	s_cbranch_execz .LBB380_6
; %bb.8:                                ;   in Loop: Header=BB380_7 Depth=2
	scratch_load_dword v15, v13, off
	s_waitcnt vmcnt(0)
	v_add_f32_e32 v5, v5, v15
	global_store_dword v[8:9], v12, off
	s_branch .LBB380_6
.LBB380_9:                              ;   in Loop: Header=BB380_5 Depth=1
	s_or_b64 exec, exec, s[12:13]
	global_load_dword v12, v[6:7], off offset:4
	s_ashr_i32 s3, s10, 31
	s_mov_b32 s2, s10
	v_lshl_add_u64 v[8:9], s[2:3], 0, v[0:1]
	v_mov_b32_e32 v13, 0
	s_mov_b32 s9, 0
	v_lshl_add_u64 v[8:9], v[8:9], 2, s[6:7]
	s_mov_b64 s[12:13], 0
	s_waitcnt vmcnt(0)
	v_add_u32_e32 v14, v11, v12
	s_branch .LBB380_11
.LBB380_10:                             ;   in Loop: Header=BB380_11 Depth=2
	s_or_b64 exec, exec, s[14:15]
	s_add_i32 s16, s9, 1
	s_cmp_gt_u32 s9, 6
	s_cselect_b64 s[2:3], -1, 0
	s_xor_b64 s[14:15], vcc, -1
	s_or_b64 s[2:3], s[14:15], s[2:3]
	s_and_b64 s[2:3], exec, s[2:3]
	v_add_u32_e32 v13, 4, v13
	s_or_b64 s[12:13], s[2:3], s[12:13]
	s_mov_b32 s9, s16
	s_andn2_b64 exec, exec, s[12:13]
	s_cbranch_execz .LBB380_13
.LBB380_11:                             ;   Parent Loop BB380_5 Depth=1
                                        ; =>  This Inner Loop Header: Depth=2
	v_cmp_ne_u32_e32 vcc, s9, v14
	v_cmp_eq_u32_e64 s[2:3], s9, v14
	s_and_saveexec_b64 s[14:15], s[2:3]
	s_cbranch_execz .LBB380_10
; %bb.12:                               ;   in Loop: Header=BB380_11 Depth=2
	scratch_load_dword v15, v13, off
	s_waitcnt vmcnt(0)
	v_add_f32_e32 v5, v5, v15
	global_store_dword v[8:9], v12, off offset:4
	s_branch .LBB380_10
.LBB380_13:                             ;   in Loop: Header=BB380_5 Depth=1
	s_or_b64 exec, exec, s[12:13]
	global_load_dword v12, v[6:7], off offset:8
	v_mov_b32_e32 v13, 0
	s_mov_b32 s9, 0
	s_mov_b64 s[12:13], 0
	s_waitcnt vmcnt(0)
	v_add_u32_e32 v14, v11, v12
	s_branch .LBB380_15
.LBB380_14:                             ;   in Loop: Header=BB380_15 Depth=2
	s_or_b64 exec, exec, s[14:15]
	s_add_i32 s16, s9, 1
	s_cmp_gt_u32 s9, 6
	s_cselect_b64 s[2:3], -1, 0
	s_xor_b64 s[14:15], vcc, -1
	s_or_b64 s[2:3], s[14:15], s[2:3]
	s_and_b64 s[2:3], exec, s[2:3]
	v_add_u32_e32 v13, 4, v13
	s_or_b64 s[12:13], s[2:3], s[12:13]
	s_mov_b32 s9, s16
	s_andn2_b64 exec, exec, s[12:13]
	s_cbranch_execz .LBB380_17
.LBB380_15:                             ;   Parent Loop BB380_5 Depth=1
                                        ; =>  This Inner Loop Header: Depth=2
	v_cmp_ne_u32_e32 vcc, s9, v14
	v_cmp_eq_u32_e64 s[2:3], s9, v14
	s_and_saveexec_b64 s[14:15], s[2:3]
	s_cbranch_execz .LBB380_14
; %bb.16:                               ;   in Loop: Header=BB380_15 Depth=2
	scratch_load_dword v15, v13, off
	s_waitcnt vmcnt(0)
	v_add_f32_e32 v5, v5, v15
	global_store_dword v[8:9], v12, off offset:8
	s_branch .LBB380_14
.LBB380_17:                             ;   in Loop: Header=BB380_5 Depth=1
	s_or_b64 exec, exec, s[12:13]
	global_load_dword v6, v[6:7], off offset:12
	v_mov_b32_e32 v7, 0
	s_mov_b32 s9, 0
	s_mov_b64 s[12:13], 0
	s_waitcnt vmcnt(0)
	v_add_u32_e32 v12, v11, v6
	s_branch .LBB380_19
.LBB380_18:                             ;   in Loop: Header=BB380_19 Depth=2
	s_or_b64 exec, exec, s[14:15]
	s_add_i32 s16, s9, 1
	s_cmp_gt_u32 s9, 6
	s_cselect_b64 s[2:3], -1, 0
	s_xor_b64 s[14:15], vcc, -1
	s_or_b64 s[2:3], s[14:15], s[2:3]
	s_and_b64 s[2:3], exec, s[2:3]
	v_add_u32_e32 v7, 4, v7
	s_or_b64 s[12:13], s[2:3], s[12:13]
	s_mov_b32 s9, s16
	s_andn2_b64 exec, exec, s[12:13]
	s_cbranch_execz .LBB380_4
.LBB380_19:                             ;   Parent Loop BB380_5 Depth=1
                                        ; =>  This Inner Loop Header: Depth=2
	v_cmp_ne_u32_e32 vcc, s9, v12
	v_cmp_eq_u32_e64 s[2:3], s9, v12
	s_and_saveexec_b64 s[14:15], s[2:3]
	s_cbranch_execz .LBB380_18
; %bb.20:                               ;   in Loop: Header=BB380_19 Depth=2
	scratch_load_dword v13, v7, off
	s_waitcnt vmcnt(0)
	v_add_f32_e32 v5, v5, v13
	global_store_dword v[8:9], v6, off offset:12
	s_branch .LBB380_18
.LBB380_21:
	s_and_b32 s14, s33, 3
	s_cmp_eq_u32 s14, 0
	s_mov_b32 s9, 0
	s_cbranch_scc1 .LBB380_28
; %bb.22:
	v_lshlrev_b32_e32 v1, 3, v4
	v_sub_u32_e32 v1, 0, v1
	s_mov_b32 s15, s9
	s_branch .LBB380_24
.LBB380_23:                             ;   in Loop: Header=BB380_24 Depth=1
	s_or_b64 exec, exec, s[10:11]
	s_add_i32 s8, s8, 1
	s_add_i32 s15, s15, 1
	s_cmp_lg_u32 s15, s14
	s_cbranch_scc0 .LBB380_28
.LBB380_24:                             ; =>This Loop Header: Depth=1
                                        ;     Child Loop BB380_26 Depth 2
	v_lshl_add_u64 v[6:7], s[8:9], 2, v[2:3]
	global_load_dword v4, v[6:7], off
	v_add_u32_e32 v6, s8, v0
	v_ashrrev_i32_e32 v7, 31, v6
	v_mov_b32_e32 v8, 0
	s_mov_b32 s16, 0
	s_waitcnt lgkmcnt(0)
	v_lshl_add_u64 v[6:7], v[6:7], 2, s[6:7]
	s_mov_b64 s[10:11], 0
	s_waitcnt vmcnt(0)
	v_add_u32_e32 v9, v1, v4
	s_branch .LBB380_26
.LBB380_25:                             ;   in Loop: Header=BB380_26 Depth=2
	s_or_b64 exec, exec, s[12:13]
	s_add_i32 s17, s16, 1
	s_cmp_gt_u32 s16, 6
	s_cselect_b64 s[2:3], -1, 0
	s_xor_b64 s[12:13], vcc, -1
	s_or_b64 s[2:3], s[12:13], s[2:3]
	s_and_b64 s[2:3], exec, s[2:3]
	v_add_u32_e32 v8, 4, v8
	s_or_b64 s[10:11], s[2:3], s[10:11]
	s_mov_b32 s16, s17
	s_andn2_b64 exec, exec, s[10:11]
	s_cbranch_execz .LBB380_23
.LBB380_26:                             ;   Parent Loop BB380_24 Depth=1
                                        ; =>  This Inner Loop Header: Depth=2
	v_cmp_ne_u32_e32 vcc, s16, v9
	v_cmp_eq_u32_e64 s[2:3], s16, v9
	s_and_saveexec_b64 s[12:13], s[2:3]
	s_cbranch_execz .LBB380_25
; %bb.27:                               ;   in Loop: Header=BB380_26 Depth=2
	scratch_load_dword v11, v8, off
	s_waitcnt vmcnt(0)
	v_add_f32_e32 v5, v5, v11
	global_store_dword v[6:7], v4, off
	s_branch .LBB380_25
.LBB380_28:
	s_waitcnt lgkmcnt(0)
	s_load_dword s6, s[0:1], 0x3c
	s_waitcnt lgkmcnt(0)
	s_bitcmp1_b32 s6, 0
	s_cselect_b64 s[2:3], -1, 0
	s_bitcmp0_b32 s6, 0
	s_cbranch_scc0 .LBB380_32
; %bb.29:
	s_load_dwordx2 s[6:7], s[0:1], 0x40
	s_andn2_b64 vcc, exec, s[2:3]
	s_waitcnt lgkmcnt(0)
	v_cvt_f32_f64_e32 v8, s[6:7]
	s_cbranch_vccz .LBB380_33
.LBB380_30:
	s_andn2_b64 vcc, exec, s[4:5]
	s_cbranch_vccz .LBB380_34
.LBB380_31:
	s_endpgm
.LBB380_32:
	v_mbcnt_lo_u32_b32 v1, -1, 0
	v_mbcnt_hi_u32_b32 v1, -1, v1
	v_and_b32_e32 v4, 0x7c, v1
	v_add_u32_e32 v4, 4, v4
	v_xor_b32_e32 v6, 2, v1
	v_cmp_lt_i32_e32 vcc, v6, v4
	v_xor_b32_e32 v7, 1, v1
	s_nop 0
	v_cndmask_b32_e32 v6, v1, v6, vcc
	v_lshlrev_b32_e32 v6, 2, v6
	ds_bpermute_b32 v6, v6, v5
	v_cmp_lt_i32_e32 vcc, v7, v4
	s_waitcnt lgkmcnt(0)
	v_add_f32_e32 v5, v5, v6
	v_cndmask_b32_e32 v1, v1, v7, vcc
	v_lshlrev_b32_e32 v1, 2, v1
	ds_bpermute_b32 v1, v1, v5
	s_waitcnt lgkmcnt(0)
	v_add_f32_e32 v5, v5, v1
	s_load_dwordx2 s[6:7], s[0:1], 0x40
	s_andn2_b64 vcc, exec, s[2:3]
	s_waitcnt lgkmcnt(0)
	v_cvt_f32_f64_e32 v8, s[6:7]
	s_cbranch_vccnz .LBB380_30
.LBB380_33:
	v_cmp_lt_f32_e32 vcc, 0, v5
	s_nop 1
	v_cndmask_b32_e32 v1, 1.0, v5, vcc
	v_div_scale_f32 v4, s[2:3], v1, v1, v8
	v_rcp_f32_e32 v5, v4
	s_nop 0
	v_fma_f32 v6, -v4, v5, 1.0
	v_fmac_f32_e32 v5, v6, v5
	v_div_scale_f32 v6, vcc, v8, v1, v8
	v_mul_f32_e32 v7, v6, v5
	v_fma_f32 v9, -v4, v7, v6
	v_fmac_f32_e32 v7, v9, v5
	v_fma_f32 v4, -v4, v7, v6
	v_div_fmas_f32 v4, v4, v5, v7
	v_div_fixup_f32 v8, v4, v1, v8
	s_andn2_b64 vcc, exec, s[4:5]
	s_cbranch_vccnz .LBB380_31
.LBB380_34:
	s_load_dwordx2 s[12:13], s[0:1], 0x10
	v_mov_b32_e32 v1, 0
	v_or_b32_e32 v20, 4, v1
	v_or_b32_e32 v18, 8, v1
	;; [unrolled: 1-line block ×3, first 2 shown]
	v_add_u32_e32 v14, 16, v1
	v_add_u32_e32 v12, 20, v1
	;; [unrolled: 1-line block ×4, first 2 shown]
	v_or_b32_e32 v23, 1, v10
	v_or_b32_e32 v22, 2, v10
	v_or_b32_e32 v21, 3, v10
	v_or_b32_e32 v19, 4, v10
	v_or_b32_e32 v17, 5, v10
	v_or_b32_e32 v15, 6, v10
	v_or_b32_e32 v13, 7, v10
	s_cmp_eq_u32 s33, 1
	s_mov_b32 s14, 0
	s_cbranch_scc1 .LBB380_69
; %bb.35:
	v_ashrrev_i32_e32 v1, 31, v0
	s_waitcnt lgkmcnt(0)
	v_lshl_add_u64 v[4:5], v[0:1], 2, s[12:13]
	s_and_b32 s14, s33, 0x7ffffffe
	v_lshl_add_u64 v[4:5], v[4:5], 0, 4
	v_lshl_add_u64 v[6:7], v[2:3], 0, 4
	s_mov_b32 s15, 0
	s_branch .LBB380_37
.LBB380_36:                             ;   in Loop: Header=BB380_37 Depth=1
	s_or_b64 exec, exec, s[0:1]
	s_add_i32 s15, s15, 2
	v_lshl_add_u64 v[4:5], v[4:5], 0, 8
	s_cmp_eq_u32 s14, s15
	v_lshl_add_u64 v[6:7], v[6:7], 0, 8
	s_cbranch_scc1 .LBB380_69
.LBB380_37:                             ; =>This Inner Loop Header: Depth=1
	global_load_dword v24, v[6:7], off offset:-4
	v_mov_b32_e32 v1, 0
	s_waitcnt vmcnt(0)
	v_cmp_eq_u32_e32 vcc, v24, v10
	v_cmp_ne_u32_e64 s[0:1], v24, v10
	s_and_saveexec_b64 s[16:17], s[0:1]
	s_cbranch_execz .LBB380_51
; %bb.38:                               ;   in Loop: Header=BB380_37 Depth=1
	v_cmp_eq_u32_e64 s[0:1], v24, v23
	v_cmp_ne_u32_e64 s[2:3], v24, v23
	v_mov_b32_e32 v1, v20
	s_and_saveexec_b64 s[18:19], s[2:3]
	s_cbranch_execz .LBB380_50
; %bb.39:                               ;   in Loop: Header=BB380_37 Depth=1
	v_cmp_eq_u32_e64 s[2:3], v24, v22
	v_cmp_ne_u32_e64 s[4:5], v24, v22
	v_mov_b32_e32 v1, v18
	;; [unrolled: 6-line block ×6, first 2 shown]
	s_and_saveexec_b64 s[30:31], s[10:11]
	s_xor_b64 s[30:31], exec, s[30:31]
; %bb.44:                               ;   in Loop: Header=BB380_37 Depth=1
	v_cmp_eq_u32_e64 s[10:11], v24, v13
	s_andn2_b64 s[28:29], s[28:29], exec
	s_and_b64 s[10:11], s[10:11], exec
	s_or_b64 s[28:29], s[28:29], s[10:11]
	v_mov_b32_e32 v1, v11
; %bb.45:                               ;   in Loop: Header=BB380_37 Depth=1
	s_or_b64 exec, exec, s[30:31]
	s_andn2_b64 s[8:9], s[8:9], exec
	s_and_b64 s[10:11], s[28:29], exec
	s_or_b64 s[8:9], s[8:9], s[10:11]
.LBB380_46:                             ;   in Loop: Header=BB380_37 Depth=1
	s_or_b64 exec, exec, s[26:27]
	s_andn2_b64 s[6:7], s[6:7], exec
	s_and_b64 s[8:9], s[8:9], exec
	s_or_b64 s[6:7], s[6:7], s[8:9]
.LBB380_47:                             ;   in Loop: Header=BB380_37 Depth=1
	s_or_b64 exec, exec, s[24:25]
	s_andn2_b64 s[4:5], s[4:5], exec
	s_and_b64 s[6:7], s[6:7], exec
	s_or_b64 s[4:5], s[4:5], s[6:7]
.LBB380_48:                             ;   in Loop: Header=BB380_37 Depth=1
	s_or_b64 exec, exec, s[22:23]
	s_andn2_b64 s[2:3], s[2:3], exec
	s_and_b64 s[4:5], s[4:5], exec
	s_or_b64 s[2:3], s[2:3], s[4:5]
.LBB380_49:                             ;   in Loop: Header=BB380_37 Depth=1
	s_or_b64 exec, exec, s[20:21]
	s_andn2_b64 s[0:1], s[0:1], exec
	s_and_b64 s[2:3], s[2:3], exec
	s_or_b64 s[0:1], s[0:1], s[2:3]
.LBB380_50:                             ;   in Loop: Header=BB380_37 Depth=1
	s_or_b64 exec, exec, s[18:19]
	s_andn2_b64 s[2:3], vcc, exec
	s_and_b64 s[0:1], s[0:1], exec
	s_or_b64 vcc, s[2:3], s[0:1]
.LBB380_51:                             ;   in Loop: Header=BB380_37 Depth=1
	s_or_b64 exec, exec, s[16:17]
	s_and_saveexec_b64 s[0:1], vcc
	s_cbranch_execz .LBB380_53
; %bb.52:                               ;   in Loop: Header=BB380_37 Depth=1
	scratch_load_dword v1, v1, off
	v_add_u32_e32 v24, s15, v0
	v_ashrrev_i32_e32 v25, 31, v24
	v_lshl_add_u64 v[24:25], v[24:25], 2, s[12:13]
	s_waitcnt vmcnt(0)
	v_mul_f32_e32 v1, v8, v1
	global_store_dword v[24:25], v1, off
.LBB380_53:                             ;   in Loop: Header=BB380_37 Depth=1
	s_or_b64 exec, exec, s[0:1]
	global_load_dword v24, v[6:7], off
	v_mov_b32_e32 v1, 0
	s_waitcnt vmcnt(0)
	v_cmp_eq_u32_e64 s[8:9], v24, v10
	v_cmp_ne_u32_e32 vcc, v24, v10
	s_and_saveexec_b64 s[10:11], vcc
	s_cbranch_execz .LBB380_67
; %bb.54:                               ;   in Loop: Header=BB380_37 Depth=1
	v_cmp_eq_u32_e32 vcc, v24, v23
	v_cmp_ne_u32_e64 s[0:1], v24, v23
	v_mov_b32_e32 v1, v20
	s_and_saveexec_b64 s[16:17], s[0:1]
	s_cbranch_execz .LBB380_66
; %bb.55:                               ;   in Loop: Header=BB380_37 Depth=1
	v_cmp_eq_u32_e64 s[0:1], v24, v22
	v_cmp_ne_u32_e64 s[2:3], v24, v22
	v_mov_b32_e32 v1, v18
	s_and_saveexec_b64 s[18:19], s[2:3]
	s_cbranch_execz .LBB380_65
; %bb.56:                               ;   in Loop: Header=BB380_37 Depth=1
	v_cmp_eq_u32_e64 s[2:3], v24, v21
	;; [unrolled: 6-line block ×5, first 2 shown]
	v_cmp_ne_u32_e64 s[6:7], v24, v15
	v_mov_b32_e32 v1, v9
	s_and_saveexec_b64 s[30:31], s[6:7]
; %bb.60:                               ;   in Loop: Header=BB380_37 Depth=1
	v_cmp_eq_u32_e64 s[6:7], v24, v13
	s_andn2_b64 s[28:29], s[28:29], exec
	s_and_b64 s[6:7], s[6:7], exec
	s_or_b64 s[28:29], s[28:29], s[6:7]
	v_mov_b32_e32 v1, v11
; %bb.61:                               ;   in Loop: Header=BB380_37 Depth=1
	s_or_b64 exec, exec, s[30:31]
	s_andn2_b64 s[6:7], s[24:25], exec
	s_and_b64 s[24:25], s[28:29], exec
	s_or_b64 s[24:25], s[6:7], s[24:25]
.LBB380_62:                             ;   in Loop: Header=BB380_37 Depth=1
	s_or_b64 exec, exec, s[26:27]
	s_andn2_b64 s[4:5], s[4:5], exec
	s_and_b64 s[6:7], s[24:25], exec
	s_or_b64 s[4:5], s[4:5], s[6:7]
.LBB380_63:                             ;   in Loop: Header=BB380_37 Depth=1
	s_or_b64 exec, exec, s[22:23]
	s_andn2_b64 s[2:3], s[2:3], exec
	s_and_b64 s[4:5], s[4:5], exec
	s_or_b64 s[2:3], s[2:3], s[4:5]
.LBB380_64:                             ;   in Loop: Header=BB380_37 Depth=1
	s_or_b64 exec, exec, s[20:21]
	s_andn2_b64 s[0:1], s[0:1], exec
	s_and_b64 s[2:3], s[2:3], exec
	s_or_b64 s[0:1], s[0:1], s[2:3]
.LBB380_65:                             ;   in Loop: Header=BB380_37 Depth=1
	s_or_b64 exec, exec, s[18:19]
	s_andn2_b64 s[2:3], vcc, exec
	s_and_b64 s[0:1], s[0:1], exec
	s_or_b64 vcc, s[2:3], s[0:1]
.LBB380_66:                             ;   in Loop: Header=BB380_37 Depth=1
	s_or_b64 exec, exec, s[16:17]
	s_andn2_b64 s[0:1], s[8:9], exec
	s_and_b64 s[2:3], vcc, exec
	s_or_b64 s[8:9], s[0:1], s[2:3]
.LBB380_67:                             ;   in Loop: Header=BB380_37 Depth=1
	s_or_b64 exec, exec, s[10:11]
	s_and_saveexec_b64 s[0:1], s[8:9]
	s_cbranch_execz .LBB380_36
; %bb.68:                               ;   in Loop: Header=BB380_37 Depth=1
	scratch_load_dword v1, v1, off
	s_waitcnt vmcnt(0)
	v_mul_f32_e32 v1, v8, v1
	global_store_dword v[4:5], v1, off
	s_branch .LBB380_36
.LBB380_69:
	s_bitcmp0_b32 s33, 0
	s_mov_b32 s15, 0
	s_cbranch_scc1 .LBB380_31
; %bb.70:
	v_lshl_add_u64 v[2:3], s[14:15], 2, v[2:3]
	global_load_dword v1, v[2:3], off
	v_mov_b32_e32 v2, 0
	s_waitcnt vmcnt(0)
	v_cmp_eq_u32_e64 s[8:9], v1, v10
	v_cmp_ne_u32_e32 vcc, v1, v10
	s_and_saveexec_b64 s[10:11], vcc
	s_cbranch_execz .LBB380_84
; %bb.71:
	v_cmp_eq_u32_e32 vcc, v1, v23
	v_cmp_ne_u32_e64 s[0:1], v1, v23
	s_and_saveexec_b64 s[16:17], s[0:1]
	s_cbranch_execz .LBB380_83
; %bb.72:
	v_cmp_eq_u32_e64 s[0:1], v1, v22
	v_cmp_ne_u32_e64 s[2:3], v1, v22
	s_and_saveexec_b64 s[18:19], s[2:3]
	s_cbranch_execz .LBB380_82
; %bb.73:
	v_cmp_eq_u32_e64 s[2:3], v1, v21
	;; [unrolled: 5-line block ×5, first 2 shown]
	v_cmp_ne_u32_e64 s[6:7], v1, v15
	s_and_saveexec_b64 s[30:31], s[6:7]
; %bb.77:
	v_cmp_eq_u32_e64 s[6:7], v1, v13
	s_andn2_b64 s[28:29], s[28:29], exec
	s_and_b64 s[6:7], s[6:7], exec
	s_or_b64 s[28:29], s[28:29], s[6:7]
	v_mov_b32_e32 v9, v11
; %bb.78:
	s_or_b64 exec, exec, s[30:31]
	s_andn2_b64 s[6:7], s[24:25], exec
	s_and_b64 s[24:25], s[28:29], exec
	s_or_b64 s[24:25], s[6:7], s[24:25]
	v_mov_b32_e32 v12, v9
.LBB380_79:
	s_or_b64 exec, exec, s[26:27]
	s_andn2_b64 s[4:5], s[4:5], exec
	s_and_b64 s[6:7], s[24:25], exec
	s_or_b64 s[4:5], s[4:5], s[6:7]
	v_mov_b32_e32 v14, v12
.LBB380_80:
	s_or_b64 exec, exec, s[22:23]
	s_andn2_b64 s[2:3], s[2:3], exec
	s_and_b64 s[4:5], s[4:5], exec
	s_or_b64 s[2:3], s[2:3], s[4:5]
	v_mov_b32_e32 v16, v14
.LBB380_81:
	s_or_b64 exec, exec, s[20:21]
	s_andn2_b64 s[0:1], s[0:1], exec
	s_and_b64 s[2:3], s[2:3], exec
	s_or_b64 s[0:1], s[0:1], s[2:3]
	v_mov_b32_e32 v18, v16
.LBB380_82:
	s_or_b64 exec, exec, s[18:19]
	s_andn2_b64 s[2:3], vcc, exec
	s_and_b64 s[0:1], s[0:1], exec
	s_or_b64 vcc, s[2:3], s[0:1]
	v_mov_b32_e32 v20, v18
.LBB380_83:
	s_or_b64 exec, exec, s[16:17]
	s_andn2_b64 s[0:1], s[8:9], exec
	s_and_b64 s[2:3], vcc, exec
	s_or_b64 s[8:9], s[0:1], s[2:3]
	v_mov_b32_e32 v2, v20
.LBB380_84:
	s_or_b64 exec, exec, s[10:11]
	s_and_b64 exec, exec, s[8:9]
	s_cbranch_execz .LBB380_31
; %bb.85:
	scratch_load_dword v2, v2, off
	v_add_u32_e32 v0, s14, v0
	v_ashrrev_i32_e32 v1, 31, v0
	s_waitcnt lgkmcnt(0)
	v_lshl_add_u64 v[0:1], v[0:1], 2, s[12:13]
	s_waitcnt vmcnt(0)
	v_mul_f32_e32 v2, v8, v2
	global_store_dword v[0:1], v2, off
	s_endpgm
	.section	.rodata,"a",@progbits
	.p2align	6, 0x0
	.amdhsa_kernel _ZN4vllm3moe22topkGatingSoftplusSqrtILi8ELi32ELi4ELi16ELi64ELb1Ei14__hip_bfloat16EEvPKT6_PKbPfiPT5_PiiiibdPKfPKS9_SF_
		.amdhsa_group_segment_fixed_size 0
		.amdhsa_private_segment_fixed_size 48
		.amdhsa_kernarg_size 96
		.amdhsa_user_sgpr_count 2
		.amdhsa_user_sgpr_dispatch_ptr 0
		.amdhsa_user_sgpr_queue_ptr 0
		.amdhsa_user_sgpr_kernarg_segment_ptr 1
		.amdhsa_user_sgpr_dispatch_id 0
		.amdhsa_user_sgpr_kernarg_preload_length 0
		.amdhsa_user_sgpr_kernarg_preload_offset 0
		.amdhsa_user_sgpr_private_segment_size 0
		.amdhsa_uses_dynamic_stack 0
		.amdhsa_enable_private_segment 1
		.amdhsa_system_sgpr_workgroup_id_x 1
		.amdhsa_system_sgpr_workgroup_id_y 0
		.amdhsa_system_sgpr_workgroup_id_z 0
		.amdhsa_system_sgpr_workgroup_info 0
		.amdhsa_system_vgpr_workitem_id 1
		.amdhsa_next_free_vgpr 28
		.amdhsa_next_free_sgpr 34
		.amdhsa_accum_offset 28
		.amdhsa_reserve_vcc 1
		.amdhsa_float_round_mode_32 0
		.amdhsa_float_round_mode_16_64 0
		.amdhsa_float_denorm_mode_32 3
		.amdhsa_float_denorm_mode_16_64 3
		.amdhsa_dx10_clamp 1
		.amdhsa_ieee_mode 1
		.amdhsa_fp16_overflow 0
		.amdhsa_tg_split 0
		.amdhsa_exception_fp_ieee_invalid_op 0
		.amdhsa_exception_fp_denorm_src 0
		.amdhsa_exception_fp_ieee_div_zero 0
		.amdhsa_exception_fp_ieee_overflow 0
		.amdhsa_exception_fp_ieee_underflow 0
		.amdhsa_exception_fp_ieee_inexact 0
		.amdhsa_exception_int_div_zero 0
	.end_amdhsa_kernel
	.section	.text._ZN4vllm3moe22topkGatingSoftplusSqrtILi8ELi32ELi4ELi16ELi64ELb1Ei14__hip_bfloat16EEvPKT6_PKbPfiPT5_PiiiibdPKfPKS9_SF_,"axG",@progbits,_ZN4vllm3moe22topkGatingSoftplusSqrtILi8ELi32ELi4ELi16ELi64ELb1Ei14__hip_bfloat16EEvPKT6_PKbPfiPT5_PiiiibdPKfPKS9_SF_,comdat
.Lfunc_end380:
	.size	_ZN4vllm3moe22topkGatingSoftplusSqrtILi8ELi32ELi4ELi16ELi64ELb1Ei14__hip_bfloat16EEvPKT6_PKbPfiPT5_PiiiibdPKfPKS9_SF_, .Lfunc_end380-_ZN4vllm3moe22topkGatingSoftplusSqrtILi8ELi32ELi4ELi16ELi64ELb1Ei14__hip_bfloat16EEvPKT6_PKbPfiPT5_PiiiibdPKfPKS9_SF_
                                        ; -- End function
	.section	.AMDGPU.csdata,"",@progbits
; Kernel info:
; codeLenInByte = 4464
; NumSgprs: 40
; NumVgprs: 28
; NumAgprs: 0
; TotalNumVgprs: 28
; ScratchSize: 48
; MemoryBound: 0
; FloatMode: 240
; IeeeMode: 1
; LDSByteSize: 0 bytes/workgroup (compile time only)
; SGPRBlocks: 4
; VGPRBlocks: 3
; NumSGPRsForWavesPerEU: 40
; NumVGPRsForWavesPerEU: 28
; AccumOffset: 28
; Occupancy: 8
; WaveLimiterHint : 1
; COMPUTE_PGM_RSRC2:SCRATCH_EN: 1
; COMPUTE_PGM_RSRC2:USER_SGPR: 2
; COMPUTE_PGM_RSRC2:TRAP_HANDLER: 0
; COMPUTE_PGM_RSRC2:TGID_X_EN: 1
; COMPUTE_PGM_RSRC2:TGID_Y_EN: 0
; COMPUTE_PGM_RSRC2:TGID_Z_EN: 0
; COMPUTE_PGM_RSRC2:TIDIG_COMP_CNT: 1
; COMPUTE_PGM_RSRC3_GFX90A:ACCUM_OFFSET: 6
; COMPUTE_PGM_RSRC3_GFX90A:TG_SPLIT: 0
	.section	.text._ZN4vllm3moe22topkGatingSoftplusSqrtILi8ELi32ELi4ELi16ELi64ELb0Ei14__hip_bfloat16EEvPKT6_PKbPfiPT5_PiiiibdPKfPKS9_SF_,"axG",@progbits,_ZN4vllm3moe22topkGatingSoftplusSqrtILi8ELi32ELi4ELi16ELi64ELb0Ei14__hip_bfloat16EEvPKT6_PKbPfiPT5_PiiiibdPKfPKS9_SF_,comdat
	.protected	_ZN4vllm3moe22topkGatingSoftplusSqrtILi8ELi32ELi4ELi16ELi64ELb0Ei14__hip_bfloat16EEvPKT6_PKbPfiPT5_PiiiibdPKfPKS9_SF_ ; -- Begin function _ZN4vllm3moe22topkGatingSoftplusSqrtILi8ELi32ELi4ELi16ELi64ELb0Ei14__hip_bfloat16EEvPKT6_PKbPfiPT5_PiiiibdPKfPKS9_SF_
	.globl	_ZN4vllm3moe22topkGatingSoftplusSqrtILi8ELi32ELi4ELi16ELi64ELb0Ei14__hip_bfloat16EEvPKT6_PKbPfiPT5_PiiiibdPKfPKS9_SF_
	.p2align	8
	.type	_ZN4vllm3moe22topkGatingSoftplusSqrtILi8ELi32ELi4ELi16ELi64ELb0Ei14__hip_bfloat16EEvPKT6_PKbPfiPT5_PiiiibdPKfPKS9_SF_,@function
_ZN4vllm3moe22topkGatingSoftplusSqrtILi8ELi32ELi4ELi16ELi64ELb0Ei14__hip_bfloat16EEvPKT6_PKbPfiPT5_PiiiibdPKfPKS9_SF_: ; @_ZN4vllm3moe22topkGatingSoftplusSqrtILi8ELi32ELi4ELi16ELi64ELb0Ei14__hip_bfloat16EEvPKT6_PKbPfiPT5_PiiiibdPKfPKS9_SF_
; %bb.0:
	s_load_dword s33, s[0:1], 0x18
	v_bfe_u32 v1, v0, 10, 10
	v_and_b32_e32 v0, 0x3ff, v0
	s_lshl_b32 s2, s2, 6
	v_lshlrev_b32_e32 v1, 4, v1
	v_lshrrev_b32_e32 v2, 2, v0
	v_add3_u32 v8, s2, v1, v2
	s_waitcnt lgkmcnt(0)
	v_cmp_gt_i32_e32 vcc, s33, v8
	s_and_saveexec_b64 s[2:3], vcc
	s_cbranch_execz .LBB381_53
; %bb.1:
	s_load_dwordx4 s[4:7], s[0:1], 0x0
	s_load_dwordx2 s[34:35], s[0:1], 0x10
	s_waitcnt lgkmcnt(0)
	s_cmp_eq_u64 s[6:7], 0
	s_cbranch_scc1 .LBB381_3
; %bb.2:
	v_ashrrev_i32_e32 v9, 31, v8
	v_lshl_add_u64 v[2:3], s[6:7], 0, v[8:9]
	global_load_ubyte v1, v[2:3], off
	s_waitcnt vmcnt(0)
	v_and_b32_e32 v1, 1, v1
	v_cmp_eq_u32_e32 vcc, 1, v1
	s_xor_b64 s[2:3], vcc, -1
	s_orn2_b64 s[36:37], s[2:3], exec
	s_branch .LBB381_4
.LBB381_3:
	s_mov_b64 s[36:37], -1
.LBB381_4:
	v_lshlrev_b32_e32 v4, 5, v8
	v_mov_b32_e32 v2, s4
	v_mov_b32_e32 v3, s5
	v_ashrrev_i32_e32 v5, 31, v4
	v_and_b32_e32 v9, 3, v0
	v_lshl_add_u64 v[2:3], v[4:5], 1, v[2:3]
	v_mov_b32_e32 v1, 0
	v_lshlrev_b32_e32 v0, 4, v9
	v_lshl_add_u64 v[0:1], v[2:3], 0, v[0:1]
	global_load_dwordx4 v[4:7], v[0:1], off
	s_mov_b32 s12, 0x800000
	v_mov_b32_e32 v2, 0x4f800000
	s_mov_b32 s9, 0x3f317217
	s_mov_b32 s10, 0x7f800000
	v_mov_b32_e32 v3, 0x41b17218
	s_mov_b32 s8, 0x41a00000
	s_mov_b32 s11, 0xf800000
	s_load_dwordx4 s[20:23], s[0:1], 0x40
	v_lshlrev_b32_e32 v12, 3, v9
	s_waitcnt lgkmcnt(0)
	s_cmp_lg_u64 s[22:23], 0
	s_cselect_b64 s[6:7], -1, 0
	s_and_b64 s[2:3], exec, s[6:7]
	s_waitcnt vmcnt(0)
	v_lshlrev_b32_e32 v0, 16, v4
	v_mul_f32_e32 v1, 0x3fb8aa3b, v0
	v_exp_f32_e32 v10, v1
	v_mov_b32_e32 v1, 0x260
	v_add_f32_e32 v10, 1.0, v10
	v_cmp_gt_f32_e32 vcc, s12, v10
	s_nop 1
	v_cndmask_b32_e32 v11, 1.0, v2, vcc
	v_mul_f32_e32 v10, v10, v11
	v_log_f32_e32 v11, v10
	v_cndmask_b32_e32 v13, 0, v3, vcc
	v_lshlrev_b32_e32 v10, 2, v12
	v_mul_f32_e32 v14, 0x3f317217, v11
	v_fma_f32 v14, v11, s9, -v14
	v_fmac_f32_e32 v14, 0x3377d1cf, v11
	v_fmac_f32_e32 v14, 0x3f317217, v11
	v_cmp_lt_f32_e64 vcc, |v11|, s10
	s_nop 1
	v_cndmask_b32_e32 v11, v11, v14, vcc
	v_sub_f32_e32 v11, v11, v13
	v_cmp_lt_f32_e32 vcc, s8, v0
	s_nop 1
	v_cndmask_b32_e32 v0, v11, v0, vcc
	v_mul_f32_e32 v11, 0x4f800000, v0
	v_cmp_gt_f32_e32 vcc, s11, v0
	s_nop 1
	v_cndmask_b32_e32 v0, v0, v11, vcc
	v_sqrt_f32_e32 v11, v0
	s_nop 0
	v_add_u32_e32 v13, -1, v11
	v_add_u32_e32 v14, 1, v11
	v_fma_f32 v15, -v13, v11, v0
	v_fma_f32 v16, -v14, v11, v0
	v_cmp_ge_f32_e64 s[4:5], 0, v15
	s_nop 1
	v_cndmask_b32_e64 v11, v11, v13, s[4:5]
	v_cmp_lt_f32_e64 s[4:5], 0, v16
	s_nop 1
	v_cndmask_b32_e64 v11, v11, v14, s[4:5]
	v_mul_f32_e32 v13, 0x37800000, v11
	v_cndmask_b32_e32 v11, v11, v13, vcc
	v_cmp_class_f32_e32 vcc, v0, v1
	s_nop 1
	v_cndmask_b32_e32 v0, v11, v0, vcc
	s_mov_b64 vcc, s[2:3]
	s_cbranch_vccz .LBB381_6
; %bb.5:
	global_load_dword v11, v10, s[22:23]
	s_waitcnt vmcnt(0)
	v_add_f32_e32 v0, v0, v11
.LBB381_6:
	v_and_b32_e32 v4, 0xffff0000, v4
	v_mul_f32_e32 v11, 0x3fb8aa3b, v4
	v_exp_f32_e32 v11, v11
	s_nop 0
	v_add_f32_e32 v11, 1.0, v11
	v_cmp_gt_f32_e32 vcc, s12, v11
	s_nop 1
	v_cndmask_b32_e32 v2, 1.0, v2, vcc
	v_mul_f32_e32 v2, v11, v2
	v_log_f32_e32 v2, v2
	v_cndmask_b32_e32 v3, 0, v3, vcc
	v_mul_f32_e32 v11, 0x3f317217, v2
	v_fma_f32 v11, v2, s9, -v11
	v_fmac_f32_e32 v11, 0x3377d1cf, v2
	v_fmac_f32_e32 v11, 0x3f317217, v2
	v_cmp_lt_f32_e64 vcc, |v2|, s10
	s_nop 1
	v_cndmask_b32_e32 v2, v2, v11, vcc
	v_sub_f32_e32 v2, v2, v3
	v_cmp_lt_f32_e32 vcc, s8, v4
	s_nop 1
	v_cndmask_b32_e32 v2, v2, v4, vcc
	v_mul_f32_e32 v3, 0x4f800000, v2
	v_cmp_gt_f32_e32 vcc, s11, v2
	s_nop 1
	v_cndmask_b32_e32 v2, v2, v3, vcc
	v_sqrt_f32_e32 v3, v2
	v_cmp_class_f32_e64 s[4:5], v2, v1
	v_add_u32_e32 v4, -1, v3
	v_add_u32_e32 v11, 1, v3
	v_fma_f32 v13, -v4, v3, v2
	v_fma_f32 v14, -v11, v3, v2
	v_cmp_ge_f32_e64 s[2:3], 0, v13
	s_nop 1
	v_cndmask_b32_e64 v3, v3, v4, s[2:3]
	v_cmp_lt_f32_e64 s[2:3], 0, v14
	s_nop 1
	v_cndmask_b32_e64 v3, v3, v11, s[2:3]
	v_mul_f32_e32 v4, 0x37800000, v3
	v_cndmask_b32_e32 v3, v3, v4, vcc
	v_cndmask_b32_e64 v4, 0, 1, s[6:7]
	v_cmp_ne_u32_e64 s[2:3], 1, v4
	s_andn2_b64 vcc, exec, s[6:7]
	v_cndmask_b32_e64 v1, v3, v2, s[4:5]
	s_cbranch_vccnz .LBB381_8
; %bb.7:
	global_load_dword v2, v10, s[22:23] offset:4
	s_waitcnt vmcnt(0)
	v_add_f32_e32 v1, v1, v2
.LBB381_8:
	v_lshlrev_b32_e32 v2, 16, v5
	v_mul_f32_e32 v3, 0x3fb8aa3b, v2
	v_exp_f32_e32 v3, v3
	s_mov_b32 s10, 0x800000
	v_mov_b32_e32 v4, 0x4f800000
	s_mov_b32 s7, 0x3f317217
	v_add_f32_e32 v3, 1.0, v3
	v_cmp_gt_f32_e32 vcc, s10, v3
	s_mov_b32 s8, 0x7f800000
	s_mov_b32 s6, 0x41a00000
	v_cndmask_b32_e32 v11, 1.0, v4, vcc
	v_mul_f32_e32 v3, v3, v11
	v_log_f32_e32 v3, v3
	s_mov_b32 s9, 0xf800000
	v_mul_f32_e32 v11, 0x3f317217, v3
	v_fma_f32 v11, v3, s7, -v11
	v_fmac_f32_e32 v11, 0x3377d1cf, v3
	v_fmac_f32_e32 v11, 0x3f317217, v3
	v_cmp_lt_f32_e64 s[4:5], |v3|, s8
	s_nop 1
	v_cndmask_b32_e64 v3, v3, v11, s[4:5]
	v_mov_b32_e32 v11, 0x41b17218
	v_cndmask_b32_e32 v13, 0, v11, vcc
	v_sub_f32_e32 v3, v3, v13
	v_cmp_lt_f32_e32 vcc, s6, v2
	s_nop 1
	v_cndmask_b32_e32 v2, v3, v2, vcc
	v_mul_f32_e32 v3, 0x4f800000, v2
	v_cmp_gt_f32_e32 vcc, s9, v2
	s_nop 1
	v_cndmask_b32_e32 v2, v2, v3, vcc
	v_sqrt_f32_e32 v3, v2
	s_nop 0
	v_add_u32_e32 v13, -1, v3
	v_fma_f32 v14, -v13, v3, v2
	v_cmp_ge_f32_e64 s[4:5], 0, v14
	v_add_u32_e32 v14, 1, v3
	s_nop 0
	v_cndmask_b32_e64 v13, v3, v13, s[4:5]
	v_fma_f32 v3, -v14, v3, v2
	v_cmp_lt_f32_e64 s[4:5], 0, v3
	s_nop 1
	v_cndmask_b32_e64 v3, v13, v14, s[4:5]
	v_mul_f32_e32 v13, 0x37800000, v3
	v_cndmask_b32_e32 v13, v3, v13, vcc
	v_mov_b32_e32 v3, 0x260
	v_cmp_class_f32_e64 s[4:5], v2, v3
	s_and_b64 vcc, exec, s[2:3]
	s_nop 0
	v_cndmask_b32_e64 v2, v13, v2, s[4:5]
	s_cbranch_vccnz .LBB381_10
; %bb.9:
	global_load_dword v13, v10, s[22:23] offset:8
	s_waitcnt vmcnt(0)
	v_add_f32_e32 v2, v2, v13
.LBB381_10:
	v_and_b32_e32 v5, 0xffff0000, v5
	v_mul_f32_e32 v13, 0x3fb8aa3b, v5
	v_exp_f32_e32 v13, v13
	s_nop 0
	v_add_f32_e32 v13, 1.0, v13
	v_cmp_gt_f32_e32 vcc, s10, v13
	s_nop 1
	v_cndmask_b32_e32 v4, 1.0, v4, vcc
	v_mul_f32_e32 v4, v13, v4
	v_log_f32_e32 v4, v4
	v_cndmask_b32_e32 v11, 0, v11, vcc
	v_mul_f32_e32 v13, 0x3f317217, v4
	v_fma_f32 v13, v4, s7, -v13
	v_fmac_f32_e32 v13, 0x3377d1cf, v4
	v_fmac_f32_e32 v13, 0x3f317217, v4
	v_cmp_lt_f32_e64 vcc, |v4|, s8
	s_nop 1
	v_cndmask_b32_e32 v4, v4, v13, vcc
	v_sub_f32_e32 v4, v4, v11
	v_cmp_lt_f32_e32 vcc, s6, v5
	s_nop 1
	v_cndmask_b32_e32 v4, v4, v5, vcc
	v_mul_f32_e32 v5, 0x4f800000, v4
	v_cmp_gt_f32_e32 vcc, s9, v4
	s_nop 1
	v_cndmask_b32_e32 v4, v4, v5, vcc
	v_sqrt_f32_e32 v5, v4
	s_nop 0
	v_add_u32_e32 v11, -1, v5
	v_add_u32_e32 v13, 1, v5
	v_fma_f32 v14, -v11, v5, v4
	v_fma_f32 v15, -v13, v5, v4
	v_cmp_ge_f32_e64 s[4:5], 0, v14
	s_nop 1
	v_cndmask_b32_e64 v5, v5, v11, s[4:5]
	v_cmp_lt_f32_e64 s[4:5], 0, v15
	s_nop 1
	v_cndmask_b32_e64 v5, v5, v13, s[4:5]
	v_mul_f32_e32 v11, 0x37800000, v5
	v_cndmask_b32_e32 v5, v5, v11, vcc
	v_cmp_class_f32_e64 s[4:5], v4, v3
	s_and_b64 vcc, exec, s[2:3]
	s_nop 0
	v_cndmask_b32_e64 v3, v5, v4, s[4:5]
	s_cbranch_vccnz .LBB381_12
; %bb.11:
	global_load_dword v4, v10, s[22:23] offset:12
	s_waitcnt vmcnt(0)
	v_add_f32_e32 v3, v3, v4
.LBB381_12:
	v_lshlrev_b32_e32 v4, 16, v6
	v_mul_f32_e32 v5, 0x3fb8aa3b, v4
	v_exp_f32_e32 v5, v5
	v_mov_b32_e32 v11, 0x4f800000
	v_add_f32_e32 v5, 1.0, v5
	v_cmp_gt_f32_e32 vcc, s10, v5
	s_nop 1
	v_cndmask_b32_e32 v13, 1.0, v11, vcc
	v_mul_f32_e32 v5, v5, v13
	v_log_f32_e32 v5, v5
	s_nop 0
	v_mul_f32_e32 v13, 0x3f317217, v5
	v_fma_f32 v13, v5, s7, -v13
	v_fmac_f32_e32 v13, 0x3377d1cf, v5
	v_fmac_f32_e32 v13, 0x3f317217, v5
	v_cmp_lt_f32_e64 s[4:5], |v5|, s8
	s_nop 1
	v_cndmask_b32_e64 v5, v5, v13, s[4:5]
	v_mov_b32_e32 v13, 0x41b17218
	v_cndmask_b32_e32 v14, 0, v13, vcc
	v_sub_f32_e32 v5, v5, v14
	v_cmp_lt_f32_e32 vcc, s6, v4
	s_nop 1
	v_cndmask_b32_e32 v4, v5, v4, vcc
	v_mul_f32_e32 v5, 0x4f800000, v4
	v_cmp_gt_f32_e32 vcc, s9, v4
	s_nop 1
	v_cndmask_b32_e32 v4, v4, v5, vcc
	v_sqrt_f32_e32 v5, v4
	s_nop 0
	v_add_u32_e32 v14, -1, v5
	v_fma_f32 v15, -v14, v5, v4
	v_cmp_ge_f32_e64 s[4:5], 0, v15
	v_add_u32_e32 v15, 1, v5
	s_nop 0
	v_cndmask_b32_e64 v14, v5, v14, s[4:5]
	v_fma_f32 v5, -v15, v5, v4
	v_cmp_lt_f32_e64 s[4:5], 0, v5
	s_nop 1
	v_cndmask_b32_e64 v5, v14, v15, s[4:5]
	v_mul_f32_e32 v14, 0x37800000, v5
	v_cndmask_b32_e32 v14, v5, v14, vcc
	v_mov_b32_e32 v5, 0x260
	v_cmp_class_f32_e64 s[4:5], v4, v5
	s_and_b64 vcc, exec, s[2:3]
	s_nop 0
	v_cndmask_b32_e64 v4, v14, v4, s[4:5]
	s_cbranch_vccnz .LBB381_14
; %bb.13:
	global_load_dword v14, v10, s[22:23] offset:16
	s_waitcnt vmcnt(0)
	v_add_f32_e32 v4, v4, v14
.LBB381_14:
	v_and_b32_e32 v6, 0xffff0000, v6
	v_mul_f32_e32 v14, 0x3fb8aa3b, v6
	v_exp_f32_e32 v14, v14
	s_nop 0
	v_add_f32_e32 v14, 1.0, v14
	v_cmp_gt_f32_e32 vcc, s10, v14
	s_nop 1
	v_cndmask_b32_e32 v11, 1.0, v11, vcc
	v_mul_f32_e32 v11, v14, v11
	v_log_f32_e32 v11, v11
	v_cndmask_b32_e32 v13, 0, v13, vcc
	v_mul_f32_e32 v14, 0x3f317217, v11
	v_fma_f32 v14, v11, s7, -v14
	v_fmac_f32_e32 v14, 0x3377d1cf, v11
	v_fmac_f32_e32 v14, 0x3f317217, v11
	v_cmp_lt_f32_e64 vcc, |v11|, s8
	s_nop 1
	v_cndmask_b32_e32 v11, v11, v14, vcc
	v_sub_f32_e32 v11, v11, v13
	v_cmp_lt_f32_e32 vcc, s6, v6
	s_nop 1
	v_cndmask_b32_e32 v6, v11, v6, vcc
	v_mul_f32_e32 v11, 0x4f800000, v6
	v_cmp_gt_f32_e32 vcc, s9, v6
	s_nop 1
	v_cndmask_b32_e32 v6, v6, v11, vcc
	v_sqrt_f32_e32 v11, v6
	s_nop 0
	v_add_u32_e32 v13, -1, v11
	v_add_u32_e32 v14, 1, v11
	v_fma_f32 v15, -v13, v11, v6
	v_fma_f32 v16, -v14, v11, v6
	v_cmp_ge_f32_e64 s[4:5], 0, v15
	s_nop 1
	v_cndmask_b32_e64 v11, v11, v13, s[4:5]
	v_cmp_lt_f32_e64 s[4:5], 0, v16
	s_nop 1
	v_cndmask_b32_e64 v11, v11, v14, s[4:5]
	v_mul_f32_e32 v13, 0x37800000, v11
	v_cndmask_b32_e32 v11, v11, v13, vcc
	v_cmp_class_f32_e64 s[4:5], v6, v5
	s_and_b64 vcc, exec, s[2:3]
	s_nop 0
	v_cndmask_b32_e64 v5, v11, v6, s[4:5]
	s_cbranch_vccnz .LBB381_16
; %bb.15:
	global_load_dword v6, v10, s[22:23] offset:20
	s_waitcnt vmcnt(0)
	v_add_f32_e32 v5, v5, v6
.LBB381_16:
	v_lshlrev_b32_e32 v6, 16, v7
	v_mul_f32_e32 v11, 0x3fb8aa3b, v6
	v_exp_f32_e32 v11, v11
	v_mov_b32_e32 v13, 0x4f800000
	v_add_f32_e32 v11, 1.0, v11
	v_cmp_gt_f32_e32 vcc, s10, v11
	s_nop 1
	v_cndmask_b32_e32 v14, 1.0, v13, vcc
	v_mul_f32_e32 v11, v11, v14
	v_log_f32_e32 v11, v11
	s_nop 0
	v_mul_f32_e32 v14, 0x3f317217, v11
	v_fma_f32 v14, v11, s7, -v14
	v_fmac_f32_e32 v14, 0x3377d1cf, v11
	v_fmac_f32_e32 v14, 0x3f317217, v11
	v_cmp_lt_f32_e64 s[4:5], |v11|, s8
	s_nop 1
	v_cndmask_b32_e64 v11, v11, v14, s[4:5]
	v_mov_b32_e32 v14, 0x41b17218
	v_cndmask_b32_e32 v15, 0, v14, vcc
	v_sub_f32_e32 v11, v11, v15
	v_cmp_lt_f32_e32 vcc, s6, v6
	s_nop 1
	v_cndmask_b32_e32 v6, v11, v6, vcc
	v_mul_f32_e32 v11, 0x4f800000, v6
	v_cmp_gt_f32_e32 vcc, s9, v6
	s_nop 1
	v_cndmask_b32_e32 v6, v6, v11, vcc
	v_sqrt_f32_e32 v11, v6
	s_nop 0
	v_add_u32_e32 v15, -1, v11
	v_fma_f32 v16, -v15, v11, v6
	v_cmp_ge_f32_e64 s[4:5], 0, v16
	v_add_u32_e32 v16, 1, v11
	s_nop 0
	v_cndmask_b32_e64 v15, v11, v15, s[4:5]
	v_fma_f32 v11, -v16, v11, v6
	v_cmp_lt_f32_e64 s[4:5], 0, v11
	s_nop 1
	v_cndmask_b32_e64 v11, v15, v16, s[4:5]
	v_mul_f32_e32 v15, 0x37800000, v11
	v_cndmask_b32_e32 v15, v11, v15, vcc
	v_mov_b32_e32 v11, 0x260
	v_cmp_class_f32_e64 s[4:5], v6, v11
	s_and_b64 vcc, exec, s[2:3]
	s_nop 0
	v_cndmask_b32_e64 v6, v15, v6, s[4:5]
	s_cbranch_vccnz .LBB381_18
; %bb.17:
	global_load_dword v15, v10, s[22:23] offset:24
	s_waitcnt vmcnt(0)
	v_add_f32_e32 v6, v6, v15
.LBB381_18:
	v_and_b32_e32 v7, 0xffff0000, v7
	v_mul_f32_e32 v15, 0x3fb8aa3b, v7
	v_exp_f32_e32 v15, v15
	s_nop 0
	v_add_f32_e32 v15, 1.0, v15
	v_cmp_gt_f32_e32 vcc, s10, v15
	s_nop 1
	v_cndmask_b32_e32 v13, 1.0, v13, vcc
	v_mul_f32_e32 v13, v15, v13
	v_log_f32_e32 v13, v13
	v_cndmask_b32_e32 v14, 0, v14, vcc
	v_mul_f32_e32 v15, 0x3f317217, v13
	v_fma_f32 v15, v13, s7, -v15
	v_fmac_f32_e32 v15, 0x3377d1cf, v13
	v_fmac_f32_e32 v15, 0x3f317217, v13
	v_cmp_lt_f32_e64 vcc, |v13|, s8
	s_nop 1
	v_cndmask_b32_e32 v13, v13, v15, vcc
	v_sub_f32_e32 v13, v13, v14
	v_cmp_lt_f32_e32 vcc, s6, v7
	s_nop 1
	v_cndmask_b32_e32 v7, v13, v7, vcc
	v_mul_f32_e32 v13, 0x4f800000, v7
	v_cmp_gt_f32_e32 vcc, s9, v7
	s_nop 1
	v_cndmask_b32_e32 v7, v7, v13, vcc
	v_sqrt_f32_e32 v13, v7
	s_nop 0
	v_add_u32_e32 v14, -1, v13
	v_add_u32_e32 v15, 1, v13
	v_fma_f32 v16, -v14, v13, v7
	v_fma_f32 v17, -v15, v13, v7
	v_cmp_ge_f32_e64 s[4:5], 0, v16
	s_nop 1
	v_cndmask_b32_e64 v13, v13, v14, s[4:5]
	v_cmp_lt_f32_e64 s[4:5], 0, v17
	s_nop 1
	v_cndmask_b32_e64 v13, v13, v15, s[4:5]
	v_mul_f32_e32 v14, 0x37800000, v13
	v_cndmask_b32_e32 v13, v13, v14, vcc
	v_cmp_class_f32_e64 s[4:5], v7, v11
	s_and_b64 vcc, exec, s[2:3]
	s_nop 0
	v_cndmask_b32_e64 v7, v13, v7, s[4:5]
	s_cbranch_vccnz .LBB381_20
; %bb.19:
	global_load_dword v10, v10, s[22:23] offset:28
	s_waitcnt vmcnt(0)
	v_add_f32_e32 v7, v7, v10
.LBB381_20:
	s_load_dwordx4 s[24:27], s[0:1], 0x30
	s_mov_b32 s42, 0
	v_cmp_eq_u32_e64 s[6:7], 0, v9
	s_waitcnt lgkmcnt(0)
	s_bitcmp1_b32 s27, 0
	s_cselect_b64 s[4:5], -1, 0
	s_cmp_gt_i32 s24, 0
	s_cselect_b64 s[38:39], -1, 0
	s_and_b64 vcc, exec, s[38:39]
	s_cbranch_vccz .LBB381_39
; %bb.21:
	v_mbcnt_lo_u32_b32 v10, -1, 0
	v_mbcnt_hi_u32_b32 v10, -1, v10
	v_and_b32_e32 v11, 0x7c, v10
	v_add_u32_e32 v11, 4, v11
	v_xor_b32_e32 v13, 2, v10
	v_cmp_lt_i32_e32 vcc, v13, v11
	s_load_dwordx4 s[28:31], s[0:1], 0x20
	v_mul_lo_u32 v14, v8, s24
	v_cndmask_b32_e32 v13, v10, v13, vcc
	v_lshlrev_b32_e32 v15, 2, v13
	v_xor_b32_e32 v13, 1, v10
	v_cmp_lt_i32_e32 vcc, v13, v11
	v_mov_b32_e32 v17, 0xc61c4000
	v_mov_b32_e32 v18, v8
	v_cndmask_b32_e32 v10, v10, v13, vcc
	v_lshlrev_b32_e32 v16, 2, v10
	v_mov_b32_e32 v13, 0
	s_branch .LBB381_24
.LBB381_22:                             ;   in Loop: Header=BB381_24 Depth=1
	s_or_b64 exec, exec, s[40:41]
.LBB381_23:                             ;   in Loop: Header=BB381_24 Depth=1
	s_cmp_eq_u32 s24, s42
	v_add_u32_e32 v18, s33, v18
	s_cbranch_scc1 .LBB381_40
.LBB381_24:                             ; =>This Inner Loop Header: Depth=1
	v_cmp_gt_f32_e32 vcc, v1, v0
	s_nop 1
	v_cndmask_b32_e32 v11, v0, v1, vcc
	v_cndmask_b32_e64 v10, 0, 1, vcc
	v_cmp_gt_f32_e32 vcc, v2, v11
	s_nop 1
	v_cndmask_b32_e32 v11, v11, v2, vcc
	v_cndmask_b32_e64 v10, v10, 2, vcc
	;; [unrolled: 4-line block ×6, first 2 shown]
	v_cmp_gt_f32_e32 vcc, v7, v11
	s_nop 1
	v_cndmask_b32_e64 v10, v10, 7, vcc
	v_cndmask_b32_e32 v19, v11, v7, vcc
	ds_bpermute_b32 v11, v15, v19
	v_or_b32_e32 v10, v12, v10
	s_waitcnt lgkmcnt(0)
	ds_bpermute_b32 v20, v15, v10
	s_waitcnt lgkmcnt(0)
	v_cmp_lt_f32_e64 s[8:9], v19, v11
	v_cmp_nlt_f32_e32 vcc, v19, v11
	s_and_saveexec_b64 s[10:11], vcc
; %bb.25:                               ;   in Loop: Header=BB381_24 Depth=1
	v_cmp_eq_f32_e32 vcc, v19, v11
	v_cmp_lt_i32_e64 s[0:1], v20, v10
	s_and_b64 s[0:1], vcc, s[0:1]
	s_andn2_b64 s[8:9], s[8:9], exec
	s_and_b64 s[0:1], s[0:1], exec
	s_or_b64 s[8:9], s[8:9], s[0:1]
; %bb.26:                               ;   in Loop: Header=BB381_24 Depth=1
	s_or_b64 exec, exec, s[10:11]
	s_and_saveexec_b64 s[0:1], s[8:9]
; %bb.27:                               ;   in Loop: Header=BB381_24 Depth=1
	v_mov_b32_e32 v19, v11
	v_mov_b32_e32 v10, v20
; %bb.28:                               ;   in Loop: Header=BB381_24 Depth=1
	s_or_b64 exec, exec, s[0:1]
	ds_bpermute_b32 v11, v16, v19
	ds_bpermute_b32 v20, v16, v10
	s_waitcnt lgkmcnt(1)
	v_cmp_lt_f32_e64 s[8:9], v19, v11
	v_cmp_nlt_f32_e32 vcc, v19, v11
	s_and_saveexec_b64 s[10:11], vcc
	s_cbranch_execnz .LBB381_32
; %bb.29:                               ;   in Loop: Header=BB381_24 Depth=1
	s_or_b64 exec, exec, s[10:11]
	s_and_saveexec_b64 s[0:1], s[8:9]
	s_cbranch_execnz .LBB381_33
.LBB381_30:                             ;   in Loop: Header=BB381_24 Depth=1
	s_or_b64 exec, exec, s[0:1]
	s_and_saveexec_b64 s[8:9], s[6:7]
	s_cbranch_execnz .LBB381_34
.LBB381_31:                             ;   in Loop: Header=BB381_24 Depth=1
	s_or_b64 exec, exec, s[8:9]
	s_add_i32 s42, s42, 1
	s_cmp_ge_i32 s42, s24
	s_cbranch_scc1 .LBB381_23
	s_branch .LBB381_37
.LBB381_32:                             ;   in Loop: Header=BB381_24 Depth=1
	v_cmp_eq_f32_e32 vcc, v19, v11
	s_waitcnt lgkmcnt(0)
	v_cmp_lt_i32_e64 s[0:1], v20, v10
	s_and_b64 s[0:1], vcc, s[0:1]
	s_andn2_b64 s[8:9], s[8:9], exec
	s_and_b64 s[0:1], s[0:1], exec
	s_or_b64 s[8:9], s[8:9], s[0:1]
	s_or_b64 exec, exec, s[10:11]
	s_and_saveexec_b64 s[0:1], s[8:9]
	s_cbranch_execz .LBB381_30
.LBB381_33:                             ;   in Loop: Header=BB381_24 Depth=1
	s_waitcnt lgkmcnt(0)
	v_mov_b32_e32 v10, v20
	v_mov_b32_e32 v19, v11
	s_or_b64 exec, exec, s[0:1]
	s_and_saveexec_b64 s[8:9], s[6:7]
	s_cbranch_execz .LBB381_31
.LBB381_34:                             ;   in Loop: Header=BB381_24 Depth=1
	s_and_b64 vcc, exec, s[2:3]
	s_cbranch_vccnz .LBB381_36
; %bb.35:                               ;   in Loop: Header=BB381_24 Depth=1
	v_ashrrev_i32_e32 v11, 31, v10
	s_waitcnt lgkmcnt(0)
	v_lshl_add_u64 v[20:21], v[10:11], 2, s[22:23]
	global_load_dword v11, v[20:21], off
	s_waitcnt vmcnt(0)
	v_sub_f32_e32 v19, v19, v11
.LBB381_36:                             ;   in Loop: Header=BB381_24 Depth=1
	s_waitcnt lgkmcnt(0)
	v_add_u32_e32 v20, s42, v14
	v_cmp_le_i32_e32 vcc, s25, v10
	v_cmp_gt_i32_e64 s[0:1], s26, v10
	v_ashrrev_i32_e32 v21, 31, v20
	s_and_b64 s[0:1], vcc, s[0:1]
	v_lshlrev_b64 v[20:21], 2, v[20:21]
	v_lshl_add_u64 v[22:23], s[34:35], 0, v[20:21]
	v_subrev_u32_e32 v11, s25, v10
	s_and_b64 vcc, s[36:37], s[0:1]
	global_store_dword v[22:23], v19, off
	v_cndmask_b32_e32 v11, 32, v11, vcc
	v_lshl_add_u64 v[22:23], s[28:29], 0, v[20:21]
	global_store_dword v[22:23], v11, off
	v_add_f32_e32 v11, v13, v19
	v_lshl_add_u64 v[20:21], s[30:31], 0, v[20:21]
	v_cndmask_b32_e64 v13, v13, v11, s[4:5]
	global_store_dword v[20:21], v18, off
	s_or_b64 exec, exec, s[8:9]
	s_add_i32 s42, s42, 1
	s_cmp_ge_i32 s42, s24
	s_cbranch_scc1 .LBB381_23
.LBB381_37:                             ;   in Loop: Header=BB381_24 Depth=1
	v_ashrrev_i32_e32 v19, 31, v10
	v_lshrrev_b32_e32 v11, 29, v19
	v_add_u32_e32 v11, v10, v11
	v_ashrrev_i32_e32 v11, 3, v11
	s_waitcnt lgkmcnt(0)
	v_lshrrev_b32_e32 v20, 30, v11
	v_add_u32_e32 v20, v11, v20
	v_and_b32_e32 v20, -4, v20
	v_sub_u32_e32 v20, v11, v20
	v_cmp_eq_u32_e32 vcc, v9, v20
	s_and_saveexec_b64 s[40:41], vcc
	s_cbranch_execz .LBB381_22
; %bb.38:                               ;   in Loop: Header=BB381_24 Depth=1
	v_lshrrev_b32_e32 v19, 27, v19
	v_add_u32_e32 v19, v10, v19
	v_lshlrev_b32_e32 v11, 3, v11
	v_sub_u32_e32 v10, v10, v11
	v_ashrrev_i32_e32 v11, 5, v19
	v_lshl_add_u32 v10, v11, 3, v10
	v_cmp_ne_u32_e32 vcc, 6, v10
	v_cmp_ne_u32_e64 s[0:1], 5, v10
	v_cmp_ne_u32_e64 s[8:9], 4, v10
	;; [unrolled: 1-line block ×7, first 2 shown]
	v_cndmask_b32_e32 v6, v17, v6, vcc
	v_cndmask_b32_e64 v5, v17, v5, s[0:1]
	v_cndmask_b32_e64 v7, v17, v7, s[18:19]
	;; [unrolled: 1-line block ×7, first 2 shown]
	s_branch .LBB381_22
.LBB381_39:
	v_mov_b32_e32 v13, 0
.LBB381_40:
	v_cmp_eq_u32_e32 vcc, 0, v9
	s_and_b64 exec, exec, vcc
	s_cbranch_execz .LBB381_53
; %bb.41:
	s_andn2_b64 vcc, exec, s[4:5]
	v_cvt_f32_f64_e32 v0, s[20:21]
	s_cbranch_vccnz .LBB381_43
; %bb.42:
	v_cmp_lt_f32_e32 vcc, 0, v13
	s_nop 1
	v_cndmask_b32_e32 v1, 1.0, v13, vcc
	v_div_scale_f32 v2, s[0:1], v1, v1, v0
	v_rcp_f32_e32 v3, v2
	s_nop 0
	v_fma_f32 v4, -v2, v3, 1.0
	v_fmac_f32_e32 v3, v4, v3
	v_div_scale_f32 v4, vcc, v0, v1, v0
	v_mul_f32_e32 v5, v4, v3
	v_fma_f32 v6, -v2, v5, v4
	v_fmac_f32_e32 v5, v6, v3
	v_fma_f32 v2, -v2, v5, v4
	v_div_fmas_f32 v2, v2, v3, v5
	v_div_fixup_f32 v0, v2, v1, v0
.LBB381_43:
	s_andn2_b64 vcc, exec, s[38:39]
	s_cbranch_vccnz .LBB381_53
; %bb.44:
	v_mul_lo_u32 v2, v8, s24
	s_cmp_gt_u32 s24, 3
	v_ashrrev_i32_e32 v3, 31, v2
	s_cbranch_scc0 .LBB381_48
; %bb.45:
	s_and_b32 s0, s24, 0x7ffffffc
	v_lshl_add_u64 v[4:5], v[2:3], 2, s[34:35]
	v_mov_b32_e32 v1, v0
	v_lshl_add_u64 v[4:5], v[4:5], 0, 8
	s_mov_b32 s1, s0
.LBB381_46:                             ; =>This Inner Loop Header: Depth=1
	global_load_dwordx4 v[6:9], v[4:5], off offset:-8
	s_add_i32 s1, s1, -4
	s_cmp_lg_u32 s1, 0
	s_waitcnt vmcnt(0)
	v_pk_mul_f32 v[6:7], v[0:1], v[6:7]
	v_pk_mul_f32 v[8:9], v[0:1], v[8:9]
	global_store_dwordx4 v[4:5], v[6:9], off offset:-8
	v_lshl_add_u64 v[4:5], v[4:5], 0, 16
	s_cbranch_scc1 .LBB381_46
; %bb.47:
	s_cmp_lg_u32 s0, s24
	s_cselect_b64 s[2:3], -1, 0
	s_branch .LBB381_50
.LBB381_48:
	s_mov_b64 s[2:3], 0
                                        ; implicit-def: $sgpr0
	s_cbranch_execz .LBB381_50
; %bb.49:
	s_mov_b64 s[2:3], -1
	s_mov_b32 s0, 0
.LBB381_50:
	s_andn2_b64 vcc, exec, s[2:3]
	s_cbranch_vccnz .LBB381_53
; %bb.51:
	s_mov_b32 s1, 0
	v_lshl_add_u64 v[2:3], v[2:3], 0, s[0:1]
	s_sub_i32 s2, s24, s0
	v_lshl_add_u64 v[2:3], v[2:3], 2, s[34:35]
.LBB381_52:                             ; =>This Inner Loop Header: Depth=1
	global_load_dword v1, v[2:3], off
	s_add_i32 s2, s2, -1
	s_cmp_lg_u32 s2, 0
	s_waitcnt vmcnt(0)
	v_mul_f32_e32 v1, v0, v1
	global_store_dword v[2:3], v1, off
	v_lshl_add_u64 v[2:3], v[2:3], 0, 4
	s_cbranch_scc1 .LBB381_52
.LBB381_53:
	s_endpgm
	.section	.rodata,"a",@progbits
	.p2align	6, 0x0
	.amdhsa_kernel _ZN4vllm3moe22topkGatingSoftplusSqrtILi8ELi32ELi4ELi16ELi64ELb0Ei14__hip_bfloat16EEvPKT6_PKbPfiPT5_PiiiibdPKfPKS9_SF_
		.amdhsa_group_segment_fixed_size 0
		.amdhsa_private_segment_fixed_size 0
		.amdhsa_kernarg_size 96
		.amdhsa_user_sgpr_count 2
		.amdhsa_user_sgpr_dispatch_ptr 0
		.amdhsa_user_sgpr_queue_ptr 0
		.amdhsa_user_sgpr_kernarg_segment_ptr 1
		.amdhsa_user_sgpr_dispatch_id 0
		.amdhsa_user_sgpr_kernarg_preload_length 0
		.amdhsa_user_sgpr_kernarg_preload_offset 0
		.amdhsa_user_sgpr_private_segment_size 0
		.amdhsa_uses_dynamic_stack 0
		.amdhsa_enable_private_segment 0
		.amdhsa_system_sgpr_workgroup_id_x 1
		.amdhsa_system_sgpr_workgroup_id_y 0
		.amdhsa_system_sgpr_workgroup_id_z 0
		.amdhsa_system_sgpr_workgroup_info 0
		.amdhsa_system_vgpr_workitem_id 1
		.amdhsa_next_free_vgpr 24
		.amdhsa_next_free_sgpr 43
		.amdhsa_accum_offset 24
		.amdhsa_reserve_vcc 1
		.amdhsa_float_round_mode_32 0
		.amdhsa_float_round_mode_16_64 0
		.amdhsa_float_denorm_mode_32 3
		.amdhsa_float_denorm_mode_16_64 3
		.amdhsa_dx10_clamp 1
		.amdhsa_ieee_mode 1
		.amdhsa_fp16_overflow 0
		.amdhsa_tg_split 0
		.amdhsa_exception_fp_ieee_invalid_op 0
		.amdhsa_exception_fp_denorm_src 0
		.amdhsa_exception_fp_ieee_div_zero 0
		.amdhsa_exception_fp_ieee_overflow 0
		.amdhsa_exception_fp_ieee_underflow 0
		.amdhsa_exception_fp_ieee_inexact 0
		.amdhsa_exception_int_div_zero 0
	.end_amdhsa_kernel
	.section	.text._ZN4vllm3moe22topkGatingSoftplusSqrtILi8ELi32ELi4ELi16ELi64ELb0Ei14__hip_bfloat16EEvPKT6_PKbPfiPT5_PiiiibdPKfPKS9_SF_,"axG",@progbits,_ZN4vllm3moe22topkGatingSoftplusSqrtILi8ELi32ELi4ELi16ELi64ELb0Ei14__hip_bfloat16EEvPKT6_PKbPfiPT5_PiiiibdPKfPKS9_SF_,comdat
.Lfunc_end381:
	.size	_ZN4vllm3moe22topkGatingSoftplusSqrtILi8ELi32ELi4ELi16ELi64ELb0Ei14__hip_bfloat16EEvPKT6_PKbPfiPT5_PiiiibdPKfPKS9_SF_, .Lfunc_end381-_ZN4vllm3moe22topkGatingSoftplusSqrtILi8ELi32ELi4ELi16ELi64ELb0Ei14__hip_bfloat16EEvPKT6_PKbPfiPT5_PiiiibdPKfPKS9_SF_
                                        ; -- End function
	.section	.AMDGPU.csdata,"",@progbits
; Kernel info:
; codeLenInByte = 3744
; NumSgprs: 49
; NumVgprs: 24
; NumAgprs: 0
; TotalNumVgprs: 24
; ScratchSize: 0
; MemoryBound: 0
; FloatMode: 240
; IeeeMode: 1
; LDSByteSize: 0 bytes/workgroup (compile time only)
; SGPRBlocks: 6
; VGPRBlocks: 2
; NumSGPRsForWavesPerEU: 49
; NumVGPRsForWavesPerEU: 24
; AccumOffset: 24
; Occupancy: 8
; WaveLimiterHint : 0
; COMPUTE_PGM_RSRC2:SCRATCH_EN: 0
; COMPUTE_PGM_RSRC2:USER_SGPR: 2
; COMPUTE_PGM_RSRC2:TRAP_HANDLER: 0
; COMPUTE_PGM_RSRC2:TGID_X_EN: 1
; COMPUTE_PGM_RSRC2:TGID_Y_EN: 0
; COMPUTE_PGM_RSRC2:TGID_Z_EN: 0
; COMPUTE_PGM_RSRC2:TIDIG_COMP_CNT: 1
; COMPUTE_PGM_RSRC3_GFX90A:ACCUM_OFFSET: 5
; COMPUTE_PGM_RSRC3_GFX90A:TG_SPLIT: 0
	.section	.text._ZN4vllm3moe22topkGatingSoftplusSqrtILi8ELi32ELi4ELi16ELi32ELb1Ei14__hip_bfloat16EEvPKT6_PKbPfiPT5_PiiiibdPKfPKS9_SF_,"axG",@progbits,_ZN4vllm3moe22topkGatingSoftplusSqrtILi8ELi32ELi4ELi16ELi32ELb1Ei14__hip_bfloat16EEvPKT6_PKbPfiPT5_PiiiibdPKfPKS9_SF_,comdat
	.protected	_ZN4vllm3moe22topkGatingSoftplusSqrtILi8ELi32ELi4ELi16ELi32ELb1Ei14__hip_bfloat16EEvPKT6_PKbPfiPT5_PiiiibdPKfPKS9_SF_ ; -- Begin function _ZN4vllm3moe22topkGatingSoftplusSqrtILi8ELi32ELi4ELi16ELi32ELb1Ei14__hip_bfloat16EEvPKT6_PKbPfiPT5_PiiiibdPKfPKS9_SF_
	.globl	_ZN4vllm3moe22topkGatingSoftplusSqrtILi8ELi32ELi4ELi16ELi32ELb1Ei14__hip_bfloat16EEvPKT6_PKbPfiPT5_PiiiibdPKfPKS9_SF_
	.p2align	8
	.type	_ZN4vllm3moe22topkGatingSoftplusSqrtILi8ELi32ELi4ELi16ELi32ELb1Ei14__hip_bfloat16EEvPKT6_PKbPfiPT5_PiiiibdPKfPKS9_SF_,@function
_ZN4vllm3moe22topkGatingSoftplusSqrtILi8ELi32ELi4ELi16ELi32ELb1Ei14__hip_bfloat16EEvPKT6_PKbPfiPT5_PiiiibdPKfPKS9_SF_: ; @_ZN4vllm3moe22topkGatingSoftplusSqrtILi8ELi32ELi4ELi16ELi32ELb1Ei14__hip_bfloat16EEvPKT6_PKbPfiPT5_PiiiibdPKfPKS9_SF_
; %bb.0:
	s_load_dword s3, s[0:1], 0x18
	v_bfe_u32 v1, v0, 10, 10
	v_and_b32_e32 v8, 0x3ff, v0
	s_lshl_b32 s2, s2, 5
	v_lshlrev_b32_e32 v1, 3, v1
	v_lshrrev_b32_e32 v0, 2, v8
	v_add3_u32 v6, s2, v1, v0
	s_waitcnt lgkmcnt(0)
	v_cmp_gt_i32_e32 vcc, s3, v6
	s_and_saveexec_b64 s[2:3], vcc
	s_cbranch_execz .LBB382_31
; %bb.1:
	s_load_dwordx2 s[2:3], s[0:1], 0x0
	s_load_dword s33, s[0:1], 0x30
	v_lshlrev_b32_e32 v0, 5, v6
	v_lshlrev_b32_e32 v2, 3, v8
	v_ashrrev_i32_e32 v1, 31, v0
	v_and_b32_e32 v10, 24, v2
	s_waitcnt lgkmcnt(0)
	v_lshl_add_u64 v[0:1], v[0:1], 1, s[2:3]
	v_lshlrev_b32_e32 v4, 1, v10
	v_mov_b32_e32 v5, 0
	v_lshl_add_u64 v[0:1], v[0:1], 0, v[4:5]
	global_load_dwordx4 v[0:3], v[0:1], off
	s_load_dwordx4 s[8:11], s[0:1], 0x50
	v_ashrrev_i32_e32 v7, 31, v6
	s_mov_b32 s15, 0x800000
	s_mov_b32 s13, 0x3f317217
	;; [unrolled: 1-line block ×3, first 2 shown]
	s_waitcnt lgkmcnt(0)
	v_mov_b32_e32 v12, s8
	v_mov_b32_e32 v13, s9
	v_lshl_add_u64 v[12:13], v[6:7], 2, v[12:13]
	global_load_dword v4, v[12:13], off
	v_mov_b32_e32 v7, 0x4f800000
	v_mov_b32_e32 v9, 0x41b17218
	s_mov_b32 s9, 0x41a00000
	s_mov_b32 s12, 0xf800000
	v_mov_b32_e32 v11, 0x260
	s_cmp_gt_i32 s33, 0
	s_mov_b32 s8, 0
	s_waitcnt vmcnt(1)
	v_and_b32_e32 v16, 0xffff0000, v0
	v_lshlrev_b32_e32 v17, 16, v0
	v_and_b32_e32 v18, 0xffff0000, v1
	v_lshlrev_b32_e32 v19, 16, v1
	v_mul_f32_e32 v0, 0x3fb8aa3b, v17
	v_mul_f32_e32 v1, 0x3fb8aa3b, v16
	v_exp_f32_e32 v12, v0
	v_exp_f32_e32 v13, v1
	v_mul_f32_e32 v14, 0x3fb8aa3b, v19
	v_mul_f32_e32 v15, 0x3fb8aa3b, v18
	v_exp_f32_e32 v14, v14
	v_exp_f32_e32 v15, v15
	v_pk_add_f32 v[12:13], v[12:13], 1.0 op_sel_hi:[1,0]
	s_waitcnt vmcnt(0)
	v_mul_lo_u32 v0, v4, s33
	v_cmp_gt_f32_e32 vcc, s15, v13
	v_pk_add_f32 v[14:15], v[14:15], 1.0 op_sel_hi:[1,0]
	v_cmp_gt_f32_e64 s[2:3], s15, v12
	v_cndmask_b32_e32 v4, 1.0, v7, vcc
	v_cmp_gt_f32_e64 s[4:5], s15, v15
	v_cndmask_b32_e64 v20, 1.0, v7, s[2:3]
	v_mul_f32_e32 v4, v13, v4
	v_cndmask_b32_e64 v21, 1.0, v7, s[4:5]
	v_mul_f32_e32 v12, v12, v20
	v_log_f32_e32 v4, v4
	v_mul_f32_e32 v15, v15, v21
	v_log_f32_e32 v12, v12
	v_cmp_gt_f32_e64 s[6:7], s15, v14
	v_log_f32_e32 v15, v15
	v_cndmask_b32_e32 v13, 0, v9, vcc
	v_cndmask_b32_e64 v22, 1.0, v7, s[6:7]
	v_mul_f32_e32 v14, v14, v22
	v_mul_f32_e32 v22, 0x3f317217, v4
	;; [unrolled: 1-line block ×3, first 2 shown]
	v_fma_f32 v22, v4, s13, -v22
	v_mul_f32_e32 v24, 0x3f317217, v15
	v_fma_f32 v23, v12, s13, -v23
	v_fmac_f32_e32 v22, 0x3377d1cf, v4
	v_fma_f32 v24, v15, s13, -v24
	v_fmac_f32_e32 v23, 0x3377d1cf, v12
	v_fmac_f32_e32 v22, 0x3f317217, v4
	v_cmp_lt_f32_e64 vcc, |v4|, s14
	v_fmac_f32_e32 v24, 0x3377d1cf, v15
	v_fmac_f32_e32 v23, 0x3f317217, v12
	v_cndmask_b32_e32 v4, v4, v22, vcc
	v_cmp_lt_f32_e64 vcc, |v12|, s14
	v_cndmask_b32_e64 v20, 0, v9, s[2:3]
	v_fmac_f32_e32 v24, 0x3f317217, v15
	v_cndmask_b32_e32 v12, v12, v23, vcc
	v_cmp_lt_f32_e64 vcc, |v15|, s14
	v_sub_f32_e32 v12, v12, v20
	v_sub_f32_e32 v4, v4, v13
	v_cndmask_b32_e32 v15, v15, v24, vcc
	v_cmp_lt_f32_e32 vcc, s9, v17
	v_cndmask_b32_e64 v21, 0, v9, s[4:5]
	v_sub_f32_e32 v15, v15, v21
	v_cndmask_b32_e32 v12, v12, v17, vcc
	v_cmp_lt_f32_e32 vcc, s9, v16
	v_cmp_gt_f32_e64 s[2:3], s12, v12
	v_log_f32_e32 v14, v14
	v_cndmask_b32_e32 v4, v4, v16, vcc
	v_mul_f32_e32 v13, 0x4f800000, v4
	v_cmp_gt_f32_e32 vcc, s12, v4
	v_mul_f32_e32 v16, 0x4f800000, v12
	v_cndmask_b32_e64 v12, v12, v16, s[2:3]
	v_cndmask_b32_e32 v4, v4, v13, vcc
	v_sqrt_f32_e32 v13, v4
	v_sqrt_f32_e32 v16, v12
	v_mul_f32_e32 v25, 0x3f317217, v14
	v_fma_f32 v25, v14, s13, -v25
	v_add_u32_e32 v17, -1, v13
	v_add_u32_e32 v21, -1, v16
	v_fma_f32 v23, -v17, v13, v4
	v_add_u32_e32 v20, 1, v13
	v_fma_f32 v26, -v21, v16, v12
	v_cmp_ge_f32_e64 s[4:5], 0, v23
	v_add_u32_e32 v22, 1, v16
	v_fma_f32 v24, -v20, v13, v4
	v_cndmask_b32_e64 v13, v13, v17, s[4:5]
	v_cmp_ge_f32_e64 s[4:5], 0, v26
	v_fma_f32 v27, -v22, v16, v12
	v_fmac_f32_e32 v25, 0x3377d1cf, v14
	v_cndmask_b32_e64 v16, v16, v21, s[4:5]
	v_cmp_lt_f32_e64 s[4:5], 0, v24
	v_fmac_f32_e32 v25, 0x3f317217, v14
	v_ashrrev_i32_e32 v1, 31, v0
	v_cndmask_b32_e64 v13, v13, v20, s[4:5]
	v_cmp_lt_f32_e64 s[4:5], 0, v27
	v_mul_f32_e32 v17, 0x37800000, v13
	v_cndmask_b32_e32 v13, v13, v17, vcc
	v_cndmask_b32_e64 v16, v16, v22, s[4:5]
	v_mul_f32_e32 v20, 0x37800000, v16
	v_cmp_class_f32_e32 vcc, v4, v11
	v_cndmask_b32_e64 v16, v16, v20, s[2:3]
	v_cmp_lt_f32_e64 s[2:3], s9, v19
	v_cndmask_b32_e32 v13, v13, v4, vcc
	v_cmp_class_f32_e32 vcc, v12, v11
	v_and_b32_e32 v20, 0xffff0000, v2
	v_lshlrev_b32_e32 v2, 16, v2
	v_cndmask_b32_e32 v12, v16, v12, vcc
	v_cmp_lt_f32_e64 vcc, |v14|, s14
	s_nop 1
	v_cndmask_b32_e32 v4, v14, v25, vcc
	v_cmp_lt_f32_e32 vcc, s9, v18
	v_cndmask_b32_e64 v14, 0, v9, s[6:7]
	v_sub_f32_e32 v4, v4, v14
	v_cndmask_b32_e32 v15, v15, v18, vcc
	v_mul_f32_e32 v16, 0x4f800000, v15
	v_cmp_gt_f32_e32 vcc, s12, v15
	v_cndmask_b32_e64 v4, v4, v19, s[2:3]
	s_nop 0
	v_cndmask_b32_e32 v15, v15, v16, vcc
	v_sqrt_f32_e32 v16, v15
	s_nop 0
	v_add_u32_e32 v14, -1, v16
	v_fma_f32 v17, -v14, v16, v15
	v_cmp_ge_f32_e64 s[2:3], 0, v17
	v_add_u32_e32 v17, 1, v16
	s_nop 0
	v_cndmask_b32_e64 v14, v16, v14, s[2:3]
	v_fma_f32 v16, -v17, v16, v15
	v_cmp_lt_f32_e64 s[2:3], 0, v16
	s_nop 1
	v_cndmask_b32_e64 v14, v14, v17, s[2:3]
	v_mul_f32_e32 v17, 0x4f800000, v4
	v_cmp_gt_f32_e64 s[2:3], s12, v4
	v_mul_f32_e32 v16, 0x37800000, v14
	v_cndmask_b32_e32 v14, v14, v16, vcc
	v_cndmask_b32_e64 v4, v4, v17, s[2:3]
	v_sqrt_f32_e32 v17, v4
	v_cmp_class_f32_e32 vcc, v15, v11
	v_add_u32_e32 v18, 1, v17
	s_nop 0
	v_cndmask_b32_e32 v15, v14, v15, vcc
	v_add_u32_e32 v14, -1, v17
	v_fma_f32 v16, -v14, v17, v4
	v_cmp_ge_f32_e32 vcc, 0, v16
	v_fma_f32 v19, -v18, v17, v4
	v_mul_f32_e32 v16, 0x3fb8aa3b, v2
	v_cndmask_b32_e32 v14, v17, v14, vcc
	v_mul_f32_e32 v17, 0x3fb8aa3b, v20
	v_exp_f32_e32 v16, v16
	v_exp_f32_e32 v17, v17
	v_cmp_lt_f32_e32 vcc, 0, v19
	v_pk_add_f32 v[16:17], v[16:17], 1.0 op_sel_hi:[1,0]
	s_nop 0
	v_cndmask_b32_e32 v14, v14, v18, vcc
	v_mul_f32_e32 v18, 0x37800000, v14
	v_cmp_gt_f32_e32 vcc, s15, v17
	v_cndmask_b32_e64 v14, v14, v18, s[2:3]
	v_cmp_class_f32_e64 s[2:3], v4, v11
	v_cndmask_b32_e32 v18, 1.0, v7, vcc
	v_mul_f32_e32 v17, v17, v18
	v_log_f32_e32 v17, v17
	v_cndmask_b32_e64 v14, v14, v4, s[2:3]
	v_cmp_gt_f32_e64 s[2:3], s15, v16
	scratch_store_dwordx4 off, v[12:15], off
	v_mul_f32_e32 v4, 0x3f317217, v17
	v_fma_f32 v4, v17, s13, -v4
	v_cndmask_b32_e64 v12, 1.0, v7, s[2:3]
	v_mul_f32_e32 v12, v16, v12
	v_log_f32_e32 v12, v12
	v_fmac_f32_e32 v4, 0x3377d1cf, v17
	v_fmac_f32_e32 v4, 0x3f317217, v17
	v_cmp_lt_f32_e64 s[4:5], |v17|, s14
	v_cndmask_b32_e32 v13, 0, v9, vcc
	v_cmp_lt_f32_e64 vcc, |v12|, s14
	v_cndmask_b32_e64 v4, v17, v4, s[4:5]
	v_sub_f32_e32 v4, v4, v13
	v_mul_f32_e32 v13, 0x3f317217, v12
	v_fma_f32 v13, v12, s13, -v13
	v_fmac_f32_e32 v13, 0x3377d1cf, v12
	v_fmac_f32_e32 v13, 0x3f317217, v12
	v_cndmask_b32_e32 v12, v12, v13, vcc
	v_cmp_lt_f32_e32 vcc, s9, v20
	v_cndmask_b32_e64 v13, 0, v9, s[2:3]
	v_sub_f32_e32 v12, v12, v13
	v_cndmask_b32_e32 v4, v4, v20, vcc
	v_mul_f32_e32 v14, 0x4f800000, v4
	v_cmp_gt_f32_e32 vcc, s12, v4
	v_cmp_lt_f32_e64 s[2:3], s9, v2
	v_and_b32_e32 v16, 0xffff0000, v3
	v_cndmask_b32_e32 v4, v4, v14, vcc
	v_sqrt_f32_e32 v14, v4
	v_cndmask_b32_e64 v2, v12, v2, s[2:3]
	v_lshlrev_b32_e32 v17, 16, v3
	v_mul_f32_e32 v3, 0x3fb8aa3b, v16
	v_add_u32_e32 v12, -1, v14
	v_fma_f32 v13, -v12, v14, v4
	v_cmp_ge_f32_e64 s[2:3], 0, v13
	v_add_u32_e32 v13, 1, v14
	v_exp_f32_e32 v3, v3
	v_cndmask_b32_e64 v12, v14, v12, s[2:3]
	v_fma_f32 v14, -v13, v14, v4
	v_cmp_lt_f32_e64 s[2:3], 0, v14
	v_mul_f32_e32 v14, 0x4f800000, v2
	s_nop 0
	v_cndmask_b32_e64 v12, v12, v13, s[2:3]
	v_cmp_gt_f32_e64 s[2:3], s12, v2
	v_mul_f32_e32 v13, 0x37800000, v12
	v_cndmask_b32_e32 v12, v12, v13, vcc
	v_cndmask_b32_e64 v14, v2, v14, s[2:3]
	v_sqrt_f32_e32 v2, v14
	v_cmp_class_f32_e32 vcc, v4, v11
	s_nop 1
	v_cndmask_b32_e32 v13, v12, v4, vcc
	v_add_u32_e32 v4, -1, v2
	v_fma_f32 v12, -v4, v2, v14
	v_cmp_ge_f32_e32 vcc, 0, v12
	v_add_u32_e32 v12, 1, v2
	v_fma_f32 v15, -v12, v2, v14
	v_cndmask_b32_e32 v4, v2, v4, vcc
	v_mul_f32_e32 v2, 0x3fb8aa3b, v17
	v_exp_f32_e32 v2, v2
	v_cmp_lt_f32_e32 vcc, 0, v15
	v_pk_add_f32 v[2:3], v[2:3], 1.0 op_sel_hi:[1,0]
	s_nop 0
	v_cndmask_b32_e32 v4, v4, v12, vcc
	v_cmp_gt_f32_e32 vcc, s15, v3
	v_mul_f32_e32 v12, 0x37800000, v4
	v_cndmask_b32_e64 v4, v4, v12, s[2:3]
	v_cndmask_b32_e32 v15, 1.0, v7, vcc
	v_mul_f32_e32 v3, v3, v15
	v_log_f32_e32 v3, v3
	v_cmp_class_f32_e64 s[2:3], v14, v11
	v_cmp_lt_f32_e64 s[4:5], |v3|, s14
	s_nop 0
	v_cndmask_b32_e64 v12, v4, v14, s[2:3]
	v_cmp_gt_f32_e64 s[2:3], s15, v2
	v_mul_f32_e32 v4, 0x3f317217, v3
	v_fma_f32 v4, v3, s13, -v4
	v_cndmask_b32_e64 v7, 1.0, v7, s[2:3]
	v_mul_f32_e32 v2, v2, v7
	v_log_f32_e32 v2, v2
	v_fmac_f32_e32 v4, 0x3377d1cf, v3
	v_fmac_f32_e32 v4, 0x3f317217, v3
	v_cndmask_b32_e64 v3, v3, v4, s[4:5]
	v_cndmask_b32_e32 v4, 0, v9, vcc
	v_sub_f32_e32 v3, v3, v4
	v_mul_f32_e32 v4, 0x3f317217, v2
	v_fma_f32 v4, v2, s13, -v4
	v_fmac_f32_e32 v4, 0x3377d1cf, v2
	v_fmac_f32_e32 v4, 0x3f317217, v2
	v_cmp_lt_f32_e64 vcc, |v2|, s14
	s_cselect_b64 s[4:5], -1, 0
	s_cmp_lt_i32 s33, 1
	v_cndmask_b32_e32 v2, v2, v4, vcc
	v_cmp_lt_f32_e32 vcc, s9, v16
	v_cndmask_b32_e64 v4, 0, v9, s[2:3]
	v_sub_f32_e32 v2, v2, v4
	v_cndmask_b32_e32 v3, v3, v16, vcc
	v_mul_f32_e32 v7, 0x4f800000, v3
	v_cmp_gt_f32_e32 vcc, s12, v3
	v_cmp_lt_f32_e64 s[2:3], s9, v17
	s_nop 0
	v_cndmask_b32_e32 v3, v3, v7, vcc
	v_sqrt_f32_e32 v7, v3
	v_cndmask_b32_e64 v2, v2, v17, s[2:3]
	v_add_u32_e32 v4, -1, v7
	v_fma_f32 v9, -v4, v7, v3
	v_cmp_ge_f32_e64 s[2:3], 0, v9
	v_add_u32_e32 v9, 1, v7
	s_nop 0
	v_cndmask_b32_e64 v4, v7, v4, s[2:3]
	v_fma_f32 v7, -v9, v7, v3
	v_cmp_lt_f32_e64 s[2:3], 0, v7
	s_nop 1
	v_cndmask_b32_e64 v4, v4, v9, s[2:3]
	v_mul_f32_e32 v9, 0x4f800000, v2
	v_cmp_gt_f32_e64 s[2:3], s12, v2
	v_mul_f32_e32 v7, 0x37800000, v4
	v_cndmask_b32_e32 v4, v4, v7, vcc
	v_cndmask_b32_e64 v2, v2, v9, s[2:3]
	v_sqrt_f32_e32 v9, v2
	v_cmp_class_f32_e32 vcc, v3, v11
	s_nop 1
	v_cndmask_b32_e32 v15, v4, v3, vcc
	v_add_u32_e32 v3, -1, v9
	v_fma_f32 v4, -v3, v9, v2
	v_cmp_ge_f32_e32 vcc, 0, v4
	v_add_u32_e32 v4, 1, v9
	v_fma_f32 v7, -v4, v9, v2
	v_cndmask_b32_e32 v3, v9, v3, vcc
	v_cmp_lt_f32_e32 vcc, 0, v7
	s_nop 1
	v_cndmask_b32_e32 v3, v3, v4, vcc
	v_mul_f32_e32 v4, 0x37800000, v3
	v_cndmask_b32_e64 v3, v3, v4, s[2:3]
	v_cmp_class_f32_e32 vcc, v2, v11
	s_nop 1
	v_cndmask_b32_e32 v14, v3, v2, vcc
	v_lshl_add_u64 v[2:3], v[0:1], 2, s[10:11]
	v_mul_lo_u32 v0, v6, s33
	scratch_store_dwordx4 off, v[12:15], off offset:16
	s_cbranch_scc1 .LBB382_28
; %bb.2:
	s_load_dwordx2 s[6:7], s[0:1], 0x20
	s_cmp_lt_u32 s33, 4
	v_and_b32_e32 v4, 3, v8
	s_cbranch_scc1 .LBB382_21
; %bb.3:
	v_lshlrev_b32_e32 v5, 3, v4
	s_mov_b32 s11, 0
	s_and_b32 s8, s33, 0x7ffffffc
	v_ashrrev_i32_e32 v1, 31, v0
	v_sub_u32_e32 v11, 0, v5
	v_mov_b32_e32 v5, 0
	s_mov_b32 s10, s11
	s_branch .LBB382_5
.LBB382_4:                              ;   in Loop: Header=BB382_5 Depth=1
	s_or_b64 exec, exec, s[12:13]
	s_add_i32 s10, s10, 4
	s_cmp_eq_u32 s10, s8
	s_cbranch_scc1 .LBB382_21
.LBB382_5:                              ; =>This Loop Header: Depth=1
                                        ;     Child Loop BB382_7 Depth 2
                                        ;     Child Loop BB382_11 Depth 2
	;; [unrolled: 1-line block ×4, first 2 shown]
	v_lshl_add_u64 v[6:7], s[10:11], 2, v[2:3]
	global_load_dword v12, v[6:7], off
	v_add_u32_e32 v8, s10, v0
	v_ashrrev_i32_e32 v9, 31, v8
	v_mov_b32_e32 v13, 0
	s_mov_b64 s[12:13], 0
	s_waitcnt lgkmcnt(0)
	v_lshl_add_u64 v[8:9], v[8:9], 2, s[6:7]
	s_mov_b32 s9, 0
	s_waitcnt vmcnt(0)
	v_add_u32_e32 v14, v11, v12
	s_branch .LBB382_7
.LBB382_6:                              ;   in Loop: Header=BB382_7 Depth=2
	s_or_b64 exec, exec, s[14:15]
	s_add_i32 s16, s9, 1
	s_cmp_gt_u32 s9, 6
	s_cselect_b64 s[2:3], -1, 0
	s_xor_b64 s[14:15], vcc, -1
	s_or_b64 s[2:3], s[14:15], s[2:3]
	s_and_b64 s[2:3], exec, s[2:3]
	v_add_u32_e32 v13, 4, v13
	s_or_b64 s[12:13], s[2:3], s[12:13]
	s_mov_b32 s9, s16
	s_andn2_b64 exec, exec, s[12:13]
	s_cbranch_execz .LBB382_9
.LBB382_7:                              ;   Parent Loop BB382_5 Depth=1
                                        ; =>  This Inner Loop Header: Depth=2
	v_cmp_ne_u32_e32 vcc, s9, v14
	v_cmp_eq_u32_e64 s[2:3], s9, v14
	s_and_saveexec_b64 s[14:15], s[2:3]
	s_cbranch_execz .LBB382_6
; %bb.8:                                ;   in Loop: Header=BB382_7 Depth=2
	scratch_load_dword v15, v13, off
	s_waitcnt vmcnt(0)
	v_add_f32_e32 v5, v5, v15
	global_store_dword v[8:9], v12, off
	s_branch .LBB382_6
.LBB382_9:                              ;   in Loop: Header=BB382_5 Depth=1
	s_or_b64 exec, exec, s[12:13]
	global_load_dword v12, v[6:7], off offset:4
	s_ashr_i32 s3, s10, 31
	s_mov_b32 s2, s10
	v_lshl_add_u64 v[8:9], s[2:3], 0, v[0:1]
	v_mov_b32_e32 v13, 0
	s_mov_b32 s9, 0
	v_lshl_add_u64 v[8:9], v[8:9], 2, s[6:7]
	s_mov_b64 s[12:13], 0
	s_waitcnt vmcnt(0)
	v_add_u32_e32 v14, v11, v12
	s_branch .LBB382_11
.LBB382_10:                             ;   in Loop: Header=BB382_11 Depth=2
	s_or_b64 exec, exec, s[14:15]
	s_add_i32 s16, s9, 1
	s_cmp_gt_u32 s9, 6
	s_cselect_b64 s[2:3], -1, 0
	s_xor_b64 s[14:15], vcc, -1
	s_or_b64 s[2:3], s[14:15], s[2:3]
	s_and_b64 s[2:3], exec, s[2:3]
	v_add_u32_e32 v13, 4, v13
	s_or_b64 s[12:13], s[2:3], s[12:13]
	s_mov_b32 s9, s16
	s_andn2_b64 exec, exec, s[12:13]
	s_cbranch_execz .LBB382_13
.LBB382_11:                             ;   Parent Loop BB382_5 Depth=1
                                        ; =>  This Inner Loop Header: Depth=2
	v_cmp_ne_u32_e32 vcc, s9, v14
	v_cmp_eq_u32_e64 s[2:3], s9, v14
	s_and_saveexec_b64 s[14:15], s[2:3]
	s_cbranch_execz .LBB382_10
; %bb.12:                               ;   in Loop: Header=BB382_11 Depth=2
	scratch_load_dword v15, v13, off
	s_waitcnt vmcnt(0)
	v_add_f32_e32 v5, v5, v15
	global_store_dword v[8:9], v12, off offset:4
	s_branch .LBB382_10
.LBB382_13:                             ;   in Loop: Header=BB382_5 Depth=1
	s_or_b64 exec, exec, s[12:13]
	global_load_dword v12, v[6:7], off offset:8
	v_mov_b32_e32 v13, 0
	s_mov_b32 s9, 0
	s_mov_b64 s[12:13], 0
	s_waitcnt vmcnt(0)
	v_add_u32_e32 v14, v11, v12
	s_branch .LBB382_15
.LBB382_14:                             ;   in Loop: Header=BB382_15 Depth=2
	s_or_b64 exec, exec, s[14:15]
	s_add_i32 s16, s9, 1
	s_cmp_gt_u32 s9, 6
	s_cselect_b64 s[2:3], -1, 0
	s_xor_b64 s[14:15], vcc, -1
	s_or_b64 s[2:3], s[14:15], s[2:3]
	s_and_b64 s[2:3], exec, s[2:3]
	v_add_u32_e32 v13, 4, v13
	s_or_b64 s[12:13], s[2:3], s[12:13]
	s_mov_b32 s9, s16
	s_andn2_b64 exec, exec, s[12:13]
	s_cbranch_execz .LBB382_17
.LBB382_15:                             ;   Parent Loop BB382_5 Depth=1
                                        ; =>  This Inner Loop Header: Depth=2
	v_cmp_ne_u32_e32 vcc, s9, v14
	v_cmp_eq_u32_e64 s[2:3], s9, v14
	s_and_saveexec_b64 s[14:15], s[2:3]
	s_cbranch_execz .LBB382_14
; %bb.16:                               ;   in Loop: Header=BB382_15 Depth=2
	scratch_load_dword v15, v13, off
	s_waitcnt vmcnt(0)
	v_add_f32_e32 v5, v5, v15
	global_store_dword v[8:9], v12, off offset:8
	s_branch .LBB382_14
.LBB382_17:                             ;   in Loop: Header=BB382_5 Depth=1
	s_or_b64 exec, exec, s[12:13]
	global_load_dword v6, v[6:7], off offset:12
	v_mov_b32_e32 v7, 0
	s_mov_b32 s9, 0
	s_mov_b64 s[12:13], 0
	s_waitcnt vmcnt(0)
	v_add_u32_e32 v12, v11, v6
	s_branch .LBB382_19
.LBB382_18:                             ;   in Loop: Header=BB382_19 Depth=2
	s_or_b64 exec, exec, s[14:15]
	s_add_i32 s16, s9, 1
	s_cmp_gt_u32 s9, 6
	s_cselect_b64 s[2:3], -1, 0
	s_xor_b64 s[14:15], vcc, -1
	s_or_b64 s[2:3], s[14:15], s[2:3]
	s_and_b64 s[2:3], exec, s[2:3]
	v_add_u32_e32 v7, 4, v7
	s_or_b64 s[12:13], s[2:3], s[12:13]
	s_mov_b32 s9, s16
	s_andn2_b64 exec, exec, s[12:13]
	s_cbranch_execz .LBB382_4
.LBB382_19:                             ;   Parent Loop BB382_5 Depth=1
                                        ; =>  This Inner Loop Header: Depth=2
	v_cmp_ne_u32_e32 vcc, s9, v12
	v_cmp_eq_u32_e64 s[2:3], s9, v12
	s_and_saveexec_b64 s[14:15], s[2:3]
	s_cbranch_execz .LBB382_18
; %bb.20:                               ;   in Loop: Header=BB382_19 Depth=2
	scratch_load_dword v13, v7, off
	s_waitcnt vmcnt(0)
	v_add_f32_e32 v5, v5, v13
	global_store_dword v[8:9], v6, off offset:12
	s_branch .LBB382_18
.LBB382_21:
	s_and_b32 s14, s33, 3
	s_cmp_eq_u32 s14, 0
	s_mov_b32 s9, 0
	s_cbranch_scc1 .LBB382_28
; %bb.22:
	v_lshlrev_b32_e32 v1, 3, v4
	v_sub_u32_e32 v1, 0, v1
	s_mov_b32 s15, s9
	s_branch .LBB382_24
.LBB382_23:                             ;   in Loop: Header=BB382_24 Depth=1
	s_or_b64 exec, exec, s[10:11]
	s_add_i32 s8, s8, 1
	s_add_i32 s15, s15, 1
	s_cmp_lg_u32 s15, s14
	s_cbranch_scc0 .LBB382_28
.LBB382_24:                             ; =>This Loop Header: Depth=1
                                        ;     Child Loop BB382_26 Depth 2
	v_lshl_add_u64 v[6:7], s[8:9], 2, v[2:3]
	global_load_dword v4, v[6:7], off
	v_add_u32_e32 v6, s8, v0
	v_ashrrev_i32_e32 v7, 31, v6
	v_mov_b32_e32 v8, 0
	s_mov_b32 s16, 0
	s_waitcnt lgkmcnt(0)
	v_lshl_add_u64 v[6:7], v[6:7], 2, s[6:7]
	s_mov_b64 s[10:11], 0
	s_waitcnt vmcnt(0)
	v_add_u32_e32 v9, v1, v4
	s_branch .LBB382_26
.LBB382_25:                             ;   in Loop: Header=BB382_26 Depth=2
	s_or_b64 exec, exec, s[12:13]
	s_add_i32 s17, s16, 1
	s_cmp_gt_u32 s16, 6
	s_cselect_b64 s[2:3], -1, 0
	s_xor_b64 s[12:13], vcc, -1
	s_or_b64 s[2:3], s[12:13], s[2:3]
	s_and_b64 s[2:3], exec, s[2:3]
	v_add_u32_e32 v8, 4, v8
	s_or_b64 s[10:11], s[2:3], s[10:11]
	s_mov_b32 s16, s17
	s_andn2_b64 exec, exec, s[10:11]
	s_cbranch_execz .LBB382_23
.LBB382_26:                             ;   Parent Loop BB382_24 Depth=1
                                        ; =>  This Inner Loop Header: Depth=2
	v_cmp_ne_u32_e32 vcc, s16, v9
	v_cmp_eq_u32_e64 s[2:3], s16, v9
	s_and_saveexec_b64 s[12:13], s[2:3]
	s_cbranch_execz .LBB382_25
; %bb.27:                               ;   in Loop: Header=BB382_26 Depth=2
	scratch_load_dword v11, v8, off
	s_waitcnt vmcnt(0)
	v_add_f32_e32 v5, v5, v11
	global_store_dword v[6:7], v4, off
	s_branch .LBB382_25
.LBB382_28:
	s_waitcnt lgkmcnt(0)
	s_load_dword s6, s[0:1], 0x3c
	s_waitcnt lgkmcnt(0)
	s_bitcmp1_b32 s6, 0
	s_cselect_b64 s[2:3], -1, 0
	s_bitcmp0_b32 s6, 0
	s_cbranch_scc0 .LBB382_32
; %bb.29:
	s_load_dwordx2 s[6:7], s[0:1], 0x40
	s_andn2_b64 vcc, exec, s[2:3]
	s_waitcnt lgkmcnt(0)
	v_cvt_f32_f64_e32 v8, s[6:7]
	s_cbranch_vccz .LBB382_33
.LBB382_30:
	s_andn2_b64 vcc, exec, s[4:5]
	s_cbranch_vccz .LBB382_34
.LBB382_31:
	s_endpgm
.LBB382_32:
	v_mbcnt_lo_u32_b32 v1, -1, 0
	v_mbcnt_hi_u32_b32 v1, -1, v1
	v_and_b32_e32 v4, 0x7c, v1
	v_add_u32_e32 v4, 4, v4
	v_xor_b32_e32 v6, 2, v1
	v_cmp_lt_i32_e32 vcc, v6, v4
	v_xor_b32_e32 v7, 1, v1
	s_nop 0
	v_cndmask_b32_e32 v6, v1, v6, vcc
	v_lshlrev_b32_e32 v6, 2, v6
	ds_bpermute_b32 v6, v6, v5
	v_cmp_lt_i32_e32 vcc, v7, v4
	s_waitcnt lgkmcnt(0)
	v_add_f32_e32 v5, v5, v6
	v_cndmask_b32_e32 v1, v1, v7, vcc
	v_lshlrev_b32_e32 v1, 2, v1
	ds_bpermute_b32 v1, v1, v5
	s_waitcnt lgkmcnt(0)
	v_add_f32_e32 v5, v5, v1
	s_load_dwordx2 s[6:7], s[0:1], 0x40
	s_andn2_b64 vcc, exec, s[2:3]
	s_waitcnt lgkmcnt(0)
	v_cvt_f32_f64_e32 v8, s[6:7]
	s_cbranch_vccnz .LBB382_30
.LBB382_33:
	v_cmp_lt_f32_e32 vcc, 0, v5
	s_nop 1
	v_cndmask_b32_e32 v1, 1.0, v5, vcc
	v_div_scale_f32 v4, s[2:3], v1, v1, v8
	v_rcp_f32_e32 v5, v4
	s_nop 0
	v_fma_f32 v6, -v4, v5, 1.0
	v_fmac_f32_e32 v5, v6, v5
	v_div_scale_f32 v6, vcc, v8, v1, v8
	v_mul_f32_e32 v7, v6, v5
	v_fma_f32 v9, -v4, v7, v6
	v_fmac_f32_e32 v7, v9, v5
	v_fma_f32 v4, -v4, v7, v6
	v_div_fmas_f32 v4, v4, v5, v7
	v_div_fixup_f32 v8, v4, v1, v8
	s_andn2_b64 vcc, exec, s[4:5]
	s_cbranch_vccnz .LBB382_31
.LBB382_34:
	s_load_dwordx2 s[12:13], s[0:1], 0x10
	v_mov_b32_e32 v1, 0
	v_or_b32_e32 v20, 4, v1
	v_or_b32_e32 v18, 8, v1
	v_or_b32_e32 v16, 12, v1
	v_add_u32_e32 v14, 16, v1
	v_add_u32_e32 v12, 20, v1
	;; [unrolled: 1-line block ×4, first 2 shown]
	v_or_b32_e32 v23, 1, v10
	v_or_b32_e32 v22, 2, v10
	;; [unrolled: 1-line block ×7, first 2 shown]
	s_cmp_eq_u32 s33, 1
	s_mov_b32 s14, 0
	s_cbranch_scc1 .LBB382_69
; %bb.35:
	v_ashrrev_i32_e32 v1, 31, v0
	s_waitcnt lgkmcnt(0)
	v_lshl_add_u64 v[4:5], v[0:1], 2, s[12:13]
	s_and_b32 s14, s33, 0x7ffffffe
	v_lshl_add_u64 v[4:5], v[4:5], 0, 4
	v_lshl_add_u64 v[6:7], v[2:3], 0, 4
	s_mov_b32 s15, 0
	s_branch .LBB382_37
.LBB382_36:                             ;   in Loop: Header=BB382_37 Depth=1
	s_or_b64 exec, exec, s[0:1]
	s_add_i32 s15, s15, 2
	v_lshl_add_u64 v[4:5], v[4:5], 0, 8
	s_cmp_eq_u32 s14, s15
	v_lshl_add_u64 v[6:7], v[6:7], 0, 8
	s_cbranch_scc1 .LBB382_69
.LBB382_37:                             ; =>This Inner Loop Header: Depth=1
	global_load_dword v24, v[6:7], off offset:-4
	v_mov_b32_e32 v1, 0
	s_waitcnt vmcnt(0)
	v_cmp_eq_u32_e32 vcc, v24, v10
	v_cmp_ne_u32_e64 s[0:1], v24, v10
	s_and_saveexec_b64 s[16:17], s[0:1]
	s_cbranch_execz .LBB382_51
; %bb.38:                               ;   in Loop: Header=BB382_37 Depth=1
	v_cmp_eq_u32_e64 s[0:1], v24, v23
	v_cmp_ne_u32_e64 s[2:3], v24, v23
	v_mov_b32_e32 v1, v20
	s_and_saveexec_b64 s[18:19], s[2:3]
	s_cbranch_execz .LBB382_50
; %bb.39:                               ;   in Loop: Header=BB382_37 Depth=1
	v_cmp_eq_u32_e64 s[2:3], v24, v22
	v_cmp_ne_u32_e64 s[4:5], v24, v22
	v_mov_b32_e32 v1, v18
	;; [unrolled: 6-line block ×6, first 2 shown]
	s_and_saveexec_b64 s[30:31], s[10:11]
	s_xor_b64 s[30:31], exec, s[30:31]
; %bb.44:                               ;   in Loop: Header=BB382_37 Depth=1
	v_cmp_eq_u32_e64 s[10:11], v24, v13
	s_andn2_b64 s[28:29], s[28:29], exec
	s_and_b64 s[10:11], s[10:11], exec
	s_or_b64 s[28:29], s[28:29], s[10:11]
	v_mov_b32_e32 v1, v11
; %bb.45:                               ;   in Loop: Header=BB382_37 Depth=1
	s_or_b64 exec, exec, s[30:31]
	s_andn2_b64 s[8:9], s[8:9], exec
	s_and_b64 s[10:11], s[28:29], exec
	s_or_b64 s[8:9], s[8:9], s[10:11]
.LBB382_46:                             ;   in Loop: Header=BB382_37 Depth=1
	s_or_b64 exec, exec, s[26:27]
	s_andn2_b64 s[6:7], s[6:7], exec
	s_and_b64 s[8:9], s[8:9], exec
	s_or_b64 s[6:7], s[6:7], s[8:9]
.LBB382_47:                             ;   in Loop: Header=BB382_37 Depth=1
	s_or_b64 exec, exec, s[24:25]
	s_andn2_b64 s[4:5], s[4:5], exec
	s_and_b64 s[6:7], s[6:7], exec
	s_or_b64 s[4:5], s[4:5], s[6:7]
.LBB382_48:                             ;   in Loop: Header=BB382_37 Depth=1
	s_or_b64 exec, exec, s[22:23]
	s_andn2_b64 s[2:3], s[2:3], exec
	s_and_b64 s[4:5], s[4:5], exec
	s_or_b64 s[2:3], s[2:3], s[4:5]
.LBB382_49:                             ;   in Loop: Header=BB382_37 Depth=1
	s_or_b64 exec, exec, s[20:21]
	s_andn2_b64 s[0:1], s[0:1], exec
	s_and_b64 s[2:3], s[2:3], exec
	s_or_b64 s[0:1], s[0:1], s[2:3]
.LBB382_50:                             ;   in Loop: Header=BB382_37 Depth=1
	s_or_b64 exec, exec, s[18:19]
	s_andn2_b64 s[2:3], vcc, exec
	s_and_b64 s[0:1], s[0:1], exec
	s_or_b64 vcc, s[2:3], s[0:1]
.LBB382_51:                             ;   in Loop: Header=BB382_37 Depth=1
	s_or_b64 exec, exec, s[16:17]
	s_and_saveexec_b64 s[0:1], vcc
	s_cbranch_execz .LBB382_53
; %bb.52:                               ;   in Loop: Header=BB382_37 Depth=1
	scratch_load_dword v1, v1, off
	v_add_u32_e32 v24, s15, v0
	v_ashrrev_i32_e32 v25, 31, v24
	v_lshl_add_u64 v[24:25], v[24:25], 2, s[12:13]
	s_waitcnt vmcnt(0)
	v_mul_f32_e32 v1, v8, v1
	global_store_dword v[24:25], v1, off
.LBB382_53:                             ;   in Loop: Header=BB382_37 Depth=1
	s_or_b64 exec, exec, s[0:1]
	global_load_dword v24, v[6:7], off
	v_mov_b32_e32 v1, 0
	s_waitcnt vmcnt(0)
	v_cmp_eq_u32_e64 s[8:9], v24, v10
	v_cmp_ne_u32_e32 vcc, v24, v10
	s_and_saveexec_b64 s[10:11], vcc
	s_cbranch_execz .LBB382_67
; %bb.54:                               ;   in Loop: Header=BB382_37 Depth=1
	v_cmp_eq_u32_e32 vcc, v24, v23
	v_cmp_ne_u32_e64 s[0:1], v24, v23
	v_mov_b32_e32 v1, v20
	s_and_saveexec_b64 s[16:17], s[0:1]
	s_cbranch_execz .LBB382_66
; %bb.55:                               ;   in Loop: Header=BB382_37 Depth=1
	v_cmp_eq_u32_e64 s[0:1], v24, v22
	v_cmp_ne_u32_e64 s[2:3], v24, v22
	v_mov_b32_e32 v1, v18
	s_and_saveexec_b64 s[18:19], s[2:3]
	s_cbranch_execz .LBB382_65
; %bb.56:                               ;   in Loop: Header=BB382_37 Depth=1
	v_cmp_eq_u32_e64 s[2:3], v24, v21
	;; [unrolled: 6-line block ×5, first 2 shown]
	v_cmp_ne_u32_e64 s[6:7], v24, v15
	v_mov_b32_e32 v1, v9
	s_and_saveexec_b64 s[30:31], s[6:7]
; %bb.60:                               ;   in Loop: Header=BB382_37 Depth=1
	v_cmp_eq_u32_e64 s[6:7], v24, v13
	s_andn2_b64 s[28:29], s[28:29], exec
	s_and_b64 s[6:7], s[6:7], exec
	s_or_b64 s[28:29], s[28:29], s[6:7]
	v_mov_b32_e32 v1, v11
; %bb.61:                               ;   in Loop: Header=BB382_37 Depth=1
	s_or_b64 exec, exec, s[30:31]
	s_andn2_b64 s[6:7], s[24:25], exec
	s_and_b64 s[24:25], s[28:29], exec
	s_or_b64 s[24:25], s[6:7], s[24:25]
.LBB382_62:                             ;   in Loop: Header=BB382_37 Depth=1
	s_or_b64 exec, exec, s[26:27]
	s_andn2_b64 s[4:5], s[4:5], exec
	s_and_b64 s[6:7], s[24:25], exec
	s_or_b64 s[4:5], s[4:5], s[6:7]
.LBB382_63:                             ;   in Loop: Header=BB382_37 Depth=1
	s_or_b64 exec, exec, s[22:23]
	s_andn2_b64 s[2:3], s[2:3], exec
	s_and_b64 s[4:5], s[4:5], exec
	s_or_b64 s[2:3], s[2:3], s[4:5]
.LBB382_64:                             ;   in Loop: Header=BB382_37 Depth=1
	s_or_b64 exec, exec, s[20:21]
	s_andn2_b64 s[0:1], s[0:1], exec
	s_and_b64 s[2:3], s[2:3], exec
	s_or_b64 s[0:1], s[0:1], s[2:3]
.LBB382_65:                             ;   in Loop: Header=BB382_37 Depth=1
	s_or_b64 exec, exec, s[18:19]
	s_andn2_b64 s[2:3], vcc, exec
	s_and_b64 s[0:1], s[0:1], exec
	s_or_b64 vcc, s[2:3], s[0:1]
.LBB382_66:                             ;   in Loop: Header=BB382_37 Depth=1
	s_or_b64 exec, exec, s[16:17]
	s_andn2_b64 s[0:1], s[8:9], exec
	s_and_b64 s[2:3], vcc, exec
	s_or_b64 s[8:9], s[0:1], s[2:3]
.LBB382_67:                             ;   in Loop: Header=BB382_37 Depth=1
	s_or_b64 exec, exec, s[10:11]
	s_and_saveexec_b64 s[0:1], s[8:9]
	s_cbranch_execz .LBB382_36
; %bb.68:                               ;   in Loop: Header=BB382_37 Depth=1
	scratch_load_dword v1, v1, off
	s_waitcnt vmcnt(0)
	v_mul_f32_e32 v1, v8, v1
	global_store_dword v[4:5], v1, off
	s_branch .LBB382_36
.LBB382_69:
	s_bitcmp0_b32 s33, 0
	s_mov_b32 s15, 0
	s_cbranch_scc1 .LBB382_31
; %bb.70:
	v_lshl_add_u64 v[2:3], s[14:15], 2, v[2:3]
	global_load_dword v1, v[2:3], off
	v_mov_b32_e32 v2, 0
	s_waitcnt vmcnt(0)
	v_cmp_eq_u32_e64 s[8:9], v1, v10
	v_cmp_ne_u32_e32 vcc, v1, v10
	s_and_saveexec_b64 s[10:11], vcc
	s_cbranch_execz .LBB382_84
; %bb.71:
	v_cmp_eq_u32_e32 vcc, v1, v23
	v_cmp_ne_u32_e64 s[0:1], v1, v23
	s_and_saveexec_b64 s[16:17], s[0:1]
	s_cbranch_execz .LBB382_83
; %bb.72:
	v_cmp_eq_u32_e64 s[0:1], v1, v22
	v_cmp_ne_u32_e64 s[2:3], v1, v22
	s_and_saveexec_b64 s[18:19], s[2:3]
	s_cbranch_execz .LBB382_82
; %bb.73:
	v_cmp_eq_u32_e64 s[2:3], v1, v21
	;; [unrolled: 5-line block ×5, first 2 shown]
	v_cmp_ne_u32_e64 s[6:7], v1, v15
	s_and_saveexec_b64 s[30:31], s[6:7]
; %bb.77:
	v_cmp_eq_u32_e64 s[6:7], v1, v13
	s_andn2_b64 s[28:29], s[28:29], exec
	s_and_b64 s[6:7], s[6:7], exec
	s_or_b64 s[28:29], s[28:29], s[6:7]
	v_mov_b32_e32 v9, v11
; %bb.78:
	s_or_b64 exec, exec, s[30:31]
	s_andn2_b64 s[6:7], s[24:25], exec
	s_and_b64 s[24:25], s[28:29], exec
	s_or_b64 s[24:25], s[6:7], s[24:25]
	v_mov_b32_e32 v12, v9
.LBB382_79:
	s_or_b64 exec, exec, s[26:27]
	s_andn2_b64 s[4:5], s[4:5], exec
	s_and_b64 s[6:7], s[24:25], exec
	s_or_b64 s[4:5], s[4:5], s[6:7]
	v_mov_b32_e32 v14, v12
.LBB382_80:
	s_or_b64 exec, exec, s[22:23]
	s_andn2_b64 s[2:3], s[2:3], exec
	s_and_b64 s[4:5], s[4:5], exec
	s_or_b64 s[2:3], s[2:3], s[4:5]
	v_mov_b32_e32 v16, v14
.LBB382_81:
	s_or_b64 exec, exec, s[20:21]
	s_andn2_b64 s[0:1], s[0:1], exec
	s_and_b64 s[2:3], s[2:3], exec
	s_or_b64 s[0:1], s[0:1], s[2:3]
	v_mov_b32_e32 v18, v16
.LBB382_82:
	s_or_b64 exec, exec, s[18:19]
	s_andn2_b64 s[2:3], vcc, exec
	s_and_b64 s[0:1], s[0:1], exec
	s_or_b64 vcc, s[2:3], s[0:1]
	v_mov_b32_e32 v20, v18
.LBB382_83:
	s_or_b64 exec, exec, s[16:17]
	s_andn2_b64 s[0:1], s[8:9], exec
	s_and_b64 s[2:3], vcc, exec
	s_or_b64 s[8:9], s[0:1], s[2:3]
	v_mov_b32_e32 v2, v20
.LBB382_84:
	s_or_b64 exec, exec, s[10:11]
	s_and_b64 exec, exec, s[8:9]
	s_cbranch_execz .LBB382_31
; %bb.85:
	scratch_load_dword v2, v2, off
	v_add_u32_e32 v0, s14, v0
	v_ashrrev_i32_e32 v1, 31, v0
	s_waitcnt lgkmcnt(0)
	v_lshl_add_u64 v[0:1], v[0:1], 2, s[12:13]
	s_waitcnt vmcnt(0)
	v_mul_f32_e32 v2, v8, v2
	global_store_dword v[0:1], v2, off
	s_endpgm
	.section	.rodata,"a",@progbits
	.p2align	6, 0x0
	.amdhsa_kernel _ZN4vllm3moe22topkGatingSoftplusSqrtILi8ELi32ELi4ELi16ELi32ELb1Ei14__hip_bfloat16EEvPKT6_PKbPfiPT5_PiiiibdPKfPKS9_SF_
		.amdhsa_group_segment_fixed_size 0
		.amdhsa_private_segment_fixed_size 48
		.amdhsa_kernarg_size 96
		.amdhsa_user_sgpr_count 2
		.amdhsa_user_sgpr_dispatch_ptr 0
		.amdhsa_user_sgpr_queue_ptr 0
		.amdhsa_user_sgpr_kernarg_segment_ptr 1
		.amdhsa_user_sgpr_dispatch_id 0
		.amdhsa_user_sgpr_kernarg_preload_length 0
		.amdhsa_user_sgpr_kernarg_preload_offset 0
		.amdhsa_user_sgpr_private_segment_size 0
		.amdhsa_uses_dynamic_stack 0
		.amdhsa_enable_private_segment 1
		.amdhsa_system_sgpr_workgroup_id_x 1
		.amdhsa_system_sgpr_workgroup_id_y 0
		.amdhsa_system_sgpr_workgroup_id_z 0
		.amdhsa_system_sgpr_workgroup_info 0
		.amdhsa_system_vgpr_workitem_id 1
		.amdhsa_next_free_vgpr 28
		.amdhsa_next_free_sgpr 34
		.amdhsa_accum_offset 28
		.amdhsa_reserve_vcc 1
		.amdhsa_float_round_mode_32 0
		.amdhsa_float_round_mode_16_64 0
		.amdhsa_float_denorm_mode_32 3
		.amdhsa_float_denorm_mode_16_64 3
		.amdhsa_dx10_clamp 1
		.amdhsa_ieee_mode 1
		.amdhsa_fp16_overflow 0
		.amdhsa_tg_split 0
		.amdhsa_exception_fp_ieee_invalid_op 0
		.amdhsa_exception_fp_denorm_src 0
		.amdhsa_exception_fp_ieee_div_zero 0
		.amdhsa_exception_fp_ieee_overflow 0
		.amdhsa_exception_fp_ieee_underflow 0
		.amdhsa_exception_fp_ieee_inexact 0
		.amdhsa_exception_int_div_zero 0
	.end_amdhsa_kernel
	.section	.text._ZN4vllm3moe22topkGatingSoftplusSqrtILi8ELi32ELi4ELi16ELi32ELb1Ei14__hip_bfloat16EEvPKT6_PKbPfiPT5_PiiiibdPKfPKS9_SF_,"axG",@progbits,_ZN4vllm3moe22topkGatingSoftplusSqrtILi8ELi32ELi4ELi16ELi32ELb1Ei14__hip_bfloat16EEvPKT6_PKbPfiPT5_PiiiibdPKfPKS9_SF_,comdat
.Lfunc_end382:
	.size	_ZN4vllm3moe22topkGatingSoftplusSqrtILi8ELi32ELi4ELi16ELi32ELb1Ei14__hip_bfloat16EEvPKT6_PKbPfiPT5_PiiiibdPKfPKS9_SF_, .Lfunc_end382-_ZN4vllm3moe22topkGatingSoftplusSqrtILi8ELi32ELi4ELi16ELi32ELb1Ei14__hip_bfloat16EEvPKT6_PKbPfiPT5_PiiiibdPKfPKS9_SF_
                                        ; -- End function
	.section	.AMDGPU.csdata,"",@progbits
; Kernel info:
; codeLenInByte = 4464
; NumSgprs: 40
; NumVgprs: 28
; NumAgprs: 0
; TotalNumVgprs: 28
; ScratchSize: 48
; MemoryBound: 0
; FloatMode: 240
; IeeeMode: 1
; LDSByteSize: 0 bytes/workgroup (compile time only)
; SGPRBlocks: 4
; VGPRBlocks: 3
; NumSGPRsForWavesPerEU: 40
; NumVGPRsForWavesPerEU: 28
; AccumOffset: 28
; Occupancy: 8
; WaveLimiterHint : 1
; COMPUTE_PGM_RSRC2:SCRATCH_EN: 1
; COMPUTE_PGM_RSRC2:USER_SGPR: 2
; COMPUTE_PGM_RSRC2:TRAP_HANDLER: 0
; COMPUTE_PGM_RSRC2:TGID_X_EN: 1
; COMPUTE_PGM_RSRC2:TGID_Y_EN: 0
; COMPUTE_PGM_RSRC2:TGID_Z_EN: 0
; COMPUTE_PGM_RSRC2:TIDIG_COMP_CNT: 1
; COMPUTE_PGM_RSRC3_GFX90A:ACCUM_OFFSET: 6
; COMPUTE_PGM_RSRC3_GFX90A:TG_SPLIT: 0
	.section	.text._ZN4vllm3moe22topkGatingSoftplusSqrtILi8ELi32ELi4ELi16ELi32ELb0Ei14__hip_bfloat16EEvPKT6_PKbPfiPT5_PiiiibdPKfPKS9_SF_,"axG",@progbits,_ZN4vllm3moe22topkGatingSoftplusSqrtILi8ELi32ELi4ELi16ELi32ELb0Ei14__hip_bfloat16EEvPKT6_PKbPfiPT5_PiiiibdPKfPKS9_SF_,comdat
	.protected	_ZN4vllm3moe22topkGatingSoftplusSqrtILi8ELi32ELi4ELi16ELi32ELb0Ei14__hip_bfloat16EEvPKT6_PKbPfiPT5_PiiiibdPKfPKS9_SF_ ; -- Begin function _ZN4vllm3moe22topkGatingSoftplusSqrtILi8ELi32ELi4ELi16ELi32ELb0Ei14__hip_bfloat16EEvPKT6_PKbPfiPT5_PiiiibdPKfPKS9_SF_
	.globl	_ZN4vllm3moe22topkGatingSoftplusSqrtILi8ELi32ELi4ELi16ELi32ELb0Ei14__hip_bfloat16EEvPKT6_PKbPfiPT5_PiiiibdPKfPKS9_SF_
	.p2align	8
	.type	_ZN4vllm3moe22topkGatingSoftplusSqrtILi8ELi32ELi4ELi16ELi32ELb0Ei14__hip_bfloat16EEvPKT6_PKbPfiPT5_PiiiibdPKfPKS9_SF_,@function
_ZN4vllm3moe22topkGatingSoftplusSqrtILi8ELi32ELi4ELi16ELi32ELb0Ei14__hip_bfloat16EEvPKT6_PKbPfiPT5_PiiiibdPKfPKS9_SF_: ; @_ZN4vllm3moe22topkGatingSoftplusSqrtILi8ELi32ELi4ELi16ELi32ELb0Ei14__hip_bfloat16EEvPKT6_PKbPfiPT5_PiiiibdPKfPKS9_SF_
; %bb.0:
	s_load_dword s33, s[0:1], 0x18
	v_bfe_u32 v1, v0, 10, 10
	v_and_b32_e32 v0, 0x3ff, v0
	s_lshl_b32 s2, s2, 5
	v_lshlrev_b32_e32 v1, 3, v1
	v_lshrrev_b32_e32 v2, 2, v0
	v_add3_u32 v8, s2, v1, v2
	s_waitcnt lgkmcnt(0)
	v_cmp_gt_i32_e32 vcc, s33, v8
	s_and_saveexec_b64 s[2:3], vcc
	s_cbranch_execz .LBB383_53
; %bb.1:
	s_load_dwordx4 s[4:7], s[0:1], 0x0
	s_load_dwordx2 s[34:35], s[0:1], 0x10
	s_waitcnt lgkmcnt(0)
	s_cmp_eq_u64 s[6:7], 0
	s_cbranch_scc1 .LBB383_3
; %bb.2:
	v_ashrrev_i32_e32 v9, 31, v8
	v_lshl_add_u64 v[2:3], s[6:7], 0, v[8:9]
	global_load_ubyte v1, v[2:3], off
	s_waitcnt vmcnt(0)
	v_and_b32_e32 v1, 1, v1
	v_cmp_eq_u32_e32 vcc, 1, v1
	s_xor_b64 s[2:3], vcc, -1
	s_orn2_b64 s[36:37], s[2:3], exec
	s_branch .LBB383_4
.LBB383_3:
	s_mov_b64 s[36:37], -1
.LBB383_4:
	v_lshlrev_b32_e32 v4, 5, v8
	v_mov_b32_e32 v2, s4
	v_mov_b32_e32 v3, s5
	v_ashrrev_i32_e32 v5, 31, v4
	v_and_b32_e32 v9, 3, v0
	v_lshl_add_u64 v[2:3], v[4:5], 1, v[2:3]
	v_mov_b32_e32 v1, 0
	v_lshlrev_b32_e32 v0, 4, v9
	v_lshl_add_u64 v[0:1], v[2:3], 0, v[0:1]
	global_load_dwordx4 v[4:7], v[0:1], off
	s_mov_b32 s12, 0x800000
	v_mov_b32_e32 v2, 0x4f800000
	s_mov_b32 s9, 0x3f317217
	s_mov_b32 s10, 0x7f800000
	v_mov_b32_e32 v3, 0x41b17218
	s_mov_b32 s8, 0x41a00000
	s_mov_b32 s11, 0xf800000
	s_load_dwordx4 s[20:23], s[0:1], 0x40
	v_lshlrev_b32_e32 v12, 3, v9
	s_waitcnt lgkmcnt(0)
	s_cmp_lg_u64 s[22:23], 0
	s_cselect_b64 s[6:7], -1, 0
	s_and_b64 s[2:3], exec, s[6:7]
	s_waitcnt vmcnt(0)
	v_lshlrev_b32_e32 v0, 16, v4
	v_mul_f32_e32 v1, 0x3fb8aa3b, v0
	v_exp_f32_e32 v10, v1
	v_mov_b32_e32 v1, 0x260
	v_add_f32_e32 v10, 1.0, v10
	v_cmp_gt_f32_e32 vcc, s12, v10
	s_nop 1
	v_cndmask_b32_e32 v11, 1.0, v2, vcc
	v_mul_f32_e32 v10, v10, v11
	v_log_f32_e32 v11, v10
	v_cndmask_b32_e32 v13, 0, v3, vcc
	v_lshlrev_b32_e32 v10, 2, v12
	v_mul_f32_e32 v14, 0x3f317217, v11
	v_fma_f32 v14, v11, s9, -v14
	v_fmac_f32_e32 v14, 0x3377d1cf, v11
	v_fmac_f32_e32 v14, 0x3f317217, v11
	v_cmp_lt_f32_e64 vcc, |v11|, s10
	s_nop 1
	v_cndmask_b32_e32 v11, v11, v14, vcc
	v_sub_f32_e32 v11, v11, v13
	v_cmp_lt_f32_e32 vcc, s8, v0
	s_nop 1
	v_cndmask_b32_e32 v0, v11, v0, vcc
	v_mul_f32_e32 v11, 0x4f800000, v0
	v_cmp_gt_f32_e32 vcc, s11, v0
	s_nop 1
	v_cndmask_b32_e32 v0, v0, v11, vcc
	v_sqrt_f32_e32 v11, v0
	s_nop 0
	v_add_u32_e32 v13, -1, v11
	v_add_u32_e32 v14, 1, v11
	v_fma_f32 v15, -v13, v11, v0
	v_fma_f32 v16, -v14, v11, v0
	v_cmp_ge_f32_e64 s[4:5], 0, v15
	s_nop 1
	v_cndmask_b32_e64 v11, v11, v13, s[4:5]
	v_cmp_lt_f32_e64 s[4:5], 0, v16
	s_nop 1
	v_cndmask_b32_e64 v11, v11, v14, s[4:5]
	v_mul_f32_e32 v13, 0x37800000, v11
	v_cndmask_b32_e32 v11, v11, v13, vcc
	v_cmp_class_f32_e32 vcc, v0, v1
	s_nop 1
	v_cndmask_b32_e32 v0, v11, v0, vcc
	s_mov_b64 vcc, s[2:3]
	s_cbranch_vccz .LBB383_6
; %bb.5:
	global_load_dword v11, v10, s[22:23]
	s_waitcnt vmcnt(0)
	v_add_f32_e32 v0, v0, v11
.LBB383_6:
	v_and_b32_e32 v4, 0xffff0000, v4
	v_mul_f32_e32 v11, 0x3fb8aa3b, v4
	v_exp_f32_e32 v11, v11
	s_nop 0
	v_add_f32_e32 v11, 1.0, v11
	v_cmp_gt_f32_e32 vcc, s12, v11
	s_nop 1
	v_cndmask_b32_e32 v2, 1.0, v2, vcc
	v_mul_f32_e32 v2, v11, v2
	v_log_f32_e32 v2, v2
	v_cndmask_b32_e32 v3, 0, v3, vcc
	v_mul_f32_e32 v11, 0x3f317217, v2
	v_fma_f32 v11, v2, s9, -v11
	v_fmac_f32_e32 v11, 0x3377d1cf, v2
	v_fmac_f32_e32 v11, 0x3f317217, v2
	v_cmp_lt_f32_e64 vcc, |v2|, s10
	s_nop 1
	v_cndmask_b32_e32 v2, v2, v11, vcc
	v_sub_f32_e32 v2, v2, v3
	v_cmp_lt_f32_e32 vcc, s8, v4
	s_nop 1
	v_cndmask_b32_e32 v2, v2, v4, vcc
	v_mul_f32_e32 v3, 0x4f800000, v2
	v_cmp_gt_f32_e32 vcc, s11, v2
	s_nop 1
	v_cndmask_b32_e32 v2, v2, v3, vcc
	v_sqrt_f32_e32 v3, v2
	v_cmp_class_f32_e64 s[4:5], v2, v1
	v_add_u32_e32 v4, -1, v3
	v_add_u32_e32 v11, 1, v3
	v_fma_f32 v13, -v4, v3, v2
	v_fma_f32 v14, -v11, v3, v2
	v_cmp_ge_f32_e64 s[2:3], 0, v13
	s_nop 1
	v_cndmask_b32_e64 v3, v3, v4, s[2:3]
	v_cmp_lt_f32_e64 s[2:3], 0, v14
	s_nop 1
	v_cndmask_b32_e64 v3, v3, v11, s[2:3]
	v_mul_f32_e32 v4, 0x37800000, v3
	v_cndmask_b32_e32 v3, v3, v4, vcc
	v_cndmask_b32_e64 v4, 0, 1, s[6:7]
	v_cmp_ne_u32_e64 s[2:3], 1, v4
	s_andn2_b64 vcc, exec, s[6:7]
	v_cndmask_b32_e64 v1, v3, v2, s[4:5]
	s_cbranch_vccnz .LBB383_8
; %bb.7:
	global_load_dword v2, v10, s[22:23] offset:4
	s_waitcnt vmcnt(0)
	v_add_f32_e32 v1, v1, v2
.LBB383_8:
	v_lshlrev_b32_e32 v2, 16, v5
	v_mul_f32_e32 v3, 0x3fb8aa3b, v2
	v_exp_f32_e32 v3, v3
	s_mov_b32 s10, 0x800000
	v_mov_b32_e32 v4, 0x4f800000
	s_mov_b32 s7, 0x3f317217
	v_add_f32_e32 v3, 1.0, v3
	v_cmp_gt_f32_e32 vcc, s10, v3
	s_mov_b32 s8, 0x7f800000
	s_mov_b32 s6, 0x41a00000
	v_cndmask_b32_e32 v11, 1.0, v4, vcc
	v_mul_f32_e32 v3, v3, v11
	v_log_f32_e32 v3, v3
	s_mov_b32 s9, 0xf800000
	v_mul_f32_e32 v11, 0x3f317217, v3
	v_fma_f32 v11, v3, s7, -v11
	v_fmac_f32_e32 v11, 0x3377d1cf, v3
	v_fmac_f32_e32 v11, 0x3f317217, v3
	v_cmp_lt_f32_e64 s[4:5], |v3|, s8
	s_nop 1
	v_cndmask_b32_e64 v3, v3, v11, s[4:5]
	v_mov_b32_e32 v11, 0x41b17218
	v_cndmask_b32_e32 v13, 0, v11, vcc
	v_sub_f32_e32 v3, v3, v13
	v_cmp_lt_f32_e32 vcc, s6, v2
	s_nop 1
	v_cndmask_b32_e32 v2, v3, v2, vcc
	v_mul_f32_e32 v3, 0x4f800000, v2
	v_cmp_gt_f32_e32 vcc, s9, v2
	s_nop 1
	v_cndmask_b32_e32 v2, v2, v3, vcc
	v_sqrt_f32_e32 v3, v2
	s_nop 0
	v_add_u32_e32 v13, -1, v3
	v_fma_f32 v14, -v13, v3, v2
	v_cmp_ge_f32_e64 s[4:5], 0, v14
	v_add_u32_e32 v14, 1, v3
	s_nop 0
	v_cndmask_b32_e64 v13, v3, v13, s[4:5]
	v_fma_f32 v3, -v14, v3, v2
	v_cmp_lt_f32_e64 s[4:5], 0, v3
	s_nop 1
	v_cndmask_b32_e64 v3, v13, v14, s[4:5]
	v_mul_f32_e32 v13, 0x37800000, v3
	v_cndmask_b32_e32 v13, v3, v13, vcc
	v_mov_b32_e32 v3, 0x260
	v_cmp_class_f32_e64 s[4:5], v2, v3
	s_and_b64 vcc, exec, s[2:3]
	s_nop 0
	v_cndmask_b32_e64 v2, v13, v2, s[4:5]
	s_cbranch_vccnz .LBB383_10
; %bb.9:
	global_load_dword v13, v10, s[22:23] offset:8
	s_waitcnt vmcnt(0)
	v_add_f32_e32 v2, v2, v13
.LBB383_10:
	v_and_b32_e32 v5, 0xffff0000, v5
	v_mul_f32_e32 v13, 0x3fb8aa3b, v5
	v_exp_f32_e32 v13, v13
	s_nop 0
	v_add_f32_e32 v13, 1.0, v13
	v_cmp_gt_f32_e32 vcc, s10, v13
	s_nop 1
	v_cndmask_b32_e32 v4, 1.0, v4, vcc
	v_mul_f32_e32 v4, v13, v4
	v_log_f32_e32 v4, v4
	v_cndmask_b32_e32 v11, 0, v11, vcc
	v_mul_f32_e32 v13, 0x3f317217, v4
	v_fma_f32 v13, v4, s7, -v13
	v_fmac_f32_e32 v13, 0x3377d1cf, v4
	v_fmac_f32_e32 v13, 0x3f317217, v4
	v_cmp_lt_f32_e64 vcc, |v4|, s8
	s_nop 1
	v_cndmask_b32_e32 v4, v4, v13, vcc
	v_sub_f32_e32 v4, v4, v11
	v_cmp_lt_f32_e32 vcc, s6, v5
	s_nop 1
	v_cndmask_b32_e32 v4, v4, v5, vcc
	v_mul_f32_e32 v5, 0x4f800000, v4
	v_cmp_gt_f32_e32 vcc, s9, v4
	s_nop 1
	v_cndmask_b32_e32 v4, v4, v5, vcc
	v_sqrt_f32_e32 v5, v4
	s_nop 0
	v_add_u32_e32 v11, -1, v5
	v_add_u32_e32 v13, 1, v5
	v_fma_f32 v14, -v11, v5, v4
	v_fma_f32 v15, -v13, v5, v4
	v_cmp_ge_f32_e64 s[4:5], 0, v14
	s_nop 1
	v_cndmask_b32_e64 v5, v5, v11, s[4:5]
	v_cmp_lt_f32_e64 s[4:5], 0, v15
	s_nop 1
	v_cndmask_b32_e64 v5, v5, v13, s[4:5]
	v_mul_f32_e32 v11, 0x37800000, v5
	v_cndmask_b32_e32 v5, v5, v11, vcc
	v_cmp_class_f32_e64 s[4:5], v4, v3
	s_and_b64 vcc, exec, s[2:3]
	s_nop 0
	v_cndmask_b32_e64 v3, v5, v4, s[4:5]
	s_cbranch_vccnz .LBB383_12
; %bb.11:
	global_load_dword v4, v10, s[22:23] offset:12
	s_waitcnt vmcnt(0)
	v_add_f32_e32 v3, v3, v4
.LBB383_12:
	v_lshlrev_b32_e32 v4, 16, v6
	v_mul_f32_e32 v5, 0x3fb8aa3b, v4
	v_exp_f32_e32 v5, v5
	v_mov_b32_e32 v11, 0x4f800000
	v_add_f32_e32 v5, 1.0, v5
	v_cmp_gt_f32_e32 vcc, s10, v5
	s_nop 1
	v_cndmask_b32_e32 v13, 1.0, v11, vcc
	v_mul_f32_e32 v5, v5, v13
	v_log_f32_e32 v5, v5
	s_nop 0
	v_mul_f32_e32 v13, 0x3f317217, v5
	v_fma_f32 v13, v5, s7, -v13
	v_fmac_f32_e32 v13, 0x3377d1cf, v5
	v_fmac_f32_e32 v13, 0x3f317217, v5
	v_cmp_lt_f32_e64 s[4:5], |v5|, s8
	s_nop 1
	v_cndmask_b32_e64 v5, v5, v13, s[4:5]
	v_mov_b32_e32 v13, 0x41b17218
	v_cndmask_b32_e32 v14, 0, v13, vcc
	v_sub_f32_e32 v5, v5, v14
	v_cmp_lt_f32_e32 vcc, s6, v4
	s_nop 1
	v_cndmask_b32_e32 v4, v5, v4, vcc
	v_mul_f32_e32 v5, 0x4f800000, v4
	v_cmp_gt_f32_e32 vcc, s9, v4
	s_nop 1
	v_cndmask_b32_e32 v4, v4, v5, vcc
	v_sqrt_f32_e32 v5, v4
	s_nop 0
	v_add_u32_e32 v14, -1, v5
	v_fma_f32 v15, -v14, v5, v4
	v_cmp_ge_f32_e64 s[4:5], 0, v15
	v_add_u32_e32 v15, 1, v5
	s_nop 0
	v_cndmask_b32_e64 v14, v5, v14, s[4:5]
	v_fma_f32 v5, -v15, v5, v4
	v_cmp_lt_f32_e64 s[4:5], 0, v5
	s_nop 1
	v_cndmask_b32_e64 v5, v14, v15, s[4:5]
	v_mul_f32_e32 v14, 0x37800000, v5
	v_cndmask_b32_e32 v14, v5, v14, vcc
	v_mov_b32_e32 v5, 0x260
	v_cmp_class_f32_e64 s[4:5], v4, v5
	s_and_b64 vcc, exec, s[2:3]
	s_nop 0
	v_cndmask_b32_e64 v4, v14, v4, s[4:5]
	s_cbranch_vccnz .LBB383_14
; %bb.13:
	global_load_dword v14, v10, s[22:23] offset:16
	s_waitcnt vmcnt(0)
	v_add_f32_e32 v4, v4, v14
.LBB383_14:
	v_and_b32_e32 v6, 0xffff0000, v6
	v_mul_f32_e32 v14, 0x3fb8aa3b, v6
	v_exp_f32_e32 v14, v14
	s_nop 0
	v_add_f32_e32 v14, 1.0, v14
	v_cmp_gt_f32_e32 vcc, s10, v14
	s_nop 1
	v_cndmask_b32_e32 v11, 1.0, v11, vcc
	v_mul_f32_e32 v11, v14, v11
	v_log_f32_e32 v11, v11
	v_cndmask_b32_e32 v13, 0, v13, vcc
	v_mul_f32_e32 v14, 0x3f317217, v11
	v_fma_f32 v14, v11, s7, -v14
	v_fmac_f32_e32 v14, 0x3377d1cf, v11
	v_fmac_f32_e32 v14, 0x3f317217, v11
	v_cmp_lt_f32_e64 vcc, |v11|, s8
	s_nop 1
	v_cndmask_b32_e32 v11, v11, v14, vcc
	v_sub_f32_e32 v11, v11, v13
	v_cmp_lt_f32_e32 vcc, s6, v6
	s_nop 1
	v_cndmask_b32_e32 v6, v11, v6, vcc
	v_mul_f32_e32 v11, 0x4f800000, v6
	v_cmp_gt_f32_e32 vcc, s9, v6
	s_nop 1
	v_cndmask_b32_e32 v6, v6, v11, vcc
	v_sqrt_f32_e32 v11, v6
	s_nop 0
	v_add_u32_e32 v13, -1, v11
	v_add_u32_e32 v14, 1, v11
	v_fma_f32 v15, -v13, v11, v6
	v_fma_f32 v16, -v14, v11, v6
	v_cmp_ge_f32_e64 s[4:5], 0, v15
	s_nop 1
	v_cndmask_b32_e64 v11, v11, v13, s[4:5]
	v_cmp_lt_f32_e64 s[4:5], 0, v16
	s_nop 1
	v_cndmask_b32_e64 v11, v11, v14, s[4:5]
	v_mul_f32_e32 v13, 0x37800000, v11
	v_cndmask_b32_e32 v11, v11, v13, vcc
	v_cmp_class_f32_e64 s[4:5], v6, v5
	s_and_b64 vcc, exec, s[2:3]
	s_nop 0
	v_cndmask_b32_e64 v5, v11, v6, s[4:5]
	s_cbranch_vccnz .LBB383_16
; %bb.15:
	global_load_dword v6, v10, s[22:23] offset:20
	s_waitcnt vmcnt(0)
	v_add_f32_e32 v5, v5, v6
.LBB383_16:
	v_lshlrev_b32_e32 v6, 16, v7
	v_mul_f32_e32 v11, 0x3fb8aa3b, v6
	v_exp_f32_e32 v11, v11
	v_mov_b32_e32 v13, 0x4f800000
	v_add_f32_e32 v11, 1.0, v11
	v_cmp_gt_f32_e32 vcc, s10, v11
	s_nop 1
	v_cndmask_b32_e32 v14, 1.0, v13, vcc
	v_mul_f32_e32 v11, v11, v14
	v_log_f32_e32 v11, v11
	s_nop 0
	v_mul_f32_e32 v14, 0x3f317217, v11
	v_fma_f32 v14, v11, s7, -v14
	v_fmac_f32_e32 v14, 0x3377d1cf, v11
	v_fmac_f32_e32 v14, 0x3f317217, v11
	v_cmp_lt_f32_e64 s[4:5], |v11|, s8
	s_nop 1
	v_cndmask_b32_e64 v11, v11, v14, s[4:5]
	v_mov_b32_e32 v14, 0x41b17218
	v_cndmask_b32_e32 v15, 0, v14, vcc
	v_sub_f32_e32 v11, v11, v15
	v_cmp_lt_f32_e32 vcc, s6, v6
	s_nop 1
	v_cndmask_b32_e32 v6, v11, v6, vcc
	v_mul_f32_e32 v11, 0x4f800000, v6
	v_cmp_gt_f32_e32 vcc, s9, v6
	s_nop 1
	v_cndmask_b32_e32 v6, v6, v11, vcc
	v_sqrt_f32_e32 v11, v6
	s_nop 0
	v_add_u32_e32 v15, -1, v11
	v_fma_f32 v16, -v15, v11, v6
	v_cmp_ge_f32_e64 s[4:5], 0, v16
	v_add_u32_e32 v16, 1, v11
	s_nop 0
	v_cndmask_b32_e64 v15, v11, v15, s[4:5]
	v_fma_f32 v11, -v16, v11, v6
	v_cmp_lt_f32_e64 s[4:5], 0, v11
	s_nop 1
	v_cndmask_b32_e64 v11, v15, v16, s[4:5]
	v_mul_f32_e32 v15, 0x37800000, v11
	v_cndmask_b32_e32 v15, v11, v15, vcc
	v_mov_b32_e32 v11, 0x260
	v_cmp_class_f32_e64 s[4:5], v6, v11
	s_and_b64 vcc, exec, s[2:3]
	s_nop 0
	v_cndmask_b32_e64 v6, v15, v6, s[4:5]
	s_cbranch_vccnz .LBB383_18
; %bb.17:
	global_load_dword v15, v10, s[22:23] offset:24
	s_waitcnt vmcnt(0)
	v_add_f32_e32 v6, v6, v15
.LBB383_18:
	v_and_b32_e32 v7, 0xffff0000, v7
	v_mul_f32_e32 v15, 0x3fb8aa3b, v7
	v_exp_f32_e32 v15, v15
	s_nop 0
	v_add_f32_e32 v15, 1.0, v15
	v_cmp_gt_f32_e32 vcc, s10, v15
	s_nop 1
	v_cndmask_b32_e32 v13, 1.0, v13, vcc
	v_mul_f32_e32 v13, v15, v13
	v_log_f32_e32 v13, v13
	v_cndmask_b32_e32 v14, 0, v14, vcc
	v_mul_f32_e32 v15, 0x3f317217, v13
	v_fma_f32 v15, v13, s7, -v15
	v_fmac_f32_e32 v15, 0x3377d1cf, v13
	v_fmac_f32_e32 v15, 0x3f317217, v13
	v_cmp_lt_f32_e64 vcc, |v13|, s8
	s_nop 1
	v_cndmask_b32_e32 v13, v13, v15, vcc
	v_sub_f32_e32 v13, v13, v14
	v_cmp_lt_f32_e32 vcc, s6, v7
	s_nop 1
	v_cndmask_b32_e32 v7, v13, v7, vcc
	v_mul_f32_e32 v13, 0x4f800000, v7
	v_cmp_gt_f32_e32 vcc, s9, v7
	s_nop 1
	v_cndmask_b32_e32 v7, v7, v13, vcc
	v_sqrt_f32_e32 v13, v7
	s_nop 0
	v_add_u32_e32 v14, -1, v13
	v_add_u32_e32 v15, 1, v13
	v_fma_f32 v16, -v14, v13, v7
	v_fma_f32 v17, -v15, v13, v7
	v_cmp_ge_f32_e64 s[4:5], 0, v16
	s_nop 1
	v_cndmask_b32_e64 v13, v13, v14, s[4:5]
	v_cmp_lt_f32_e64 s[4:5], 0, v17
	s_nop 1
	v_cndmask_b32_e64 v13, v13, v15, s[4:5]
	v_mul_f32_e32 v14, 0x37800000, v13
	v_cndmask_b32_e32 v13, v13, v14, vcc
	v_cmp_class_f32_e64 s[4:5], v7, v11
	s_and_b64 vcc, exec, s[2:3]
	s_nop 0
	v_cndmask_b32_e64 v7, v13, v7, s[4:5]
	s_cbranch_vccnz .LBB383_20
; %bb.19:
	global_load_dword v10, v10, s[22:23] offset:28
	s_waitcnt vmcnt(0)
	v_add_f32_e32 v7, v7, v10
.LBB383_20:
	s_load_dwordx4 s[24:27], s[0:1], 0x30
	s_mov_b32 s42, 0
	v_cmp_eq_u32_e64 s[6:7], 0, v9
	s_waitcnt lgkmcnt(0)
	s_bitcmp1_b32 s27, 0
	s_cselect_b64 s[4:5], -1, 0
	s_cmp_gt_i32 s24, 0
	s_cselect_b64 s[38:39], -1, 0
	s_and_b64 vcc, exec, s[38:39]
	s_cbranch_vccz .LBB383_39
; %bb.21:
	v_mbcnt_lo_u32_b32 v10, -1, 0
	v_mbcnt_hi_u32_b32 v10, -1, v10
	v_and_b32_e32 v11, 0x7c, v10
	v_add_u32_e32 v11, 4, v11
	v_xor_b32_e32 v13, 2, v10
	v_cmp_lt_i32_e32 vcc, v13, v11
	s_load_dwordx4 s[28:31], s[0:1], 0x20
	v_mul_lo_u32 v14, v8, s24
	v_cndmask_b32_e32 v13, v10, v13, vcc
	v_lshlrev_b32_e32 v15, 2, v13
	v_xor_b32_e32 v13, 1, v10
	v_cmp_lt_i32_e32 vcc, v13, v11
	v_mov_b32_e32 v17, 0xc61c4000
	v_mov_b32_e32 v18, v8
	v_cndmask_b32_e32 v10, v10, v13, vcc
	v_lshlrev_b32_e32 v16, 2, v10
	v_mov_b32_e32 v13, 0
	s_branch .LBB383_24
.LBB383_22:                             ;   in Loop: Header=BB383_24 Depth=1
	s_or_b64 exec, exec, s[40:41]
.LBB383_23:                             ;   in Loop: Header=BB383_24 Depth=1
	s_cmp_eq_u32 s24, s42
	v_add_u32_e32 v18, s33, v18
	s_cbranch_scc1 .LBB383_40
.LBB383_24:                             ; =>This Inner Loop Header: Depth=1
	v_cmp_gt_f32_e32 vcc, v1, v0
	s_nop 1
	v_cndmask_b32_e32 v11, v0, v1, vcc
	v_cndmask_b32_e64 v10, 0, 1, vcc
	v_cmp_gt_f32_e32 vcc, v2, v11
	s_nop 1
	v_cndmask_b32_e32 v11, v11, v2, vcc
	v_cndmask_b32_e64 v10, v10, 2, vcc
	v_cmp_gt_f32_e32 vcc, v3, v11
	s_nop 1
	v_cndmask_b32_e32 v11, v11, v3, vcc
	v_cndmask_b32_e64 v10, v10, 3, vcc
	v_cmp_gt_f32_e32 vcc, v4, v11
	s_nop 1
	v_cndmask_b32_e32 v11, v11, v4, vcc
	v_cndmask_b32_e64 v10, v10, 4, vcc
	v_cmp_gt_f32_e32 vcc, v5, v11
	s_nop 1
	v_cndmask_b32_e32 v11, v11, v5, vcc
	v_cndmask_b32_e64 v10, v10, 5, vcc
	v_cmp_gt_f32_e32 vcc, v6, v11
	s_nop 1
	v_cndmask_b32_e32 v11, v11, v6, vcc
	v_cndmask_b32_e64 v10, v10, 6, vcc
	v_cmp_gt_f32_e32 vcc, v7, v11
	s_nop 1
	v_cndmask_b32_e64 v10, v10, 7, vcc
	v_cndmask_b32_e32 v19, v11, v7, vcc
	ds_bpermute_b32 v11, v15, v19
	v_or_b32_e32 v10, v12, v10
	s_waitcnt lgkmcnt(0)
	ds_bpermute_b32 v20, v15, v10
	s_waitcnt lgkmcnt(0)
	v_cmp_lt_f32_e64 s[8:9], v19, v11
	v_cmp_nlt_f32_e32 vcc, v19, v11
	s_and_saveexec_b64 s[10:11], vcc
; %bb.25:                               ;   in Loop: Header=BB383_24 Depth=1
	v_cmp_eq_f32_e32 vcc, v19, v11
	v_cmp_lt_i32_e64 s[0:1], v20, v10
	s_and_b64 s[0:1], vcc, s[0:1]
	s_andn2_b64 s[8:9], s[8:9], exec
	s_and_b64 s[0:1], s[0:1], exec
	s_or_b64 s[8:9], s[8:9], s[0:1]
; %bb.26:                               ;   in Loop: Header=BB383_24 Depth=1
	s_or_b64 exec, exec, s[10:11]
	s_and_saveexec_b64 s[0:1], s[8:9]
; %bb.27:                               ;   in Loop: Header=BB383_24 Depth=1
	v_mov_b32_e32 v19, v11
	v_mov_b32_e32 v10, v20
; %bb.28:                               ;   in Loop: Header=BB383_24 Depth=1
	s_or_b64 exec, exec, s[0:1]
	ds_bpermute_b32 v11, v16, v19
	ds_bpermute_b32 v20, v16, v10
	s_waitcnt lgkmcnt(1)
	v_cmp_lt_f32_e64 s[8:9], v19, v11
	v_cmp_nlt_f32_e32 vcc, v19, v11
	s_and_saveexec_b64 s[10:11], vcc
	s_cbranch_execnz .LBB383_32
; %bb.29:                               ;   in Loop: Header=BB383_24 Depth=1
	s_or_b64 exec, exec, s[10:11]
	s_and_saveexec_b64 s[0:1], s[8:9]
	s_cbranch_execnz .LBB383_33
.LBB383_30:                             ;   in Loop: Header=BB383_24 Depth=1
	s_or_b64 exec, exec, s[0:1]
	s_and_saveexec_b64 s[8:9], s[6:7]
	s_cbranch_execnz .LBB383_34
.LBB383_31:                             ;   in Loop: Header=BB383_24 Depth=1
	s_or_b64 exec, exec, s[8:9]
	s_add_i32 s42, s42, 1
	s_cmp_ge_i32 s42, s24
	s_cbranch_scc1 .LBB383_23
	s_branch .LBB383_37
.LBB383_32:                             ;   in Loop: Header=BB383_24 Depth=1
	v_cmp_eq_f32_e32 vcc, v19, v11
	s_waitcnt lgkmcnt(0)
	v_cmp_lt_i32_e64 s[0:1], v20, v10
	s_and_b64 s[0:1], vcc, s[0:1]
	s_andn2_b64 s[8:9], s[8:9], exec
	s_and_b64 s[0:1], s[0:1], exec
	s_or_b64 s[8:9], s[8:9], s[0:1]
	s_or_b64 exec, exec, s[10:11]
	s_and_saveexec_b64 s[0:1], s[8:9]
	s_cbranch_execz .LBB383_30
.LBB383_33:                             ;   in Loop: Header=BB383_24 Depth=1
	s_waitcnt lgkmcnt(0)
	v_mov_b32_e32 v10, v20
	v_mov_b32_e32 v19, v11
	s_or_b64 exec, exec, s[0:1]
	s_and_saveexec_b64 s[8:9], s[6:7]
	s_cbranch_execz .LBB383_31
.LBB383_34:                             ;   in Loop: Header=BB383_24 Depth=1
	s_and_b64 vcc, exec, s[2:3]
	s_cbranch_vccnz .LBB383_36
; %bb.35:                               ;   in Loop: Header=BB383_24 Depth=1
	v_ashrrev_i32_e32 v11, 31, v10
	s_waitcnt lgkmcnt(0)
	v_lshl_add_u64 v[20:21], v[10:11], 2, s[22:23]
	global_load_dword v11, v[20:21], off
	s_waitcnt vmcnt(0)
	v_sub_f32_e32 v19, v19, v11
.LBB383_36:                             ;   in Loop: Header=BB383_24 Depth=1
	s_waitcnt lgkmcnt(0)
	v_add_u32_e32 v20, s42, v14
	v_cmp_le_i32_e32 vcc, s25, v10
	v_cmp_gt_i32_e64 s[0:1], s26, v10
	v_ashrrev_i32_e32 v21, 31, v20
	s_and_b64 s[0:1], vcc, s[0:1]
	v_lshlrev_b64 v[20:21], 2, v[20:21]
	v_lshl_add_u64 v[22:23], s[34:35], 0, v[20:21]
	v_subrev_u32_e32 v11, s25, v10
	s_and_b64 vcc, s[36:37], s[0:1]
	global_store_dword v[22:23], v19, off
	v_cndmask_b32_e32 v11, 32, v11, vcc
	v_lshl_add_u64 v[22:23], s[28:29], 0, v[20:21]
	global_store_dword v[22:23], v11, off
	v_add_f32_e32 v11, v13, v19
	v_lshl_add_u64 v[20:21], s[30:31], 0, v[20:21]
	v_cndmask_b32_e64 v13, v13, v11, s[4:5]
	global_store_dword v[20:21], v18, off
	s_or_b64 exec, exec, s[8:9]
	s_add_i32 s42, s42, 1
	s_cmp_ge_i32 s42, s24
	s_cbranch_scc1 .LBB383_23
.LBB383_37:                             ;   in Loop: Header=BB383_24 Depth=1
	v_ashrrev_i32_e32 v19, 31, v10
	v_lshrrev_b32_e32 v11, 29, v19
	v_add_u32_e32 v11, v10, v11
	v_ashrrev_i32_e32 v11, 3, v11
	s_waitcnt lgkmcnt(0)
	v_lshrrev_b32_e32 v20, 30, v11
	v_add_u32_e32 v20, v11, v20
	v_and_b32_e32 v20, -4, v20
	v_sub_u32_e32 v20, v11, v20
	v_cmp_eq_u32_e32 vcc, v9, v20
	s_and_saveexec_b64 s[40:41], vcc
	s_cbranch_execz .LBB383_22
; %bb.38:                               ;   in Loop: Header=BB383_24 Depth=1
	v_lshrrev_b32_e32 v19, 27, v19
	v_add_u32_e32 v19, v10, v19
	v_lshlrev_b32_e32 v11, 3, v11
	v_sub_u32_e32 v10, v10, v11
	v_ashrrev_i32_e32 v11, 5, v19
	v_lshl_add_u32 v10, v11, 3, v10
	v_cmp_ne_u32_e32 vcc, 6, v10
	v_cmp_ne_u32_e64 s[0:1], 5, v10
	v_cmp_ne_u32_e64 s[8:9], 4, v10
	;; [unrolled: 1-line block ×7, first 2 shown]
	v_cndmask_b32_e32 v6, v17, v6, vcc
	v_cndmask_b32_e64 v5, v17, v5, s[0:1]
	v_cndmask_b32_e64 v7, v17, v7, s[18:19]
	;; [unrolled: 1-line block ×7, first 2 shown]
	s_branch .LBB383_22
.LBB383_39:
	v_mov_b32_e32 v13, 0
.LBB383_40:
	v_cmp_eq_u32_e32 vcc, 0, v9
	s_and_b64 exec, exec, vcc
	s_cbranch_execz .LBB383_53
; %bb.41:
	s_andn2_b64 vcc, exec, s[4:5]
	v_cvt_f32_f64_e32 v0, s[20:21]
	s_cbranch_vccnz .LBB383_43
; %bb.42:
	v_cmp_lt_f32_e32 vcc, 0, v13
	s_nop 1
	v_cndmask_b32_e32 v1, 1.0, v13, vcc
	v_div_scale_f32 v2, s[0:1], v1, v1, v0
	v_rcp_f32_e32 v3, v2
	s_nop 0
	v_fma_f32 v4, -v2, v3, 1.0
	v_fmac_f32_e32 v3, v4, v3
	v_div_scale_f32 v4, vcc, v0, v1, v0
	v_mul_f32_e32 v5, v4, v3
	v_fma_f32 v6, -v2, v5, v4
	v_fmac_f32_e32 v5, v6, v3
	v_fma_f32 v2, -v2, v5, v4
	v_div_fmas_f32 v2, v2, v3, v5
	v_div_fixup_f32 v0, v2, v1, v0
.LBB383_43:
	s_andn2_b64 vcc, exec, s[38:39]
	s_cbranch_vccnz .LBB383_53
; %bb.44:
	v_mul_lo_u32 v2, v8, s24
	s_cmp_gt_u32 s24, 3
	v_ashrrev_i32_e32 v3, 31, v2
	s_cbranch_scc0 .LBB383_48
; %bb.45:
	s_and_b32 s0, s24, 0x7ffffffc
	v_lshl_add_u64 v[4:5], v[2:3], 2, s[34:35]
	v_mov_b32_e32 v1, v0
	v_lshl_add_u64 v[4:5], v[4:5], 0, 8
	s_mov_b32 s1, s0
.LBB383_46:                             ; =>This Inner Loop Header: Depth=1
	global_load_dwordx4 v[6:9], v[4:5], off offset:-8
	s_add_i32 s1, s1, -4
	s_cmp_lg_u32 s1, 0
	s_waitcnt vmcnt(0)
	v_pk_mul_f32 v[6:7], v[0:1], v[6:7]
	v_pk_mul_f32 v[8:9], v[0:1], v[8:9]
	global_store_dwordx4 v[4:5], v[6:9], off offset:-8
	v_lshl_add_u64 v[4:5], v[4:5], 0, 16
	s_cbranch_scc1 .LBB383_46
; %bb.47:
	s_cmp_lg_u32 s0, s24
	s_cselect_b64 s[2:3], -1, 0
	s_branch .LBB383_50
.LBB383_48:
	s_mov_b64 s[2:3], 0
                                        ; implicit-def: $sgpr0
	s_cbranch_execz .LBB383_50
; %bb.49:
	s_mov_b64 s[2:3], -1
	s_mov_b32 s0, 0
.LBB383_50:
	s_andn2_b64 vcc, exec, s[2:3]
	s_cbranch_vccnz .LBB383_53
; %bb.51:
	s_mov_b32 s1, 0
	v_lshl_add_u64 v[2:3], v[2:3], 0, s[0:1]
	s_sub_i32 s2, s24, s0
	v_lshl_add_u64 v[2:3], v[2:3], 2, s[34:35]
.LBB383_52:                             ; =>This Inner Loop Header: Depth=1
	global_load_dword v1, v[2:3], off
	s_add_i32 s2, s2, -1
	s_cmp_lg_u32 s2, 0
	s_waitcnt vmcnt(0)
	v_mul_f32_e32 v1, v0, v1
	global_store_dword v[2:3], v1, off
	v_lshl_add_u64 v[2:3], v[2:3], 0, 4
	s_cbranch_scc1 .LBB383_52
.LBB383_53:
	s_endpgm
	.section	.rodata,"a",@progbits
	.p2align	6, 0x0
	.amdhsa_kernel _ZN4vllm3moe22topkGatingSoftplusSqrtILi8ELi32ELi4ELi16ELi32ELb0Ei14__hip_bfloat16EEvPKT6_PKbPfiPT5_PiiiibdPKfPKS9_SF_
		.amdhsa_group_segment_fixed_size 0
		.amdhsa_private_segment_fixed_size 0
		.amdhsa_kernarg_size 96
		.amdhsa_user_sgpr_count 2
		.amdhsa_user_sgpr_dispatch_ptr 0
		.amdhsa_user_sgpr_queue_ptr 0
		.amdhsa_user_sgpr_kernarg_segment_ptr 1
		.amdhsa_user_sgpr_dispatch_id 0
		.amdhsa_user_sgpr_kernarg_preload_length 0
		.amdhsa_user_sgpr_kernarg_preload_offset 0
		.amdhsa_user_sgpr_private_segment_size 0
		.amdhsa_uses_dynamic_stack 0
		.amdhsa_enable_private_segment 0
		.amdhsa_system_sgpr_workgroup_id_x 1
		.amdhsa_system_sgpr_workgroup_id_y 0
		.amdhsa_system_sgpr_workgroup_id_z 0
		.amdhsa_system_sgpr_workgroup_info 0
		.amdhsa_system_vgpr_workitem_id 1
		.amdhsa_next_free_vgpr 24
		.amdhsa_next_free_sgpr 43
		.amdhsa_accum_offset 24
		.amdhsa_reserve_vcc 1
		.amdhsa_float_round_mode_32 0
		.amdhsa_float_round_mode_16_64 0
		.amdhsa_float_denorm_mode_32 3
		.amdhsa_float_denorm_mode_16_64 3
		.amdhsa_dx10_clamp 1
		.amdhsa_ieee_mode 1
		.amdhsa_fp16_overflow 0
		.amdhsa_tg_split 0
		.amdhsa_exception_fp_ieee_invalid_op 0
		.amdhsa_exception_fp_denorm_src 0
		.amdhsa_exception_fp_ieee_div_zero 0
		.amdhsa_exception_fp_ieee_overflow 0
		.amdhsa_exception_fp_ieee_underflow 0
		.amdhsa_exception_fp_ieee_inexact 0
		.amdhsa_exception_int_div_zero 0
	.end_amdhsa_kernel
	.section	.text._ZN4vllm3moe22topkGatingSoftplusSqrtILi8ELi32ELi4ELi16ELi32ELb0Ei14__hip_bfloat16EEvPKT6_PKbPfiPT5_PiiiibdPKfPKS9_SF_,"axG",@progbits,_ZN4vllm3moe22topkGatingSoftplusSqrtILi8ELi32ELi4ELi16ELi32ELb0Ei14__hip_bfloat16EEvPKT6_PKbPfiPT5_PiiiibdPKfPKS9_SF_,comdat
.Lfunc_end383:
	.size	_ZN4vllm3moe22topkGatingSoftplusSqrtILi8ELi32ELi4ELi16ELi32ELb0Ei14__hip_bfloat16EEvPKT6_PKbPfiPT5_PiiiibdPKfPKS9_SF_, .Lfunc_end383-_ZN4vllm3moe22topkGatingSoftplusSqrtILi8ELi32ELi4ELi16ELi32ELb0Ei14__hip_bfloat16EEvPKT6_PKbPfiPT5_PiiiibdPKfPKS9_SF_
                                        ; -- End function
	.section	.AMDGPU.csdata,"",@progbits
; Kernel info:
; codeLenInByte = 3744
; NumSgprs: 49
; NumVgprs: 24
; NumAgprs: 0
; TotalNumVgprs: 24
; ScratchSize: 0
; MemoryBound: 0
; FloatMode: 240
; IeeeMode: 1
; LDSByteSize: 0 bytes/workgroup (compile time only)
; SGPRBlocks: 6
; VGPRBlocks: 2
; NumSGPRsForWavesPerEU: 49
; NumVGPRsForWavesPerEU: 24
; AccumOffset: 24
; Occupancy: 8
; WaveLimiterHint : 0
; COMPUTE_PGM_RSRC2:SCRATCH_EN: 0
; COMPUTE_PGM_RSRC2:USER_SGPR: 2
; COMPUTE_PGM_RSRC2:TRAP_HANDLER: 0
; COMPUTE_PGM_RSRC2:TGID_X_EN: 1
; COMPUTE_PGM_RSRC2:TGID_Y_EN: 0
; COMPUTE_PGM_RSRC2:TGID_Z_EN: 0
; COMPUTE_PGM_RSRC2:TIDIG_COMP_CNT: 1
; COMPUTE_PGM_RSRC3_GFX90A:ACCUM_OFFSET: 5
; COMPUTE_PGM_RSRC3_GFX90A:TG_SPLIT: 0
	.section	.text._ZN4vllm3moe22topkGatingSoftplusSqrtILi8ELi64ELi4ELi16ELi64ELb1Ei14__hip_bfloat16EEvPKT6_PKbPfiPT5_PiiiibdPKfPKS9_SF_,"axG",@progbits,_ZN4vllm3moe22topkGatingSoftplusSqrtILi8ELi64ELi4ELi16ELi64ELb1Ei14__hip_bfloat16EEvPKT6_PKbPfiPT5_PiiiibdPKfPKS9_SF_,comdat
	.protected	_ZN4vllm3moe22topkGatingSoftplusSqrtILi8ELi64ELi4ELi16ELi64ELb1Ei14__hip_bfloat16EEvPKT6_PKbPfiPT5_PiiiibdPKfPKS9_SF_ ; -- Begin function _ZN4vllm3moe22topkGatingSoftplusSqrtILi8ELi64ELi4ELi16ELi64ELb1Ei14__hip_bfloat16EEvPKT6_PKbPfiPT5_PiiiibdPKfPKS9_SF_
	.globl	_ZN4vllm3moe22topkGatingSoftplusSqrtILi8ELi64ELi4ELi16ELi64ELb1Ei14__hip_bfloat16EEvPKT6_PKbPfiPT5_PiiiibdPKfPKS9_SF_
	.p2align	8
	.type	_ZN4vllm3moe22topkGatingSoftplusSqrtILi8ELi64ELi4ELi16ELi64ELb1Ei14__hip_bfloat16EEvPKT6_PKbPfiPT5_PiiiibdPKfPKS9_SF_,@function
_ZN4vllm3moe22topkGatingSoftplusSqrtILi8ELi64ELi4ELi16ELi64ELb1Ei14__hip_bfloat16EEvPKT6_PKbPfiPT5_PiiiibdPKfPKS9_SF_: ; @_ZN4vllm3moe22topkGatingSoftplusSqrtILi8ELi64ELi4ELi16ELi64ELb1Ei14__hip_bfloat16EEvPKT6_PKbPfiPT5_PiiiibdPKfPKS9_SF_
; %bb.0:
	s_load_dword s3, s[0:1], 0x18
	v_bfe_u32 v1, v0, 10, 10
	v_and_b32_e32 v8, 0x3ff, v0
	s_lshl_b32 s2, s2, 5
	v_lshlrev_b32_e32 v1, 3, v1
	v_lshrrev_b32_e32 v0, 3, v8
	v_add3_u32 v6, s2, v1, v0
	s_waitcnt lgkmcnt(0)
	v_cmp_gt_i32_e32 vcc, s3, v6
	s_and_saveexec_b64 s[2:3], vcc
	s_cbranch_execz .LBB384_31
; %bb.1:
	s_load_dwordx2 s[2:3], s[0:1], 0x0
	s_load_dword s33, s[0:1], 0x30
	v_lshlrev_b32_e32 v0, 6, v6
	v_lshlrev_b32_e32 v2, 3, v8
	v_ashrrev_i32_e32 v1, 31, v0
	v_and_b32_e32 v10, 56, v2
	s_waitcnt lgkmcnt(0)
	v_lshl_add_u64 v[0:1], v[0:1], 1, s[2:3]
	v_lshlrev_b32_e32 v4, 1, v10
	v_mov_b32_e32 v5, 0
	v_lshl_add_u64 v[0:1], v[0:1], 0, v[4:5]
	global_load_dwordx4 v[0:3], v[0:1], off
	s_load_dwordx4 s[8:11], s[0:1], 0x50
	v_ashrrev_i32_e32 v7, 31, v6
	s_mov_b32 s15, 0x800000
	s_mov_b32 s13, 0x3f317217
	s_mov_b32 s14, 0x7f800000
	s_waitcnt lgkmcnt(0)
	v_mov_b32_e32 v12, s8
	v_mov_b32_e32 v13, s9
	v_lshl_add_u64 v[12:13], v[6:7], 2, v[12:13]
	global_load_dword v4, v[12:13], off
	v_mov_b32_e32 v7, 0x4f800000
	v_mov_b32_e32 v9, 0x41b17218
	s_mov_b32 s9, 0x41a00000
	s_mov_b32 s12, 0xf800000
	v_mov_b32_e32 v11, 0x260
	s_cmp_gt_i32 s33, 0
	s_mov_b32 s8, 0
	s_waitcnt vmcnt(1)
	v_and_b32_e32 v16, 0xffff0000, v0
	v_lshlrev_b32_e32 v17, 16, v0
	v_and_b32_e32 v18, 0xffff0000, v1
	v_lshlrev_b32_e32 v19, 16, v1
	v_mul_f32_e32 v0, 0x3fb8aa3b, v17
	v_mul_f32_e32 v1, 0x3fb8aa3b, v16
	v_exp_f32_e32 v12, v0
	v_exp_f32_e32 v13, v1
	v_mul_f32_e32 v14, 0x3fb8aa3b, v19
	v_mul_f32_e32 v15, 0x3fb8aa3b, v18
	v_exp_f32_e32 v14, v14
	v_exp_f32_e32 v15, v15
	v_pk_add_f32 v[12:13], v[12:13], 1.0 op_sel_hi:[1,0]
	s_waitcnt vmcnt(0)
	v_mul_lo_u32 v0, v4, s33
	v_cmp_gt_f32_e32 vcc, s15, v13
	v_pk_add_f32 v[14:15], v[14:15], 1.0 op_sel_hi:[1,0]
	v_cmp_gt_f32_e64 s[2:3], s15, v12
	v_cndmask_b32_e32 v4, 1.0, v7, vcc
	v_cmp_gt_f32_e64 s[4:5], s15, v15
	v_cndmask_b32_e64 v20, 1.0, v7, s[2:3]
	v_mul_f32_e32 v4, v13, v4
	v_cndmask_b32_e64 v21, 1.0, v7, s[4:5]
	v_mul_f32_e32 v12, v12, v20
	v_log_f32_e32 v4, v4
	v_mul_f32_e32 v15, v15, v21
	v_log_f32_e32 v12, v12
	v_cmp_gt_f32_e64 s[6:7], s15, v14
	v_log_f32_e32 v15, v15
	v_cndmask_b32_e32 v13, 0, v9, vcc
	v_cndmask_b32_e64 v22, 1.0, v7, s[6:7]
	v_mul_f32_e32 v14, v14, v22
	v_mul_f32_e32 v22, 0x3f317217, v4
	;; [unrolled: 1-line block ×3, first 2 shown]
	v_fma_f32 v22, v4, s13, -v22
	v_mul_f32_e32 v24, 0x3f317217, v15
	v_fma_f32 v23, v12, s13, -v23
	v_fmac_f32_e32 v22, 0x3377d1cf, v4
	v_fma_f32 v24, v15, s13, -v24
	v_fmac_f32_e32 v23, 0x3377d1cf, v12
	v_fmac_f32_e32 v22, 0x3f317217, v4
	v_cmp_lt_f32_e64 vcc, |v4|, s14
	v_fmac_f32_e32 v24, 0x3377d1cf, v15
	v_fmac_f32_e32 v23, 0x3f317217, v12
	v_cndmask_b32_e32 v4, v4, v22, vcc
	v_cmp_lt_f32_e64 vcc, |v12|, s14
	v_cndmask_b32_e64 v20, 0, v9, s[2:3]
	v_fmac_f32_e32 v24, 0x3f317217, v15
	v_cndmask_b32_e32 v12, v12, v23, vcc
	v_cmp_lt_f32_e64 vcc, |v15|, s14
	v_sub_f32_e32 v12, v12, v20
	v_sub_f32_e32 v4, v4, v13
	v_cndmask_b32_e32 v15, v15, v24, vcc
	v_cmp_lt_f32_e32 vcc, s9, v17
	v_cndmask_b32_e64 v21, 0, v9, s[4:5]
	v_sub_f32_e32 v15, v15, v21
	v_cndmask_b32_e32 v12, v12, v17, vcc
	v_cmp_lt_f32_e32 vcc, s9, v16
	v_cmp_gt_f32_e64 s[2:3], s12, v12
	v_log_f32_e32 v14, v14
	v_cndmask_b32_e32 v4, v4, v16, vcc
	v_mul_f32_e32 v13, 0x4f800000, v4
	v_cmp_gt_f32_e32 vcc, s12, v4
	v_mul_f32_e32 v16, 0x4f800000, v12
	v_cndmask_b32_e64 v12, v12, v16, s[2:3]
	v_cndmask_b32_e32 v4, v4, v13, vcc
	v_sqrt_f32_e32 v13, v4
	v_sqrt_f32_e32 v16, v12
	v_mul_f32_e32 v25, 0x3f317217, v14
	v_fma_f32 v25, v14, s13, -v25
	v_add_u32_e32 v17, -1, v13
	v_add_u32_e32 v21, -1, v16
	v_fma_f32 v23, -v17, v13, v4
	v_add_u32_e32 v20, 1, v13
	v_fma_f32 v26, -v21, v16, v12
	v_cmp_ge_f32_e64 s[4:5], 0, v23
	v_add_u32_e32 v22, 1, v16
	v_fma_f32 v24, -v20, v13, v4
	v_cndmask_b32_e64 v13, v13, v17, s[4:5]
	v_cmp_ge_f32_e64 s[4:5], 0, v26
	v_fma_f32 v27, -v22, v16, v12
	v_fmac_f32_e32 v25, 0x3377d1cf, v14
	v_cndmask_b32_e64 v16, v16, v21, s[4:5]
	v_cmp_lt_f32_e64 s[4:5], 0, v24
	v_fmac_f32_e32 v25, 0x3f317217, v14
	v_ashrrev_i32_e32 v1, 31, v0
	v_cndmask_b32_e64 v13, v13, v20, s[4:5]
	v_cmp_lt_f32_e64 s[4:5], 0, v27
	v_mul_f32_e32 v17, 0x37800000, v13
	v_cndmask_b32_e32 v13, v13, v17, vcc
	v_cndmask_b32_e64 v16, v16, v22, s[4:5]
	v_mul_f32_e32 v20, 0x37800000, v16
	v_cmp_class_f32_e32 vcc, v4, v11
	v_cndmask_b32_e64 v16, v16, v20, s[2:3]
	v_cmp_lt_f32_e64 s[2:3], s9, v19
	v_cndmask_b32_e32 v13, v13, v4, vcc
	v_cmp_class_f32_e32 vcc, v12, v11
	v_and_b32_e32 v20, 0xffff0000, v2
	v_lshlrev_b32_e32 v2, 16, v2
	v_cndmask_b32_e32 v12, v16, v12, vcc
	v_cmp_lt_f32_e64 vcc, |v14|, s14
	s_nop 1
	v_cndmask_b32_e32 v4, v14, v25, vcc
	v_cmp_lt_f32_e32 vcc, s9, v18
	v_cndmask_b32_e64 v14, 0, v9, s[6:7]
	v_sub_f32_e32 v4, v4, v14
	v_cndmask_b32_e32 v15, v15, v18, vcc
	v_mul_f32_e32 v16, 0x4f800000, v15
	v_cmp_gt_f32_e32 vcc, s12, v15
	v_cndmask_b32_e64 v4, v4, v19, s[2:3]
	s_nop 0
	v_cndmask_b32_e32 v15, v15, v16, vcc
	v_sqrt_f32_e32 v16, v15
	s_nop 0
	v_add_u32_e32 v14, -1, v16
	v_fma_f32 v17, -v14, v16, v15
	v_cmp_ge_f32_e64 s[2:3], 0, v17
	v_add_u32_e32 v17, 1, v16
	s_nop 0
	v_cndmask_b32_e64 v14, v16, v14, s[2:3]
	v_fma_f32 v16, -v17, v16, v15
	v_cmp_lt_f32_e64 s[2:3], 0, v16
	s_nop 1
	v_cndmask_b32_e64 v14, v14, v17, s[2:3]
	v_mul_f32_e32 v17, 0x4f800000, v4
	v_cmp_gt_f32_e64 s[2:3], s12, v4
	v_mul_f32_e32 v16, 0x37800000, v14
	v_cndmask_b32_e32 v14, v14, v16, vcc
	v_cndmask_b32_e64 v4, v4, v17, s[2:3]
	v_sqrt_f32_e32 v17, v4
	v_cmp_class_f32_e32 vcc, v15, v11
	v_add_u32_e32 v18, 1, v17
	s_nop 0
	v_cndmask_b32_e32 v15, v14, v15, vcc
	v_add_u32_e32 v14, -1, v17
	v_fma_f32 v16, -v14, v17, v4
	v_cmp_ge_f32_e32 vcc, 0, v16
	v_fma_f32 v19, -v18, v17, v4
	v_mul_f32_e32 v16, 0x3fb8aa3b, v2
	v_cndmask_b32_e32 v14, v17, v14, vcc
	v_mul_f32_e32 v17, 0x3fb8aa3b, v20
	v_exp_f32_e32 v16, v16
	v_exp_f32_e32 v17, v17
	v_cmp_lt_f32_e32 vcc, 0, v19
	v_pk_add_f32 v[16:17], v[16:17], 1.0 op_sel_hi:[1,0]
	s_nop 0
	v_cndmask_b32_e32 v14, v14, v18, vcc
	v_mul_f32_e32 v18, 0x37800000, v14
	v_cmp_gt_f32_e32 vcc, s15, v17
	v_cndmask_b32_e64 v14, v14, v18, s[2:3]
	v_cmp_class_f32_e64 s[2:3], v4, v11
	v_cndmask_b32_e32 v18, 1.0, v7, vcc
	v_mul_f32_e32 v17, v17, v18
	v_log_f32_e32 v17, v17
	v_cndmask_b32_e64 v14, v14, v4, s[2:3]
	v_cmp_gt_f32_e64 s[2:3], s15, v16
	scratch_store_dwordx4 off, v[12:15], off
	v_mul_f32_e32 v4, 0x3f317217, v17
	v_fma_f32 v4, v17, s13, -v4
	v_cndmask_b32_e64 v12, 1.0, v7, s[2:3]
	v_mul_f32_e32 v12, v16, v12
	v_log_f32_e32 v12, v12
	v_fmac_f32_e32 v4, 0x3377d1cf, v17
	v_fmac_f32_e32 v4, 0x3f317217, v17
	v_cmp_lt_f32_e64 s[4:5], |v17|, s14
	v_cndmask_b32_e32 v13, 0, v9, vcc
	v_cmp_lt_f32_e64 vcc, |v12|, s14
	v_cndmask_b32_e64 v4, v17, v4, s[4:5]
	v_sub_f32_e32 v4, v4, v13
	v_mul_f32_e32 v13, 0x3f317217, v12
	v_fma_f32 v13, v12, s13, -v13
	v_fmac_f32_e32 v13, 0x3377d1cf, v12
	v_fmac_f32_e32 v13, 0x3f317217, v12
	v_cndmask_b32_e32 v12, v12, v13, vcc
	v_cmp_lt_f32_e32 vcc, s9, v20
	v_cndmask_b32_e64 v13, 0, v9, s[2:3]
	v_sub_f32_e32 v12, v12, v13
	v_cndmask_b32_e32 v4, v4, v20, vcc
	v_mul_f32_e32 v14, 0x4f800000, v4
	v_cmp_gt_f32_e32 vcc, s12, v4
	v_cmp_lt_f32_e64 s[2:3], s9, v2
	v_and_b32_e32 v16, 0xffff0000, v3
	v_cndmask_b32_e32 v4, v4, v14, vcc
	v_sqrt_f32_e32 v14, v4
	v_cndmask_b32_e64 v2, v12, v2, s[2:3]
	v_lshlrev_b32_e32 v17, 16, v3
	v_mul_f32_e32 v3, 0x3fb8aa3b, v16
	v_add_u32_e32 v12, -1, v14
	v_fma_f32 v13, -v12, v14, v4
	v_cmp_ge_f32_e64 s[2:3], 0, v13
	v_add_u32_e32 v13, 1, v14
	v_exp_f32_e32 v3, v3
	v_cndmask_b32_e64 v12, v14, v12, s[2:3]
	v_fma_f32 v14, -v13, v14, v4
	v_cmp_lt_f32_e64 s[2:3], 0, v14
	v_mul_f32_e32 v14, 0x4f800000, v2
	s_nop 0
	v_cndmask_b32_e64 v12, v12, v13, s[2:3]
	v_cmp_gt_f32_e64 s[2:3], s12, v2
	v_mul_f32_e32 v13, 0x37800000, v12
	v_cndmask_b32_e32 v12, v12, v13, vcc
	v_cndmask_b32_e64 v14, v2, v14, s[2:3]
	v_sqrt_f32_e32 v2, v14
	v_cmp_class_f32_e32 vcc, v4, v11
	s_nop 1
	v_cndmask_b32_e32 v13, v12, v4, vcc
	v_add_u32_e32 v4, -1, v2
	v_fma_f32 v12, -v4, v2, v14
	v_cmp_ge_f32_e32 vcc, 0, v12
	v_add_u32_e32 v12, 1, v2
	v_fma_f32 v15, -v12, v2, v14
	v_cndmask_b32_e32 v4, v2, v4, vcc
	v_mul_f32_e32 v2, 0x3fb8aa3b, v17
	v_exp_f32_e32 v2, v2
	v_cmp_lt_f32_e32 vcc, 0, v15
	v_pk_add_f32 v[2:3], v[2:3], 1.0 op_sel_hi:[1,0]
	s_nop 0
	v_cndmask_b32_e32 v4, v4, v12, vcc
	v_cmp_gt_f32_e32 vcc, s15, v3
	v_mul_f32_e32 v12, 0x37800000, v4
	v_cndmask_b32_e64 v4, v4, v12, s[2:3]
	v_cndmask_b32_e32 v15, 1.0, v7, vcc
	v_mul_f32_e32 v3, v3, v15
	v_log_f32_e32 v3, v3
	v_cmp_class_f32_e64 s[2:3], v14, v11
	v_cmp_lt_f32_e64 s[4:5], |v3|, s14
	s_nop 0
	v_cndmask_b32_e64 v12, v4, v14, s[2:3]
	v_cmp_gt_f32_e64 s[2:3], s15, v2
	v_mul_f32_e32 v4, 0x3f317217, v3
	v_fma_f32 v4, v3, s13, -v4
	v_cndmask_b32_e64 v7, 1.0, v7, s[2:3]
	v_mul_f32_e32 v2, v2, v7
	v_log_f32_e32 v2, v2
	v_fmac_f32_e32 v4, 0x3377d1cf, v3
	v_fmac_f32_e32 v4, 0x3f317217, v3
	v_cndmask_b32_e64 v3, v3, v4, s[4:5]
	v_cndmask_b32_e32 v4, 0, v9, vcc
	v_sub_f32_e32 v3, v3, v4
	v_mul_f32_e32 v4, 0x3f317217, v2
	v_fma_f32 v4, v2, s13, -v4
	v_fmac_f32_e32 v4, 0x3377d1cf, v2
	v_fmac_f32_e32 v4, 0x3f317217, v2
	v_cmp_lt_f32_e64 vcc, |v2|, s14
	s_cselect_b64 s[4:5], -1, 0
	s_cmp_lt_i32 s33, 1
	v_cndmask_b32_e32 v2, v2, v4, vcc
	v_cmp_lt_f32_e32 vcc, s9, v16
	v_cndmask_b32_e64 v4, 0, v9, s[2:3]
	v_sub_f32_e32 v2, v2, v4
	v_cndmask_b32_e32 v3, v3, v16, vcc
	v_mul_f32_e32 v7, 0x4f800000, v3
	v_cmp_gt_f32_e32 vcc, s12, v3
	v_cmp_lt_f32_e64 s[2:3], s9, v17
	s_nop 0
	v_cndmask_b32_e32 v3, v3, v7, vcc
	v_sqrt_f32_e32 v7, v3
	v_cndmask_b32_e64 v2, v2, v17, s[2:3]
	v_add_u32_e32 v4, -1, v7
	v_fma_f32 v9, -v4, v7, v3
	v_cmp_ge_f32_e64 s[2:3], 0, v9
	v_add_u32_e32 v9, 1, v7
	s_nop 0
	v_cndmask_b32_e64 v4, v7, v4, s[2:3]
	v_fma_f32 v7, -v9, v7, v3
	v_cmp_lt_f32_e64 s[2:3], 0, v7
	s_nop 1
	v_cndmask_b32_e64 v4, v4, v9, s[2:3]
	v_mul_f32_e32 v9, 0x4f800000, v2
	v_cmp_gt_f32_e64 s[2:3], s12, v2
	v_mul_f32_e32 v7, 0x37800000, v4
	v_cndmask_b32_e32 v4, v4, v7, vcc
	v_cndmask_b32_e64 v2, v2, v9, s[2:3]
	v_sqrt_f32_e32 v9, v2
	v_cmp_class_f32_e32 vcc, v3, v11
	s_nop 1
	v_cndmask_b32_e32 v15, v4, v3, vcc
	v_add_u32_e32 v3, -1, v9
	v_fma_f32 v4, -v3, v9, v2
	v_cmp_ge_f32_e32 vcc, 0, v4
	v_add_u32_e32 v4, 1, v9
	v_fma_f32 v7, -v4, v9, v2
	v_cndmask_b32_e32 v3, v9, v3, vcc
	v_cmp_lt_f32_e32 vcc, 0, v7
	s_nop 1
	v_cndmask_b32_e32 v3, v3, v4, vcc
	v_mul_f32_e32 v4, 0x37800000, v3
	v_cndmask_b32_e64 v3, v3, v4, s[2:3]
	v_cmp_class_f32_e32 vcc, v2, v11
	s_nop 1
	v_cndmask_b32_e32 v14, v3, v2, vcc
	v_lshl_add_u64 v[2:3], v[0:1], 2, s[10:11]
	v_mul_lo_u32 v0, v6, s33
	scratch_store_dwordx4 off, v[12:15], off offset:16
	s_cbranch_scc1 .LBB384_28
; %bb.2:
	s_load_dwordx2 s[6:7], s[0:1], 0x20
	s_cmp_lt_u32 s33, 4
	v_and_b32_e32 v4, 7, v8
	s_cbranch_scc1 .LBB384_21
; %bb.3:
	v_lshlrev_b32_e32 v5, 3, v4
	s_mov_b32 s11, 0
	s_and_b32 s8, s33, 0x7ffffffc
	v_ashrrev_i32_e32 v1, 31, v0
	v_sub_u32_e32 v11, 0, v5
	v_mov_b32_e32 v5, 0
	s_mov_b32 s10, s11
	s_branch .LBB384_5
.LBB384_4:                              ;   in Loop: Header=BB384_5 Depth=1
	s_or_b64 exec, exec, s[12:13]
	s_add_i32 s10, s10, 4
	s_cmp_eq_u32 s10, s8
	s_cbranch_scc1 .LBB384_21
.LBB384_5:                              ; =>This Loop Header: Depth=1
                                        ;     Child Loop BB384_7 Depth 2
                                        ;     Child Loop BB384_11 Depth 2
	;; [unrolled: 1-line block ×4, first 2 shown]
	v_lshl_add_u64 v[6:7], s[10:11], 2, v[2:3]
	global_load_dword v12, v[6:7], off
	v_add_u32_e32 v8, s10, v0
	v_ashrrev_i32_e32 v9, 31, v8
	v_mov_b32_e32 v13, 0
	s_mov_b64 s[12:13], 0
	s_waitcnt lgkmcnt(0)
	v_lshl_add_u64 v[8:9], v[8:9], 2, s[6:7]
	s_mov_b32 s9, 0
	s_waitcnt vmcnt(0)
	v_add_u32_e32 v14, v11, v12
	s_branch .LBB384_7
.LBB384_6:                              ;   in Loop: Header=BB384_7 Depth=2
	s_or_b64 exec, exec, s[14:15]
	s_add_i32 s16, s9, 1
	s_cmp_gt_u32 s9, 6
	s_cselect_b64 s[2:3], -1, 0
	s_xor_b64 s[14:15], vcc, -1
	s_or_b64 s[2:3], s[14:15], s[2:3]
	s_and_b64 s[2:3], exec, s[2:3]
	v_add_u32_e32 v13, 4, v13
	s_or_b64 s[12:13], s[2:3], s[12:13]
	s_mov_b32 s9, s16
	s_andn2_b64 exec, exec, s[12:13]
	s_cbranch_execz .LBB384_9
.LBB384_7:                              ;   Parent Loop BB384_5 Depth=1
                                        ; =>  This Inner Loop Header: Depth=2
	v_cmp_ne_u32_e32 vcc, s9, v14
	v_cmp_eq_u32_e64 s[2:3], s9, v14
	s_and_saveexec_b64 s[14:15], s[2:3]
	s_cbranch_execz .LBB384_6
; %bb.8:                                ;   in Loop: Header=BB384_7 Depth=2
	scratch_load_dword v15, v13, off
	s_waitcnt vmcnt(0)
	v_add_f32_e32 v5, v5, v15
	global_store_dword v[8:9], v12, off
	s_branch .LBB384_6
.LBB384_9:                              ;   in Loop: Header=BB384_5 Depth=1
	s_or_b64 exec, exec, s[12:13]
	global_load_dword v12, v[6:7], off offset:4
	s_ashr_i32 s3, s10, 31
	s_mov_b32 s2, s10
	v_lshl_add_u64 v[8:9], s[2:3], 0, v[0:1]
	v_mov_b32_e32 v13, 0
	s_mov_b32 s9, 0
	v_lshl_add_u64 v[8:9], v[8:9], 2, s[6:7]
	s_mov_b64 s[12:13], 0
	s_waitcnt vmcnt(0)
	v_add_u32_e32 v14, v11, v12
	s_branch .LBB384_11
.LBB384_10:                             ;   in Loop: Header=BB384_11 Depth=2
	s_or_b64 exec, exec, s[14:15]
	s_add_i32 s16, s9, 1
	s_cmp_gt_u32 s9, 6
	s_cselect_b64 s[2:3], -1, 0
	s_xor_b64 s[14:15], vcc, -1
	s_or_b64 s[2:3], s[14:15], s[2:3]
	s_and_b64 s[2:3], exec, s[2:3]
	v_add_u32_e32 v13, 4, v13
	s_or_b64 s[12:13], s[2:3], s[12:13]
	s_mov_b32 s9, s16
	s_andn2_b64 exec, exec, s[12:13]
	s_cbranch_execz .LBB384_13
.LBB384_11:                             ;   Parent Loop BB384_5 Depth=1
                                        ; =>  This Inner Loop Header: Depth=2
	v_cmp_ne_u32_e32 vcc, s9, v14
	v_cmp_eq_u32_e64 s[2:3], s9, v14
	s_and_saveexec_b64 s[14:15], s[2:3]
	s_cbranch_execz .LBB384_10
; %bb.12:                               ;   in Loop: Header=BB384_11 Depth=2
	scratch_load_dword v15, v13, off
	s_waitcnt vmcnt(0)
	v_add_f32_e32 v5, v5, v15
	global_store_dword v[8:9], v12, off offset:4
	s_branch .LBB384_10
.LBB384_13:                             ;   in Loop: Header=BB384_5 Depth=1
	s_or_b64 exec, exec, s[12:13]
	global_load_dword v12, v[6:7], off offset:8
	v_mov_b32_e32 v13, 0
	s_mov_b32 s9, 0
	s_mov_b64 s[12:13], 0
	s_waitcnt vmcnt(0)
	v_add_u32_e32 v14, v11, v12
	s_branch .LBB384_15
.LBB384_14:                             ;   in Loop: Header=BB384_15 Depth=2
	s_or_b64 exec, exec, s[14:15]
	s_add_i32 s16, s9, 1
	s_cmp_gt_u32 s9, 6
	s_cselect_b64 s[2:3], -1, 0
	s_xor_b64 s[14:15], vcc, -1
	s_or_b64 s[2:3], s[14:15], s[2:3]
	s_and_b64 s[2:3], exec, s[2:3]
	v_add_u32_e32 v13, 4, v13
	s_or_b64 s[12:13], s[2:3], s[12:13]
	s_mov_b32 s9, s16
	s_andn2_b64 exec, exec, s[12:13]
	s_cbranch_execz .LBB384_17
.LBB384_15:                             ;   Parent Loop BB384_5 Depth=1
                                        ; =>  This Inner Loop Header: Depth=2
	v_cmp_ne_u32_e32 vcc, s9, v14
	v_cmp_eq_u32_e64 s[2:3], s9, v14
	s_and_saveexec_b64 s[14:15], s[2:3]
	s_cbranch_execz .LBB384_14
; %bb.16:                               ;   in Loop: Header=BB384_15 Depth=2
	scratch_load_dword v15, v13, off
	s_waitcnt vmcnt(0)
	v_add_f32_e32 v5, v5, v15
	global_store_dword v[8:9], v12, off offset:8
	s_branch .LBB384_14
.LBB384_17:                             ;   in Loop: Header=BB384_5 Depth=1
	s_or_b64 exec, exec, s[12:13]
	global_load_dword v6, v[6:7], off offset:12
	v_mov_b32_e32 v7, 0
	s_mov_b32 s9, 0
	s_mov_b64 s[12:13], 0
	s_waitcnt vmcnt(0)
	v_add_u32_e32 v12, v11, v6
	s_branch .LBB384_19
.LBB384_18:                             ;   in Loop: Header=BB384_19 Depth=2
	s_or_b64 exec, exec, s[14:15]
	s_add_i32 s16, s9, 1
	s_cmp_gt_u32 s9, 6
	s_cselect_b64 s[2:3], -1, 0
	s_xor_b64 s[14:15], vcc, -1
	s_or_b64 s[2:3], s[14:15], s[2:3]
	s_and_b64 s[2:3], exec, s[2:3]
	v_add_u32_e32 v7, 4, v7
	s_or_b64 s[12:13], s[2:3], s[12:13]
	s_mov_b32 s9, s16
	s_andn2_b64 exec, exec, s[12:13]
	s_cbranch_execz .LBB384_4
.LBB384_19:                             ;   Parent Loop BB384_5 Depth=1
                                        ; =>  This Inner Loop Header: Depth=2
	v_cmp_ne_u32_e32 vcc, s9, v12
	v_cmp_eq_u32_e64 s[2:3], s9, v12
	s_and_saveexec_b64 s[14:15], s[2:3]
	s_cbranch_execz .LBB384_18
; %bb.20:                               ;   in Loop: Header=BB384_19 Depth=2
	scratch_load_dword v13, v7, off
	s_waitcnt vmcnt(0)
	v_add_f32_e32 v5, v5, v13
	global_store_dword v[8:9], v6, off offset:12
	s_branch .LBB384_18
.LBB384_21:
	s_and_b32 s14, s33, 3
	s_cmp_eq_u32 s14, 0
	s_mov_b32 s9, 0
	s_cbranch_scc1 .LBB384_28
; %bb.22:
	v_lshlrev_b32_e32 v1, 3, v4
	v_sub_u32_e32 v1, 0, v1
	s_mov_b32 s15, s9
	s_branch .LBB384_24
.LBB384_23:                             ;   in Loop: Header=BB384_24 Depth=1
	s_or_b64 exec, exec, s[10:11]
	s_add_i32 s8, s8, 1
	s_add_i32 s15, s15, 1
	s_cmp_lg_u32 s15, s14
	s_cbranch_scc0 .LBB384_28
.LBB384_24:                             ; =>This Loop Header: Depth=1
                                        ;     Child Loop BB384_26 Depth 2
	v_lshl_add_u64 v[6:7], s[8:9], 2, v[2:3]
	global_load_dword v4, v[6:7], off
	v_add_u32_e32 v6, s8, v0
	v_ashrrev_i32_e32 v7, 31, v6
	v_mov_b32_e32 v8, 0
	s_mov_b32 s16, 0
	s_waitcnt lgkmcnt(0)
	v_lshl_add_u64 v[6:7], v[6:7], 2, s[6:7]
	s_mov_b64 s[10:11], 0
	s_waitcnt vmcnt(0)
	v_add_u32_e32 v9, v1, v4
	s_branch .LBB384_26
.LBB384_25:                             ;   in Loop: Header=BB384_26 Depth=2
	s_or_b64 exec, exec, s[12:13]
	s_add_i32 s17, s16, 1
	s_cmp_gt_u32 s16, 6
	s_cselect_b64 s[2:3], -1, 0
	s_xor_b64 s[12:13], vcc, -1
	s_or_b64 s[2:3], s[12:13], s[2:3]
	s_and_b64 s[2:3], exec, s[2:3]
	v_add_u32_e32 v8, 4, v8
	s_or_b64 s[10:11], s[2:3], s[10:11]
	s_mov_b32 s16, s17
	s_andn2_b64 exec, exec, s[10:11]
	s_cbranch_execz .LBB384_23
.LBB384_26:                             ;   Parent Loop BB384_24 Depth=1
                                        ; =>  This Inner Loop Header: Depth=2
	v_cmp_ne_u32_e32 vcc, s16, v9
	v_cmp_eq_u32_e64 s[2:3], s16, v9
	s_and_saveexec_b64 s[12:13], s[2:3]
	s_cbranch_execz .LBB384_25
; %bb.27:                               ;   in Loop: Header=BB384_26 Depth=2
	scratch_load_dword v11, v8, off
	s_waitcnt vmcnt(0)
	v_add_f32_e32 v5, v5, v11
	global_store_dword v[6:7], v4, off
	s_branch .LBB384_25
.LBB384_28:
	s_waitcnt lgkmcnt(0)
	s_load_dword s6, s[0:1], 0x3c
	s_waitcnt lgkmcnt(0)
	s_bitcmp1_b32 s6, 0
	s_cselect_b64 s[2:3], -1, 0
	s_bitcmp0_b32 s6, 0
	s_cbranch_scc0 .LBB384_32
; %bb.29:
	s_load_dwordx2 s[6:7], s[0:1], 0x40
	s_andn2_b64 vcc, exec, s[2:3]
	s_waitcnt lgkmcnt(0)
	v_cvt_f32_f64_e32 v8, s[6:7]
	s_cbranch_vccz .LBB384_33
.LBB384_30:
	s_andn2_b64 vcc, exec, s[4:5]
	s_cbranch_vccz .LBB384_34
.LBB384_31:
	s_endpgm
.LBB384_32:
	v_mbcnt_lo_u32_b32 v1, -1, 0
	v_mbcnt_hi_u32_b32 v1, -1, v1
	v_and_b32_e32 v4, 0x78, v1
	v_add_u32_e32 v4, 8, v4
	v_xor_b32_e32 v6, 4, v1
	v_cmp_lt_i32_e32 vcc, v6, v4
	v_xor_b32_e32 v7, 2, v1
	s_nop 0
	v_cndmask_b32_e32 v6, v1, v6, vcc
	v_lshlrev_b32_e32 v6, 2, v6
	ds_bpermute_b32 v6, v6, v5
	v_cmp_lt_i32_e32 vcc, v7, v4
	s_waitcnt lgkmcnt(0)
	v_add_f32_e32 v5, v5, v6
	v_cndmask_b32_e32 v6, v1, v7, vcc
	v_lshlrev_b32_e32 v6, 2, v6
	ds_bpermute_b32 v6, v6, v5
	v_xor_b32_e32 v7, 1, v1
	v_cmp_lt_i32_e32 vcc, v7, v4
	s_waitcnt lgkmcnt(0)
	v_add_f32_e32 v5, v5, v6
	v_cndmask_b32_e32 v1, v1, v7, vcc
	v_lshlrev_b32_e32 v1, 2, v1
	ds_bpermute_b32 v1, v1, v5
	s_waitcnt lgkmcnt(0)
	v_add_f32_e32 v5, v5, v1
	s_load_dwordx2 s[6:7], s[0:1], 0x40
	s_andn2_b64 vcc, exec, s[2:3]
	s_waitcnt lgkmcnt(0)
	v_cvt_f32_f64_e32 v8, s[6:7]
	s_cbranch_vccnz .LBB384_30
.LBB384_33:
	v_cmp_lt_f32_e32 vcc, 0, v5
	s_nop 1
	v_cndmask_b32_e32 v1, 1.0, v5, vcc
	v_div_scale_f32 v4, s[2:3], v1, v1, v8
	v_rcp_f32_e32 v5, v4
	s_nop 0
	v_fma_f32 v6, -v4, v5, 1.0
	v_fmac_f32_e32 v5, v6, v5
	v_div_scale_f32 v6, vcc, v8, v1, v8
	v_mul_f32_e32 v7, v6, v5
	v_fma_f32 v9, -v4, v7, v6
	v_fmac_f32_e32 v7, v9, v5
	v_fma_f32 v4, -v4, v7, v6
	v_div_fmas_f32 v4, v4, v5, v7
	v_div_fixup_f32 v8, v4, v1, v8
	s_andn2_b64 vcc, exec, s[4:5]
	s_cbranch_vccnz .LBB384_31
.LBB384_34:
	s_load_dwordx2 s[12:13], s[0:1], 0x10
	v_mov_b32_e32 v1, 0
	v_or_b32_e32 v20, 4, v1
	v_or_b32_e32 v18, 8, v1
	;; [unrolled: 1-line block ×3, first 2 shown]
	v_add_u32_e32 v14, 16, v1
	v_add_u32_e32 v12, 20, v1
	;; [unrolled: 1-line block ×4, first 2 shown]
	v_or_b32_e32 v23, 1, v10
	v_or_b32_e32 v22, 2, v10
	;; [unrolled: 1-line block ×7, first 2 shown]
	s_cmp_eq_u32 s33, 1
	s_mov_b32 s14, 0
	s_cbranch_scc1 .LBB384_69
; %bb.35:
	v_ashrrev_i32_e32 v1, 31, v0
	s_waitcnt lgkmcnt(0)
	v_lshl_add_u64 v[4:5], v[0:1], 2, s[12:13]
	s_and_b32 s14, s33, 0x7ffffffe
	v_lshl_add_u64 v[4:5], v[4:5], 0, 4
	v_lshl_add_u64 v[6:7], v[2:3], 0, 4
	s_mov_b32 s15, 0
	s_branch .LBB384_37
.LBB384_36:                             ;   in Loop: Header=BB384_37 Depth=1
	s_or_b64 exec, exec, s[0:1]
	s_add_i32 s15, s15, 2
	v_lshl_add_u64 v[4:5], v[4:5], 0, 8
	s_cmp_eq_u32 s14, s15
	v_lshl_add_u64 v[6:7], v[6:7], 0, 8
	s_cbranch_scc1 .LBB384_69
.LBB384_37:                             ; =>This Inner Loop Header: Depth=1
	global_load_dword v24, v[6:7], off offset:-4
	v_mov_b32_e32 v1, 0
	s_waitcnt vmcnt(0)
	v_cmp_eq_u32_e32 vcc, v24, v10
	v_cmp_ne_u32_e64 s[0:1], v24, v10
	s_and_saveexec_b64 s[16:17], s[0:1]
	s_cbranch_execz .LBB384_51
; %bb.38:                               ;   in Loop: Header=BB384_37 Depth=1
	v_cmp_eq_u32_e64 s[0:1], v24, v23
	v_cmp_ne_u32_e64 s[2:3], v24, v23
	v_mov_b32_e32 v1, v20
	s_and_saveexec_b64 s[18:19], s[2:3]
	s_cbranch_execz .LBB384_50
; %bb.39:                               ;   in Loop: Header=BB384_37 Depth=1
	v_cmp_eq_u32_e64 s[2:3], v24, v22
	v_cmp_ne_u32_e64 s[4:5], v24, v22
	v_mov_b32_e32 v1, v18
	;; [unrolled: 6-line block ×6, first 2 shown]
	s_and_saveexec_b64 s[30:31], s[10:11]
	s_xor_b64 s[30:31], exec, s[30:31]
; %bb.44:                               ;   in Loop: Header=BB384_37 Depth=1
	v_cmp_eq_u32_e64 s[10:11], v24, v13
	s_andn2_b64 s[28:29], s[28:29], exec
	s_and_b64 s[10:11], s[10:11], exec
	s_or_b64 s[28:29], s[28:29], s[10:11]
	v_mov_b32_e32 v1, v11
; %bb.45:                               ;   in Loop: Header=BB384_37 Depth=1
	s_or_b64 exec, exec, s[30:31]
	s_andn2_b64 s[8:9], s[8:9], exec
	s_and_b64 s[10:11], s[28:29], exec
	s_or_b64 s[8:9], s[8:9], s[10:11]
.LBB384_46:                             ;   in Loop: Header=BB384_37 Depth=1
	s_or_b64 exec, exec, s[26:27]
	s_andn2_b64 s[6:7], s[6:7], exec
	s_and_b64 s[8:9], s[8:9], exec
	s_or_b64 s[6:7], s[6:7], s[8:9]
.LBB384_47:                             ;   in Loop: Header=BB384_37 Depth=1
	s_or_b64 exec, exec, s[24:25]
	s_andn2_b64 s[4:5], s[4:5], exec
	s_and_b64 s[6:7], s[6:7], exec
	s_or_b64 s[4:5], s[4:5], s[6:7]
.LBB384_48:                             ;   in Loop: Header=BB384_37 Depth=1
	s_or_b64 exec, exec, s[22:23]
	s_andn2_b64 s[2:3], s[2:3], exec
	s_and_b64 s[4:5], s[4:5], exec
	s_or_b64 s[2:3], s[2:3], s[4:5]
.LBB384_49:                             ;   in Loop: Header=BB384_37 Depth=1
	s_or_b64 exec, exec, s[20:21]
	s_andn2_b64 s[0:1], s[0:1], exec
	s_and_b64 s[2:3], s[2:3], exec
	s_or_b64 s[0:1], s[0:1], s[2:3]
.LBB384_50:                             ;   in Loop: Header=BB384_37 Depth=1
	s_or_b64 exec, exec, s[18:19]
	s_andn2_b64 s[2:3], vcc, exec
	s_and_b64 s[0:1], s[0:1], exec
	s_or_b64 vcc, s[2:3], s[0:1]
.LBB384_51:                             ;   in Loop: Header=BB384_37 Depth=1
	s_or_b64 exec, exec, s[16:17]
	s_and_saveexec_b64 s[0:1], vcc
	s_cbranch_execz .LBB384_53
; %bb.52:                               ;   in Loop: Header=BB384_37 Depth=1
	scratch_load_dword v1, v1, off
	v_add_u32_e32 v24, s15, v0
	v_ashrrev_i32_e32 v25, 31, v24
	v_lshl_add_u64 v[24:25], v[24:25], 2, s[12:13]
	s_waitcnt vmcnt(0)
	v_mul_f32_e32 v1, v8, v1
	global_store_dword v[24:25], v1, off
.LBB384_53:                             ;   in Loop: Header=BB384_37 Depth=1
	s_or_b64 exec, exec, s[0:1]
	global_load_dword v24, v[6:7], off
	v_mov_b32_e32 v1, 0
	s_waitcnt vmcnt(0)
	v_cmp_eq_u32_e64 s[8:9], v24, v10
	v_cmp_ne_u32_e32 vcc, v24, v10
	s_and_saveexec_b64 s[10:11], vcc
	s_cbranch_execz .LBB384_67
; %bb.54:                               ;   in Loop: Header=BB384_37 Depth=1
	v_cmp_eq_u32_e32 vcc, v24, v23
	v_cmp_ne_u32_e64 s[0:1], v24, v23
	v_mov_b32_e32 v1, v20
	s_and_saveexec_b64 s[16:17], s[0:1]
	s_cbranch_execz .LBB384_66
; %bb.55:                               ;   in Loop: Header=BB384_37 Depth=1
	v_cmp_eq_u32_e64 s[0:1], v24, v22
	v_cmp_ne_u32_e64 s[2:3], v24, v22
	v_mov_b32_e32 v1, v18
	s_and_saveexec_b64 s[18:19], s[2:3]
	s_cbranch_execz .LBB384_65
; %bb.56:                               ;   in Loop: Header=BB384_37 Depth=1
	v_cmp_eq_u32_e64 s[2:3], v24, v21
	;; [unrolled: 6-line block ×5, first 2 shown]
	v_cmp_ne_u32_e64 s[6:7], v24, v15
	v_mov_b32_e32 v1, v9
	s_and_saveexec_b64 s[30:31], s[6:7]
; %bb.60:                               ;   in Loop: Header=BB384_37 Depth=1
	v_cmp_eq_u32_e64 s[6:7], v24, v13
	s_andn2_b64 s[28:29], s[28:29], exec
	s_and_b64 s[6:7], s[6:7], exec
	s_or_b64 s[28:29], s[28:29], s[6:7]
	v_mov_b32_e32 v1, v11
; %bb.61:                               ;   in Loop: Header=BB384_37 Depth=1
	s_or_b64 exec, exec, s[30:31]
	s_andn2_b64 s[6:7], s[24:25], exec
	s_and_b64 s[24:25], s[28:29], exec
	s_or_b64 s[24:25], s[6:7], s[24:25]
.LBB384_62:                             ;   in Loop: Header=BB384_37 Depth=1
	s_or_b64 exec, exec, s[26:27]
	s_andn2_b64 s[4:5], s[4:5], exec
	s_and_b64 s[6:7], s[24:25], exec
	s_or_b64 s[4:5], s[4:5], s[6:7]
.LBB384_63:                             ;   in Loop: Header=BB384_37 Depth=1
	s_or_b64 exec, exec, s[22:23]
	s_andn2_b64 s[2:3], s[2:3], exec
	s_and_b64 s[4:5], s[4:5], exec
	s_or_b64 s[2:3], s[2:3], s[4:5]
.LBB384_64:                             ;   in Loop: Header=BB384_37 Depth=1
	s_or_b64 exec, exec, s[20:21]
	s_andn2_b64 s[0:1], s[0:1], exec
	s_and_b64 s[2:3], s[2:3], exec
	s_or_b64 s[0:1], s[0:1], s[2:3]
.LBB384_65:                             ;   in Loop: Header=BB384_37 Depth=1
	s_or_b64 exec, exec, s[18:19]
	s_andn2_b64 s[2:3], vcc, exec
	s_and_b64 s[0:1], s[0:1], exec
	s_or_b64 vcc, s[2:3], s[0:1]
.LBB384_66:                             ;   in Loop: Header=BB384_37 Depth=1
	s_or_b64 exec, exec, s[16:17]
	s_andn2_b64 s[0:1], s[8:9], exec
	s_and_b64 s[2:3], vcc, exec
	s_or_b64 s[8:9], s[0:1], s[2:3]
.LBB384_67:                             ;   in Loop: Header=BB384_37 Depth=1
	s_or_b64 exec, exec, s[10:11]
	s_and_saveexec_b64 s[0:1], s[8:9]
	s_cbranch_execz .LBB384_36
; %bb.68:                               ;   in Loop: Header=BB384_37 Depth=1
	scratch_load_dword v1, v1, off
	s_waitcnt vmcnt(0)
	v_mul_f32_e32 v1, v8, v1
	global_store_dword v[4:5], v1, off
	s_branch .LBB384_36
.LBB384_69:
	s_bitcmp0_b32 s33, 0
	s_mov_b32 s15, 0
	s_cbranch_scc1 .LBB384_31
; %bb.70:
	v_lshl_add_u64 v[2:3], s[14:15], 2, v[2:3]
	global_load_dword v1, v[2:3], off
	v_mov_b32_e32 v2, 0
	s_waitcnt vmcnt(0)
	v_cmp_eq_u32_e64 s[8:9], v1, v10
	v_cmp_ne_u32_e32 vcc, v1, v10
	s_and_saveexec_b64 s[10:11], vcc
	s_cbranch_execz .LBB384_84
; %bb.71:
	v_cmp_eq_u32_e32 vcc, v1, v23
	v_cmp_ne_u32_e64 s[0:1], v1, v23
	s_and_saveexec_b64 s[16:17], s[0:1]
	s_cbranch_execz .LBB384_83
; %bb.72:
	v_cmp_eq_u32_e64 s[0:1], v1, v22
	v_cmp_ne_u32_e64 s[2:3], v1, v22
	s_and_saveexec_b64 s[18:19], s[2:3]
	s_cbranch_execz .LBB384_82
; %bb.73:
	v_cmp_eq_u32_e64 s[2:3], v1, v21
	;; [unrolled: 5-line block ×5, first 2 shown]
	v_cmp_ne_u32_e64 s[6:7], v1, v15
	s_and_saveexec_b64 s[30:31], s[6:7]
; %bb.77:
	v_cmp_eq_u32_e64 s[6:7], v1, v13
	s_andn2_b64 s[28:29], s[28:29], exec
	s_and_b64 s[6:7], s[6:7], exec
	s_or_b64 s[28:29], s[28:29], s[6:7]
	v_mov_b32_e32 v9, v11
; %bb.78:
	s_or_b64 exec, exec, s[30:31]
	s_andn2_b64 s[6:7], s[24:25], exec
	s_and_b64 s[24:25], s[28:29], exec
	s_or_b64 s[24:25], s[6:7], s[24:25]
	v_mov_b32_e32 v12, v9
.LBB384_79:
	s_or_b64 exec, exec, s[26:27]
	s_andn2_b64 s[4:5], s[4:5], exec
	s_and_b64 s[6:7], s[24:25], exec
	s_or_b64 s[4:5], s[4:5], s[6:7]
	v_mov_b32_e32 v14, v12
.LBB384_80:
	s_or_b64 exec, exec, s[22:23]
	s_andn2_b64 s[2:3], s[2:3], exec
	s_and_b64 s[4:5], s[4:5], exec
	s_or_b64 s[2:3], s[2:3], s[4:5]
	v_mov_b32_e32 v16, v14
.LBB384_81:
	s_or_b64 exec, exec, s[20:21]
	s_andn2_b64 s[0:1], s[0:1], exec
	s_and_b64 s[2:3], s[2:3], exec
	s_or_b64 s[0:1], s[0:1], s[2:3]
	v_mov_b32_e32 v18, v16
.LBB384_82:
	s_or_b64 exec, exec, s[18:19]
	s_andn2_b64 s[2:3], vcc, exec
	s_and_b64 s[0:1], s[0:1], exec
	s_or_b64 vcc, s[2:3], s[0:1]
	v_mov_b32_e32 v20, v18
.LBB384_83:
	s_or_b64 exec, exec, s[16:17]
	s_andn2_b64 s[0:1], s[8:9], exec
	s_and_b64 s[2:3], vcc, exec
	s_or_b64 s[8:9], s[0:1], s[2:3]
	v_mov_b32_e32 v2, v20
.LBB384_84:
	s_or_b64 exec, exec, s[10:11]
	s_and_b64 exec, exec, s[8:9]
	s_cbranch_execz .LBB384_31
; %bb.85:
	scratch_load_dword v2, v2, off
	v_add_u32_e32 v0, s14, v0
	v_ashrrev_i32_e32 v1, 31, v0
	s_waitcnt lgkmcnt(0)
	v_lshl_add_u64 v[0:1], v[0:1], 2, s[12:13]
	s_waitcnt vmcnt(0)
	v_mul_f32_e32 v2, v8, v2
	global_store_dword v[0:1], v2, off
	s_endpgm
	.section	.rodata,"a",@progbits
	.p2align	6, 0x0
	.amdhsa_kernel _ZN4vllm3moe22topkGatingSoftplusSqrtILi8ELi64ELi4ELi16ELi64ELb1Ei14__hip_bfloat16EEvPKT6_PKbPfiPT5_PiiiibdPKfPKS9_SF_
		.amdhsa_group_segment_fixed_size 0
		.amdhsa_private_segment_fixed_size 48
		.amdhsa_kernarg_size 96
		.amdhsa_user_sgpr_count 2
		.amdhsa_user_sgpr_dispatch_ptr 0
		.amdhsa_user_sgpr_queue_ptr 0
		.amdhsa_user_sgpr_kernarg_segment_ptr 1
		.amdhsa_user_sgpr_dispatch_id 0
		.amdhsa_user_sgpr_kernarg_preload_length 0
		.amdhsa_user_sgpr_kernarg_preload_offset 0
		.amdhsa_user_sgpr_private_segment_size 0
		.amdhsa_uses_dynamic_stack 0
		.amdhsa_enable_private_segment 1
		.amdhsa_system_sgpr_workgroup_id_x 1
		.amdhsa_system_sgpr_workgroup_id_y 0
		.amdhsa_system_sgpr_workgroup_id_z 0
		.amdhsa_system_sgpr_workgroup_info 0
		.amdhsa_system_vgpr_workitem_id 1
		.amdhsa_next_free_vgpr 28
		.amdhsa_next_free_sgpr 34
		.amdhsa_accum_offset 28
		.amdhsa_reserve_vcc 1
		.amdhsa_float_round_mode_32 0
		.amdhsa_float_round_mode_16_64 0
		.amdhsa_float_denorm_mode_32 3
		.amdhsa_float_denorm_mode_16_64 3
		.amdhsa_dx10_clamp 1
		.amdhsa_ieee_mode 1
		.amdhsa_fp16_overflow 0
		.amdhsa_tg_split 0
		.amdhsa_exception_fp_ieee_invalid_op 0
		.amdhsa_exception_fp_denorm_src 0
		.amdhsa_exception_fp_ieee_div_zero 0
		.amdhsa_exception_fp_ieee_overflow 0
		.amdhsa_exception_fp_ieee_underflow 0
		.amdhsa_exception_fp_ieee_inexact 0
		.amdhsa_exception_int_div_zero 0
	.end_amdhsa_kernel
	.section	.text._ZN4vllm3moe22topkGatingSoftplusSqrtILi8ELi64ELi4ELi16ELi64ELb1Ei14__hip_bfloat16EEvPKT6_PKbPfiPT5_PiiiibdPKfPKS9_SF_,"axG",@progbits,_ZN4vllm3moe22topkGatingSoftplusSqrtILi8ELi64ELi4ELi16ELi64ELb1Ei14__hip_bfloat16EEvPKT6_PKbPfiPT5_PiiiibdPKfPKS9_SF_,comdat
.Lfunc_end384:
	.size	_ZN4vllm3moe22topkGatingSoftplusSqrtILi8ELi64ELi4ELi16ELi64ELb1Ei14__hip_bfloat16EEvPKT6_PKbPfiPT5_PiiiibdPKfPKS9_SF_, .Lfunc_end384-_ZN4vllm3moe22topkGatingSoftplusSqrtILi8ELi64ELi4ELi16ELi64ELb1Ei14__hip_bfloat16EEvPKT6_PKbPfiPT5_PiiiibdPKfPKS9_SF_
                                        ; -- End function
	.section	.AMDGPU.csdata,"",@progbits
; Kernel info:
; codeLenInByte = 4496
; NumSgprs: 40
; NumVgprs: 28
; NumAgprs: 0
; TotalNumVgprs: 28
; ScratchSize: 48
; MemoryBound: 0
; FloatMode: 240
; IeeeMode: 1
; LDSByteSize: 0 bytes/workgroup (compile time only)
; SGPRBlocks: 4
; VGPRBlocks: 3
; NumSGPRsForWavesPerEU: 40
; NumVGPRsForWavesPerEU: 28
; AccumOffset: 28
; Occupancy: 8
; WaveLimiterHint : 1
; COMPUTE_PGM_RSRC2:SCRATCH_EN: 1
; COMPUTE_PGM_RSRC2:USER_SGPR: 2
; COMPUTE_PGM_RSRC2:TRAP_HANDLER: 0
; COMPUTE_PGM_RSRC2:TGID_X_EN: 1
; COMPUTE_PGM_RSRC2:TGID_Y_EN: 0
; COMPUTE_PGM_RSRC2:TGID_Z_EN: 0
; COMPUTE_PGM_RSRC2:TIDIG_COMP_CNT: 1
; COMPUTE_PGM_RSRC3_GFX90A:ACCUM_OFFSET: 6
; COMPUTE_PGM_RSRC3_GFX90A:TG_SPLIT: 0
	.section	.text._ZN4vllm3moe22topkGatingSoftplusSqrtILi8ELi64ELi4ELi16ELi64ELb0Ei14__hip_bfloat16EEvPKT6_PKbPfiPT5_PiiiibdPKfPKS9_SF_,"axG",@progbits,_ZN4vllm3moe22topkGatingSoftplusSqrtILi8ELi64ELi4ELi16ELi64ELb0Ei14__hip_bfloat16EEvPKT6_PKbPfiPT5_PiiiibdPKfPKS9_SF_,comdat
	.protected	_ZN4vllm3moe22topkGatingSoftplusSqrtILi8ELi64ELi4ELi16ELi64ELb0Ei14__hip_bfloat16EEvPKT6_PKbPfiPT5_PiiiibdPKfPKS9_SF_ ; -- Begin function _ZN4vllm3moe22topkGatingSoftplusSqrtILi8ELi64ELi4ELi16ELi64ELb0Ei14__hip_bfloat16EEvPKT6_PKbPfiPT5_PiiiibdPKfPKS9_SF_
	.globl	_ZN4vllm3moe22topkGatingSoftplusSqrtILi8ELi64ELi4ELi16ELi64ELb0Ei14__hip_bfloat16EEvPKT6_PKbPfiPT5_PiiiibdPKfPKS9_SF_
	.p2align	8
	.type	_ZN4vllm3moe22topkGatingSoftplusSqrtILi8ELi64ELi4ELi16ELi64ELb0Ei14__hip_bfloat16EEvPKT6_PKbPfiPT5_PiiiibdPKfPKS9_SF_,@function
_ZN4vllm3moe22topkGatingSoftplusSqrtILi8ELi64ELi4ELi16ELi64ELb0Ei14__hip_bfloat16EEvPKT6_PKbPfiPT5_PiiiibdPKfPKS9_SF_: ; @_ZN4vllm3moe22topkGatingSoftplusSqrtILi8ELi64ELi4ELi16ELi64ELb0Ei14__hip_bfloat16EEvPKT6_PKbPfiPT5_PiiiibdPKfPKS9_SF_
; %bb.0:
	s_load_dword s33, s[0:1], 0x18
	v_bfe_u32 v1, v0, 10, 10
	v_and_b32_e32 v0, 0x3ff, v0
	s_lshl_b32 s2, s2, 5
	v_lshlrev_b32_e32 v1, 3, v1
	v_lshrrev_b32_e32 v2, 3, v0
	v_add3_u32 v8, s2, v1, v2
	s_waitcnt lgkmcnt(0)
	v_cmp_gt_i32_e32 vcc, s33, v8
	s_and_saveexec_b64 s[2:3], vcc
	s_cbranch_execz .LBB385_57
; %bb.1:
	s_load_dwordx4 s[4:7], s[0:1], 0x0
	s_load_dwordx2 s[34:35], s[0:1], 0x10
	s_waitcnt lgkmcnt(0)
	s_cmp_eq_u64 s[6:7], 0
	s_cbranch_scc1 .LBB385_3
; %bb.2:
	v_ashrrev_i32_e32 v9, 31, v8
	v_lshl_add_u64 v[2:3], s[6:7], 0, v[8:9]
	global_load_ubyte v1, v[2:3], off
	s_waitcnt vmcnt(0)
	v_and_b32_e32 v1, 1, v1
	v_cmp_eq_u32_e32 vcc, 1, v1
	s_xor_b64 s[2:3], vcc, -1
	s_orn2_b64 s[36:37], s[2:3], exec
	s_branch .LBB385_4
.LBB385_3:
	s_mov_b64 s[36:37], -1
.LBB385_4:
	v_lshlrev_b32_e32 v4, 6, v8
	v_mov_b32_e32 v2, s4
	v_mov_b32_e32 v3, s5
	v_ashrrev_i32_e32 v5, 31, v4
	v_and_b32_e32 v9, 7, v0
	v_lshl_add_u64 v[2:3], v[4:5], 1, v[2:3]
	v_mov_b32_e32 v1, 0
	v_lshlrev_b32_e32 v0, 4, v9
	v_lshl_add_u64 v[0:1], v[2:3], 0, v[0:1]
	global_load_dwordx4 v[4:7], v[0:1], off
	s_mov_b32 s12, 0x800000
	v_mov_b32_e32 v2, 0x4f800000
	s_mov_b32 s9, 0x3f317217
	s_mov_b32 s10, 0x7f800000
	v_mov_b32_e32 v3, 0x41b17218
	s_mov_b32 s8, 0x41a00000
	s_mov_b32 s11, 0xf800000
	s_load_dwordx4 s[20:23], s[0:1], 0x40
	v_lshlrev_b32_e32 v12, 3, v9
	s_waitcnt lgkmcnt(0)
	s_cmp_lg_u64 s[22:23], 0
	s_cselect_b64 s[6:7], -1, 0
	s_and_b64 s[2:3], exec, s[6:7]
	s_waitcnt vmcnt(0)
	v_lshlrev_b32_e32 v0, 16, v4
	v_mul_f32_e32 v1, 0x3fb8aa3b, v0
	v_exp_f32_e32 v10, v1
	v_mov_b32_e32 v1, 0x260
	v_add_f32_e32 v10, 1.0, v10
	v_cmp_gt_f32_e32 vcc, s12, v10
	s_nop 1
	v_cndmask_b32_e32 v11, 1.0, v2, vcc
	v_mul_f32_e32 v10, v10, v11
	v_log_f32_e32 v11, v10
	v_cndmask_b32_e32 v13, 0, v3, vcc
	v_lshlrev_b32_e32 v10, 2, v12
	v_mul_f32_e32 v14, 0x3f317217, v11
	v_fma_f32 v14, v11, s9, -v14
	v_fmac_f32_e32 v14, 0x3377d1cf, v11
	v_fmac_f32_e32 v14, 0x3f317217, v11
	v_cmp_lt_f32_e64 vcc, |v11|, s10
	s_nop 1
	v_cndmask_b32_e32 v11, v11, v14, vcc
	v_sub_f32_e32 v11, v11, v13
	v_cmp_lt_f32_e32 vcc, s8, v0
	s_nop 1
	v_cndmask_b32_e32 v0, v11, v0, vcc
	v_mul_f32_e32 v11, 0x4f800000, v0
	v_cmp_gt_f32_e32 vcc, s11, v0
	s_nop 1
	v_cndmask_b32_e32 v0, v0, v11, vcc
	v_sqrt_f32_e32 v11, v0
	s_nop 0
	v_add_u32_e32 v13, -1, v11
	v_add_u32_e32 v14, 1, v11
	v_fma_f32 v15, -v13, v11, v0
	v_fma_f32 v16, -v14, v11, v0
	v_cmp_ge_f32_e64 s[4:5], 0, v15
	s_nop 1
	v_cndmask_b32_e64 v11, v11, v13, s[4:5]
	v_cmp_lt_f32_e64 s[4:5], 0, v16
	s_nop 1
	v_cndmask_b32_e64 v11, v11, v14, s[4:5]
	v_mul_f32_e32 v13, 0x37800000, v11
	v_cndmask_b32_e32 v11, v11, v13, vcc
	v_cmp_class_f32_e32 vcc, v0, v1
	s_nop 1
	v_cndmask_b32_e32 v0, v11, v0, vcc
	s_mov_b64 vcc, s[2:3]
	s_cbranch_vccz .LBB385_6
; %bb.5:
	global_load_dword v11, v10, s[22:23]
	s_waitcnt vmcnt(0)
	v_add_f32_e32 v0, v0, v11
.LBB385_6:
	v_and_b32_e32 v4, 0xffff0000, v4
	v_mul_f32_e32 v11, 0x3fb8aa3b, v4
	v_exp_f32_e32 v11, v11
	s_nop 0
	v_add_f32_e32 v11, 1.0, v11
	v_cmp_gt_f32_e32 vcc, s12, v11
	s_nop 1
	v_cndmask_b32_e32 v2, 1.0, v2, vcc
	v_mul_f32_e32 v2, v11, v2
	v_log_f32_e32 v2, v2
	v_cndmask_b32_e32 v3, 0, v3, vcc
	v_mul_f32_e32 v11, 0x3f317217, v2
	v_fma_f32 v11, v2, s9, -v11
	v_fmac_f32_e32 v11, 0x3377d1cf, v2
	v_fmac_f32_e32 v11, 0x3f317217, v2
	v_cmp_lt_f32_e64 vcc, |v2|, s10
	s_nop 1
	v_cndmask_b32_e32 v2, v2, v11, vcc
	v_sub_f32_e32 v2, v2, v3
	v_cmp_lt_f32_e32 vcc, s8, v4
	s_nop 1
	v_cndmask_b32_e32 v2, v2, v4, vcc
	v_mul_f32_e32 v3, 0x4f800000, v2
	v_cmp_gt_f32_e32 vcc, s11, v2
	s_nop 1
	v_cndmask_b32_e32 v2, v2, v3, vcc
	v_sqrt_f32_e32 v3, v2
	v_cmp_class_f32_e64 s[4:5], v2, v1
	v_add_u32_e32 v4, -1, v3
	v_add_u32_e32 v11, 1, v3
	v_fma_f32 v13, -v4, v3, v2
	v_fma_f32 v14, -v11, v3, v2
	v_cmp_ge_f32_e64 s[2:3], 0, v13
	s_nop 1
	v_cndmask_b32_e64 v3, v3, v4, s[2:3]
	v_cmp_lt_f32_e64 s[2:3], 0, v14
	s_nop 1
	v_cndmask_b32_e64 v3, v3, v11, s[2:3]
	v_mul_f32_e32 v4, 0x37800000, v3
	v_cndmask_b32_e32 v3, v3, v4, vcc
	v_cndmask_b32_e64 v4, 0, 1, s[6:7]
	v_cmp_ne_u32_e64 s[2:3], 1, v4
	s_andn2_b64 vcc, exec, s[6:7]
	v_cndmask_b32_e64 v1, v3, v2, s[4:5]
	s_cbranch_vccnz .LBB385_8
; %bb.7:
	global_load_dword v2, v10, s[22:23] offset:4
	s_waitcnt vmcnt(0)
	v_add_f32_e32 v1, v1, v2
.LBB385_8:
	v_lshlrev_b32_e32 v2, 16, v5
	v_mul_f32_e32 v3, 0x3fb8aa3b, v2
	v_exp_f32_e32 v3, v3
	s_mov_b32 s10, 0x800000
	v_mov_b32_e32 v4, 0x4f800000
	s_mov_b32 s7, 0x3f317217
	v_add_f32_e32 v3, 1.0, v3
	v_cmp_gt_f32_e32 vcc, s10, v3
	s_mov_b32 s8, 0x7f800000
	s_mov_b32 s6, 0x41a00000
	v_cndmask_b32_e32 v11, 1.0, v4, vcc
	v_mul_f32_e32 v3, v3, v11
	v_log_f32_e32 v3, v3
	s_mov_b32 s9, 0xf800000
	v_mul_f32_e32 v11, 0x3f317217, v3
	v_fma_f32 v11, v3, s7, -v11
	v_fmac_f32_e32 v11, 0x3377d1cf, v3
	v_fmac_f32_e32 v11, 0x3f317217, v3
	v_cmp_lt_f32_e64 s[4:5], |v3|, s8
	s_nop 1
	v_cndmask_b32_e64 v3, v3, v11, s[4:5]
	v_mov_b32_e32 v11, 0x41b17218
	v_cndmask_b32_e32 v13, 0, v11, vcc
	v_sub_f32_e32 v3, v3, v13
	v_cmp_lt_f32_e32 vcc, s6, v2
	s_nop 1
	v_cndmask_b32_e32 v2, v3, v2, vcc
	v_mul_f32_e32 v3, 0x4f800000, v2
	v_cmp_gt_f32_e32 vcc, s9, v2
	s_nop 1
	v_cndmask_b32_e32 v2, v2, v3, vcc
	v_sqrt_f32_e32 v3, v2
	s_nop 0
	v_add_u32_e32 v13, -1, v3
	v_fma_f32 v14, -v13, v3, v2
	v_cmp_ge_f32_e64 s[4:5], 0, v14
	v_add_u32_e32 v14, 1, v3
	s_nop 0
	v_cndmask_b32_e64 v13, v3, v13, s[4:5]
	v_fma_f32 v3, -v14, v3, v2
	v_cmp_lt_f32_e64 s[4:5], 0, v3
	s_nop 1
	v_cndmask_b32_e64 v3, v13, v14, s[4:5]
	v_mul_f32_e32 v13, 0x37800000, v3
	v_cndmask_b32_e32 v13, v3, v13, vcc
	v_mov_b32_e32 v3, 0x260
	v_cmp_class_f32_e64 s[4:5], v2, v3
	s_and_b64 vcc, exec, s[2:3]
	s_nop 0
	v_cndmask_b32_e64 v2, v13, v2, s[4:5]
	s_cbranch_vccnz .LBB385_10
; %bb.9:
	global_load_dword v13, v10, s[22:23] offset:8
	s_waitcnt vmcnt(0)
	v_add_f32_e32 v2, v2, v13
.LBB385_10:
	v_and_b32_e32 v5, 0xffff0000, v5
	v_mul_f32_e32 v13, 0x3fb8aa3b, v5
	v_exp_f32_e32 v13, v13
	s_nop 0
	v_add_f32_e32 v13, 1.0, v13
	v_cmp_gt_f32_e32 vcc, s10, v13
	s_nop 1
	v_cndmask_b32_e32 v4, 1.0, v4, vcc
	v_mul_f32_e32 v4, v13, v4
	v_log_f32_e32 v4, v4
	v_cndmask_b32_e32 v11, 0, v11, vcc
	v_mul_f32_e32 v13, 0x3f317217, v4
	v_fma_f32 v13, v4, s7, -v13
	v_fmac_f32_e32 v13, 0x3377d1cf, v4
	v_fmac_f32_e32 v13, 0x3f317217, v4
	v_cmp_lt_f32_e64 vcc, |v4|, s8
	s_nop 1
	v_cndmask_b32_e32 v4, v4, v13, vcc
	v_sub_f32_e32 v4, v4, v11
	v_cmp_lt_f32_e32 vcc, s6, v5
	s_nop 1
	v_cndmask_b32_e32 v4, v4, v5, vcc
	v_mul_f32_e32 v5, 0x4f800000, v4
	v_cmp_gt_f32_e32 vcc, s9, v4
	s_nop 1
	v_cndmask_b32_e32 v4, v4, v5, vcc
	v_sqrt_f32_e32 v5, v4
	s_nop 0
	v_add_u32_e32 v11, -1, v5
	v_add_u32_e32 v13, 1, v5
	v_fma_f32 v14, -v11, v5, v4
	v_fma_f32 v15, -v13, v5, v4
	v_cmp_ge_f32_e64 s[4:5], 0, v14
	s_nop 1
	v_cndmask_b32_e64 v5, v5, v11, s[4:5]
	v_cmp_lt_f32_e64 s[4:5], 0, v15
	s_nop 1
	v_cndmask_b32_e64 v5, v5, v13, s[4:5]
	v_mul_f32_e32 v11, 0x37800000, v5
	v_cndmask_b32_e32 v5, v5, v11, vcc
	v_cmp_class_f32_e64 s[4:5], v4, v3
	s_and_b64 vcc, exec, s[2:3]
	s_nop 0
	v_cndmask_b32_e64 v3, v5, v4, s[4:5]
	s_cbranch_vccnz .LBB385_12
; %bb.11:
	global_load_dword v4, v10, s[22:23] offset:12
	s_waitcnt vmcnt(0)
	v_add_f32_e32 v3, v3, v4
.LBB385_12:
	v_lshlrev_b32_e32 v4, 16, v6
	v_mul_f32_e32 v5, 0x3fb8aa3b, v4
	v_exp_f32_e32 v5, v5
	v_mov_b32_e32 v11, 0x4f800000
	v_add_f32_e32 v5, 1.0, v5
	v_cmp_gt_f32_e32 vcc, s10, v5
	s_nop 1
	v_cndmask_b32_e32 v13, 1.0, v11, vcc
	v_mul_f32_e32 v5, v5, v13
	v_log_f32_e32 v5, v5
	s_nop 0
	v_mul_f32_e32 v13, 0x3f317217, v5
	v_fma_f32 v13, v5, s7, -v13
	v_fmac_f32_e32 v13, 0x3377d1cf, v5
	v_fmac_f32_e32 v13, 0x3f317217, v5
	v_cmp_lt_f32_e64 s[4:5], |v5|, s8
	s_nop 1
	v_cndmask_b32_e64 v5, v5, v13, s[4:5]
	v_mov_b32_e32 v13, 0x41b17218
	v_cndmask_b32_e32 v14, 0, v13, vcc
	v_sub_f32_e32 v5, v5, v14
	v_cmp_lt_f32_e32 vcc, s6, v4
	s_nop 1
	v_cndmask_b32_e32 v4, v5, v4, vcc
	v_mul_f32_e32 v5, 0x4f800000, v4
	v_cmp_gt_f32_e32 vcc, s9, v4
	s_nop 1
	v_cndmask_b32_e32 v4, v4, v5, vcc
	v_sqrt_f32_e32 v5, v4
	s_nop 0
	v_add_u32_e32 v14, -1, v5
	v_fma_f32 v15, -v14, v5, v4
	v_cmp_ge_f32_e64 s[4:5], 0, v15
	v_add_u32_e32 v15, 1, v5
	s_nop 0
	v_cndmask_b32_e64 v14, v5, v14, s[4:5]
	v_fma_f32 v5, -v15, v5, v4
	v_cmp_lt_f32_e64 s[4:5], 0, v5
	s_nop 1
	v_cndmask_b32_e64 v5, v14, v15, s[4:5]
	v_mul_f32_e32 v14, 0x37800000, v5
	v_cndmask_b32_e32 v14, v5, v14, vcc
	v_mov_b32_e32 v5, 0x260
	v_cmp_class_f32_e64 s[4:5], v4, v5
	s_and_b64 vcc, exec, s[2:3]
	s_nop 0
	v_cndmask_b32_e64 v4, v14, v4, s[4:5]
	s_cbranch_vccnz .LBB385_14
; %bb.13:
	global_load_dword v14, v10, s[22:23] offset:16
	s_waitcnt vmcnt(0)
	v_add_f32_e32 v4, v4, v14
.LBB385_14:
	v_and_b32_e32 v6, 0xffff0000, v6
	v_mul_f32_e32 v14, 0x3fb8aa3b, v6
	v_exp_f32_e32 v14, v14
	s_nop 0
	v_add_f32_e32 v14, 1.0, v14
	v_cmp_gt_f32_e32 vcc, s10, v14
	s_nop 1
	v_cndmask_b32_e32 v11, 1.0, v11, vcc
	v_mul_f32_e32 v11, v14, v11
	v_log_f32_e32 v11, v11
	v_cndmask_b32_e32 v13, 0, v13, vcc
	v_mul_f32_e32 v14, 0x3f317217, v11
	v_fma_f32 v14, v11, s7, -v14
	v_fmac_f32_e32 v14, 0x3377d1cf, v11
	v_fmac_f32_e32 v14, 0x3f317217, v11
	v_cmp_lt_f32_e64 vcc, |v11|, s8
	s_nop 1
	v_cndmask_b32_e32 v11, v11, v14, vcc
	v_sub_f32_e32 v11, v11, v13
	v_cmp_lt_f32_e32 vcc, s6, v6
	s_nop 1
	v_cndmask_b32_e32 v6, v11, v6, vcc
	v_mul_f32_e32 v11, 0x4f800000, v6
	v_cmp_gt_f32_e32 vcc, s9, v6
	s_nop 1
	v_cndmask_b32_e32 v6, v6, v11, vcc
	v_sqrt_f32_e32 v11, v6
	s_nop 0
	v_add_u32_e32 v13, -1, v11
	v_add_u32_e32 v14, 1, v11
	v_fma_f32 v15, -v13, v11, v6
	v_fma_f32 v16, -v14, v11, v6
	v_cmp_ge_f32_e64 s[4:5], 0, v15
	s_nop 1
	v_cndmask_b32_e64 v11, v11, v13, s[4:5]
	v_cmp_lt_f32_e64 s[4:5], 0, v16
	s_nop 1
	v_cndmask_b32_e64 v11, v11, v14, s[4:5]
	v_mul_f32_e32 v13, 0x37800000, v11
	v_cndmask_b32_e32 v11, v11, v13, vcc
	v_cmp_class_f32_e64 s[4:5], v6, v5
	s_and_b64 vcc, exec, s[2:3]
	s_nop 0
	v_cndmask_b32_e64 v5, v11, v6, s[4:5]
	s_cbranch_vccnz .LBB385_16
; %bb.15:
	global_load_dword v6, v10, s[22:23] offset:20
	s_waitcnt vmcnt(0)
	v_add_f32_e32 v5, v5, v6
.LBB385_16:
	v_lshlrev_b32_e32 v6, 16, v7
	v_mul_f32_e32 v11, 0x3fb8aa3b, v6
	v_exp_f32_e32 v11, v11
	v_mov_b32_e32 v13, 0x4f800000
	v_add_f32_e32 v11, 1.0, v11
	v_cmp_gt_f32_e32 vcc, s10, v11
	s_nop 1
	v_cndmask_b32_e32 v14, 1.0, v13, vcc
	v_mul_f32_e32 v11, v11, v14
	v_log_f32_e32 v11, v11
	s_nop 0
	v_mul_f32_e32 v14, 0x3f317217, v11
	v_fma_f32 v14, v11, s7, -v14
	v_fmac_f32_e32 v14, 0x3377d1cf, v11
	v_fmac_f32_e32 v14, 0x3f317217, v11
	v_cmp_lt_f32_e64 s[4:5], |v11|, s8
	s_nop 1
	v_cndmask_b32_e64 v11, v11, v14, s[4:5]
	v_mov_b32_e32 v14, 0x41b17218
	v_cndmask_b32_e32 v15, 0, v14, vcc
	v_sub_f32_e32 v11, v11, v15
	v_cmp_lt_f32_e32 vcc, s6, v6
	s_nop 1
	v_cndmask_b32_e32 v6, v11, v6, vcc
	v_mul_f32_e32 v11, 0x4f800000, v6
	v_cmp_gt_f32_e32 vcc, s9, v6
	s_nop 1
	v_cndmask_b32_e32 v6, v6, v11, vcc
	v_sqrt_f32_e32 v11, v6
	s_nop 0
	v_add_u32_e32 v15, -1, v11
	v_fma_f32 v16, -v15, v11, v6
	v_cmp_ge_f32_e64 s[4:5], 0, v16
	v_add_u32_e32 v16, 1, v11
	s_nop 0
	v_cndmask_b32_e64 v15, v11, v15, s[4:5]
	v_fma_f32 v11, -v16, v11, v6
	v_cmp_lt_f32_e64 s[4:5], 0, v11
	s_nop 1
	v_cndmask_b32_e64 v11, v15, v16, s[4:5]
	v_mul_f32_e32 v15, 0x37800000, v11
	v_cndmask_b32_e32 v15, v11, v15, vcc
	v_mov_b32_e32 v11, 0x260
	v_cmp_class_f32_e64 s[4:5], v6, v11
	s_and_b64 vcc, exec, s[2:3]
	s_nop 0
	v_cndmask_b32_e64 v6, v15, v6, s[4:5]
	s_cbranch_vccnz .LBB385_18
; %bb.17:
	global_load_dword v15, v10, s[22:23] offset:24
	s_waitcnt vmcnt(0)
	v_add_f32_e32 v6, v6, v15
.LBB385_18:
	v_and_b32_e32 v7, 0xffff0000, v7
	v_mul_f32_e32 v15, 0x3fb8aa3b, v7
	v_exp_f32_e32 v15, v15
	s_nop 0
	v_add_f32_e32 v15, 1.0, v15
	v_cmp_gt_f32_e32 vcc, s10, v15
	s_nop 1
	v_cndmask_b32_e32 v13, 1.0, v13, vcc
	v_mul_f32_e32 v13, v15, v13
	v_log_f32_e32 v13, v13
	v_cndmask_b32_e32 v14, 0, v14, vcc
	v_mul_f32_e32 v15, 0x3f317217, v13
	v_fma_f32 v15, v13, s7, -v15
	v_fmac_f32_e32 v15, 0x3377d1cf, v13
	v_fmac_f32_e32 v15, 0x3f317217, v13
	v_cmp_lt_f32_e64 vcc, |v13|, s8
	s_nop 1
	v_cndmask_b32_e32 v13, v13, v15, vcc
	v_sub_f32_e32 v13, v13, v14
	v_cmp_lt_f32_e32 vcc, s6, v7
	s_nop 1
	v_cndmask_b32_e32 v7, v13, v7, vcc
	v_mul_f32_e32 v13, 0x4f800000, v7
	v_cmp_gt_f32_e32 vcc, s9, v7
	s_nop 1
	v_cndmask_b32_e32 v7, v7, v13, vcc
	v_sqrt_f32_e32 v13, v7
	s_nop 0
	v_add_u32_e32 v14, -1, v13
	v_add_u32_e32 v15, 1, v13
	v_fma_f32 v16, -v14, v13, v7
	v_fma_f32 v17, -v15, v13, v7
	v_cmp_ge_f32_e64 s[4:5], 0, v16
	s_nop 1
	v_cndmask_b32_e64 v13, v13, v14, s[4:5]
	v_cmp_lt_f32_e64 s[4:5], 0, v17
	s_nop 1
	v_cndmask_b32_e64 v13, v13, v15, s[4:5]
	v_mul_f32_e32 v14, 0x37800000, v13
	v_cndmask_b32_e32 v13, v13, v14, vcc
	v_cmp_class_f32_e64 s[4:5], v7, v11
	s_and_b64 vcc, exec, s[2:3]
	s_nop 0
	v_cndmask_b32_e64 v7, v13, v7, s[4:5]
	s_cbranch_vccnz .LBB385_20
; %bb.19:
	global_load_dword v10, v10, s[22:23] offset:28
	s_waitcnt vmcnt(0)
	v_add_f32_e32 v7, v7, v10
.LBB385_20:
	s_load_dwordx4 s[24:27], s[0:1], 0x30
	s_mov_b32 s42, 0
	v_cmp_eq_u32_e64 s[6:7], 0, v9
	s_waitcnt lgkmcnt(0)
	s_bitcmp1_b32 s27, 0
	s_cselect_b64 s[4:5], -1, 0
	s_cmp_gt_i32 s24, 0
	s_cselect_b64 s[38:39], -1, 0
	s_and_b64 vcc, exec, s[38:39]
	s_cbranch_vccz .LBB385_43
; %bb.21:
	v_mbcnt_lo_u32_b32 v10, -1, 0
	v_mbcnt_hi_u32_b32 v10, -1, v10
	v_and_b32_e32 v11, 0x78, v10
	v_add_u32_e32 v11, 8, v11
	v_xor_b32_e32 v13, 4, v10
	v_cmp_lt_i32_e32 vcc, v13, v11
	s_load_dwordx4 s[28:31], s[0:1], 0x20
	v_mul_lo_u32 v14, v8, s24
	v_cndmask_b32_e32 v13, v10, v13, vcc
	v_lshlrev_b32_e32 v15, 2, v13
	v_xor_b32_e32 v13, 2, v10
	v_cmp_lt_i32_e32 vcc, v13, v11
	v_mov_b32_e32 v18, 0xc61c4000
	v_mov_b32_e32 v19, v8
	v_cndmask_b32_e32 v13, v10, v13, vcc
	v_lshlrev_b32_e32 v16, 2, v13
	v_xor_b32_e32 v13, 1, v10
	v_cmp_lt_i32_e32 vcc, v13, v11
	s_nop 1
	v_cndmask_b32_e32 v10, v10, v13, vcc
	v_lshlrev_b32_e32 v17, 2, v10
	v_mov_b32_e32 v13, 0
	s_branch .LBB385_24
.LBB385_22:                             ;   in Loop: Header=BB385_24 Depth=1
	s_or_b64 exec, exec, s[40:41]
.LBB385_23:                             ;   in Loop: Header=BB385_24 Depth=1
	s_cmp_eq_u32 s24, s42
	v_add_u32_e32 v19, s33, v19
	s_cbranch_scc1 .LBB385_44
.LBB385_24:                             ; =>This Inner Loop Header: Depth=1
	v_cmp_gt_f32_e32 vcc, v1, v0
	s_nop 1
	v_cndmask_b32_e32 v11, v0, v1, vcc
	v_cndmask_b32_e64 v10, 0, 1, vcc
	v_cmp_gt_f32_e32 vcc, v2, v11
	s_nop 1
	v_cndmask_b32_e32 v11, v11, v2, vcc
	v_cndmask_b32_e64 v10, v10, 2, vcc
	;; [unrolled: 4-line block ×6, first 2 shown]
	v_cmp_gt_f32_e32 vcc, v7, v11
	s_nop 1
	v_cndmask_b32_e64 v10, v10, 7, vcc
	v_cndmask_b32_e32 v20, v11, v7, vcc
	ds_bpermute_b32 v11, v15, v20
	v_or_b32_e32 v10, v12, v10
	s_waitcnt lgkmcnt(0)
	ds_bpermute_b32 v21, v15, v10
	s_waitcnt lgkmcnt(0)
	v_cmp_lt_f32_e64 s[8:9], v20, v11
	v_cmp_nlt_f32_e32 vcc, v20, v11
	s_and_saveexec_b64 s[10:11], vcc
; %bb.25:                               ;   in Loop: Header=BB385_24 Depth=1
	v_cmp_eq_f32_e32 vcc, v20, v11
	v_cmp_lt_i32_e64 s[0:1], v21, v10
	s_and_b64 s[0:1], vcc, s[0:1]
	s_andn2_b64 s[8:9], s[8:9], exec
	s_and_b64 s[0:1], s[0:1], exec
	s_or_b64 s[8:9], s[8:9], s[0:1]
; %bb.26:                               ;   in Loop: Header=BB385_24 Depth=1
	s_or_b64 exec, exec, s[10:11]
	s_and_saveexec_b64 s[0:1], s[8:9]
; %bb.27:                               ;   in Loop: Header=BB385_24 Depth=1
	v_mov_b32_e32 v20, v11
	v_mov_b32_e32 v10, v21
; %bb.28:                               ;   in Loop: Header=BB385_24 Depth=1
	s_or_b64 exec, exec, s[0:1]
	ds_bpermute_b32 v11, v16, v20
	ds_bpermute_b32 v21, v16, v10
	s_waitcnt lgkmcnt(1)
	v_cmp_lt_f32_e64 s[8:9], v20, v11
	v_cmp_nlt_f32_e32 vcc, v20, v11
	s_and_saveexec_b64 s[10:11], vcc
	s_cbranch_execz .LBB385_30
; %bb.29:                               ;   in Loop: Header=BB385_24 Depth=1
	v_cmp_eq_f32_e32 vcc, v20, v11
	s_waitcnt lgkmcnt(0)
	v_cmp_lt_i32_e64 s[0:1], v21, v10
	s_and_b64 s[0:1], vcc, s[0:1]
	s_andn2_b64 s[8:9], s[8:9], exec
	s_and_b64 s[0:1], s[0:1], exec
	s_or_b64 s[8:9], s[8:9], s[0:1]
.LBB385_30:                             ;   in Loop: Header=BB385_24 Depth=1
	s_or_b64 exec, exec, s[10:11]
	s_and_saveexec_b64 s[0:1], s[8:9]
	s_cbranch_execz .LBB385_32
; %bb.31:                               ;   in Loop: Header=BB385_24 Depth=1
	v_mov_b32_e32 v20, v11
	s_waitcnt lgkmcnt(0)
	v_mov_b32_e32 v10, v21
.LBB385_32:                             ;   in Loop: Header=BB385_24 Depth=1
	s_or_b64 exec, exec, s[0:1]
	ds_bpermute_b32 v11, v17, v20
	s_waitcnt lgkmcnt(1)
	ds_bpermute_b32 v21, v17, v10
	s_waitcnt lgkmcnt(1)
	v_cmp_lt_f32_e64 s[8:9], v20, v11
	v_cmp_nlt_f32_e32 vcc, v20, v11
	s_and_saveexec_b64 s[10:11], vcc
	s_cbranch_execnz .LBB385_36
; %bb.33:                               ;   in Loop: Header=BB385_24 Depth=1
	s_or_b64 exec, exec, s[10:11]
	s_and_saveexec_b64 s[0:1], s[8:9]
	s_cbranch_execnz .LBB385_37
.LBB385_34:                             ;   in Loop: Header=BB385_24 Depth=1
	s_or_b64 exec, exec, s[0:1]
	s_and_saveexec_b64 s[8:9], s[6:7]
	s_cbranch_execnz .LBB385_38
.LBB385_35:                             ;   in Loop: Header=BB385_24 Depth=1
	s_or_b64 exec, exec, s[8:9]
	s_add_i32 s42, s42, 1
	s_cmp_ge_i32 s42, s24
	s_cbranch_scc1 .LBB385_23
	s_branch .LBB385_41
.LBB385_36:                             ;   in Loop: Header=BB385_24 Depth=1
	v_cmp_eq_f32_e32 vcc, v20, v11
	s_waitcnt lgkmcnt(0)
	v_cmp_lt_i32_e64 s[0:1], v21, v10
	s_and_b64 s[0:1], vcc, s[0:1]
	s_andn2_b64 s[8:9], s[8:9], exec
	s_and_b64 s[0:1], s[0:1], exec
	s_or_b64 s[8:9], s[8:9], s[0:1]
	s_or_b64 exec, exec, s[10:11]
	s_and_saveexec_b64 s[0:1], s[8:9]
	s_cbranch_execz .LBB385_34
.LBB385_37:                             ;   in Loop: Header=BB385_24 Depth=1
	s_waitcnt lgkmcnt(0)
	v_mov_b32_e32 v10, v21
	v_mov_b32_e32 v20, v11
	s_or_b64 exec, exec, s[0:1]
	s_and_saveexec_b64 s[8:9], s[6:7]
	s_cbranch_execz .LBB385_35
.LBB385_38:                             ;   in Loop: Header=BB385_24 Depth=1
	s_and_b64 vcc, exec, s[2:3]
	s_cbranch_vccnz .LBB385_40
; %bb.39:                               ;   in Loop: Header=BB385_24 Depth=1
	v_ashrrev_i32_e32 v11, 31, v10
	v_lshl_add_u64 v[22:23], v[10:11], 2, s[22:23]
	global_load_dword v11, v[22:23], off
	s_waitcnt vmcnt(0)
	v_sub_f32_e32 v20, v20, v11
.LBB385_40:                             ;   in Loop: Header=BB385_24 Depth=1
	v_add_u32_e32 v22, s42, v14
	v_cmp_le_i32_e32 vcc, s25, v10
	v_cmp_gt_i32_e64 s[0:1], s26, v10
	v_ashrrev_i32_e32 v23, 31, v22
	s_and_b64 s[0:1], vcc, s[0:1]
	v_lshlrev_b64 v[22:23], 2, v[22:23]
	v_lshl_add_u64 v[24:25], s[34:35], 0, v[22:23]
	v_subrev_u32_e32 v11, s25, v10
	s_and_b64 vcc, s[36:37], s[0:1]
	global_store_dword v[24:25], v20, off
	v_cndmask_b32_e32 v11, 64, v11, vcc
	v_lshl_add_u64 v[24:25], s[28:29], 0, v[22:23]
	global_store_dword v[24:25], v11, off
	v_add_f32_e32 v11, v13, v20
	v_lshl_add_u64 v[22:23], s[30:31], 0, v[22:23]
	v_cndmask_b32_e64 v13, v13, v11, s[4:5]
	global_store_dword v[22:23], v19, off
	s_or_b64 exec, exec, s[8:9]
	s_add_i32 s42, s42, 1
	s_cmp_ge_i32 s42, s24
	s_cbranch_scc1 .LBB385_23
.LBB385_41:                             ;   in Loop: Header=BB385_24 Depth=1
	v_ashrrev_i32_e32 v20, 31, v10
	v_lshrrev_b32_e32 v11, 29, v20
	v_add_u32_e32 v11, v10, v11
	v_ashrrev_i32_e32 v11, 3, v11
	s_waitcnt lgkmcnt(0)
	v_lshrrev_b32_e32 v21, 29, v11
	v_add_u32_e32 v21, v11, v21
	v_and_b32_e32 v21, -8, v21
	v_sub_u32_e32 v21, v11, v21
	v_cmp_eq_u32_e32 vcc, v9, v21
	s_and_saveexec_b64 s[40:41], vcc
	s_cbranch_execz .LBB385_22
; %bb.42:                               ;   in Loop: Header=BB385_24 Depth=1
	v_lshrrev_b32_e32 v20, 26, v20
	v_add_u32_e32 v20, v10, v20
	v_lshlrev_b32_e32 v11, 3, v11
	v_sub_u32_e32 v10, v10, v11
	v_ashrrev_i32_e32 v11, 6, v20
	v_lshl_add_u32 v10, v11, 3, v10
	v_cmp_ne_u32_e32 vcc, 6, v10
	v_cmp_ne_u32_e64 s[0:1], 5, v10
	v_cmp_ne_u32_e64 s[8:9], 4, v10
	;; [unrolled: 1-line block ×7, first 2 shown]
	v_cndmask_b32_e32 v6, v18, v6, vcc
	v_cndmask_b32_e64 v5, v18, v5, s[0:1]
	v_cndmask_b32_e64 v7, v18, v7, s[18:19]
	;; [unrolled: 1-line block ×7, first 2 shown]
	s_branch .LBB385_22
.LBB385_43:
	v_mov_b32_e32 v13, 0
.LBB385_44:
	v_cmp_eq_u32_e32 vcc, 0, v9
	s_and_b64 exec, exec, vcc
	s_cbranch_execz .LBB385_57
; %bb.45:
	s_andn2_b64 vcc, exec, s[4:5]
	v_cvt_f32_f64_e32 v0, s[20:21]
	s_cbranch_vccnz .LBB385_47
; %bb.46:
	v_cmp_lt_f32_e32 vcc, 0, v13
	s_nop 1
	v_cndmask_b32_e32 v1, 1.0, v13, vcc
	v_div_scale_f32 v2, s[0:1], v1, v1, v0
	v_rcp_f32_e32 v3, v2
	s_nop 0
	v_fma_f32 v4, -v2, v3, 1.0
	v_fmac_f32_e32 v3, v4, v3
	v_div_scale_f32 v4, vcc, v0, v1, v0
	v_mul_f32_e32 v5, v4, v3
	v_fma_f32 v6, -v2, v5, v4
	v_fmac_f32_e32 v5, v6, v3
	v_fma_f32 v2, -v2, v5, v4
	v_div_fmas_f32 v2, v2, v3, v5
	v_div_fixup_f32 v0, v2, v1, v0
.LBB385_47:
	s_andn2_b64 vcc, exec, s[38:39]
	s_cbranch_vccnz .LBB385_57
; %bb.48:
	v_mul_lo_u32 v2, v8, s24
	s_cmp_gt_u32 s24, 3
	v_ashrrev_i32_e32 v3, 31, v2
	s_cbranch_scc0 .LBB385_52
; %bb.49:
	s_and_b32 s0, s24, 0x7ffffffc
	v_lshl_add_u64 v[4:5], v[2:3], 2, s[34:35]
	v_mov_b32_e32 v1, v0
	v_lshl_add_u64 v[4:5], v[4:5], 0, 8
	s_mov_b32 s1, s0
.LBB385_50:                             ; =>This Inner Loop Header: Depth=1
	global_load_dwordx4 v[6:9], v[4:5], off offset:-8
	s_add_i32 s1, s1, -4
	s_cmp_lg_u32 s1, 0
	s_waitcnt vmcnt(0)
	v_pk_mul_f32 v[6:7], v[0:1], v[6:7]
	v_pk_mul_f32 v[8:9], v[0:1], v[8:9]
	global_store_dwordx4 v[4:5], v[6:9], off offset:-8
	v_lshl_add_u64 v[4:5], v[4:5], 0, 16
	s_cbranch_scc1 .LBB385_50
; %bb.51:
	s_cmp_lg_u32 s0, s24
	s_cselect_b64 s[2:3], -1, 0
	s_branch .LBB385_54
.LBB385_52:
	s_mov_b64 s[2:3], 0
                                        ; implicit-def: $sgpr0
	s_cbranch_execz .LBB385_54
; %bb.53:
	s_mov_b64 s[2:3], -1
	s_mov_b32 s0, 0
.LBB385_54:
	s_andn2_b64 vcc, exec, s[2:3]
	s_cbranch_vccnz .LBB385_57
; %bb.55:
	s_mov_b32 s1, 0
	v_lshl_add_u64 v[2:3], v[2:3], 0, s[0:1]
	s_sub_i32 s2, s24, s0
	v_lshl_add_u64 v[2:3], v[2:3], 2, s[34:35]
.LBB385_56:                             ; =>This Inner Loop Header: Depth=1
	global_load_dword v1, v[2:3], off
	s_add_i32 s2, s2, -1
	s_cmp_lg_u32 s2, 0
	s_waitcnt vmcnt(0)
	v_mul_f32_e32 v1, v0, v1
	global_store_dword v[2:3], v1, off
	v_lshl_add_u64 v[2:3], v[2:3], 0, 4
	s_cbranch_scc1 .LBB385_56
.LBB385_57:
	s_endpgm
	.section	.rodata,"a",@progbits
	.p2align	6, 0x0
	.amdhsa_kernel _ZN4vllm3moe22topkGatingSoftplusSqrtILi8ELi64ELi4ELi16ELi64ELb0Ei14__hip_bfloat16EEvPKT6_PKbPfiPT5_PiiiibdPKfPKS9_SF_
		.amdhsa_group_segment_fixed_size 0
		.amdhsa_private_segment_fixed_size 0
		.amdhsa_kernarg_size 96
		.amdhsa_user_sgpr_count 2
		.amdhsa_user_sgpr_dispatch_ptr 0
		.amdhsa_user_sgpr_queue_ptr 0
		.amdhsa_user_sgpr_kernarg_segment_ptr 1
		.amdhsa_user_sgpr_dispatch_id 0
		.amdhsa_user_sgpr_kernarg_preload_length 0
		.amdhsa_user_sgpr_kernarg_preload_offset 0
		.amdhsa_user_sgpr_private_segment_size 0
		.amdhsa_uses_dynamic_stack 0
		.amdhsa_enable_private_segment 0
		.amdhsa_system_sgpr_workgroup_id_x 1
		.amdhsa_system_sgpr_workgroup_id_y 0
		.amdhsa_system_sgpr_workgroup_id_z 0
		.amdhsa_system_sgpr_workgroup_info 0
		.amdhsa_system_vgpr_workitem_id 1
		.amdhsa_next_free_vgpr 26
		.amdhsa_next_free_sgpr 43
		.amdhsa_accum_offset 28
		.amdhsa_reserve_vcc 1
		.amdhsa_float_round_mode_32 0
		.amdhsa_float_round_mode_16_64 0
		.amdhsa_float_denorm_mode_32 3
		.amdhsa_float_denorm_mode_16_64 3
		.amdhsa_dx10_clamp 1
		.amdhsa_ieee_mode 1
		.amdhsa_fp16_overflow 0
		.amdhsa_tg_split 0
		.amdhsa_exception_fp_ieee_invalid_op 0
		.amdhsa_exception_fp_denorm_src 0
		.amdhsa_exception_fp_ieee_div_zero 0
		.amdhsa_exception_fp_ieee_overflow 0
		.amdhsa_exception_fp_ieee_underflow 0
		.amdhsa_exception_fp_ieee_inexact 0
		.amdhsa_exception_int_div_zero 0
	.end_amdhsa_kernel
	.section	.text._ZN4vllm3moe22topkGatingSoftplusSqrtILi8ELi64ELi4ELi16ELi64ELb0Ei14__hip_bfloat16EEvPKT6_PKbPfiPT5_PiiiibdPKfPKS9_SF_,"axG",@progbits,_ZN4vllm3moe22topkGatingSoftplusSqrtILi8ELi64ELi4ELi16ELi64ELb0Ei14__hip_bfloat16EEvPKT6_PKbPfiPT5_PiiiibdPKfPKS9_SF_,comdat
.Lfunc_end385:
	.size	_ZN4vllm3moe22topkGatingSoftplusSqrtILi8ELi64ELi4ELi16ELi64ELb0Ei14__hip_bfloat16EEvPKT6_PKbPfiPT5_PiiiibdPKfPKS9_SF_, .Lfunc_end385-_ZN4vllm3moe22topkGatingSoftplusSqrtILi8ELi64ELi4ELi16ELi64ELb0Ei14__hip_bfloat16EEvPKT6_PKbPfiPT5_PiiiibdPKfPKS9_SF_
                                        ; -- End function
	.section	.AMDGPU.csdata,"",@progbits
; Kernel info:
; codeLenInByte = 3860
; NumSgprs: 49
; NumVgprs: 26
; NumAgprs: 0
; TotalNumVgprs: 26
; ScratchSize: 0
; MemoryBound: 0
; FloatMode: 240
; IeeeMode: 1
; LDSByteSize: 0 bytes/workgroup (compile time only)
; SGPRBlocks: 6
; VGPRBlocks: 3
; NumSGPRsForWavesPerEU: 49
; NumVGPRsForWavesPerEU: 26
; AccumOffset: 28
; Occupancy: 8
; WaveLimiterHint : 0
; COMPUTE_PGM_RSRC2:SCRATCH_EN: 0
; COMPUTE_PGM_RSRC2:USER_SGPR: 2
; COMPUTE_PGM_RSRC2:TRAP_HANDLER: 0
; COMPUTE_PGM_RSRC2:TGID_X_EN: 1
; COMPUTE_PGM_RSRC2:TGID_Y_EN: 0
; COMPUTE_PGM_RSRC2:TGID_Z_EN: 0
; COMPUTE_PGM_RSRC2:TIDIG_COMP_CNT: 1
; COMPUTE_PGM_RSRC3_GFX90A:ACCUM_OFFSET: 6
; COMPUTE_PGM_RSRC3_GFX90A:TG_SPLIT: 0
	.section	.text._ZN4vllm3moe22topkGatingSoftplusSqrtILi8ELi64ELi4ELi16ELi32ELb1Ei14__hip_bfloat16EEvPKT6_PKbPfiPT5_PiiiibdPKfPKS9_SF_,"axG",@progbits,_ZN4vllm3moe22topkGatingSoftplusSqrtILi8ELi64ELi4ELi16ELi32ELb1Ei14__hip_bfloat16EEvPKT6_PKbPfiPT5_PiiiibdPKfPKS9_SF_,comdat
	.protected	_ZN4vllm3moe22topkGatingSoftplusSqrtILi8ELi64ELi4ELi16ELi32ELb1Ei14__hip_bfloat16EEvPKT6_PKbPfiPT5_PiiiibdPKfPKS9_SF_ ; -- Begin function _ZN4vllm3moe22topkGatingSoftplusSqrtILi8ELi64ELi4ELi16ELi32ELb1Ei14__hip_bfloat16EEvPKT6_PKbPfiPT5_PiiiibdPKfPKS9_SF_
	.globl	_ZN4vllm3moe22topkGatingSoftplusSqrtILi8ELi64ELi4ELi16ELi32ELb1Ei14__hip_bfloat16EEvPKT6_PKbPfiPT5_PiiiibdPKfPKS9_SF_
	.p2align	8
	.type	_ZN4vllm3moe22topkGatingSoftplusSqrtILi8ELi64ELi4ELi16ELi32ELb1Ei14__hip_bfloat16EEvPKT6_PKbPfiPT5_PiiiibdPKfPKS9_SF_,@function
_ZN4vllm3moe22topkGatingSoftplusSqrtILi8ELi64ELi4ELi16ELi32ELb1Ei14__hip_bfloat16EEvPKT6_PKbPfiPT5_PiiiibdPKfPKS9_SF_: ; @_ZN4vllm3moe22topkGatingSoftplusSqrtILi8ELi64ELi4ELi16ELi32ELb1Ei14__hip_bfloat16EEvPKT6_PKbPfiPT5_PiiiibdPKfPKS9_SF_
; %bb.0:
	s_load_dword s3, s[0:1], 0x18
	v_bfe_u32 v1, v0, 10, 10
	v_and_b32_e32 v8, 0x3ff, v0
	s_lshl_b32 s2, s2, 4
	v_lshlrev_b32_e32 v1, 2, v1
	v_lshrrev_b32_e32 v0, 3, v8
	v_add3_u32 v6, s2, v1, v0
	s_waitcnt lgkmcnt(0)
	v_cmp_gt_i32_e32 vcc, s3, v6
	s_and_saveexec_b64 s[2:3], vcc
	s_cbranch_execz .LBB386_31
; %bb.1:
	s_load_dwordx2 s[2:3], s[0:1], 0x0
	s_load_dword s33, s[0:1], 0x30
	v_lshlrev_b32_e32 v0, 6, v6
	v_lshlrev_b32_e32 v2, 3, v8
	v_ashrrev_i32_e32 v1, 31, v0
	v_and_b32_e32 v10, 56, v2
	s_waitcnt lgkmcnt(0)
	v_lshl_add_u64 v[0:1], v[0:1], 1, s[2:3]
	v_lshlrev_b32_e32 v4, 1, v10
	v_mov_b32_e32 v5, 0
	v_lshl_add_u64 v[0:1], v[0:1], 0, v[4:5]
	global_load_dwordx4 v[0:3], v[0:1], off
	s_load_dwordx4 s[8:11], s[0:1], 0x50
	v_ashrrev_i32_e32 v7, 31, v6
	s_mov_b32 s15, 0x800000
	s_mov_b32 s13, 0x3f317217
	s_mov_b32 s14, 0x7f800000
	s_waitcnt lgkmcnt(0)
	v_mov_b32_e32 v12, s8
	v_mov_b32_e32 v13, s9
	v_lshl_add_u64 v[12:13], v[6:7], 2, v[12:13]
	global_load_dword v4, v[12:13], off
	v_mov_b32_e32 v7, 0x4f800000
	v_mov_b32_e32 v9, 0x41b17218
	s_mov_b32 s9, 0x41a00000
	s_mov_b32 s12, 0xf800000
	v_mov_b32_e32 v11, 0x260
	s_cmp_gt_i32 s33, 0
	s_mov_b32 s8, 0
	s_waitcnt vmcnt(1)
	v_and_b32_e32 v16, 0xffff0000, v0
	v_lshlrev_b32_e32 v17, 16, v0
	v_and_b32_e32 v18, 0xffff0000, v1
	v_lshlrev_b32_e32 v19, 16, v1
	v_mul_f32_e32 v0, 0x3fb8aa3b, v17
	v_mul_f32_e32 v1, 0x3fb8aa3b, v16
	v_exp_f32_e32 v12, v0
	v_exp_f32_e32 v13, v1
	v_mul_f32_e32 v14, 0x3fb8aa3b, v19
	v_mul_f32_e32 v15, 0x3fb8aa3b, v18
	v_exp_f32_e32 v14, v14
	v_exp_f32_e32 v15, v15
	v_pk_add_f32 v[12:13], v[12:13], 1.0 op_sel_hi:[1,0]
	s_waitcnt vmcnt(0)
	v_mul_lo_u32 v0, v4, s33
	v_cmp_gt_f32_e32 vcc, s15, v13
	v_pk_add_f32 v[14:15], v[14:15], 1.0 op_sel_hi:[1,0]
	v_cmp_gt_f32_e64 s[2:3], s15, v12
	v_cndmask_b32_e32 v4, 1.0, v7, vcc
	v_cmp_gt_f32_e64 s[4:5], s15, v15
	v_cndmask_b32_e64 v20, 1.0, v7, s[2:3]
	v_mul_f32_e32 v4, v13, v4
	v_cndmask_b32_e64 v21, 1.0, v7, s[4:5]
	v_mul_f32_e32 v12, v12, v20
	v_log_f32_e32 v4, v4
	v_mul_f32_e32 v15, v15, v21
	v_log_f32_e32 v12, v12
	v_cmp_gt_f32_e64 s[6:7], s15, v14
	v_log_f32_e32 v15, v15
	v_cndmask_b32_e32 v13, 0, v9, vcc
	v_cndmask_b32_e64 v22, 1.0, v7, s[6:7]
	v_mul_f32_e32 v14, v14, v22
	v_mul_f32_e32 v22, 0x3f317217, v4
	;; [unrolled: 1-line block ×3, first 2 shown]
	v_fma_f32 v22, v4, s13, -v22
	v_mul_f32_e32 v24, 0x3f317217, v15
	v_fma_f32 v23, v12, s13, -v23
	v_fmac_f32_e32 v22, 0x3377d1cf, v4
	v_fma_f32 v24, v15, s13, -v24
	v_fmac_f32_e32 v23, 0x3377d1cf, v12
	v_fmac_f32_e32 v22, 0x3f317217, v4
	v_cmp_lt_f32_e64 vcc, |v4|, s14
	v_fmac_f32_e32 v24, 0x3377d1cf, v15
	v_fmac_f32_e32 v23, 0x3f317217, v12
	v_cndmask_b32_e32 v4, v4, v22, vcc
	v_cmp_lt_f32_e64 vcc, |v12|, s14
	v_cndmask_b32_e64 v20, 0, v9, s[2:3]
	v_fmac_f32_e32 v24, 0x3f317217, v15
	v_cndmask_b32_e32 v12, v12, v23, vcc
	v_cmp_lt_f32_e64 vcc, |v15|, s14
	v_sub_f32_e32 v12, v12, v20
	v_sub_f32_e32 v4, v4, v13
	v_cndmask_b32_e32 v15, v15, v24, vcc
	v_cmp_lt_f32_e32 vcc, s9, v17
	v_cndmask_b32_e64 v21, 0, v9, s[4:5]
	v_sub_f32_e32 v15, v15, v21
	v_cndmask_b32_e32 v12, v12, v17, vcc
	v_cmp_lt_f32_e32 vcc, s9, v16
	v_cmp_gt_f32_e64 s[2:3], s12, v12
	v_log_f32_e32 v14, v14
	v_cndmask_b32_e32 v4, v4, v16, vcc
	v_mul_f32_e32 v13, 0x4f800000, v4
	v_cmp_gt_f32_e32 vcc, s12, v4
	v_mul_f32_e32 v16, 0x4f800000, v12
	v_cndmask_b32_e64 v12, v12, v16, s[2:3]
	v_cndmask_b32_e32 v4, v4, v13, vcc
	v_sqrt_f32_e32 v13, v4
	v_sqrt_f32_e32 v16, v12
	v_mul_f32_e32 v25, 0x3f317217, v14
	v_fma_f32 v25, v14, s13, -v25
	v_add_u32_e32 v17, -1, v13
	v_add_u32_e32 v21, -1, v16
	v_fma_f32 v23, -v17, v13, v4
	v_add_u32_e32 v20, 1, v13
	v_fma_f32 v26, -v21, v16, v12
	v_cmp_ge_f32_e64 s[4:5], 0, v23
	v_add_u32_e32 v22, 1, v16
	v_fma_f32 v24, -v20, v13, v4
	v_cndmask_b32_e64 v13, v13, v17, s[4:5]
	v_cmp_ge_f32_e64 s[4:5], 0, v26
	v_fma_f32 v27, -v22, v16, v12
	v_fmac_f32_e32 v25, 0x3377d1cf, v14
	v_cndmask_b32_e64 v16, v16, v21, s[4:5]
	v_cmp_lt_f32_e64 s[4:5], 0, v24
	v_fmac_f32_e32 v25, 0x3f317217, v14
	v_ashrrev_i32_e32 v1, 31, v0
	v_cndmask_b32_e64 v13, v13, v20, s[4:5]
	v_cmp_lt_f32_e64 s[4:5], 0, v27
	v_mul_f32_e32 v17, 0x37800000, v13
	v_cndmask_b32_e32 v13, v13, v17, vcc
	v_cndmask_b32_e64 v16, v16, v22, s[4:5]
	v_mul_f32_e32 v20, 0x37800000, v16
	v_cmp_class_f32_e32 vcc, v4, v11
	v_cndmask_b32_e64 v16, v16, v20, s[2:3]
	v_cmp_lt_f32_e64 s[2:3], s9, v19
	v_cndmask_b32_e32 v13, v13, v4, vcc
	v_cmp_class_f32_e32 vcc, v12, v11
	v_and_b32_e32 v20, 0xffff0000, v2
	v_lshlrev_b32_e32 v2, 16, v2
	v_cndmask_b32_e32 v12, v16, v12, vcc
	v_cmp_lt_f32_e64 vcc, |v14|, s14
	s_nop 1
	v_cndmask_b32_e32 v4, v14, v25, vcc
	v_cmp_lt_f32_e32 vcc, s9, v18
	v_cndmask_b32_e64 v14, 0, v9, s[6:7]
	v_sub_f32_e32 v4, v4, v14
	v_cndmask_b32_e32 v15, v15, v18, vcc
	v_mul_f32_e32 v16, 0x4f800000, v15
	v_cmp_gt_f32_e32 vcc, s12, v15
	v_cndmask_b32_e64 v4, v4, v19, s[2:3]
	s_nop 0
	v_cndmask_b32_e32 v15, v15, v16, vcc
	v_sqrt_f32_e32 v16, v15
	s_nop 0
	v_add_u32_e32 v14, -1, v16
	v_fma_f32 v17, -v14, v16, v15
	v_cmp_ge_f32_e64 s[2:3], 0, v17
	v_add_u32_e32 v17, 1, v16
	s_nop 0
	v_cndmask_b32_e64 v14, v16, v14, s[2:3]
	v_fma_f32 v16, -v17, v16, v15
	v_cmp_lt_f32_e64 s[2:3], 0, v16
	s_nop 1
	v_cndmask_b32_e64 v14, v14, v17, s[2:3]
	v_mul_f32_e32 v17, 0x4f800000, v4
	v_cmp_gt_f32_e64 s[2:3], s12, v4
	v_mul_f32_e32 v16, 0x37800000, v14
	v_cndmask_b32_e32 v14, v14, v16, vcc
	v_cndmask_b32_e64 v4, v4, v17, s[2:3]
	v_sqrt_f32_e32 v17, v4
	v_cmp_class_f32_e32 vcc, v15, v11
	v_add_u32_e32 v18, 1, v17
	s_nop 0
	v_cndmask_b32_e32 v15, v14, v15, vcc
	v_add_u32_e32 v14, -1, v17
	v_fma_f32 v16, -v14, v17, v4
	v_cmp_ge_f32_e32 vcc, 0, v16
	v_fma_f32 v19, -v18, v17, v4
	v_mul_f32_e32 v16, 0x3fb8aa3b, v2
	v_cndmask_b32_e32 v14, v17, v14, vcc
	v_mul_f32_e32 v17, 0x3fb8aa3b, v20
	v_exp_f32_e32 v16, v16
	v_exp_f32_e32 v17, v17
	v_cmp_lt_f32_e32 vcc, 0, v19
	v_pk_add_f32 v[16:17], v[16:17], 1.0 op_sel_hi:[1,0]
	s_nop 0
	v_cndmask_b32_e32 v14, v14, v18, vcc
	v_mul_f32_e32 v18, 0x37800000, v14
	v_cmp_gt_f32_e32 vcc, s15, v17
	v_cndmask_b32_e64 v14, v14, v18, s[2:3]
	v_cmp_class_f32_e64 s[2:3], v4, v11
	v_cndmask_b32_e32 v18, 1.0, v7, vcc
	v_mul_f32_e32 v17, v17, v18
	v_log_f32_e32 v17, v17
	v_cndmask_b32_e64 v14, v14, v4, s[2:3]
	v_cmp_gt_f32_e64 s[2:3], s15, v16
	scratch_store_dwordx4 off, v[12:15], off
	v_mul_f32_e32 v4, 0x3f317217, v17
	v_fma_f32 v4, v17, s13, -v4
	v_cndmask_b32_e64 v12, 1.0, v7, s[2:3]
	v_mul_f32_e32 v12, v16, v12
	v_log_f32_e32 v12, v12
	v_fmac_f32_e32 v4, 0x3377d1cf, v17
	v_fmac_f32_e32 v4, 0x3f317217, v17
	v_cmp_lt_f32_e64 s[4:5], |v17|, s14
	v_cndmask_b32_e32 v13, 0, v9, vcc
	v_cmp_lt_f32_e64 vcc, |v12|, s14
	v_cndmask_b32_e64 v4, v17, v4, s[4:5]
	v_sub_f32_e32 v4, v4, v13
	v_mul_f32_e32 v13, 0x3f317217, v12
	v_fma_f32 v13, v12, s13, -v13
	v_fmac_f32_e32 v13, 0x3377d1cf, v12
	v_fmac_f32_e32 v13, 0x3f317217, v12
	v_cndmask_b32_e32 v12, v12, v13, vcc
	v_cmp_lt_f32_e32 vcc, s9, v20
	v_cndmask_b32_e64 v13, 0, v9, s[2:3]
	v_sub_f32_e32 v12, v12, v13
	v_cndmask_b32_e32 v4, v4, v20, vcc
	v_mul_f32_e32 v14, 0x4f800000, v4
	v_cmp_gt_f32_e32 vcc, s12, v4
	v_cmp_lt_f32_e64 s[2:3], s9, v2
	v_and_b32_e32 v16, 0xffff0000, v3
	v_cndmask_b32_e32 v4, v4, v14, vcc
	v_sqrt_f32_e32 v14, v4
	v_cndmask_b32_e64 v2, v12, v2, s[2:3]
	v_lshlrev_b32_e32 v17, 16, v3
	v_mul_f32_e32 v3, 0x3fb8aa3b, v16
	v_add_u32_e32 v12, -1, v14
	v_fma_f32 v13, -v12, v14, v4
	v_cmp_ge_f32_e64 s[2:3], 0, v13
	v_add_u32_e32 v13, 1, v14
	v_exp_f32_e32 v3, v3
	v_cndmask_b32_e64 v12, v14, v12, s[2:3]
	v_fma_f32 v14, -v13, v14, v4
	v_cmp_lt_f32_e64 s[2:3], 0, v14
	v_mul_f32_e32 v14, 0x4f800000, v2
	s_nop 0
	v_cndmask_b32_e64 v12, v12, v13, s[2:3]
	v_cmp_gt_f32_e64 s[2:3], s12, v2
	v_mul_f32_e32 v13, 0x37800000, v12
	v_cndmask_b32_e32 v12, v12, v13, vcc
	v_cndmask_b32_e64 v14, v2, v14, s[2:3]
	v_sqrt_f32_e32 v2, v14
	v_cmp_class_f32_e32 vcc, v4, v11
	s_nop 1
	v_cndmask_b32_e32 v13, v12, v4, vcc
	v_add_u32_e32 v4, -1, v2
	v_fma_f32 v12, -v4, v2, v14
	v_cmp_ge_f32_e32 vcc, 0, v12
	v_add_u32_e32 v12, 1, v2
	v_fma_f32 v15, -v12, v2, v14
	v_cndmask_b32_e32 v4, v2, v4, vcc
	v_mul_f32_e32 v2, 0x3fb8aa3b, v17
	v_exp_f32_e32 v2, v2
	v_cmp_lt_f32_e32 vcc, 0, v15
	v_pk_add_f32 v[2:3], v[2:3], 1.0 op_sel_hi:[1,0]
	s_nop 0
	v_cndmask_b32_e32 v4, v4, v12, vcc
	v_cmp_gt_f32_e32 vcc, s15, v3
	v_mul_f32_e32 v12, 0x37800000, v4
	v_cndmask_b32_e64 v4, v4, v12, s[2:3]
	v_cndmask_b32_e32 v15, 1.0, v7, vcc
	v_mul_f32_e32 v3, v3, v15
	v_log_f32_e32 v3, v3
	v_cmp_class_f32_e64 s[2:3], v14, v11
	v_cmp_lt_f32_e64 s[4:5], |v3|, s14
	s_nop 0
	v_cndmask_b32_e64 v12, v4, v14, s[2:3]
	v_cmp_gt_f32_e64 s[2:3], s15, v2
	v_mul_f32_e32 v4, 0x3f317217, v3
	v_fma_f32 v4, v3, s13, -v4
	v_cndmask_b32_e64 v7, 1.0, v7, s[2:3]
	v_mul_f32_e32 v2, v2, v7
	v_log_f32_e32 v2, v2
	v_fmac_f32_e32 v4, 0x3377d1cf, v3
	v_fmac_f32_e32 v4, 0x3f317217, v3
	v_cndmask_b32_e64 v3, v3, v4, s[4:5]
	v_cndmask_b32_e32 v4, 0, v9, vcc
	v_sub_f32_e32 v3, v3, v4
	v_mul_f32_e32 v4, 0x3f317217, v2
	v_fma_f32 v4, v2, s13, -v4
	v_fmac_f32_e32 v4, 0x3377d1cf, v2
	v_fmac_f32_e32 v4, 0x3f317217, v2
	v_cmp_lt_f32_e64 vcc, |v2|, s14
	s_cselect_b64 s[4:5], -1, 0
	s_cmp_lt_i32 s33, 1
	v_cndmask_b32_e32 v2, v2, v4, vcc
	v_cmp_lt_f32_e32 vcc, s9, v16
	v_cndmask_b32_e64 v4, 0, v9, s[2:3]
	v_sub_f32_e32 v2, v2, v4
	v_cndmask_b32_e32 v3, v3, v16, vcc
	v_mul_f32_e32 v7, 0x4f800000, v3
	v_cmp_gt_f32_e32 vcc, s12, v3
	v_cmp_lt_f32_e64 s[2:3], s9, v17
	s_nop 0
	v_cndmask_b32_e32 v3, v3, v7, vcc
	v_sqrt_f32_e32 v7, v3
	v_cndmask_b32_e64 v2, v2, v17, s[2:3]
	v_add_u32_e32 v4, -1, v7
	v_fma_f32 v9, -v4, v7, v3
	v_cmp_ge_f32_e64 s[2:3], 0, v9
	v_add_u32_e32 v9, 1, v7
	s_nop 0
	v_cndmask_b32_e64 v4, v7, v4, s[2:3]
	v_fma_f32 v7, -v9, v7, v3
	v_cmp_lt_f32_e64 s[2:3], 0, v7
	s_nop 1
	v_cndmask_b32_e64 v4, v4, v9, s[2:3]
	v_mul_f32_e32 v9, 0x4f800000, v2
	v_cmp_gt_f32_e64 s[2:3], s12, v2
	v_mul_f32_e32 v7, 0x37800000, v4
	v_cndmask_b32_e32 v4, v4, v7, vcc
	v_cndmask_b32_e64 v2, v2, v9, s[2:3]
	v_sqrt_f32_e32 v9, v2
	v_cmp_class_f32_e32 vcc, v3, v11
	s_nop 1
	v_cndmask_b32_e32 v15, v4, v3, vcc
	v_add_u32_e32 v3, -1, v9
	v_fma_f32 v4, -v3, v9, v2
	v_cmp_ge_f32_e32 vcc, 0, v4
	v_add_u32_e32 v4, 1, v9
	v_fma_f32 v7, -v4, v9, v2
	v_cndmask_b32_e32 v3, v9, v3, vcc
	v_cmp_lt_f32_e32 vcc, 0, v7
	s_nop 1
	v_cndmask_b32_e32 v3, v3, v4, vcc
	v_mul_f32_e32 v4, 0x37800000, v3
	v_cndmask_b32_e64 v3, v3, v4, s[2:3]
	v_cmp_class_f32_e32 vcc, v2, v11
	s_nop 1
	v_cndmask_b32_e32 v14, v3, v2, vcc
	v_lshl_add_u64 v[2:3], v[0:1], 2, s[10:11]
	v_mul_lo_u32 v0, v6, s33
	scratch_store_dwordx4 off, v[12:15], off offset:16
	s_cbranch_scc1 .LBB386_28
; %bb.2:
	s_load_dwordx2 s[6:7], s[0:1], 0x20
	s_cmp_lt_u32 s33, 4
	v_and_b32_e32 v4, 7, v8
	s_cbranch_scc1 .LBB386_21
; %bb.3:
	v_lshlrev_b32_e32 v5, 3, v4
	s_mov_b32 s11, 0
	s_and_b32 s8, s33, 0x7ffffffc
	v_ashrrev_i32_e32 v1, 31, v0
	v_sub_u32_e32 v11, 0, v5
	v_mov_b32_e32 v5, 0
	s_mov_b32 s10, s11
	s_branch .LBB386_5
.LBB386_4:                              ;   in Loop: Header=BB386_5 Depth=1
	s_or_b64 exec, exec, s[12:13]
	s_add_i32 s10, s10, 4
	s_cmp_eq_u32 s10, s8
	s_cbranch_scc1 .LBB386_21
.LBB386_5:                              ; =>This Loop Header: Depth=1
                                        ;     Child Loop BB386_7 Depth 2
                                        ;     Child Loop BB386_11 Depth 2
                                        ;     Child Loop BB386_15 Depth 2
                                        ;     Child Loop BB386_19 Depth 2
	v_lshl_add_u64 v[6:7], s[10:11], 2, v[2:3]
	global_load_dword v12, v[6:7], off
	v_add_u32_e32 v8, s10, v0
	v_ashrrev_i32_e32 v9, 31, v8
	v_mov_b32_e32 v13, 0
	s_mov_b64 s[12:13], 0
	s_waitcnt lgkmcnt(0)
	v_lshl_add_u64 v[8:9], v[8:9], 2, s[6:7]
	s_mov_b32 s9, 0
	s_waitcnt vmcnt(0)
	v_add_u32_e32 v14, v11, v12
	s_branch .LBB386_7
.LBB386_6:                              ;   in Loop: Header=BB386_7 Depth=2
	s_or_b64 exec, exec, s[14:15]
	s_add_i32 s16, s9, 1
	s_cmp_gt_u32 s9, 6
	s_cselect_b64 s[2:3], -1, 0
	s_xor_b64 s[14:15], vcc, -1
	s_or_b64 s[2:3], s[14:15], s[2:3]
	s_and_b64 s[2:3], exec, s[2:3]
	v_add_u32_e32 v13, 4, v13
	s_or_b64 s[12:13], s[2:3], s[12:13]
	s_mov_b32 s9, s16
	s_andn2_b64 exec, exec, s[12:13]
	s_cbranch_execz .LBB386_9
.LBB386_7:                              ;   Parent Loop BB386_5 Depth=1
                                        ; =>  This Inner Loop Header: Depth=2
	v_cmp_ne_u32_e32 vcc, s9, v14
	v_cmp_eq_u32_e64 s[2:3], s9, v14
	s_and_saveexec_b64 s[14:15], s[2:3]
	s_cbranch_execz .LBB386_6
; %bb.8:                                ;   in Loop: Header=BB386_7 Depth=2
	scratch_load_dword v15, v13, off
	s_waitcnt vmcnt(0)
	v_add_f32_e32 v5, v5, v15
	global_store_dword v[8:9], v12, off
	s_branch .LBB386_6
.LBB386_9:                              ;   in Loop: Header=BB386_5 Depth=1
	s_or_b64 exec, exec, s[12:13]
	global_load_dword v12, v[6:7], off offset:4
	s_ashr_i32 s3, s10, 31
	s_mov_b32 s2, s10
	v_lshl_add_u64 v[8:9], s[2:3], 0, v[0:1]
	v_mov_b32_e32 v13, 0
	s_mov_b32 s9, 0
	v_lshl_add_u64 v[8:9], v[8:9], 2, s[6:7]
	s_mov_b64 s[12:13], 0
	s_waitcnt vmcnt(0)
	v_add_u32_e32 v14, v11, v12
	s_branch .LBB386_11
.LBB386_10:                             ;   in Loop: Header=BB386_11 Depth=2
	s_or_b64 exec, exec, s[14:15]
	s_add_i32 s16, s9, 1
	s_cmp_gt_u32 s9, 6
	s_cselect_b64 s[2:3], -1, 0
	s_xor_b64 s[14:15], vcc, -1
	s_or_b64 s[2:3], s[14:15], s[2:3]
	s_and_b64 s[2:3], exec, s[2:3]
	v_add_u32_e32 v13, 4, v13
	s_or_b64 s[12:13], s[2:3], s[12:13]
	s_mov_b32 s9, s16
	s_andn2_b64 exec, exec, s[12:13]
	s_cbranch_execz .LBB386_13
.LBB386_11:                             ;   Parent Loop BB386_5 Depth=1
                                        ; =>  This Inner Loop Header: Depth=2
	v_cmp_ne_u32_e32 vcc, s9, v14
	v_cmp_eq_u32_e64 s[2:3], s9, v14
	s_and_saveexec_b64 s[14:15], s[2:3]
	s_cbranch_execz .LBB386_10
; %bb.12:                               ;   in Loop: Header=BB386_11 Depth=2
	scratch_load_dword v15, v13, off
	s_waitcnt vmcnt(0)
	v_add_f32_e32 v5, v5, v15
	global_store_dword v[8:9], v12, off offset:4
	s_branch .LBB386_10
.LBB386_13:                             ;   in Loop: Header=BB386_5 Depth=1
	s_or_b64 exec, exec, s[12:13]
	global_load_dword v12, v[6:7], off offset:8
	v_mov_b32_e32 v13, 0
	s_mov_b32 s9, 0
	s_mov_b64 s[12:13], 0
	s_waitcnt vmcnt(0)
	v_add_u32_e32 v14, v11, v12
	s_branch .LBB386_15
.LBB386_14:                             ;   in Loop: Header=BB386_15 Depth=2
	s_or_b64 exec, exec, s[14:15]
	s_add_i32 s16, s9, 1
	s_cmp_gt_u32 s9, 6
	s_cselect_b64 s[2:3], -1, 0
	s_xor_b64 s[14:15], vcc, -1
	s_or_b64 s[2:3], s[14:15], s[2:3]
	s_and_b64 s[2:3], exec, s[2:3]
	v_add_u32_e32 v13, 4, v13
	s_or_b64 s[12:13], s[2:3], s[12:13]
	s_mov_b32 s9, s16
	s_andn2_b64 exec, exec, s[12:13]
	s_cbranch_execz .LBB386_17
.LBB386_15:                             ;   Parent Loop BB386_5 Depth=1
                                        ; =>  This Inner Loop Header: Depth=2
	v_cmp_ne_u32_e32 vcc, s9, v14
	v_cmp_eq_u32_e64 s[2:3], s9, v14
	s_and_saveexec_b64 s[14:15], s[2:3]
	s_cbranch_execz .LBB386_14
; %bb.16:                               ;   in Loop: Header=BB386_15 Depth=2
	scratch_load_dword v15, v13, off
	s_waitcnt vmcnt(0)
	v_add_f32_e32 v5, v5, v15
	global_store_dword v[8:9], v12, off offset:8
	s_branch .LBB386_14
.LBB386_17:                             ;   in Loop: Header=BB386_5 Depth=1
	s_or_b64 exec, exec, s[12:13]
	global_load_dword v6, v[6:7], off offset:12
	v_mov_b32_e32 v7, 0
	s_mov_b32 s9, 0
	s_mov_b64 s[12:13], 0
	s_waitcnt vmcnt(0)
	v_add_u32_e32 v12, v11, v6
	s_branch .LBB386_19
.LBB386_18:                             ;   in Loop: Header=BB386_19 Depth=2
	s_or_b64 exec, exec, s[14:15]
	s_add_i32 s16, s9, 1
	s_cmp_gt_u32 s9, 6
	s_cselect_b64 s[2:3], -1, 0
	s_xor_b64 s[14:15], vcc, -1
	s_or_b64 s[2:3], s[14:15], s[2:3]
	s_and_b64 s[2:3], exec, s[2:3]
	v_add_u32_e32 v7, 4, v7
	s_or_b64 s[12:13], s[2:3], s[12:13]
	s_mov_b32 s9, s16
	s_andn2_b64 exec, exec, s[12:13]
	s_cbranch_execz .LBB386_4
.LBB386_19:                             ;   Parent Loop BB386_5 Depth=1
                                        ; =>  This Inner Loop Header: Depth=2
	v_cmp_ne_u32_e32 vcc, s9, v12
	v_cmp_eq_u32_e64 s[2:3], s9, v12
	s_and_saveexec_b64 s[14:15], s[2:3]
	s_cbranch_execz .LBB386_18
; %bb.20:                               ;   in Loop: Header=BB386_19 Depth=2
	scratch_load_dword v13, v7, off
	s_waitcnt vmcnt(0)
	v_add_f32_e32 v5, v5, v13
	global_store_dword v[8:9], v6, off offset:12
	s_branch .LBB386_18
.LBB386_21:
	s_and_b32 s14, s33, 3
	s_cmp_eq_u32 s14, 0
	s_mov_b32 s9, 0
	s_cbranch_scc1 .LBB386_28
; %bb.22:
	v_lshlrev_b32_e32 v1, 3, v4
	v_sub_u32_e32 v1, 0, v1
	s_mov_b32 s15, s9
	s_branch .LBB386_24
.LBB386_23:                             ;   in Loop: Header=BB386_24 Depth=1
	s_or_b64 exec, exec, s[10:11]
	s_add_i32 s8, s8, 1
	s_add_i32 s15, s15, 1
	s_cmp_lg_u32 s15, s14
	s_cbranch_scc0 .LBB386_28
.LBB386_24:                             ; =>This Loop Header: Depth=1
                                        ;     Child Loop BB386_26 Depth 2
	v_lshl_add_u64 v[6:7], s[8:9], 2, v[2:3]
	global_load_dword v4, v[6:7], off
	v_add_u32_e32 v6, s8, v0
	v_ashrrev_i32_e32 v7, 31, v6
	v_mov_b32_e32 v8, 0
	s_mov_b32 s16, 0
	s_waitcnt lgkmcnt(0)
	v_lshl_add_u64 v[6:7], v[6:7], 2, s[6:7]
	s_mov_b64 s[10:11], 0
	s_waitcnt vmcnt(0)
	v_add_u32_e32 v9, v1, v4
	s_branch .LBB386_26
.LBB386_25:                             ;   in Loop: Header=BB386_26 Depth=2
	s_or_b64 exec, exec, s[12:13]
	s_add_i32 s17, s16, 1
	s_cmp_gt_u32 s16, 6
	s_cselect_b64 s[2:3], -1, 0
	s_xor_b64 s[12:13], vcc, -1
	s_or_b64 s[2:3], s[12:13], s[2:3]
	s_and_b64 s[2:3], exec, s[2:3]
	v_add_u32_e32 v8, 4, v8
	s_or_b64 s[10:11], s[2:3], s[10:11]
	s_mov_b32 s16, s17
	s_andn2_b64 exec, exec, s[10:11]
	s_cbranch_execz .LBB386_23
.LBB386_26:                             ;   Parent Loop BB386_24 Depth=1
                                        ; =>  This Inner Loop Header: Depth=2
	v_cmp_ne_u32_e32 vcc, s16, v9
	v_cmp_eq_u32_e64 s[2:3], s16, v9
	s_and_saveexec_b64 s[12:13], s[2:3]
	s_cbranch_execz .LBB386_25
; %bb.27:                               ;   in Loop: Header=BB386_26 Depth=2
	scratch_load_dword v11, v8, off
	s_waitcnt vmcnt(0)
	v_add_f32_e32 v5, v5, v11
	global_store_dword v[6:7], v4, off
	s_branch .LBB386_25
.LBB386_28:
	s_waitcnt lgkmcnt(0)
	s_load_dword s6, s[0:1], 0x3c
	s_waitcnt lgkmcnt(0)
	s_bitcmp1_b32 s6, 0
	s_cselect_b64 s[2:3], -1, 0
	s_bitcmp0_b32 s6, 0
	s_cbranch_scc0 .LBB386_32
; %bb.29:
	s_load_dwordx2 s[6:7], s[0:1], 0x40
	s_andn2_b64 vcc, exec, s[2:3]
	s_waitcnt lgkmcnt(0)
	v_cvt_f32_f64_e32 v8, s[6:7]
	s_cbranch_vccz .LBB386_33
.LBB386_30:
	s_andn2_b64 vcc, exec, s[4:5]
	s_cbranch_vccz .LBB386_34
.LBB386_31:
	s_endpgm
.LBB386_32:
	v_mbcnt_lo_u32_b32 v1, -1, 0
	v_mbcnt_hi_u32_b32 v1, -1, v1
	v_and_b32_e32 v4, 0x78, v1
	v_add_u32_e32 v4, 8, v4
	v_xor_b32_e32 v6, 4, v1
	v_cmp_lt_i32_e32 vcc, v6, v4
	v_xor_b32_e32 v7, 2, v1
	s_nop 0
	v_cndmask_b32_e32 v6, v1, v6, vcc
	v_lshlrev_b32_e32 v6, 2, v6
	ds_bpermute_b32 v6, v6, v5
	v_cmp_lt_i32_e32 vcc, v7, v4
	s_waitcnt lgkmcnt(0)
	v_add_f32_e32 v5, v5, v6
	v_cndmask_b32_e32 v6, v1, v7, vcc
	v_lshlrev_b32_e32 v6, 2, v6
	ds_bpermute_b32 v6, v6, v5
	v_xor_b32_e32 v7, 1, v1
	v_cmp_lt_i32_e32 vcc, v7, v4
	s_waitcnt lgkmcnt(0)
	v_add_f32_e32 v5, v5, v6
	v_cndmask_b32_e32 v1, v1, v7, vcc
	v_lshlrev_b32_e32 v1, 2, v1
	ds_bpermute_b32 v1, v1, v5
	s_waitcnt lgkmcnt(0)
	v_add_f32_e32 v5, v5, v1
	s_load_dwordx2 s[6:7], s[0:1], 0x40
	s_andn2_b64 vcc, exec, s[2:3]
	s_waitcnt lgkmcnt(0)
	v_cvt_f32_f64_e32 v8, s[6:7]
	s_cbranch_vccnz .LBB386_30
.LBB386_33:
	v_cmp_lt_f32_e32 vcc, 0, v5
	s_nop 1
	v_cndmask_b32_e32 v1, 1.0, v5, vcc
	v_div_scale_f32 v4, s[2:3], v1, v1, v8
	v_rcp_f32_e32 v5, v4
	s_nop 0
	v_fma_f32 v6, -v4, v5, 1.0
	v_fmac_f32_e32 v5, v6, v5
	v_div_scale_f32 v6, vcc, v8, v1, v8
	v_mul_f32_e32 v7, v6, v5
	v_fma_f32 v9, -v4, v7, v6
	v_fmac_f32_e32 v7, v9, v5
	v_fma_f32 v4, -v4, v7, v6
	v_div_fmas_f32 v4, v4, v5, v7
	v_div_fixup_f32 v8, v4, v1, v8
	s_andn2_b64 vcc, exec, s[4:5]
	s_cbranch_vccnz .LBB386_31
.LBB386_34:
	s_load_dwordx2 s[12:13], s[0:1], 0x10
	v_mov_b32_e32 v1, 0
	v_or_b32_e32 v20, 4, v1
	v_or_b32_e32 v18, 8, v1
	v_or_b32_e32 v16, 12, v1
	v_add_u32_e32 v14, 16, v1
	v_add_u32_e32 v12, 20, v1
	;; [unrolled: 1-line block ×4, first 2 shown]
	v_or_b32_e32 v23, 1, v10
	v_or_b32_e32 v22, 2, v10
	;; [unrolled: 1-line block ×7, first 2 shown]
	s_cmp_eq_u32 s33, 1
	s_mov_b32 s14, 0
	s_cbranch_scc1 .LBB386_69
; %bb.35:
	v_ashrrev_i32_e32 v1, 31, v0
	s_waitcnt lgkmcnt(0)
	v_lshl_add_u64 v[4:5], v[0:1], 2, s[12:13]
	s_and_b32 s14, s33, 0x7ffffffe
	v_lshl_add_u64 v[4:5], v[4:5], 0, 4
	v_lshl_add_u64 v[6:7], v[2:3], 0, 4
	s_mov_b32 s15, 0
	s_branch .LBB386_37
.LBB386_36:                             ;   in Loop: Header=BB386_37 Depth=1
	s_or_b64 exec, exec, s[0:1]
	s_add_i32 s15, s15, 2
	v_lshl_add_u64 v[4:5], v[4:5], 0, 8
	s_cmp_eq_u32 s14, s15
	v_lshl_add_u64 v[6:7], v[6:7], 0, 8
	s_cbranch_scc1 .LBB386_69
.LBB386_37:                             ; =>This Inner Loop Header: Depth=1
	global_load_dword v24, v[6:7], off offset:-4
	v_mov_b32_e32 v1, 0
	s_waitcnt vmcnt(0)
	v_cmp_eq_u32_e32 vcc, v24, v10
	v_cmp_ne_u32_e64 s[0:1], v24, v10
	s_and_saveexec_b64 s[16:17], s[0:1]
	s_cbranch_execz .LBB386_51
; %bb.38:                               ;   in Loop: Header=BB386_37 Depth=1
	v_cmp_eq_u32_e64 s[0:1], v24, v23
	v_cmp_ne_u32_e64 s[2:3], v24, v23
	v_mov_b32_e32 v1, v20
	s_and_saveexec_b64 s[18:19], s[2:3]
	s_cbranch_execz .LBB386_50
; %bb.39:                               ;   in Loop: Header=BB386_37 Depth=1
	v_cmp_eq_u32_e64 s[2:3], v24, v22
	v_cmp_ne_u32_e64 s[4:5], v24, v22
	v_mov_b32_e32 v1, v18
	;; [unrolled: 6-line block ×6, first 2 shown]
	s_and_saveexec_b64 s[30:31], s[10:11]
	s_xor_b64 s[30:31], exec, s[30:31]
; %bb.44:                               ;   in Loop: Header=BB386_37 Depth=1
	v_cmp_eq_u32_e64 s[10:11], v24, v13
	s_andn2_b64 s[28:29], s[28:29], exec
	s_and_b64 s[10:11], s[10:11], exec
	s_or_b64 s[28:29], s[28:29], s[10:11]
	v_mov_b32_e32 v1, v11
; %bb.45:                               ;   in Loop: Header=BB386_37 Depth=1
	s_or_b64 exec, exec, s[30:31]
	s_andn2_b64 s[8:9], s[8:9], exec
	s_and_b64 s[10:11], s[28:29], exec
	s_or_b64 s[8:9], s[8:9], s[10:11]
.LBB386_46:                             ;   in Loop: Header=BB386_37 Depth=1
	s_or_b64 exec, exec, s[26:27]
	s_andn2_b64 s[6:7], s[6:7], exec
	s_and_b64 s[8:9], s[8:9], exec
	s_or_b64 s[6:7], s[6:7], s[8:9]
.LBB386_47:                             ;   in Loop: Header=BB386_37 Depth=1
	s_or_b64 exec, exec, s[24:25]
	s_andn2_b64 s[4:5], s[4:5], exec
	s_and_b64 s[6:7], s[6:7], exec
	s_or_b64 s[4:5], s[4:5], s[6:7]
.LBB386_48:                             ;   in Loop: Header=BB386_37 Depth=1
	s_or_b64 exec, exec, s[22:23]
	s_andn2_b64 s[2:3], s[2:3], exec
	s_and_b64 s[4:5], s[4:5], exec
	s_or_b64 s[2:3], s[2:3], s[4:5]
.LBB386_49:                             ;   in Loop: Header=BB386_37 Depth=1
	s_or_b64 exec, exec, s[20:21]
	s_andn2_b64 s[0:1], s[0:1], exec
	s_and_b64 s[2:3], s[2:3], exec
	s_or_b64 s[0:1], s[0:1], s[2:3]
.LBB386_50:                             ;   in Loop: Header=BB386_37 Depth=1
	s_or_b64 exec, exec, s[18:19]
	s_andn2_b64 s[2:3], vcc, exec
	s_and_b64 s[0:1], s[0:1], exec
	s_or_b64 vcc, s[2:3], s[0:1]
.LBB386_51:                             ;   in Loop: Header=BB386_37 Depth=1
	s_or_b64 exec, exec, s[16:17]
	s_and_saveexec_b64 s[0:1], vcc
	s_cbranch_execz .LBB386_53
; %bb.52:                               ;   in Loop: Header=BB386_37 Depth=1
	scratch_load_dword v1, v1, off
	v_add_u32_e32 v24, s15, v0
	v_ashrrev_i32_e32 v25, 31, v24
	v_lshl_add_u64 v[24:25], v[24:25], 2, s[12:13]
	s_waitcnt vmcnt(0)
	v_mul_f32_e32 v1, v8, v1
	global_store_dword v[24:25], v1, off
.LBB386_53:                             ;   in Loop: Header=BB386_37 Depth=1
	s_or_b64 exec, exec, s[0:1]
	global_load_dword v24, v[6:7], off
	v_mov_b32_e32 v1, 0
	s_waitcnt vmcnt(0)
	v_cmp_eq_u32_e64 s[8:9], v24, v10
	v_cmp_ne_u32_e32 vcc, v24, v10
	s_and_saveexec_b64 s[10:11], vcc
	s_cbranch_execz .LBB386_67
; %bb.54:                               ;   in Loop: Header=BB386_37 Depth=1
	v_cmp_eq_u32_e32 vcc, v24, v23
	v_cmp_ne_u32_e64 s[0:1], v24, v23
	v_mov_b32_e32 v1, v20
	s_and_saveexec_b64 s[16:17], s[0:1]
	s_cbranch_execz .LBB386_66
; %bb.55:                               ;   in Loop: Header=BB386_37 Depth=1
	v_cmp_eq_u32_e64 s[0:1], v24, v22
	v_cmp_ne_u32_e64 s[2:3], v24, v22
	v_mov_b32_e32 v1, v18
	s_and_saveexec_b64 s[18:19], s[2:3]
	s_cbranch_execz .LBB386_65
; %bb.56:                               ;   in Loop: Header=BB386_37 Depth=1
	v_cmp_eq_u32_e64 s[2:3], v24, v21
	;; [unrolled: 6-line block ×5, first 2 shown]
	v_cmp_ne_u32_e64 s[6:7], v24, v15
	v_mov_b32_e32 v1, v9
	s_and_saveexec_b64 s[30:31], s[6:7]
; %bb.60:                               ;   in Loop: Header=BB386_37 Depth=1
	v_cmp_eq_u32_e64 s[6:7], v24, v13
	s_andn2_b64 s[28:29], s[28:29], exec
	s_and_b64 s[6:7], s[6:7], exec
	s_or_b64 s[28:29], s[28:29], s[6:7]
	v_mov_b32_e32 v1, v11
; %bb.61:                               ;   in Loop: Header=BB386_37 Depth=1
	s_or_b64 exec, exec, s[30:31]
	s_andn2_b64 s[6:7], s[24:25], exec
	s_and_b64 s[24:25], s[28:29], exec
	s_or_b64 s[24:25], s[6:7], s[24:25]
.LBB386_62:                             ;   in Loop: Header=BB386_37 Depth=1
	s_or_b64 exec, exec, s[26:27]
	s_andn2_b64 s[4:5], s[4:5], exec
	s_and_b64 s[6:7], s[24:25], exec
	s_or_b64 s[4:5], s[4:5], s[6:7]
.LBB386_63:                             ;   in Loop: Header=BB386_37 Depth=1
	s_or_b64 exec, exec, s[22:23]
	s_andn2_b64 s[2:3], s[2:3], exec
	s_and_b64 s[4:5], s[4:5], exec
	s_or_b64 s[2:3], s[2:3], s[4:5]
.LBB386_64:                             ;   in Loop: Header=BB386_37 Depth=1
	s_or_b64 exec, exec, s[20:21]
	s_andn2_b64 s[0:1], s[0:1], exec
	s_and_b64 s[2:3], s[2:3], exec
	s_or_b64 s[0:1], s[0:1], s[2:3]
.LBB386_65:                             ;   in Loop: Header=BB386_37 Depth=1
	s_or_b64 exec, exec, s[18:19]
	s_andn2_b64 s[2:3], vcc, exec
	s_and_b64 s[0:1], s[0:1], exec
	s_or_b64 vcc, s[2:3], s[0:1]
.LBB386_66:                             ;   in Loop: Header=BB386_37 Depth=1
	s_or_b64 exec, exec, s[16:17]
	s_andn2_b64 s[0:1], s[8:9], exec
	s_and_b64 s[2:3], vcc, exec
	s_or_b64 s[8:9], s[0:1], s[2:3]
.LBB386_67:                             ;   in Loop: Header=BB386_37 Depth=1
	s_or_b64 exec, exec, s[10:11]
	s_and_saveexec_b64 s[0:1], s[8:9]
	s_cbranch_execz .LBB386_36
; %bb.68:                               ;   in Loop: Header=BB386_37 Depth=1
	scratch_load_dword v1, v1, off
	s_waitcnt vmcnt(0)
	v_mul_f32_e32 v1, v8, v1
	global_store_dword v[4:5], v1, off
	s_branch .LBB386_36
.LBB386_69:
	s_bitcmp0_b32 s33, 0
	s_mov_b32 s15, 0
	s_cbranch_scc1 .LBB386_31
; %bb.70:
	v_lshl_add_u64 v[2:3], s[14:15], 2, v[2:3]
	global_load_dword v1, v[2:3], off
	v_mov_b32_e32 v2, 0
	s_waitcnt vmcnt(0)
	v_cmp_eq_u32_e64 s[8:9], v1, v10
	v_cmp_ne_u32_e32 vcc, v1, v10
	s_and_saveexec_b64 s[10:11], vcc
	s_cbranch_execz .LBB386_84
; %bb.71:
	v_cmp_eq_u32_e32 vcc, v1, v23
	v_cmp_ne_u32_e64 s[0:1], v1, v23
	s_and_saveexec_b64 s[16:17], s[0:1]
	s_cbranch_execz .LBB386_83
; %bb.72:
	v_cmp_eq_u32_e64 s[0:1], v1, v22
	v_cmp_ne_u32_e64 s[2:3], v1, v22
	s_and_saveexec_b64 s[18:19], s[2:3]
	s_cbranch_execz .LBB386_82
; %bb.73:
	v_cmp_eq_u32_e64 s[2:3], v1, v21
	;; [unrolled: 5-line block ×5, first 2 shown]
	v_cmp_ne_u32_e64 s[6:7], v1, v15
	s_and_saveexec_b64 s[30:31], s[6:7]
; %bb.77:
	v_cmp_eq_u32_e64 s[6:7], v1, v13
	s_andn2_b64 s[28:29], s[28:29], exec
	s_and_b64 s[6:7], s[6:7], exec
	s_or_b64 s[28:29], s[28:29], s[6:7]
	v_mov_b32_e32 v9, v11
; %bb.78:
	s_or_b64 exec, exec, s[30:31]
	s_andn2_b64 s[6:7], s[24:25], exec
	s_and_b64 s[24:25], s[28:29], exec
	s_or_b64 s[24:25], s[6:7], s[24:25]
	v_mov_b32_e32 v12, v9
.LBB386_79:
	s_or_b64 exec, exec, s[26:27]
	s_andn2_b64 s[4:5], s[4:5], exec
	s_and_b64 s[6:7], s[24:25], exec
	s_or_b64 s[4:5], s[4:5], s[6:7]
	v_mov_b32_e32 v14, v12
.LBB386_80:
	s_or_b64 exec, exec, s[22:23]
	s_andn2_b64 s[2:3], s[2:3], exec
	s_and_b64 s[4:5], s[4:5], exec
	s_or_b64 s[2:3], s[2:3], s[4:5]
	v_mov_b32_e32 v16, v14
.LBB386_81:
	s_or_b64 exec, exec, s[20:21]
	s_andn2_b64 s[0:1], s[0:1], exec
	s_and_b64 s[2:3], s[2:3], exec
	s_or_b64 s[0:1], s[0:1], s[2:3]
	v_mov_b32_e32 v18, v16
.LBB386_82:
	s_or_b64 exec, exec, s[18:19]
	s_andn2_b64 s[2:3], vcc, exec
	s_and_b64 s[0:1], s[0:1], exec
	s_or_b64 vcc, s[2:3], s[0:1]
	v_mov_b32_e32 v20, v18
.LBB386_83:
	s_or_b64 exec, exec, s[16:17]
	s_andn2_b64 s[0:1], s[8:9], exec
	s_and_b64 s[2:3], vcc, exec
	s_or_b64 s[8:9], s[0:1], s[2:3]
	v_mov_b32_e32 v2, v20
.LBB386_84:
	s_or_b64 exec, exec, s[10:11]
	s_and_b64 exec, exec, s[8:9]
	s_cbranch_execz .LBB386_31
; %bb.85:
	scratch_load_dword v2, v2, off
	v_add_u32_e32 v0, s14, v0
	v_ashrrev_i32_e32 v1, 31, v0
	s_waitcnt lgkmcnt(0)
	v_lshl_add_u64 v[0:1], v[0:1], 2, s[12:13]
	s_waitcnt vmcnt(0)
	v_mul_f32_e32 v2, v8, v2
	global_store_dword v[0:1], v2, off
	s_endpgm
	.section	.rodata,"a",@progbits
	.p2align	6, 0x0
	.amdhsa_kernel _ZN4vllm3moe22topkGatingSoftplusSqrtILi8ELi64ELi4ELi16ELi32ELb1Ei14__hip_bfloat16EEvPKT6_PKbPfiPT5_PiiiibdPKfPKS9_SF_
		.amdhsa_group_segment_fixed_size 0
		.amdhsa_private_segment_fixed_size 48
		.amdhsa_kernarg_size 96
		.amdhsa_user_sgpr_count 2
		.amdhsa_user_sgpr_dispatch_ptr 0
		.amdhsa_user_sgpr_queue_ptr 0
		.amdhsa_user_sgpr_kernarg_segment_ptr 1
		.amdhsa_user_sgpr_dispatch_id 0
		.amdhsa_user_sgpr_kernarg_preload_length 0
		.amdhsa_user_sgpr_kernarg_preload_offset 0
		.amdhsa_user_sgpr_private_segment_size 0
		.amdhsa_uses_dynamic_stack 0
		.amdhsa_enable_private_segment 1
		.amdhsa_system_sgpr_workgroup_id_x 1
		.amdhsa_system_sgpr_workgroup_id_y 0
		.amdhsa_system_sgpr_workgroup_id_z 0
		.amdhsa_system_sgpr_workgroup_info 0
		.amdhsa_system_vgpr_workitem_id 1
		.amdhsa_next_free_vgpr 28
		.amdhsa_next_free_sgpr 34
		.amdhsa_accum_offset 28
		.amdhsa_reserve_vcc 1
		.amdhsa_float_round_mode_32 0
		.amdhsa_float_round_mode_16_64 0
		.amdhsa_float_denorm_mode_32 3
		.amdhsa_float_denorm_mode_16_64 3
		.amdhsa_dx10_clamp 1
		.amdhsa_ieee_mode 1
		.amdhsa_fp16_overflow 0
		.amdhsa_tg_split 0
		.amdhsa_exception_fp_ieee_invalid_op 0
		.amdhsa_exception_fp_denorm_src 0
		.amdhsa_exception_fp_ieee_div_zero 0
		.amdhsa_exception_fp_ieee_overflow 0
		.amdhsa_exception_fp_ieee_underflow 0
		.amdhsa_exception_fp_ieee_inexact 0
		.amdhsa_exception_int_div_zero 0
	.end_amdhsa_kernel
	.section	.text._ZN4vllm3moe22topkGatingSoftplusSqrtILi8ELi64ELi4ELi16ELi32ELb1Ei14__hip_bfloat16EEvPKT6_PKbPfiPT5_PiiiibdPKfPKS9_SF_,"axG",@progbits,_ZN4vllm3moe22topkGatingSoftplusSqrtILi8ELi64ELi4ELi16ELi32ELb1Ei14__hip_bfloat16EEvPKT6_PKbPfiPT5_PiiiibdPKfPKS9_SF_,comdat
.Lfunc_end386:
	.size	_ZN4vllm3moe22topkGatingSoftplusSqrtILi8ELi64ELi4ELi16ELi32ELb1Ei14__hip_bfloat16EEvPKT6_PKbPfiPT5_PiiiibdPKfPKS9_SF_, .Lfunc_end386-_ZN4vllm3moe22topkGatingSoftplusSqrtILi8ELi64ELi4ELi16ELi32ELb1Ei14__hip_bfloat16EEvPKT6_PKbPfiPT5_PiiiibdPKfPKS9_SF_
                                        ; -- End function
	.section	.AMDGPU.csdata,"",@progbits
; Kernel info:
; codeLenInByte = 4496
; NumSgprs: 40
; NumVgprs: 28
; NumAgprs: 0
; TotalNumVgprs: 28
; ScratchSize: 48
; MemoryBound: 0
; FloatMode: 240
; IeeeMode: 1
; LDSByteSize: 0 bytes/workgroup (compile time only)
; SGPRBlocks: 4
; VGPRBlocks: 3
; NumSGPRsForWavesPerEU: 40
; NumVGPRsForWavesPerEU: 28
; AccumOffset: 28
; Occupancy: 8
; WaveLimiterHint : 1
; COMPUTE_PGM_RSRC2:SCRATCH_EN: 1
; COMPUTE_PGM_RSRC2:USER_SGPR: 2
; COMPUTE_PGM_RSRC2:TRAP_HANDLER: 0
; COMPUTE_PGM_RSRC2:TGID_X_EN: 1
; COMPUTE_PGM_RSRC2:TGID_Y_EN: 0
; COMPUTE_PGM_RSRC2:TGID_Z_EN: 0
; COMPUTE_PGM_RSRC2:TIDIG_COMP_CNT: 1
; COMPUTE_PGM_RSRC3_GFX90A:ACCUM_OFFSET: 6
; COMPUTE_PGM_RSRC3_GFX90A:TG_SPLIT: 0
	.section	.text._ZN4vllm3moe22topkGatingSoftplusSqrtILi8ELi64ELi4ELi16ELi32ELb0Ei14__hip_bfloat16EEvPKT6_PKbPfiPT5_PiiiibdPKfPKS9_SF_,"axG",@progbits,_ZN4vllm3moe22topkGatingSoftplusSqrtILi8ELi64ELi4ELi16ELi32ELb0Ei14__hip_bfloat16EEvPKT6_PKbPfiPT5_PiiiibdPKfPKS9_SF_,comdat
	.protected	_ZN4vllm3moe22topkGatingSoftplusSqrtILi8ELi64ELi4ELi16ELi32ELb0Ei14__hip_bfloat16EEvPKT6_PKbPfiPT5_PiiiibdPKfPKS9_SF_ ; -- Begin function _ZN4vllm3moe22topkGatingSoftplusSqrtILi8ELi64ELi4ELi16ELi32ELb0Ei14__hip_bfloat16EEvPKT6_PKbPfiPT5_PiiiibdPKfPKS9_SF_
	.globl	_ZN4vllm3moe22topkGatingSoftplusSqrtILi8ELi64ELi4ELi16ELi32ELb0Ei14__hip_bfloat16EEvPKT6_PKbPfiPT5_PiiiibdPKfPKS9_SF_
	.p2align	8
	.type	_ZN4vllm3moe22topkGatingSoftplusSqrtILi8ELi64ELi4ELi16ELi32ELb0Ei14__hip_bfloat16EEvPKT6_PKbPfiPT5_PiiiibdPKfPKS9_SF_,@function
_ZN4vllm3moe22topkGatingSoftplusSqrtILi8ELi64ELi4ELi16ELi32ELb0Ei14__hip_bfloat16EEvPKT6_PKbPfiPT5_PiiiibdPKfPKS9_SF_: ; @_ZN4vllm3moe22topkGatingSoftplusSqrtILi8ELi64ELi4ELi16ELi32ELb0Ei14__hip_bfloat16EEvPKT6_PKbPfiPT5_PiiiibdPKfPKS9_SF_
; %bb.0:
	s_load_dword s33, s[0:1], 0x18
	v_bfe_u32 v1, v0, 10, 10
	v_and_b32_e32 v0, 0x3ff, v0
	s_lshl_b32 s2, s2, 4
	v_lshlrev_b32_e32 v1, 2, v1
	v_lshrrev_b32_e32 v2, 3, v0
	v_add3_u32 v8, s2, v1, v2
	s_waitcnt lgkmcnt(0)
	v_cmp_gt_i32_e32 vcc, s33, v8
	s_and_saveexec_b64 s[2:3], vcc
	s_cbranch_execz .LBB387_57
; %bb.1:
	s_load_dwordx4 s[4:7], s[0:1], 0x0
	s_load_dwordx2 s[34:35], s[0:1], 0x10
	s_waitcnt lgkmcnt(0)
	s_cmp_eq_u64 s[6:7], 0
	s_cbranch_scc1 .LBB387_3
; %bb.2:
	v_ashrrev_i32_e32 v9, 31, v8
	v_lshl_add_u64 v[2:3], s[6:7], 0, v[8:9]
	global_load_ubyte v1, v[2:3], off
	s_waitcnt vmcnt(0)
	v_and_b32_e32 v1, 1, v1
	v_cmp_eq_u32_e32 vcc, 1, v1
	s_xor_b64 s[2:3], vcc, -1
	s_orn2_b64 s[36:37], s[2:3], exec
	s_branch .LBB387_4
.LBB387_3:
	s_mov_b64 s[36:37], -1
.LBB387_4:
	v_lshlrev_b32_e32 v4, 6, v8
	v_mov_b32_e32 v2, s4
	v_mov_b32_e32 v3, s5
	v_ashrrev_i32_e32 v5, 31, v4
	v_and_b32_e32 v9, 7, v0
	v_lshl_add_u64 v[2:3], v[4:5], 1, v[2:3]
	v_mov_b32_e32 v1, 0
	v_lshlrev_b32_e32 v0, 4, v9
	v_lshl_add_u64 v[0:1], v[2:3], 0, v[0:1]
	global_load_dwordx4 v[4:7], v[0:1], off
	s_mov_b32 s12, 0x800000
	v_mov_b32_e32 v2, 0x4f800000
	s_mov_b32 s9, 0x3f317217
	s_mov_b32 s10, 0x7f800000
	v_mov_b32_e32 v3, 0x41b17218
	s_mov_b32 s8, 0x41a00000
	s_mov_b32 s11, 0xf800000
	s_load_dwordx4 s[20:23], s[0:1], 0x40
	v_lshlrev_b32_e32 v12, 3, v9
	s_waitcnt lgkmcnt(0)
	s_cmp_lg_u64 s[22:23], 0
	s_cselect_b64 s[6:7], -1, 0
	s_and_b64 s[2:3], exec, s[6:7]
	s_waitcnt vmcnt(0)
	v_lshlrev_b32_e32 v0, 16, v4
	v_mul_f32_e32 v1, 0x3fb8aa3b, v0
	v_exp_f32_e32 v10, v1
	v_mov_b32_e32 v1, 0x260
	v_add_f32_e32 v10, 1.0, v10
	v_cmp_gt_f32_e32 vcc, s12, v10
	s_nop 1
	v_cndmask_b32_e32 v11, 1.0, v2, vcc
	v_mul_f32_e32 v10, v10, v11
	v_log_f32_e32 v11, v10
	v_cndmask_b32_e32 v13, 0, v3, vcc
	v_lshlrev_b32_e32 v10, 2, v12
	v_mul_f32_e32 v14, 0x3f317217, v11
	v_fma_f32 v14, v11, s9, -v14
	v_fmac_f32_e32 v14, 0x3377d1cf, v11
	v_fmac_f32_e32 v14, 0x3f317217, v11
	v_cmp_lt_f32_e64 vcc, |v11|, s10
	s_nop 1
	v_cndmask_b32_e32 v11, v11, v14, vcc
	v_sub_f32_e32 v11, v11, v13
	v_cmp_lt_f32_e32 vcc, s8, v0
	s_nop 1
	v_cndmask_b32_e32 v0, v11, v0, vcc
	v_mul_f32_e32 v11, 0x4f800000, v0
	v_cmp_gt_f32_e32 vcc, s11, v0
	s_nop 1
	v_cndmask_b32_e32 v0, v0, v11, vcc
	v_sqrt_f32_e32 v11, v0
	s_nop 0
	v_add_u32_e32 v13, -1, v11
	v_add_u32_e32 v14, 1, v11
	v_fma_f32 v15, -v13, v11, v0
	v_fma_f32 v16, -v14, v11, v0
	v_cmp_ge_f32_e64 s[4:5], 0, v15
	s_nop 1
	v_cndmask_b32_e64 v11, v11, v13, s[4:5]
	v_cmp_lt_f32_e64 s[4:5], 0, v16
	s_nop 1
	v_cndmask_b32_e64 v11, v11, v14, s[4:5]
	v_mul_f32_e32 v13, 0x37800000, v11
	v_cndmask_b32_e32 v11, v11, v13, vcc
	v_cmp_class_f32_e32 vcc, v0, v1
	s_nop 1
	v_cndmask_b32_e32 v0, v11, v0, vcc
	s_mov_b64 vcc, s[2:3]
	s_cbranch_vccz .LBB387_6
; %bb.5:
	global_load_dword v11, v10, s[22:23]
	s_waitcnt vmcnt(0)
	v_add_f32_e32 v0, v0, v11
.LBB387_6:
	v_and_b32_e32 v4, 0xffff0000, v4
	v_mul_f32_e32 v11, 0x3fb8aa3b, v4
	v_exp_f32_e32 v11, v11
	s_nop 0
	v_add_f32_e32 v11, 1.0, v11
	v_cmp_gt_f32_e32 vcc, s12, v11
	s_nop 1
	v_cndmask_b32_e32 v2, 1.0, v2, vcc
	v_mul_f32_e32 v2, v11, v2
	v_log_f32_e32 v2, v2
	v_cndmask_b32_e32 v3, 0, v3, vcc
	v_mul_f32_e32 v11, 0x3f317217, v2
	v_fma_f32 v11, v2, s9, -v11
	v_fmac_f32_e32 v11, 0x3377d1cf, v2
	v_fmac_f32_e32 v11, 0x3f317217, v2
	v_cmp_lt_f32_e64 vcc, |v2|, s10
	s_nop 1
	v_cndmask_b32_e32 v2, v2, v11, vcc
	v_sub_f32_e32 v2, v2, v3
	v_cmp_lt_f32_e32 vcc, s8, v4
	s_nop 1
	v_cndmask_b32_e32 v2, v2, v4, vcc
	v_mul_f32_e32 v3, 0x4f800000, v2
	v_cmp_gt_f32_e32 vcc, s11, v2
	s_nop 1
	v_cndmask_b32_e32 v2, v2, v3, vcc
	v_sqrt_f32_e32 v3, v2
	v_cmp_class_f32_e64 s[4:5], v2, v1
	v_add_u32_e32 v4, -1, v3
	v_add_u32_e32 v11, 1, v3
	v_fma_f32 v13, -v4, v3, v2
	v_fma_f32 v14, -v11, v3, v2
	v_cmp_ge_f32_e64 s[2:3], 0, v13
	s_nop 1
	v_cndmask_b32_e64 v3, v3, v4, s[2:3]
	v_cmp_lt_f32_e64 s[2:3], 0, v14
	s_nop 1
	v_cndmask_b32_e64 v3, v3, v11, s[2:3]
	v_mul_f32_e32 v4, 0x37800000, v3
	v_cndmask_b32_e32 v3, v3, v4, vcc
	v_cndmask_b32_e64 v4, 0, 1, s[6:7]
	v_cmp_ne_u32_e64 s[2:3], 1, v4
	s_andn2_b64 vcc, exec, s[6:7]
	v_cndmask_b32_e64 v1, v3, v2, s[4:5]
	s_cbranch_vccnz .LBB387_8
; %bb.7:
	global_load_dword v2, v10, s[22:23] offset:4
	s_waitcnt vmcnt(0)
	v_add_f32_e32 v1, v1, v2
.LBB387_8:
	v_lshlrev_b32_e32 v2, 16, v5
	v_mul_f32_e32 v3, 0x3fb8aa3b, v2
	v_exp_f32_e32 v3, v3
	s_mov_b32 s10, 0x800000
	v_mov_b32_e32 v4, 0x4f800000
	s_mov_b32 s7, 0x3f317217
	v_add_f32_e32 v3, 1.0, v3
	v_cmp_gt_f32_e32 vcc, s10, v3
	s_mov_b32 s8, 0x7f800000
	s_mov_b32 s6, 0x41a00000
	v_cndmask_b32_e32 v11, 1.0, v4, vcc
	v_mul_f32_e32 v3, v3, v11
	v_log_f32_e32 v3, v3
	s_mov_b32 s9, 0xf800000
	v_mul_f32_e32 v11, 0x3f317217, v3
	v_fma_f32 v11, v3, s7, -v11
	v_fmac_f32_e32 v11, 0x3377d1cf, v3
	v_fmac_f32_e32 v11, 0x3f317217, v3
	v_cmp_lt_f32_e64 s[4:5], |v3|, s8
	s_nop 1
	v_cndmask_b32_e64 v3, v3, v11, s[4:5]
	v_mov_b32_e32 v11, 0x41b17218
	v_cndmask_b32_e32 v13, 0, v11, vcc
	v_sub_f32_e32 v3, v3, v13
	v_cmp_lt_f32_e32 vcc, s6, v2
	s_nop 1
	v_cndmask_b32_e32 v2, v3, v2, vcc
	v_mul_f32_e32 v3, 0x4f800000, v2
	v_cmp_gt_f32_e32 vcc, s9, v2
	s_nop 1
	v_cndmask_b32_e32 v2, v2, v3, vcc
	v_sqrt_f32_e32 v3, v2
	s_nop 0
	v_add_u32_e32 v13, -1, v3
	v_fma_f32 v14, -v13, v3, v2
	v_cmp_ge_f32_e64 s[4:5], 0, v14
	v_add_u32_e32 v14, 1, v3
	s_nop 0
	v_cndmask_b32_e64 v13, v3, v13, s[4:5]
	v_fma_f32 v3, -v14, v3, v2
	v_cmp_lt_f32_e64 s[4:5], 0, v3
	s_nop 1
	v_cndmask_b32_e64 v3, v13, v14, s[4:5]
	v_mul_f32_e32 v13, 0x37800000, v3
	v_cndmask_b32_e32 v13, v3, v13, vcc
	v_mov_b32_e32 v3, 0x260
	v_cmp_class_f32_e64 s[4:5], v2, v3
	s_and_b64 vcc, exec, s[2:3]
	s_nop 0
	v_cndmask_b32_e64 v2, v13, v2, s[4:5]
	s_cbranch_vccnz .LBB387_10
; %bb.9:
	global_load_dword v13, v10, s[22:23] offset:8
	s_waitcnt vmcnt(0)
	v_add_f32_e32 v2, v2, v13
.LBB387_10:
	v_and_b32_e32 v5, 0xffff0000, v5
	v_mul_f32_e32 v13, 0x3fb8aa3b, v5
	v_exp_f32_e32 v13, v13
	s_nop 0
	v_add_f32_e32 v13, 1.0, v13
	v_cmp_gt_f32_e32 vcc, s10, v13
	s_nop 1
	v_cndmask_b32_e32 v4, 1.0, v4, vcc
	v_mul_f32_e32 v4, v13, v4
	v_log_f32_e32 v4, v4
	v_cndmask_b32_e32 v11, 0, v11, vcc
	v_mul_f32_e32 v13, 0x3f317217, v4
	v_fma_f32 v13, v4, s7, -v13
	v_fmac_f32_e32 v13, 0x3377d1cf, v4
	v_fmac_f32_e32 v13, 0x3f317217, v4
	v_cmp_lt_f32_e64 vcc, |v4|, s8
	s_nop 1
	v_cndmask_b32_e32 v4, v4, v13, vcc
	v_sub_f32_e32 v4, v4, v11
	v_cmp_lt_f32_e32 vcc, s6, v5
	s_nop 1
	v_cndmask_b32_e32 v4, v4, v5, vcc
	v_mul_f32_e32 v5, 0x4f800000, v4
	v_cmp_gt_f32_e32 vcc, s9, v4
	s_nop 1
	v_cndmask_b32_e32 v4, v4, v5, vcc
	v_sqrt_f32_e32 v5, v4
	s_nop 0
	v_add_u32_e32 v11, -1, v5
	v_add_u32_e32 v13, 1, v5
	v_fma_f32 v14, -v11, v5, v4
	v_fma_f32 v15, -v13, v5, v4
	v_cmp_ge_f32_e64 s[4:5], 0, v14
	s_nop 1
	v_cndmask_b32_e64 v5, v5, v11, s[4:5]
	v_cmp_lt_f32_e64 s[4:5], 0, v15
	s_nop 1
	v_cndmask_b32_e64 v5, v5, v13, s[4:5]
	v_mul_f32_e32 v11, 0x37800000, v5
	v_cndmask_b32_e32 v5, v5, v11, vcc
	v_cmp_class_f32_e64 s[4:5], v4, v3
	s_and_b64 vcc, exec, s[2:3]
	s_nop 0
	v_cndmask_b32_e64 v3, v5, v4, s[4:5]
	s_cbranch_vccnz .LBB387_12
; %bb.11:
	global_load_dword v4, v10, s[22:23] offset:12
	s_waitcnt vmcnt(0)
	v_add_f32_e32 v3, v3, v4
.LBB387_12:
	v_lshlrev_b32_e32 v4, 16, v6
	v_mul_f32_e32 v5, 0x3fb8aa3b, v4
	v_exp_f32_e32 v5, v5
	v_mov_b32_e32 v11, 0x4f800000
	v_add_f32_e32 v5, 1.0, v5
	v_cmp_gt_f32_e32 vcc, s10, v5
	s_nop 1
	v_cndmask_b32_e32 v13, 1.0, v11, vcc
	v_mul_f32_e32 v5, v5, v13
	v_log_f32_e32 v5, v5
	s_nop 0
	v_mul_f32_e32 v13, 0x3f317217, v5
	v_fma_f32 v13, v5, s7, -v13
	v_fmac_f32_e32 v13, 0x3377d1cf, v5
	v_fmac_f32_e32 v13, 0x3f317217, v5
	v_cmp_lt_f32_e64 s[4:5], |v5|, s8
	s_nop 1
	v_cndmask_b32_e64 v5, v5, v13, s[4:5]
	v_mov_b32_e32 v13, 0x41b17218
	v_cndmask_b32_e32 v14, 0, v13, vcc
	v_sub_f32_e32 v5, v5, v14
	v_cmp_lt_f32_e32 vcc, s6, v4
	s_nop 1
	v_cndmask_b32_e32 v4, v5, v4, vcc
	v_mul_f32_e32 v5, 0x4f800000, v4
	v_cmp_gt_f32_e32 vcc, s9, v4
	s_nop 1
	v_cndmask_b32_e32 v4, v4, v5, vcc
	v_sqrt_f32_e32 v5, v4
	s_nop 0
	v_add_u32_e32 v14, -1, v5
	v_fma_f32 v15, -v14, v5, v4
	v_cmp_ge_f32_e64 s[4:5], 0, v15
	v_add_u32_e32 v15, 1, v5
	s_nop 0
	v_cndmask_b32_e64 v14, v5, v14, s[4:5]
	v_fma_f32 v5, -v15, v5, v4
	v_cmp_lt_f32_e64 s[4:5], 0, v5
	s_nop 1
	v_cndmask_b32_e64 v5, v14, v15, s[4:5]
	v_mul_f32_e32 v14, 0x37800000, v5
	v_cndmask_b32_e32 v14, v5, v14, vcc
	v_mov_b32_e32 v5, 0x260
	v_cmp_class_f32_e64 s[4:5], v4, v5
	s_and_b64 vcc, exec, s[2:3]
	s_nop 0
	v_cndmask_b32_e64 v4, v14, v4, s[4:5]
	s_cbranch_vccnz .LBB387_14
; %bb.13:
	global_load_dword v14, v10, s[22:23] offset:16
	s_waitcnt vmcnt(0)
	v_add_f32_e32 v4, v4, v14
.LBB387_14:
	v_and_b32_e32 v6, 0xffff0000, v6
	v_mul_f32_e32 v14, 0x3fb8aa3b, v6
	v_exp_f32_e32 v14, v14
	s_nop 0
	v_add_f32_e32 v14, 1.0, v14
	v_cmp_gt_f32_e32 vcc, s10, v14
	s_nop 1
	v_cndmask_b32_e32 v11, 1.0, v11, vcc
	v_mul_f32_e32 v11, v14, v11
	v_log_f32_e32 v11, v11
	v_cndmask_b32_e32 v13, 0, v13, vcc
	v_mul_f32_e32 v14, 0x3f317217, v11
	v_fma_f32 v14, v11, s7, -v14
	v_fmac_f32_e32 v14, 0x3377d1cf, v11
	v_fmac_f32_e32 v14, 0x3f317217, v11
	v_cmp_lt_f32_e64 vcc, |v11|, s8
	s_nop 1
	v_cndmask_b32_e32 v11, v11, v14, vcc
	v_sub_f32_e32 v11, v11, v13
	v_cmp_lt_f32_e32 vcc, s6, v6
	s_nop 1
	v_cndmask_b32_e32 v6, v11, v6, vcc
	v_mul_f32_e32 v11, 0x4f800000, v6
	v_cmp_gt_f32_e32 vcc, s9, v6
	s_nop 1
	v_cndmask_b32_e32 v6, v6, v11, vcc
	v_sqrt_f32_e32 v11, v6
	s_nop 0
	v_add_u32_e32 v13, -1, v11
	v_add_u32_e32 v14, 1, v11
	v_fma_f32 v15, -v13, v11, v6
	v_fma_f32 v16, -v14, v11, v6
	v_cmp_ge_f32_e64 s[4:5], 0, v15
	s_nop 1
	v_cndmask_b32_e64 v11, v11, v13, s[4:5]
	v_cmp_lt_f32_e64 s[4:5], 0, v16
	s_nop 1
	v_cndmask_b32_e64 v11, v11, v14, s[4:5]
	v_mul_f32_e32 v13, 0x37800000, v11
	v_cndmask_b32_e32 v11, v11, v13, vcc
	v_cmp_class_f32_e64 s[4:5], v6, v5
	s_and_b64 vcc, exec, s[2:3]
	s_nop 0
	v_cndmask_b32_e64 v5, v11, v6, s[4:5]
	s_cbranch_vccnz .LBB387_16
; %bb.15:
	global_load_dword v6, v10, s[22:23] offset:20
	s_waitcnt vmcnt(0)
	v_add_f32_e32 v5, v5, v6
.LBB387_16:
	v_lshlrev_b32_e32 v6, 16, v7
	v_mul_f32_e32 v11, 0x3fb8aa3b, v6
	v_exp_f32_e32 v11, v11
	v_mov_b32_e32 v13, 0x4f800000
	v_add_f32_e32 v11, 1.0, v11
	v_cmp_gt_f32_e32 vcc, s10, v11
	s_nop 1
	v_cndmask_b32_e32 v14, 1.0, v13, vcc
	v_mul_f32_e32 v11, v11, v14
	v_log_f32_e32 v11, v11
	s_nop 0
	v_mul_f32_e32 v14, 0x3f317217, v11
	v_fma_f32 v14, v11, s7, -v14
	v_fmac_f32_e32 v14, 0x3377d1cf, v11
	v_fmac_f32_e32 v14, 0x3f317217, v11
	v_cmp_lt_f32_e64 s[4:5], |v11|, s8
	s_nop 1
	v_cndmask_b32_e64 v11, v11, v14, s[4:5]
	v_mov_b32_e32 v14, 0x41b17218
	v_cndmask_b32_e32 v15, 0, v14, vcc
	v_sub_f32_e32 v11, v11, v15
	v_cmp_lt_f32_e32 vcc, s6, v6
	s_nop 1
	v_cndmask_b32_e32 v6, v11, v6, vcc
	v_mul_f32_e32 v11, 0x4f800000, v6
	v_cmp_gt_f32_e32 vcc, s9, v6
	s_nop 1
	v_cndmask_b32_e32 v6, v6, v11, vcc
	v_sqrt_f32_e32 v11, v6
	s_nop 0
	v_add_u32_e32 v15, -1, v11
	v_fma_f32 v16, -v15, v11, v6
	v_cmp_ge_f32_e64 s[4:5], 0, v16
	v_add_u32_e32 v16, 1, v11
	s_nop 0
	v_cndmask_b32_e64 v15, v11, v15, s[4:5]
	v_fma_f32 v11, -v16, v11, v6
	v_cmp_lt_f32_e64 s[4:5], 0, v11
	s_nop 1
	v_cndmask_b32_e64 v11, v15, v16, s[4:5]
	v_mul_f32_e32 v15, 0x37800000, v11
	v_cndmask_b32_e32 v15, v11, v15, vcc
	v_mov_b32_e32 v11, 0x260
	v_cmp_class_f32_e64 s[4:5], v6, v11
	s_and_b64 vcc, exec, s[2:3]
	s_nop 0
	v_cndmask_b32_e64 v6, v15, v6, s[4:5]
	s_cbranch_vccnz .LBB387_18
; %bb.17:
	global_load_dword v15, v10, s[22:23] offset:24
	s_waitcnt vmcnt(0)
	v_add_f32_e32 v6, v6, v15
.LBB387_18:
	v_and_b32_e32 v7, 0xffff0000, v7
	v_mul_f32_e32 v15, 0x3fb8aa3b, v7
	v_exp_f32_e32 v15, v15
	s_nop 0
	v_add_f32_e32 v15, 1.0, v15
	v_cmp_gt_f32_e32 vcc, s10, v15
	s_nop 1
	v_cndmask_b32_e32 v13, 1.0, v13, vcc
	v_mul_f32_e32 v13, v15, v13
	v_log_f32_e32 v13, v13
	v_cndmask_b32_e32 v14, 0, v14, vcc
	v_mul_f32_e32 v15, 0x3f317217, v13
	v_fma_f32 v15, v13, s7, -v15
	v_fmac_f32_e32 v15, 0x3377d1cf, v13
	v_fmac_f32_e32 v15, 0x3f317217, v13
	v_cmp_lt_f32_e64 vcc, |v13|, s8
	s_nop 1
	v_cndmask_b32_e32 v13, v13, v15, vcc
	v_sub_f32_e32 v13, v13, v14
	v_cmp_lt_f32_e32 vcc, s6, v7
	s_nop 1
	v_cndmask_b32_e32 v7, v13, v7, vcc
	v_mul_f32_e32 v13, 0x4f800000, v7
	v_cmp_gt_f32_e32 vcc, s9, v7
	s_nop 1
	v_cndmask_b32_e32 v7, v7, v13, vcc
	v_sqrt_f32_e32 v13, v7
	s_nop 0
	v_add_u32_e32 v14, -1, v13
	v_add_u32_e32 v15, 1, v13
	v_fma_f32 v16, -v14, v13, v7
	v_fma_f32 v17, -v15, v13, v7
	v_cmp_ge_f32_e64 s[4:5], 0, v16
	s_nop 1
	v_cndmask_b32_e64 v13, v13, v14, s[4:5]
	v_cmp_lt_f32_e64 s[4:5], 0, v17
	s_nop 1
	v_cndmask_b32_e64 v13, v13, v15, s[4:5]
	v_mul_f32_e32 v14, 0x37800000, v13
	v_cndmask_b32_e32 v13, v13, v14, vcc
	v_cmp_class_f32_e64 s[4:5], v7, v11
	s_and_b64 vcc, exec, s[2:3]
	s_nop 0
	v_cndmask_b32_e64 v7, v13, v7, s[4:5]
	s_cbranch_vccnz .LBB387_20
; %bb.19:
	global_load_dword v10, v10, s[22:23] offset:28
	s_waitcnt vmcnt(0)
	v_add_f32_e32 v7, v7, v10
.LBB387_20:
	s_load_dwordx4 s[24:27], s[0:1], 0x30
	s_mov_b32 s42, 0
	v_cmp_eq_u32_e64 s[6:7], 0, v9
	s_waitcnt lgkmcnt(0)
	s_bitcmp1_b32 s27, 0
	s_cselect_b64 s[4:5], -1, 0
	s_cmp_gt_i32 s24, 0
	s_cselect_b64 s[38:39], -1, 0
	s_and_b64 vcc, exec, s[38:39]
	s_cbranch_vccz .LBB387_43
; %bb.21:
	v_mbcnt_lo_u32_b32 v10, -1, 0
	v_mbcnt_hi_u32_b32 v10, -1, v10
	v_and_b32_e32 v11, 0x78, v10
	v_add_u32_e32 v11, 8, v11
	v_xor_b32_e32 v13, 4, v10
	v_cmp_lt_i32_e32 vcc, v13, v11
	s_load_dwordx4 s[28:31], s[0:1], 0x20
	v_mul_lo_u32 v14, v8, s24
	v_cndmask_b32_e32 v13, v10, v13, vcc
	v_lshlrev_b32_e32 v15, 2, v13
	v_xor_b32_e32 v13, 2, v10
	v_cmp_lt_i32_e32 vcc, v13, v11
	v_mov_b32_e32 v18, 0xc61c4000
	v_mov_b32_e32 v19, v8
	v_cndmask_b32_e32 v13, v10, v13, vcc
	v_lshlrev_b32_e32 v16, 2, v13
	v_xor_b32_e32 v13, 1, v10
	v_cmp_lt_i32_e32 vcc, v13, v11
	s_nop 1
	v_cndmask_b32_e32 v10, v10, v13, vcc
	v_lshlrev_b32_e32 v17, 2, v10
	v_mov_b32_e32 v13, 0
	s_branch .LBB387_24
.LBB387_22:                             ;   in Loop: Header=BB387_24 Depth=1
	s_or_b64 exec, exec, s[40:41]
.LBB387_23:                             ;   in Loop: Header=BB387_24 Depth=1
	s_cmp_eq_u32 s24, s42
	v_add_u32_e32 v19, s33, v19
	s_cbranch_scc1 .LBB387_44
.LBB387_24:                             ; =>This Inner Loop Header: Depth=1
	v_cmp_gt_f32_e32 vcc, v1, v0
	s_nop 1
	v_cndmask_b32_e32 v11, v0, v1, vcc
	v_cndmask_b32_e64 v10, 0, 1, vcc
	v_cmp_gt_f32_e32 vcc, v2, v11
	s_nop 1
	v_cndmask_b32_e32 v11, v11, v2, vcc
	v_cndmask_b32_e64 v10, v10, 2, vcc
	;; [unrolled: 4-line block ×6, first 2 shown]
	v_cmp_gt_f32_e32 vcc, v7, v11
	s_nop 1
	v_cndmask_b32_e64 v10, v10, 7, vcc
	v_cndmask_b32_e32 v20, v11, v7, vcc
	ds_bpermute_b32 v11, v15, v20
	v_or_b32_e32 v10, v12, v10
	s_waitcnt lgkmcnt(0)
	ds_bpermute_b32 v21, v15, v10
	s_waitcnt lgkmcnt(0)
	v_cmp_lt_f32_e64 s[8:9], v20, v11
	v_cmp_nlt_f32_e32 vcc, v20, v11
	s_and_saveexec_b64 s[10:11], vcc
; %bb.25:                               ;   in Loop: Header=BB387_24 Depth=1
	v_cmp_eq_f32_e32 vcc, v20, v11
	v_cmp_lt_i32_e64 s[0:1], v21, v10
	s_and_b64 s[0:1], vcc, s[0:1]
	s_andn2_b64 s[8:9], s[8:9], exec
	s_and_b64 s[0:1], s[0:1], exec
	s_or_b64 s[8:9], s[8:9], s[0:1]
; %bb.26:                               ;   in Loop: Header=BB387_24 Depth=1
	s_or_b64 exec, exec, s[10:11]
	s_and_saveexec_b64 s[0:1], s[8:9]
; %bb.27:                               ;   in Loop: Header=BB387_24 Depth=1
	v_mov_b32_e32 v20, v11
	v_mov_b32_e32 v10, v21
; %bb.28:                               ;   in Loop: Header=BB387_24 Depth=1
	s_or_b64 exec, exec, s[0:1]
	ds_bpermute_b32 v11, v16, v20
	ds_bpermute_b32 v21, v16, v10
	s_waitcnt lgkmcnt(1)
	v_cmp_lt_f32_e64 s[8:9], v20, v11
	v_cmp_nlt_f32_e32 vcc, v20, v11
	s_and_saveexec_b64 s[10:11], vcc
	s_cbranch_execz .LBB387_30
; %bb.29:                               ;   in Loop: Header=BB387_24 Depth=1
	v_cmp_eq_f32_e32 vcc, v20, v11
	s_waitcnt lgkmcnt(0)
	v_cmp_lt_i32_e64 s[0:1], v21, v10
	s_and_b64 s[0:1], vcc, s[0:1]
	s_andn2_b64 s[8:9], s[8:9], exec
	s_and_b64 s[0:1], s[0:1], exec
	s_or_b64 s[8:9], s[8:9], s[0:1]
.LBB387_30:                             ;   in Loop: Header=BB387_24 Depth=1
	s_or_b64 exec, exec, s[10:11]
	s_and_saveexec_b64 s[0:1], s[8:9]
	s_cbranch_execz .LBB387_32
; %bb.31:                               ;   in Loop: Header=BB387_24 Depth=1
	v_mov_b32_e32 v20, v11
	s_waitcnt lgkmcnt(0)
	v_mov_b32_e32 v10, v21
.LBB387_32:                             ;   in Loop: Header=BB387_24 Depth=1
	s_or_b64 exec, exec, s[0:1]
	ds_bpermute_b32 v11, v17, v20
	s_waitcnt lgkmcnt(1)
	ds_bpermute_b32 v21, v17, v10
	s_waitcnt lgkmcnt(1)
	v_cmp_lt_f32_e64 s[8:9], v20, v11
	v_cmp_nlt_f32_e32 vcc, v20, v11
	s_and_saveexec_b64 s[10:11], vcc
	s_cbranch_execnz .LBB387_36
; %bb.33:                               ;   in Loop: Header=BB387_24 Depth=1
	s_or_b64 exec, exec, s[10:11]
	s_and_saveexec_b64 s[0:1], s[8:9]
	s_cbranch_execnz .LBB387_37
.LBB387_34:                             ;   in Loop: Header=BB387_24 Depth=1
	s_or_b64 exec, exec, s[0:1]
	s_and_saveexec_b64 s[8:9], s[6:7]
	s_cbranch_execnz .LBB387_38
.LBB387_35:                             ;   in Loop: Header=BB387_24 Depth=1
	s_or_b64 exec, exec, s[8:9]
	s_add_i32 s42, s42, 1
	s_cmp_ge_i32 s42, s24
	s_cbranch_scc1 .LBB387_23
	s_branch .LBB387_41
.LBB387_36:                             ;   in Loop: Header=BB387_24 Depth=1
	v_cmp_eq_f32_e32 vcc, v20, v11
	s_waitcnt lgkmcnt(0)
	v_cmp_lt_i32_e64 s[0:1], v21, v10
	s_and_b64 s[0:1], vcc, s[0:1]
	s_andn2_b64 s[8:9], s[8:9], exec
	s_and_b64 s[0:1], s[0:1], exec
	s_or_b64 s[8:9], s[8:9], s[0:1]
	s_or_b64 exec, exec, s[10:11]
	s_and_saveexec_b64 s[0:1], s[8:9]
	s_cbranch_execz .LBB387_34
.LBB387_37:                             ;   in Loop: Header=BB387_24 Depth=1
	s_waitcnt lgkmcnt(0)
	v_mov_b32_e32 v10, v21
	v_mov_b32_e32 v20, v11
	s_or_b64 exec, exec, s[0:1]
	s_and_saveexec_b64 s[8:9], s[6:7]
	s_cbranch_execz .LBB387_35
.LBB387_38:                             ;   in Loop: Header=BB387_24 Depth=1
	s_and_b64 vcc, exec, s[2:3]
	s_cbranch_vccnz .LBB387_40
; %bb.39:                               ;   in Loop: Header=BB387_24 Depth=1
	v_ashrrev_i32_e32 v11, 31, v10
	v_lshl_add_u64 v[22:23], v[10:11], 2, s[22:23]
	global_load_dword v11, v[22:23], off
	s_waitcnt vmcnt(0)
	v_sub_f32_e32 v20, v20, v11
.LBB387_40:                             ;   in Loop: Header=BB387_24 Depth=1
	v_add_u32_e32 v22, s42, v14
	v_cmp_le_i32_e32 vcc, s25, v10
	v_cmp_gt_i32_e64 s[0:1], s26, v10
	v_ashrrev_i32_e32 v23, 31, v22
	s_and_b64 s[0:1], vcc, s[0:1]
	v_lshlrev_b64 v[22:23], 2, v[22:23]
	v_lshl_add_u64 v[24:25], s[34:35], 0, v[22:23]
	v_subrev_u32_e32 v11, s25, v10
	s_and_b64 vcc, s[36:37], s[0:1]
	global_store_dword v[24:25], v20, off
	v_cndmask_b32_e32 v11, 64, v11, vcc
	v_lshl_add_u64 v[24:25], s[28:29], 0, v[22:23]
	global_store_dword v[24:25], v11, off
	v_add_f32_e32 v11, v13, v20
	v_lshl_add_u64 v[22:23], s[30:31], 0, v[22:23]
	v_cndmask_b32_e64 v13, v13, v11, s[4:5]
	global_store_dword v[22:23], v19, off
	s_or_b64 exec, exec, s[8:9]
	s_add_i32 s42, s42, 1
	s_cmp_ge_i32 s42, s24
	s_cbranch_scc1 .LBB387_23
.LBB387_41:                             ;   in Loop: Header=BB387_24 Depth=1
	v_ashrrev_i32_e32 v20, 31, v10
	v_lshrrev_b32_e32 v11, 29, v20
	v_add_u32_e32 v11, v10, v11
	v_ashrrev_i32_e32 v11, 3, v11
	s_waitcnt lgkmcnt(0)
	v_lshrrev_b32_e32 v21, 29, v11
	v_add_u32_e32 v21, v11, v21
	v_and_b32_e32 v21, -8, v21
	v_sub_u32_e32 v21, v11, v21
	v_cmp_eq_u32_e32 vcc, v9, v21
	s_and_saveexec_b64 s[40:41], vcc
	s_cbranch_execz .LBB387_22
; %bb.42:                               ;   in Loop: Header=BB387_24 Depth=1
	v_lshrrev_b32_e32 v20, 26, v20
	v_add_u32_e32 v20, v10, v20
	v_lshlrev_b32_e32 v11, 3, v11
	v_sub_u32_e32 v10, v10, v11
	v_ashrrev_i32_e32 v11, 6, v20
	v_lshl_add_u32 v10, v11, 3, v10
	v_cmp_ne_u32_e32 vcc, 6, v10
	v_cmp_ne_u32_e64 s[0:1], 5, v10
	v_cmp_ne_u32_e64 s[8:9], 4, v10
	;; [unrolled: 1-line block ×7, first 2 shown]
	v_cndmask_b32_e32 v6, v18, v6, vcc
	v_cndmask_b32_e64 v5, v18, v5, s[0:1]
	v_cndmask_b32_e64 v7, v18, v7, s[18:19]
	;; [unrolled: 1-line block ×7, first 2 shown]
	s_branch .LBB387_22
.LBB387_43:
	v_mov_b32_e32 v13, 0
.LBB387_44:
	v_cmp_eq_u32_e32 vcc, 0, v9
	s_and_b64 exec, exec, vcc
	s_cbranch_execz .LBB387_57
; %bb.45:
	s_andn2_b64 vcc, exec, s[4:5]
	v_cvt_f32_f64_e32 v0, s[20:21]
	s_cbranch_vccnz .LBB387_47
; %bb.46:
	v_cmp_lt_f32_e32 vcc, 0, v13
	s_nop 1
	v_cndmask_b32_e32 v1, 1.0, v13, vcc
	v_div_scale_f32 v2, s[0:1], v1, v1, v0
	v_rcp_f32_e32 v3, v2
	s_nop 0
	v_fma_f32 v4, -v2, v3, 1.0
	v_fmac_f32_e32 v3, v4, v3
	v_div_scale_f32 v4, vcc, v0, v1, v0
	v_mul_f32_e32 v5, v4, v3
	v_fma_f32 v6, -v2, v5, v4
	v_fmac_f32_e32 v5, v6, v3
	v_fma_f32 v2, -v2, v5, v4
	v_div_fmas_f32 v2, v2, v3, v5
	v_div_fixup_f32 v0, v2, v1, v0
.LBB387_47:
	s_andn2_b64 vcc, exec, s[38:39]
	s_cbranch_vccnz .LBB387_57
; %bb.48:
	v_mul_lo_u32 v2, v8, s24
	s_cmp_gt_u32 s24, 3
	v_ashrrev_i32_e32 v3, 31, v2
	s_cbranch_scc0 .LBB387_52
; %bb.49:
	s_and_b32 s0, s24, 0x7ffffffc
	v_lshl_add_u64 v[4:5], v[2:3], 2, s[34:35]
	v_mov_b32_e32 v1, v0
	v_lshl_add_u64 v[4:5], v[4:5], 0, 8
	s_mov_b32 s1, s0
.LBB387_50:                             ; =>This Inner Loop Header: Depth=1
	global_load_dwordx4 v[6:9], v[4:5], off offset:-8
	s_add_i32 s1, s1, -4
	s_cmp_lg_u32 s1, 0
	s_waitcnt vmcnt(0)
	v_pk_mul_f32 v[6:7], v[0:1], v[6:7]
	v_pk_mul_f32 v[8:9], v[0:1], v[8:9]
	global_store_dwordx4 v[4:5], v[6:9], off offset:-8
	v_lshl_add_u64 v[4:5], v[4:5], 0, 16
	s_cbranch_scc1 .LBB387_50
; %bb.51:
	s_cmp_lg_u32 s0, s24
	s_cselect_b64 s[2:3], -1, 0
	s_branch .LBB387_54
.LBB387_52:
	s_mov_b64 s[2:3], 0
                                        ; implicit-def: $sgpr0
	s_cbranch_execz .LBB387_54
; %bb.53:
	s_mov_b64 s[2:3], -1
	s_mov_b32 s0, 0
.LBB387_54:
	s_andn2_b64 vcc, exec, s[2:3]
	s_cbranch_vccnz .LBB387_57
; %bb.55:
	s_mov_b32 s1, 0
	v_lshl_add_u64 v[2:3], v[2:3], 0, s[0:1]
	s_sub_i32 s2, s24, s0
	v_lshl_add_u64 v[2:3], v[2:3], 2, s[34:35]
.LBB387_56:                             ; =>This Inner Loop Header: Depth=1
	global_load_dword v1, v[2:3], off
	s_add_i32 s2, s2, -1
	s_cmp_lg_u32 s2, 0
	s_waitcnt vmcnt(0)
	v_mul_f32_e32 v1, v0, v1
	global_store_dword v[2:3], v1, off
	v_lshl_add_u64 v[2:3], v[2:3], 0, 4
	s_cbranch_scc1 .LBB387_56
.LBB387_57:
	s_endpgm
	.section	.rodata,"a",@progbits
	.p2align	6, 0x0
	.amdhsa_kernel _ZN4vllm3moe22topkGatingSoftplusSqrtILi8ELi64ELi4ELi16ELi32ELb0Ei14__hip_bfloat16EEvPKT6_PKbPfiPT5_PiiiibdPKfPKS9_SF_
		.amdhsa_group_segment_fixed_size 0
		.amdhsa_private_segment_fixed_size 0
		.amdhsa_kernarg_size 96
		.amdhsa_user_sgpr_count 2
		.amdhsa_user_sgpr_dispatch_ptr 0
		.amdhsa_user_sgpr_queue_ptr 0
		.amdhsa_user_sgpr_kernarg_segment_ptr 1
		.amdhsa_user_sgpr_dispatch_id 0
		.amdhsa_user_sgpr_kernarg_preload_length 0
		.amdhsa_user_sgpr_kernarg_preload_offset 0
		.amdhsa_user_sgpr_private_segment_size 0
		.amdhsa_uses_dynamic_stack 0
		.amdhsa_enable_private_segment 0
		.amdhsa_system_sgpr_workgroup_id_x 1
		.amdhsa_system_sgpr_workgroup_id_y 0
		.amdhsa_system_sgpr_workgroup_id_z 0
		.amdhsa_system_sgpr_workgroup_info 0
		.amdhsa_system_vgpr_workitem_id 1
		.amdhsa_next_free_vgpr 26
		.amdhsa_next_free_sgpr 43
		.amdhsa_accum_offset 28
		.amdhsa_reserve_vcc 1
		.amdhsa_float_round_mode_32 0
		.amdhsa_float_round_mode_16_64 0
		.amdhsa_float_denorm_mode_32 3
		.amdhsa_float_denorm_mode_16_64 3
		.amdhsa_dx10_clamp 1
		.amdhsa_ieee_mode 1
		.amdhsa_fp16_overflow 0
		.amdhsa_tg_split 0
		.amdhsa_exception_fp_ieee_invalid_op 0
		.amdhsa_exception_fp_denorm_src 0
		.amdhsa_exception_fp_ieee_div_zero 0
		.amdhsa_exception_fp_ieee_overflow 0
		.amdhsa_exception_fp_ieee_underflow 0
		.amdhsa_exception_fp_ieee_inexact 0
		.amdhsa_exception_int_div_zero 0
	.end_amdhsa_kernel
	.section	.text._ZN4vllm3moe22topkGatingSoftplusSqrtILi8ELi64ELi4ELi16ELi32ELb0Ei14__hip_bfloat16EEvPKT6_PKbPfiPT5_PiiiibdPKfPKS9_SF_,"axG",@progbits,_ZN4vllm3moe22topkGatingSoftplusSqrtILi8ELi64ELi4ELi16ELi32ELb0Ei14__hip_bfloat16EEvPKT6_PKbPfiPT5_PiiiibdPKfPKS9_SF_,comdat
.Lfunc_end387:
	.size	_ZN4vllm3moe22topkGatingSoftplusSqrtILi8ELi64ELi4ELi16ELi32ELb0Ei14__hip_bfloat16EEvPKT6_PKbPfiPT5_PiiiibdPKfPKS9_SF_, .Lfunc_end387-_ZN4vllm3moe22topkGatingSoftplusSqrtILi8ELi64ELi4ELi16ELi32ELb0Ei14__hip_bfloat16EEvPKT6_PKbPfiPT5_PiiiibdPKfPKS9_SF_
                                        ; -- End function
	.section	.AMDGPU.csdata,"",@progbits
; Kernel info:
; codeLenInByte = 3860
; NumSgprs: 49
; NumVgprs: 26
; NumAgprs: 0
; TotalNumVgprs: 26
; ScratchSize: 0
; MemoryBound: 0
; FloatMode: 240
; IeeeMode: 1
; LDSByteSize: 0 bytes/workgroup (compile time only)
; SGPRBlocks: 6
; VGPRBlocks: 3
; NumSGPRsForWavesPerEU: 49
; NumVGPRsForWavesPerEU: 26
; AccumOffset: 28
; Occupancy: 8
; WaveLimiterHint : 0
; COMPUTE_PGM_RSRC2:SCRATCH_EN: 0
; COMPUTE_PGM_RSRC2:USER_SGPR: 2
; COMPUTE_PGM_RSRC2:TRAP_HANDLER: 0
; COMPUTE_PGM_RSRC2:TGID_X_EN: 1
; COMPUTE_PGM_RSRC2:TGID_Y_EN: 0
; COMPUTE_PGM_RSRC2:TGID_Z_EN: 0
; COMPUTE_PGM_RSRC2:TIDIG_COMP_CNT: 1
; COMPUTE_PGM_RSRC3_GFX90A:ACCUM_OFFSET: 6
; COMPUTE_PGM_RSRC3_GFX90A:TG_SPLIT: 0
	.section	.text._ZN4vllm3moe22topkGatingSoftplusSqrtILi8ELi128ELi4ELi16ELi64ELb1Ei14__hip_bfloat16EEvPKT6_PKbPfiPT5_PiiiibdPKfPKS9_SF_,"axG",@progbits,_ZN4vllm3moe22topkGatingSoftplusSqrtILi8ELi128ELi4ELi16ELi64ELb1Ei14__hip_bfloat16EEvPKT6_PKbPfiPT5_PiiiibdPKfPKS9_SF_,comdat
	.protected	_ZN4vllm3moe22topkGatingSoftplusSqrtILi8ELi128ELi4ELi16ELi64ELb1Ei14__hip_bfloat16EEvPKT6_PKbPfiPT5_PiiiibdPKfPKS9_SF_ ; -- Begin function _ZN4vllm3moe22topkGatingSoftplusSqrtILi8ELi128ELi4ELi16ELi64ELb1Ei14__hip_bfloat16EEvPKT6_PKbPfiPT5_PiiiibdPKfPKS9_SF_
	.globl	_ZN4vllm3moe22topkGatingSoftplusSqrtILi8ELi128ELi4ELi16ELi64ELb1Ei14__hip_bfloat16EEvPKT6_PKbPfiPT5_PiiiibdPKfPKS9_SF_
	.p2align	8
	.type	_ZN4vllm3moe22topkGatingSoftplusSqrtILi8ELi128ELi4ELi16ELi64ELb1Ei14__hip_bfloat16EEvPKT6_PKbPfiPT5_PiiiibdPKfPKS9_SF_,@function
_ZN4vllm3moe22topkGatingSoftplusSqrtILi8ELi128ELi4ELi16ELi64ELb1Ei14__hip_bfloat16EEvPKT6_PKbPfiPT5_PiiiibdPKfPKS9_SF_: ; @_ZN4vllm3moe22topkGatingSoftplusSqrtILi8ELi128ELi4ELi16ELi64ELb1Ei14__hip_bfloat16EEvPKT6_PKbPfiPT5_PiiiibdPKfPKS9_SF_
; %bb.0:
	s_load_dword s3, s[0:1], 0x18
	v_bfe_u32 v1, v0, 10, 10
	v_and_b32_e32 v8, 0x3ff, v0
	s_lshl_b32 s2, s2, 4
	v_lshlrev_b32_e32 v1, 2, v1
	v_lshrrev_b32_e32 v0, 4, v8
	v_add3_u32 v6, s2, v1, v0
	s_waitcnt lgkmcnt(0)
	v_cmp_gt_i32_e32 vcc, s3, v6
	s_and_saveexec_b64 s[2:3], vcc
	s_cbranch_execz .LBB388_31
; %bb.1:
	s_load_dwordx2 s[2:3], s[0:1], 0x0
	s_load_dword s33, s[0:1], 0x30
	v_lshlrev_b32_e32 v0, 7, v6
	v_lshlrev_b32_e32 v2, 3, v8
	v_ashrrev_i32_e32 v1, 31, v0
	v_and_b32_e32 v10, 0x78, v2
	s_waitcnt lgkmcnt(0)
	v_lshl_add_u64 v[0:1], v[0:1], 1, s[2:3]
	v_lshlrev_b32_e32 v4, 1, v10
	v_mov_b32_e32 v5, 0
	v_lshl_add_u64 v[0:1], v[0:1], 0, v[4:5]
	global_load_dwordx4 v[0:3], v[0:1], off
	s_load_dwordx4 s[8:11], s[0:1], 0x50
	v_ashrrev_i32_e32 v7, 31, v6
	s_mov_b32 s15, 0x800000
	s_mov_b32 s13, 0x3f317217
	;; [unrolled: 1-line block ×3, first 2 shown]
	s_waitcnt lgkmcnt(0)
	v_mov_b32_e32 v12, s8
	v_mov_b32_e32 v13, s9
	v_lshl_add_u64 v[12:13], v[6:7], 2, v[12:13]
	global_load_dword v4, v[12:13], off
	v_mov_b32_e32 v7, 0x4f800000
	v_mov_b32_e32 v9, 0x41b17218
	s_mov_b32 s9, 0x41a00000
	s_mov_b32 s12, 0xf800000
	v_mov_b32_e32 v11, 0x260
	s_cmp_gt_i32 s33, 0
	s_mov_b32 s8, 0
	s_waitcnt vmcnt(1)
	v_and_b32_e32 v16, 0xffff0000, v0
	v_lshlrev_b32_e32 v17, 16, v0
	v_and_b32_e32 v18, 0xffff0000, v1
	v_lshlrev_b32_e32 v19, 16, v1
	v_mul_f32_e32 v0, 0x3fb8aa3b, v17
	v_mul_f32_e32 v1, 0x3fb8aa3b, v16
	v_exp_f32_e32 v12, v0
	v_exp_f32_e32 v13, v1
	v_mul_f32_e32 v14, 0x3fb8aa3b, v19
	v_mul_f32_e32 v15, 0x3fb8aa3b, v18
	v_exp_f32_e32 v14, v14
	v_exp_f32_e32 v15, v15
	v_pk_add_f32 v[12:13], v[12:13], 1.0 op_sel_hi:[1,0]
	s_waitcnt vmcnt(0)
	v_mul_lo_u32 v0, v4, s33
	v_cmp_gt_f32_e32 vcc, s15, v13
	v_pk_add_f32 v[14:15], v[14:15], 1.0 op_sel_hi:[1,0]
	v_cmp_gt_f32_e64 s[2:3], s15, v12
	v_cndmask_b32_e32 v4, 1.0, v7, vcc
	v_cmp_gt_f32_e64 s[4:5], s15, v15
	v_cndmask_b32_e64 v20, 1.0, v7, s[2:3]
	v_mul_f32_e32 v4, v13, v4
	v_cndmask_b32_e64 v21, 1.0, v7, s[4:5]
	v_mul_f32_e32 v12, v12, v20
	v_log_f32_e32 v4, v4
	v_mul_f32_e32 v15, v15, v21
	v_log_f32_e32 v12, v12
	v_cmp_gt_f32_e64 s[6:7], s15, v14
	v_log_f32_e32 v15, v15
	v_cndmask_b32_e32 v13, 0, v9, vcc
	v_cndmask_b32_e64 v22, 1.0, v7, s[6:7]
	v_mul_f32_e32 v14, v14, v22
	v_mul_f32_e32 v22, 0x3f317217, v4
	;; [unrolled: 1-line block ×3, first 2 shown]
	v_fma_f32 v22, v4, s13, -v22
	v_mul_f32_e32 v24, 0x3f317217, v15
	v_fma_f32 v23, v12, s13, -v23
	v_fmac_f32_e32 v22, 0x3377d1cf, v4
	v_fma_f32 v24, v15, s13, -v24
	v_fmac_f32_e32 v23, 0x3377d1cf, v12
	v_fmac_f32_e32 v22, 0x3f317217, v4
	v_cmp_lt_f32_e64 vcc, |v4|, s14
	v_fmac_f32_e32 v24, 0x3377d1cf, v15
	v_fmac_f32_e32 v23, 0x3f317217, v12
	v_cndmask_b32_e32 v4, v4, v22, vcc
	v_cmp_lt_f32_e64 vcc, |v12|, s14
	v_cndmask_b32_e64 v20, 0, v9, s[2:3]
	v_fmac_f32_e32 v24, 0x3f317217, v15
	v_cndmask_b32_e32 v12, v12, v23, vcc
	v_cmp_lt_f32_e64 vcc, |v15|, s14
	v_sub_f32_e32 v12, v12, v20
	v_sub_f32_e32 v4, v4, v13
	v_cndmask_b32_e32 v15, v15, v24, vcc
	v_cmp_lt_f32_e32 vcc, s9, v17
	v_cndmask_b32_e64 v21, 0, v9, s[4:5]
	v_sub_f32_e32 v15, v15, v21
	v_cndmask_b32_e32 v12, v12, v17, vcc
	v_cmp_lt_f32_e32 vcc, s9, v16
	v_cmp_gt_f32_e64 s[2:3], s12, v12
	v_log_f32_e32 v14, v14
	v_cndmask_b32_e32 v4, v4, v16, vcc
	v_mul_f32_e32 v13, 0x4f800000, v4
	v_cmp_gt_f32_e32 vcc, s12, v4
	v_mul_f32_e32 v16, 0x4f800000, v12
	v_cndmask_b32_e64 v12, v12, v16, s[2:3]
	v_cndmask_b32_e32 v4, v4, v13, vcc
	v_sqrt_f32_e32 v13, v4
	v_sqrt_f32_e32 v16, v12
	v_mul_f32_e32 v25, 0x3f317217, v14
	v_fma_f32 v25, v14, s13, -v25
	v_add_u32_e32 v17, -1, v13
	v_add_u32_e32 v21, -1, v16
	v_fma_f32 v23, -v17, v13, v4
	v_add_u32_e32 v20, 1, v13
	v_fma_f32 v26, -v21, v16, v12
	v_cmp_ge_f32_e64 s[4:5], 0, v23
	v_add_u32_e32 v22, 1, v16
	v_fma_f32 v24, -v20, v13, v4
	v_cndmask_b32_e64 v13, v13, v17, s[4:5]
	v_cmp_ge_f32_e64 s[4:5], 0, v26
	v_fma_f32 v27, -v22, v16, v12
	v_fmac_f32_e32 v25, 0x3377d1cf, v14
	v_cndmask_b32_e64 v16, v16, v21, s[4:5]
	v_cmp_lt_f32_e64 s[4:5], 0, v24
	v_fmac_f32_e32 v25, 0x3f317217, v14
	v_ashrrev_i32_e32 v1, 31, v0
	v_cndmask_b32_e64 v13, v13, v20, s[4:5]
	v_cmp_lt_f32_e64 s[4:5], 0, v27
	v_mul_f32_e32 v17, 0x37800000, v13
	v_cndmask_b32_e32 v13, v13, v17, vcc
	v_cndmask_b32_e64 v16, v16, v22, s[4:5]
	v_mul_f32_e32 v20, 0x37800000, v16
	v_cmp_class_f32_e32 vcc, v4, v11
	v_cndmask_b32_e64 v16, v16, v20, s[2:3]
	v_cmp_lt_f32_e64 s[2:3], s9, v19
	v_cndmask_b32_e32 v13, v13, v4, vcc
	v_cmp_class_f32_e32 vcc, v12, v11
	v_and_b32_e32 v20, 0xffff0000, v2
	v_lshlrev_b32_e32 v2, 16, v2
	v_cndmask_b32_e32 v12, v16, v12, vcc
	v_cmp_lt_f32_e64 vcc, |v14|, s14
	s_nop 1
	v_cndmask_b32_e32 v4, v14, v25, vcc
	v_cmp_lt_f32_e32 vcc, s9, v18
	v_cndmask_b32_e64 v14, 0, v9, s[6:7]
	v_sub_f32_e32 v4, v4, v14
	v_cndmask_b32_e32 v15, v15, v18, vcc
	v_mul_f32_e32 v16, 0x4f800000, v15
	v_cmp_gt_f32_e32 vcc, s12, v15
	v_cndmask_b32_e64 v4, v4, v19, s[2:3]
	s_nop 0
	v_cndmask_b32_e32 v15, v15, v16, vcc
	v_sqrt_f32_e32 v16, v15
	s_nop 0
	v_add_u32_e32 v14, -1, v16
	v_fma_f32 v17, -v14, v16, v15
	v_cmp_ge_f32_e64 s[2:3], 0, v17
	v_add_u32_e32 v17, 1, v16
	s_nop 0
	v_cndmask_b32_e64 v14, v16, v14, s[2:3]
	v_fma_f32 v16, -v17, v16, v15
	v_cmp_lt_f32_e64 s[2:3], 0, v16
	s_nop 1
	v_cndmask_b32_e64 v14, v14, v17, s[2:3]
	v_mul_f32_e32 v17, 0x4f800000, v4
	v_cmp_gt_f32_e64 s[2:3], s12, v4
	v_mul_f32_e32 v16, 0x37800000, v14
	v_cndmask_b32_e32 v14, v14, v16, vcc
	v_cndmask_b32_e64 v4, v4, v17, s[2:3]
	v_sqrt_f32_e32 v17, v4
	v_cmp_class_f32_e32 vcc, v15, v11
	v_add_u32_e32 v18, 1, v17
	s_nop 0
	v_cndmask_b32_e32 v15, v14, v15, vcc
	v_add_u32_e32 v14, -1, v17
	v_fma_f32 v16, -v14, v17, v4
	v_cmp_ge_f32_e32 vcc, 0, v16
	v_fma_f32 v19, -v18, v17, v4
	v_mul_f32_e32 v16, 0x3fb8aa3b, v2
	v_cndmask_b32_e32 v14, v17, v14, vcc
	v_mul_f32_e32 v17, 0x3fb8aa3b, v20
	v_exp_f32_e32 v16, v16
	v_exp_f32_e32 v17, v17
	v_cmp_lt_f32_e32 vcc, 0, v19
	v_pk_add_f32 v[16:17], v[16:17], 1.0 op_sel_hi:[1,0]
	s_nop 0
	v_cndmask_b32_e32 v14, v14, v18, vcc
	v_mul_f32_e32 v18, 0x37800000, v14
	v_cmp_gt_f32_e32 vcc, s15, v17
	v_cndmask_b32_e64 v14, v14, v18, s[2:3]
	v_cmp_class_f32_e64 s[2:3], v4, v11
	v_cndmask_b32_e32 v18, 1.0, v7, vcc
	v_mul_f32_e32 v17, v17, v18
	v_log_f32_e32 v17, v17
	v_cndmask_b32_e64 v14, v14, v4, s[2:3]
	v_cmp_gt_f32_e64 s[2:3], s15, v16
	scratch_store_dwordx4 off, v[12:15], off
	v_mul_f32_e32 v4, 0x3f317217, v17
	v_fma_f32 v4, v17, s13, -v4
	v_cndmask_b32_e64 v12, 1.0, v7, s[2:3]
	v_mul_f32_e32 v12, v16, v12
	v_log_f32_e32 v12, v12
	v_fmac_f32_e32 v4, 0x3377d1cf, v17
	v_fmac_f32_e32 v4, 0x3f317217, v17
	v_cmp_lt_f32_e64 s[4:5], |v17|, s14
	v_cndmask_b32_e32 v13, 0, v9, vcc
	v_cmp_lt_f32_e64 vcc, |v12|, s14
	v_cndmask_b32_e64 v4, v17, v4, s[4:5]
	v_sub_f32_e32 v4, v4, v13
	v_mul_f32_e32 v13, 0x3f317217, v12
	v_fma_f32 v13, v12, s13, -v13
	v_fmac_f32_e32 v13, 0x3377d1cf, v12
	v_fmac_f32_e32 v13, 0x3f317217, v12
	v_cndmask_b32_e32 v12, v12, v13, vcc
	v_cmp_lt_f32_e32 vcc, s9, v20
	v_cndmask_b32_e64 v13, 0, v9, s[2:3]
	v_sub_f32_e32 v12, v12, v13
	v_cndmask_b32_e32 v4, v4, v20, vcc
	v_mul_f32_e32 v14, 0x4f800000, v4
	v_cmp_gt_f32_e32 vcc, s12, v4
	v_cmp_lt_f32_e64 s[2:3], s9, v2
	v_and_b32_e32 v16, 0xffff0000, v3
	v_cndmask_b32_e32 v4, v4, v14, vcc
	v_sqrt_f32_e32 v14, v4
	v_cndmask_b32_e64 v2, v12, v2, s[2:3]
	v_lshlrev_b32_e32 v17, 16, v3
	v_mul_f32_e32 v3, 0x3fb8aa3b, v16
	v_add_u32_e32 v12, -1, v14
	v_fma_f32 v13, -v12, v14, v4
	v_cmp_ge_f32_e64 s[2:3], 0, v13
	v_add_u32_e32 v13, 1, v14
	v_exp_f32_e32 v3, v3
	v_cndmask_b32_e64 v12, v14, v12, s[2:3]
	v_fma_f32 v14, -v13, v14, v4
	v_cmp_lt_f32_e64 s[2:3], 0, v14
	v_mul_f32_e32 v14, 0x4f800000, v2
	s_nop 0
	v_cndmask_b32_e64 v12, v12, v13, s[2:3]
	v_cmp_gt_f32_e64 s[2:3], s12, v2
	v_mul_f32_e32 v13, 0x37800000, v12
	v_cndmask_b32_e32 v12, v12, v13, vcc
	v_cndmask_b32_e64 v14, v2, v14, s[2:3]
	v_sqrt_f32_e32 v2, v14
	v_cmp_class_f32_e32 vcc, v4, v11
	s_nop 1
	v_cndmask_b32_e32 v13, v12, v4, vcc
	v_add_u32_e32 v4, -1, v2
	v_fma_f32 v12, -v4, v2, v14
	v_cmp_ge_f32_e32 vcc, 0, v12
	v_add_u32_e32 v12, 1, v2
	v_fma_f32 v15, -v12, v2, v14
	v_cndmask_b32_e32 v4, v2, v4, vcc
	v_mul_f32_e32 v2, 0x3fb8aa3b, v17
	v_exp_f32_e32 v2, v2
	v_cmp_lt_f32_e32 vcc, 0, v15
	v_pk_add_f32 v[2:3], v[2:3], 1.0 op_sel_hi:[1,0]
	s_nop 0
	v_cndmask_b32_e32 v4, v4, v12, vcc
	v_cmp_gt_f32_e32 vcc, s15, v3
	v_mul_f32_e32 v12, 0x37800000, v4
	v_cndmask_b32_e64 v4, v4, v12, s[2:3]
	v_cndmask_b32_e32 v15, 1.0, v7, vcc
	v_mul_f32_e32 v3, v3, v15
	v_log_f32_e32 v3, v3
	v_cmp_class_f32_e64 s[2:3], v14, v11
	v_cmp_lt_f32_e64 s[4:5], |v3|, s14
	s_nop 0
	v_cndmask_b32_e64 v12, v4, v14, s[2:3]
	v_cmp_gt_f32_e64 s[2:3], s15, v2
	v_mul_f32_e32 v4, 0x3f317217, v3
	v_fma_f32 v4, v3, s13, -v4
	v_cndmask_b32_e64 v7, 1.0, v7, s[2:3]
	v_mul_f32_e32 v2, v2, v7
	v_log_f32_e32 v2, v2
	v_fmac_f32_e32 v4, 0x3377d1cf, v3
	v_fmac_f32_e32 v4, 0x3f317217, v3
	v_cndmask_b32_e64 v3, v3, v4, s[4:5]
	v_cndmask_b32_e32 v4, 0, v9, vcc
	v_sub_f32_e32 v3, v3, v4
	v_mul_f32_e32 v4, 0x3f317217, v2
	v_fma_f32 v4, v2, s13, -v4
	v_fmac_f32_e32 v4, 0x3377d1cf, v2
	v_fmac_f32_e32 v4, 0x3f317217, v2
	v_cmp_lt_f32_e64 vcc, |v2|, s14
	s_cselect_b64 s[4:5], -1, 0
	s_cmp_lt_i32 s33, 1
	v_cndmask_b32_e32 v2, v2, v4, vcc
	v_cmp_lt_f32_e32 vcc, s9, v16
	v_cndmask_b32_e64 v4, 0, v9, s[2:3]
	v_sub_f32_e32 v2, v2, v4
	v_cndmask_b32_e32 v3, v3, v16, vcc
	v_mul_f32_e32 v7, 0x4f800000, v3
	v_cmp_gt_f32_e32 vcc, s12, v3
	v_cmp_lt_f32_e64 s[2:3], s9, v17
	s_nop 0
	v_cndmask_b32_e32 v3, v3, v7, vcc
	v_sqrt_f32_e32 v7, v3
	v_cndmask_b32_e64 v2, v2, v17, s[2:3]
	v_add_u32_e32 v4, -1, v7
	v_fma_f32 v9, -v4, v7, v3
	v_cmp_ge_f32_e64 s[2:3], 0, v9
	v_add_u32_e32 v9, 1, v7
	s_nop 0
	v_cndmask_b32_e64 v4, v7, v4, s[2:3]
	v_fma_f32 v7, -v9, v7, v3
	v_cmp_lt_f32_e64 s[2:3], 0, v7
	s_nop 1
	v_cndmask_b32_e64 v4, v4, v9, s[2:3]
	v_mul_f32_e32 v9, 0x4f800000, v2
	v_cmp_gt_f32_e64 s[2:3], s12, v2
	v_mul_f32_e32 v7, 0x37800000, v4
	v_cndmask_b32_e32 v4, v4, v7, vcc
	v_cndmask_b32_e64 v2, v2, v9, s[2:3]
	v_sqrt_f32_e32 v9, v2
	v_cmp_class_f32_e32 vcc, v3, v11
	s_nop 1
	v_cndmask_b32_e32 v15, v4, v3, vcc
	v_add_u32_e32 v3, -1, v9
	v_fma_f32 v4, -v3, v9, v2
	v_cmp_ge_f32_e32 vcc, 0, v4
	v_add_u32_e32 v4, 1, v9
	v_fma_f32 v7, -v4, v9, v2
	v_cndmask_b32_e32 v3, v9, v3, vcc
	v_cmp_lt_f32_e32 vcc, 0, v7
	s_nop 1
	v_cndmask_b32_e32 v3, v3, v4, vcc
	v_mul_f32_e32 v4, 0x37800000, v3
	v_cndmask_b32_e64 v3, v3, v4, s[2:3]
	v_cmp_class_f32_e32 vcc, v2, v11
	s_nop 1
	v_cndmask_b32_e32 v14, v3, v2, vcc
	v_lshl_add_u64 v[2:3], v[0:1], 2, s[10:11]
	v_mul_lo_u32 v0, v6, s33
	scratch_store_dwordx4 off, v[12:15], off offset:16
	s_cbranch_scc1 .LBB388_28
; %bb.2:
	s_load_dwordx2 s[6:7], s[0:1], 0x20
	s_cmp_lt_u32 s33, 4
	v_and_b32_e32 v4, 15, v8
	s_cbranch_scc1 .LBB388_21
; %bb.3:
	v_lshlrev_b32_e32 v5, 3, v4
	s_mov_b32 s11, 0
	s_and_b32 s8, s33, 0x7ffffffc
	v_ashrrev_i32_e32 v1, 31, v0
	v_sub_u32_e32 v11, 0, v5
	v_mov_b32_e32 v5, 0
	s_mov_b32 s10, s11
	s_branch .LBB388_5
.LBB388_4:                              ;   in Loop: Header=BB388_5 Depth=1
	s_or_b64 exec, exec, s[12:13]
	s_add_i32 s10, s10, 4
	s_cmp_eq_u32 s10, s8
	s_cbranch_scc1 .LBB388_21
.LBB388_5:                              ; =>This Loop Header: Depth=1
                                        ;     Child Loop BB388_7 Depth 2
                                        ;     Child Loop BB388_11 Depth 2
	;; [unrolled: 1-line block ×4, first 2 shown]
	v_lshl_add_u64 v[6:7], s[10:11], 2, v[2:3]
	global_load_dword v12, v[6:7], off
	v_add_u32_e32 v8, s10, v0
	v_ashrrev_i32_e32 v9, 31, v8
	v_mov_b32_e32 v13, 0
	s_mov_b64 s[12:13], 0
	s_waitcnt lgkmcnt(0)
	v_lshl_add_u64 v[8:9], v[8:9], 2, s[6:7]
	s_mov_b32 s9, 0
	s_waitcnt vmcnt(0)
	v_add_u32_e32 v14, v11, v12
	s_branch .LBB388_7
.LBB388_6:                              ;   in Loop: Header=BB388_7 Depth=2
	s_or_b64 exec, exec, s[14:15]
	s_add_i32 s16, s9, 1
	s_cmp_gt_u32 s9, 6
	s_cselect_b64 s[2:3], -1, 0
	s_xor_b64 s[14:15], vcc, -1
	s_or_b64 s[2:3], s[14:15], s[2:3]
	s_and_b64 s[2:3], exec, s[2:3]
	v_add_u32_e32 v13, 4, v13
	s_or_b64 s[12:13], s[2:3], s[12:13]
	s_mov_b32 s9, s16
	s_andn2_b64 exec, exec, s[12:13]
	s_cbranch_execz .LBB388_9
.LBB388_7:                              ;   Parent Loop BB388_5 Depth=1
                                        ; =>  This Inner Loop Header: Depth=2
	v_cmp_ne_u32_e32 vcc, s9, v14
	v_cmp_eq_u32_e64 s[2:3], s9, v14
	s_and_saveexec_b64 s[14:15], s[2:3]
	s_cbranch_execz .LBB388_6
; %bb.8:                                ;   in Loop: Header=BB388_7 Depth=2
	scratch_load_dword v15, v13, off
	s_waitcnt vmcnt(0)
	v_add_f32_e32 v5, v5, v15
	global_store_dword v[8:9], v12, off
	s_branch .LBB388_6
.LBB388_9:                              ;   in Loop: Header=BB388_5 Depth=1
	s_or_b64 exec, exec, s[12:13]
	global_load_dword v12, v[6:7], off offset:4
	s_ashr_i32 s3, s10, 31
	s_mov_b32 s2, s10
	v_lshl_add_u64 v[8:9], s[2:3], 0, v[0:1]
	v_mov_b32_e32 v13, 0
	s_mov_b32 s9, 0
	v_lshl_add_u64 v[8:9], v[8:9], 2, s[6:7]
	s_mov_b64 s[12:13], 0
	s_waitcnt vmcnt(0)
	v_add_u32_e32 v14, v11, v12
	s_branch .LBB388_11
.LBB388_10:                             ;   in Loop: Header=BB388_11 Depth=2
	s_or_b64 exec, exec, s[14:15]
	s_add_i32 s16, s9, 1
	s_cmp_gt_u32 s9, 6
	s_cselect_b64 s[2:3], -1, 0
	s_xor_b64 s[14:15], vcc, -1
	s_or_b64 s[2:3], s[14:15], s[2:3]
	s_and_b64 s[2:3], exec, s[2:3]
	v_add_u32_e32 v13, 4, v13
	s_or_b64 s[12:13], s[2:3], s[12:13]
	s_mov_b32 s9, s16
	s_andn2_b64 exec, exec, s[12:13]
	s_cbranch_execz .LBB388_13
.LBB388_11:                             ;   Parent Loop BB388_5 Depth=1
                                        ; =>  This Inner Loop Header: Depth=2
	v_cmp_ne_u32_e32 vcc, s9, v14
	v_cmp_eq_u32_e64 s[2:3], s9, v14
	s_and_saveexec_b64 s[14:15], s[2:3]
	s_cbranch_execz .LBB388_10
; %bb.12:                               ;   in Loop: Header=BB388_11 Depth=2
	scratch_load_dword v15, v13, off
	s_waitcnt vmcnt(0)
	v_add_f32_e32 v5, v5, v15
	global_store_dword v[8:9], v12, off offset:4
	s_branch .LBB388_10
.LBB388_13:                             ;   in Loop: Header=BB388_5 Depth=1
	s_or_b64 exec, exec, s[12:13]
	global_load_dword v12, v[6:7], off offset:8
	v_mov_b32_e32 v13, 0
	s_mov_b32 s9, 0
	s_mov_b64 s[12:13], 0
	s_waitcnt vmcnt(0)
	v_add_u32_e32 v14, v11, v12
	s_branch .LBB388_15
.LBB388_14:                             ;   in Loop: Header=BB388_15 Depth=2
	s_or_b64 exec, exec, s[14:15]
	s_add_i32 s16, s9, 1
	s_cmp_gt_u32 s9, 6
	s_cselect_b64 s[2:3], -1, 0
	s_xor_b64 s[14:15], vcc, -1
	s_or_b64 s[2:3], s[14:15], s[2:3]
	s_and_b64 s[2:3], exec, s[2:3]
	v_add_u32_e32 v13, 4, v13
	s_or_b64 s[12:13], s[2:3], s[12:13]
	s_mov_b32 s9, s16
	s_andn2_b64 exec, exec, s[12:13]
	s_cbranch_execz .LBB388_17
.LBB388_15:                             ;   Parent Loop BB388_5 Depth=1
                                        ; =>  This Inner Loop Header: Depth=2
	v_cmp_ne_u32_e32 vcc, s9, v14
	v_cmp_eq_u32_e64 s[2:3], s9, v14
	s_and_saveexec_b64 s[14:15], s[2:3]
	s_cbranch_execz .LBB388_14
; %bb.16:                               ;   in Loop: Header=BB388_15 Depth=2
	scratch_load_dword v15, v13, off
	s_waitcnt vmcnt(0)
	v_add_f32_e32 v5, v5, v15
	global_store_dword v[8:9], v12, off offset:8
	s_branch .LBB388_14
.LBB388_17:                             ;   in Loop: Header=BB388_5 Depth=1
	s_or_b64 exec, exec, s[12:13]
	global_load_dword v6, v[6:7], off offset:12
	v_mov_b32_e32 v7, 0
	s_mov_b32 s9, 0
	s_mov_b64 s[12:13], 0
	s_waitcnt vmcnt(0)
	v_add_u32_e32 v12, v11, v6
	s_branch .LBB388_19
.LBB388_18:                             ;   in Loop: Header=BB388_19 Depth=2
	s_or_b64 exec, exec, s[14:15]
	s_add_i32 s16, s9, 1
	s_cmp_gt_u32 s9, 6
	s_cselect_b64 s[2:3], -1, 0
	s_xor_b64 s[14:15], vcc, -1
	s_or_b64 s[2:3], s[14:15], s[2:3]
	s_and_b64 s[2:3], exec, s[2:3]
	v_add_u32_e32 v7, 4, v7
	s_or_b64 s[12:13], s[2:3], s[12:13]
	s_mov_b32 s9, s16
	s_andn2_b64 exec, exec, s[12:13]
	s_cbranch_execz .LBB388_4
.LBB388_19:                             ;   Parent Loop BB388_5 Depth=1
                                        ; =>  This Inner Loop Header: Depth=2
	v_cmp_ne_u32_e32 vcc, s9, v12
	v_cmp_eq_u32_e64 s[2:3], s9, v12
	s_and_saveexec_b64 s[14:15], s[2:3]
	s_cbranch_execz .LBB388_18
; %bb.20:                               ;   in Loop: Header=BB388_19 Depth=2
	scratch_load_dword v13, v7, off
	s_waitcnt vmcnt(0)
	v_add_f32_e32 v5, v5, v13
	global_store_dword v[8:9], v6, off offset:12
	s_branch .LBB388_18
.LBB388_21:
	s_and_b32 s14, s33, 3
	s_cmp_eq_u32 s14, 0
	s_mov_b32 s9, 0
	s_cbranch_scc1 .LBB388_28
; %bb.22:
	v_lshlrev_b32_e32 v1, 3, v4
	v_sub_u32_e32 v1, 0, v1
	s_mov_b32 s15, s9
	s_branch .LBB388_24
.LBB388_23:                             ;   in Loop: Header=BB388_24 Depth=1
	s_or_b64 exec, exec, s[10:11]
	s_add_i32 s8, s8, 1
	s_add_i32 s15, s15, 1
	s_cmp_lg_u32 s15, s14
	s_cbranch_scc0 .LBB388_28
.LBB388_24:                             ; =>This Loop Header: Depth=1
                                        ;     Child Loop BB388_26 Depth 2
	v_lshl_add_u64 v[6:7], s[8:9], 2, v[2:3]
	global_load_dword v4, v[6:7], off
	v_add_u32_e32 v6, s8, v0
	v_ashrrev_i32_e32 v7, 31, v6
	v_mov_b32_e32 v8, 0
	s_mov_b32 s16, 0
	s_waitcnt lgkmcnt(0)
	v_lshl_add_u64 v[6:7], v[6:7], 2, s[6:7]
	s_mov_b64 s[10:11], 0
	s_waitcnt vmcnt(0)
	v_add_u32_e32 v9, v1, v4
	s_branch .LBB388_26
.LBB388_25:                             ;   in Loop: Header=BB388_26 Depth=2
	s_or_b64 exec, exec, s[12:13]
	s_add_i32 s17, s16, 1
	s_cmp_gt_u32 s16, 6
	s_cselect_b64 s[2:3], -1, 0
	s_xor_b64 s[12:13], vcc, -1
	s_or_b64 s[2:3], s[12:13], s[2:3]
	s_and_b64 s[2:3], exec, s[2:3]
	v_add_u32_e32 v8, 4, v8
	s_or_b64 s[10:11], s[2:3], s[10:11]
	s_mov_b32 s16, s17
	s_andn2_b64 exec, exec, s[10:11]
	s_cbranch_execz .LBB388_23
.LBB388_26:                             ;   Parent Loop BB388_24 Depth=1
                                        ; =>  This Inner Loop Header: Depth=2
	v_cmp_ne_u32_e32 vcc, s16, v9
	v_cmp_eq_u32_e64 s[2:3], s16, v9
	s_and_saveexec_b64 s[12:13], s[2:3]
	s_cbranch_execz .LBB388_25
; %bb.27:                               ;   in Loop: Header=BB388_26 Depth=2
	scratch_load_dword v11, v8, off
	s_waitcnt vmcnt(0)
	v_add_f32_e32 v5, v5, v11
	global_store_dword v[6:7], v4, off
	s_branch .LBB388_25
.LBB388_28:
	s_waitcnt lgkmcnt(0)
	s_load_dword s6, s[0:1], 0x3c
	s_waitcnt lgkmcnt(0)
	s_bitcmp1_b32 s6, 0
	s_cselect_b64 s[2:3], -1, 0
	s_bitcmp0_b32 s6, 0
	s_cbranch_scc0 .LBB388_32
; %bb.29:
	s_load_dwordx2 s[6:7], s[0:1], 0x40
	s_andn2_b64 vcc, exec, s[2:3]
	s_waitcnt lgkmcnt(0)
	v_cvt_f32_f64_e32 v8, s[6:7]
	s_cbranch_vccz .LBB388_33
.LBB388_30:
	s_andn2_b64 vcc, exec, s[4:5]
	s_cbranch_vccz .LBB388_34
.LBB388_31:
	s_endpgm
.LBB388_32:
	v_mbcnt_lo_u32_b32 v1, -1, 0
	v_mbcnt_hi_u32_b32 v1, -1, v1
	v_and_b32_e32 v4, 0x70, v1
	v_add_u32_e32 v4, 16, v4
	v_xor_b32_e32 v6, 8, v1
	v_cmp_lt_i32_e32 vcc, v6, v4
	v_xor_b32_e32 v7, 4, v1
	s_nop 0
	v_cndmask_b32_e32 v6, v1, v6, vcc
	v_lshlrev_b32_e32 v6, 2, v6
	ds_bpermute_b32 v6, v6, v5
	v_cmp_lt_i32_e32 vcc, v7, v4
	s_waitcnt lgkmcnt(0)
	v_add_f32_e32 v5, v5, v6
	v_cndmask_b32_e32 v6, v1, v7, vcc
	v_lshlrev_b32_e32 v6, 2, v6
	ds_bpermute_b32 v6, v6, v5
	v_xor_b32_e32 v7, 2, v1
	v_cmp_lt_i32_e32 vcc, v7, v4
	s_waitcnt lgkmcnt(0)
	v_add_f32_e32 v5, v5, v6
	v_cndmask_b32_e32 v6, v1, v7, vcc
	v_lshlrev_b32_e32 v6, 2, v6
	ds_bpermute_b32 v6, v6, v5
	v_xor_b32_e32 v7, 1, v1
	v_cmp_lt_i32_e32 vcc, v7, v4
	s_waitcnt lgkmcnt(0)
	v_add_f32_e32 v5, v5, v6
	v_cndmask_b32_e32 v1, v1, v7, vcc
	v_lshlrev_b32_e32 v1, 2, v1
	ds_bpermute_b32 v1, v1, v5
	s_waitcnt lgkmcnt(0)
	v_add_f32_e32 v5, v5, v1
	s_load_dwordx2 s[6:7], s[0:1], 0x40
	s_andn2_b64 vcc, exec, s[2:3]
	s_waitcnt lgkmcnt(0)
	v_cvt_f32_f64_e32 v8, s[6:7]
	s_cbranch_vccnz .LBB388_30
.LBB388_33:
	v_cmp_lt_f32_e32 vcc, 0, v5
	s_nop 1
	v_cndmask_b32_e32 v1, 1.0, v5, vcc
	v_div_scale_f32 v4, s[2:3], v1, v1, v8
	v_rcp_f32_e32 v5, v4
	s_nop 0
	v_fma_f32 v6, -v4, v5, 1.0
	v_fmac_f32_e32 v5, v6, v5
	v_div_scale_f32 v6, vcc, v8, v1, v8
	v_mul_f32_e32 v7, v6, v5
	v_fma_f32 v9, -v4, v7, v6
	v_fmac_f32_e32 v7, v9, v5
	v_fma_f32 v4, -v4, v7, v6
	v_div_fmas_f32 v4, v4, v5, v7
	v_div_fixup_f32 v8, v4, v1, v8
	s_andn2_b64 vcc, exec, s[4:5]
	s_cbranch_vccnz .LBB388_31
.LBB388_34:
	s_load_dwordx2 s[12:13], s[0:1], 0x10
	v_mov_b32_e32 v1, 0
	v_or_b32_e32 v20, 4, v1
	v_or_b32_e32 v18, 8, v1
	v_or_b32_e32 v16, 12, v1
	v_add_u32_e32 v14, 16, v1
	v_add_u32_e32 v12, 20, v1
	v_add_u32_e32 v9, 24, v1
	v_add_u32_e32 v11, 28, v1
	v_or_b32_e32 v23, 1, v10
	v_or_b32_e32 v22, 2, v10
	;; [unrolled: 1-line block ×7, first 2 shown]
	s_cmp_eq_u32 s33, 1
	s_mov_b32 s14, 0
	s_cbranch_scc1 .LBB388_69
; %bb.35:
	v_ashrrev_i32_e32 v1, 31, v0
	s_waitcnt lgkmcnt(0)
	v_lshl_add_u64 v[4:5], v[0:1], 2, s[12:13]
	s_and_b32 s14, s33, 0x7ffffffe
	v_lshl_add_u64 v[4:5], v[4:5], 0, 4
	v_lshl_add_u64 v[6:7], v[2:3], 0, 4
	s_mov_b32 s15, 0
	s_branch .LBB388_37
.LBB388_36:                             ;   in Loop: Header=BB388_37 Depth=1
	s_or_b64 exec, exec, s[0:1]
	s_add_i32 s15, s15, 2
	v_lshl_add_u64 v[4:5], v[4:5], 0, 8
	s_cmp_eq_u32 s14, s15
	v_lshl_add_u64 v[6:7], v[6:7], 0, 8
	s_cbranch_scc1 .LBB388_69
.LBB388_37:                             ; =>This Inner Loop Header: Depth=1
	global_load_dword v24, v[6:7], off offset:-4
	v_mov_b32_e32 v1, 0
	s_waitcnt vmcnt(0)
	v_cmp_eq_u32_e32 vcc, v24, v10
	v_cmp_ne_u32_e64 s[0:1], v24, v10
	s_and_saveexec_b64 s[16:17], s[0:1]
	s_cbranch_execz .LBB388_51
; %bb.38:                               ;   in Loop: Header=BB388_37 Depth=1
	v_cmp_eq_u32_e64 s[0:1], v24, v23
	v_cmp_ne_u32_e64 s[2:3], v24, v23
	v_mov_b32_e32 v1, v20
	s_and_saveexec_b64 s[18:19], s[2:3]
	s_cbranch_execz .LBB388_50
; %bb.39:                               ;   in Loop: Header=BB388_37 Depth=1
	v_cmp_eq_u32_e64 s[2:3], v24, v22
	v_cmp_ne_u32_e64 s[4:5], v24, v22
	v_mov_b32_e32 v1, v18
	s_and_saveexec_b64 s[20:21], s[4:5]
	s_cbranch_execz .LBB388_49
; %bb.40:                               ;   in Loop: Header=BB388_37 Depth=1
	v_cmp_eq_u32_e64 s[4:5], v24, v21
	v_cmp_ne_u32_e64 s[6:7], v24, v21
	v_mov_b32_e32 v1, v16
	s_and_saveexec_b64 s[22:23], s[6:7]
	s_cbranch_execz .LBB388_48
; %bb.41:                               ;   in Loop: Header=BB388_37 Depth=1
	v_cmp_eq_u32_e64 s[6:7], v24, v19
	v_cmp_ne_u32_e64 s[8:9], v24, v19
	v_mov_b32_e32 v1, v14
	s_and_saveexec_b64 s[24:25], s[8:9]
	s_cbranch_execz .LBB388_47
; %bb.42:                               ;   in Loop: Header=BB388_37 Depth=1
	v_cmp_eq_u32_e64 s[8:9], v24, v17
	v_cmp_ne_u32_e64 s[10:11], v24, v17
	v_mov_b32_e32 v1, v12
	s_and_saveexec_b64 s[26:27], s[10:11]
	s_cbranch_execz .LBB388_46
; %bb.43:                               ;   in Loop: Header=BB388_37 Depth=1
	v_cmp_eq_u32_e64 s[28:29], v24, v15
	v_cmp_ne_u32_e64 s[10:11], v24, v15
	v_mov_b32_e32 v1, v9
	s_and_saveexec_b64 s[30:31], s[10:11]
	s_xor_b64 s[30:31], exec, s[30:31]
; %bb.44:                               ;   in Loop: Header=BB388_37 Depth=1
	v_cmp_eq_u32_e64 s[10:11], v24, v13
	s_andn2_b64 s[28:29], s[28:29], exec
	s_and_b64 s[10:11], s[10:11], exec
	s_or_b64 s[28:29], s[28:29], s[10:11]
	v_mov_b32_e32 v1, v11
; %bb.45:                               ;   in Loop: Header=BB388_37 Depth=1
	s_or_b64 exec, exec, s[30:31]
	s_andn2_b64 s[8:9], s[8:9], exec
	s_and_b64 s[10:11], s[28:29], exec
	s_or_b64 s[8:9], s[8:9], s[10:11]
.LBB388_46:                             ;   in Loop: Header=BB388_37 Depth=1
	s_or_b64 exec, exec, s[26:27]
	s_andn2_b64 s[6:7], s[6:7], exec
	s_and_b64 s[8:9], s[8:9], exec
	s_or_b64 s[6:7], s[6:7], s[8:9]
.LBB388_47:                             ;   in Loop: Header=BB388_37 Depth=1
	s_or_b64 exec, exec, s[24:25]
	s_andn2_b64 s[4:5], s[4:5], exec
	s_and_b64 s[6:7], s[6:7], exec
	s_or_b64 s[4:5], s[4:5], s[6:7]
.LBB388_48:                             ;   in Loop: Header=BB388_37 Depth=1
	s_or_b64 exec, exec, s[22:23]
	s_andn2_b64 s[2:3], s[2:3], exec
	s_and_b64 s[4:5], s[4:5], exec
	s_or_b64 s[2:3], s[2:3], s[4:5]
.LBB388_49:                             ;   in Loop: Header=BB388_37 Depth=1
	s_or_b64 exec, exec, s[20:21]
	s_andn2_b64 s[0:1], s[0:1], exec
	s_and_b64 s[2:3], s[2:3], exec
	s_or_b64 s[0:1], s[0:1], s[2:3]
.LBB388_50:                             ;   in Loop: Header=BB388_37 Depth=1
	s_or_b64 exec, exec, s[18:19]
	s_andn2_b64 s[2:3], vcc, exec
	s_and_b64 s[0:1], s[0:1], exec
	s_or_b64 vcc, s[2:3], s[0:1]
.LBB388_51:                             ;   in Loop: Header=BB388_37 Depth=1
	s_or_b64 exec, exec, s[16:17]
	s_and_saveexec_b64 s[0:1], vcc
	s_cbranch_execz .LBB388_53
; %bb.52:                               ;   in Loop: Header=BB388_37 Depth=1
	scratch_load_dword v1, v1, off
	v_add_u32_e32 v24, s15, v0
	v_ashrrev_i32_e32 v25, 31, v24
	v_lshl_add_u64 v[24:25], v[24:25], 2, s[12:13]
	s_waitcnt vmcnt(0)
	v_mul_f32_e32 v1, v8, v1
	global_store_dword v[24:25], v1, off
.LBB388_53:                             ;   in Loop: Header=BB388_37 Depth=1
	s_or_b64 exec, exec, s[0:1]
	global_load_dword v24, v[6:7], off
	v_mov_b32_e32 v1, 0
	s_waitcnt vmcnt(0)
	v_cmp_eq_u32_e64 s[8:9], v24, v10
	v_cmp_ne_u32_e32 vcc, v24, v10
	s_and_saveexec_b64 s[10:11], vcc
	s_cbranch_execz .LBB388_67
; %bb.54:                               ;   in Loop: Header=BB388_37 Depth=1
	v_cmp_eq_u32_e32 vcc, v24, v23
	v_cmp_ne_u32_e64 s[0:1], v24, v23
	v_mov_b32_e32 v1, v20
	s_and_saveexec_b64 s[16:17], s[0:1]
	s_cbranch_execz .LBB388_66
; %bb.55:                               ;   in Loop: Header=BB388_37 Depth=1
	v_cmp_eq_u32_e64 s[0:1], v24, v22
	v_cmp_ne_u32_e64 s[2:3], v24, v22
	v_mov_b32_e32 v1, v18
	s_and_saveexec_b64 s[18:19], s[2:3]
	s_cbranch_execz .LBB388_65
; %bb.56:                               ;   in Loop: Header=BB388_37 Depth=1
	v_cmp_eq_u32_e64 s[2:3], v24, v21
	;; [unrolled: 6-line block ×5, first 2 shown]
	v_cmp_ne_u32_e64 s[6:7], v24, v15
	v_mov_b32_e32 v1, v9
	s_and_saveexec_b64 s[30:31], s[6:7]
; %bb.60:                               ;   in Loop: Header=BB388_37 Depth=1
	v_cmp_eq_u32_e64 s[6:7], v24, v13
	s_andn2_b64 s[28:29], s[28:29], exec
	s_and_b64 s[6:7], s[6:7], exec
	s_or_b64 s[28:29], s[28:29], s[6:7]
	v_mov_b32_e32 v1, v11
; %bb.61:                               ;   in Loop: Header=BB388_37 Depth=1
	s_or_b64 exec, exec, s[30:31]
	s_andn2_b64 s[6:7], s[24:25], exec
	s_and_b64 s[24:25], s[28:29], exec
	s_or_b64 s[24:25], s[6:7], s[24:25]
.LBB388_62:                             ;   in Loop: Header=BB388_37 Depth=1
	s_or_b64 exec, exec, s[26:27]
	s_andn2_b64 s[4:5], s[4:5], exec
	s_and_b64 s[6:7], s[24:25], exec
	s_or_b64 s[4:5], s[4:5], s[6:7]
.LBB388_63:                             ;   in Loop: Header=BB388_37 Depth=1
	s_or_b64 exec, exec, s[22:23]
	s_andn2_b64 s[2:3], s[2:3], exec
	s_and_b64 s[4:5], s[4:5], exec
	s_or_b64 s[2:3], s[2:3], s[4:5]
.LBB388_64:                             ;   in Loop: Header=BB388_37 Depth=1
	s_or_b64 exec, exec, s[20:21]
	s_andn2_b64 s[0:1], s[0:1], exec
	s_and_b64 s[2:3], s[2:3], exec
	s_or_b64 s[0:1], s[0:1], s[2:3]
.LBB388_65:                             ;   in Loop: Header=BB388_37 Depth=1
	s_or_b64 exec, exec, s[18:19]
	s_andn2_b64 s[2:3], vcc, exec
	s_and_b64 s[0:1], s[0:1], exec
	s_or_b64 vcc, s[2:3], s[0:1]
.LBB388_66:                             ;   in Loop: Header=BB388_37 Depth=1
	s_or_b64 exec, exec, s[16:17]
	s_andn2_b64 s[0:1], s[8:9], exec
	s_and_b64 s[2:3], vcc, exec
	s_or_b64 s[8:9], s[0:1], s[2:3]
.LBB388_67:                             ;   in Loop: Header=BB388_37 Depth=1
	s_or_b64 exec, exec, s[10:11]
	s_and_saveexec_b64 s[0:1], s[8:9]
	s_cbranch_execz .LBB388_36
; %bb.68:                               ;   in Loop: Header=BB388_37 Depth=1
	scratch_load_dword v1, v1, off
	s_waitcnt vmcnt(0)
	v_mul_f32_e32 v1, v8, v1
	global_store_dword v[4:5], v1, off
	s_branch .LBB388_36
.LBB388_69:
	s_bitcmp0_b32 s33, 0
	s_mov_b32 s15, 0
	s_cbranch_scc1 .LBB388_31
; %bb.70:
	v_lshl_add_u64 v[2:3], s[14:15], 2, v[2:3]
	global_load_dword v1, v[2:3], off
	v_mov_b32_e32 v2, 0
	s_waitcnt vmcnt(0)
	v_cmp_eq_u32_e64 s[8:9], v1, v10
	v_cmp_ne_u32_e32 vcc, v1, v10
	s_and_saveexec_b64 s[10:11], vcc
	s_cbranch_execz .LBB388_84
; %bb.71:
	v_cmp_eq_u32_e32 vcc, v1, v23
	v_cmp_ne_u32_e64 s[0:1], v1, v23
	s_and_saveexec_b64 s[16:17], s[0:1]
	s_cbranch_execz .LBB388_83
; %bb.72:
	v_cmp_eq_u32_e64 s[0:1], v1, v22
	v_cmp_ne_u32_e64 s[2:3], v1, v22
	s_and_saveexec_b64 s[18:19], s[2:3]
	s_cbranch_execz .LBB388_82
; %bb.73:
	v_cmp_eq_u32_e64 s[2:3], v1, v21
	;; [unrolled: 5-line block ×5, first 2 shown]
	v_cmp_ne_u32_e64 s[6:7], v1, v15
	s_and_saveexec_b64 s[30:31], s[6:7]
; %bb.77:
	v_cmp_eq_u32_e64 s[6:7], v1, v13
	s_andn2_b64 s[28:29], s[28:29], exec
	s_and_b64 s[6:7], s[6:7], exec
	s_or_b64 s[28:29], s[28:29], s[6:7]
	v_mov_b32_e32 v9, v11
; %bb.78:
	s_or_b64 exec, exec, s[30:31]
	s_andn2_b64 s[6:7], s[24:25], exec
	s_and_b64 s[24:25], s[28:29], exec
	s_or_b64 s[24:25], s[6:7], s[24:25]
	v_mov_b32_e32 v12, v9
.LBB388_79:
	s_or_b64 exec, exec, s[26:27]
	s_andn2_b64 s[4:5], s[4:5], exec
	s_and_b64 s[6:7], s[24:25], exec
	s_or_b64 s[4:5], s[4:5], s[6:7]
	v_mov_b32_e32 v14, v12
.LBB388_80:
	s_or_b64 exec, exec, s[22:23]
	s_andn2_b64 s[2:3], s[2:3], exec
	s_and_b64 s[4:5], s[4:5], exec
	s_or_b64 s[2:3], s[2:3], s[4:5]
	v_mov_b32_e32 v16, v14
.LBB388_81:
	s_or_b64 exec, exec, s[20:21]
	s_andn2_b64 s[0:1], s[0:1], exec
	s_and_b64 s[2:3], s[2:3], exec
	s_or_b64 s[0:1], s[0:1], s[2:3]
	v_mov_b32_e32 v18, v16
.LBB388_82:
	s_or_b64 exec, exec, s[18:19]
	s_andn2_b64 s[2:3], vcc, exec
	s_and_b64 s[0:1], s[0:1], exec
	s_or_b64 vcc, s[2:3], s[0:1]
	v_mov_b32_e32 v20, v18
.LBB388_83:
	s_or_b64 exec, exec, s[16:17]
	s_andn2_b64 s[0:1], s[8:9], exec
	s_and_b64 s[2:3], vcc, exec
	s_or_b64 s[8:9], s[0:1], s[2:3]
	v_mov_b32_e32 v2, v20
.LBB388_84:
	s_or_b64 exec, exec, s[10:11]
	s_and_b64 exec, exec, s[8:9]
	s_cbranch_execz .LBB388_31
; %bb.85:
	scratch_load_dword v2, v2, off
	v_add_u32_e32 v0, s14, v0
	v_ashrrev_i32_e32 v1, 31, v0
	s_waitcnt lgkmcnt(0)
	v_lshl_add_u64 v[0:1], v[0:1], 2, s[12:13]
	s_waitcnt vmcnt(0)
	v_mul_f32_e32 v2, v8, v2
	global_store_dword v[0:1], v2, off
	s_endpgm
	.section	.rodata,"a",@progbits
	.p2align	6, 0x0
	.amdhsa_kernel _ZN4vllm3moe22topkGatingSoftplusSqrtILi8ELi128ELi4ELi16ELi64ELb1Ei14__hip_bfloat16EEvPKT6_PKbPfiPT5_PiiiibdPKfPKS9_SF_
		.amdhsa_group_segment_fixed_size 0
		.amdhsa_private_segment_fixed_size 48
		.amdhsa_kernarg_size 96
		.amdhsa_user_sgpr_count 2
		.amdhsa_user_sgpr_dispatch_ptr 0
		.amdhsa_user_sgpr_queue_ptr 0
		.amdhsa_user_sgpr_kernarg_segment_ptr 1
		.amdhsa_user_sgpr_dispatch_id 0
		.amdhsa_user_sgpr_kernarg_preload_length 0
		.amdhsa_user_sgpr_kernarg_preload_offset 0
		.amdhsa_user_sgpr_private_segment_size 0
		.amdhsa_uses_dynamic_stack 0
		.amdhsa_enable_private_segment 1
		.amdhsa_system_sgpr_workgroup_id_x 1
		.amdhsa_system_sgpr_workgroup_id_y 0
		.amdhsa_system_sgpr_workgroup_id_z 0
		.amdhsa_system_sgpr_workgroup_info 0
		.amdhsa_system_vgpr_workitem_id 1
		.amdhsa_next_free_vgpr 28
		.amdhsa_next_free_sgpr 34
		.amdhsa_accum_offset 28
		.amdhsa_reserve_vcc 1
		.amdhsa_float_round_mode_32 0
		.amdhsa_float_round_mode_16_64 0
		.amdhsa_float_denorm_mode_32 3
		.amdhsa_float_denorm_mode_16_64 3
		.amdhsa_dx10_clamp 1
		.amdhsa_ieee_mode 1
		.amdhsa_fp16_overflow 0
		.amdhsa_tg_split 0
		.amdhsa_exception_fp_ieee_invalid_op 0
		.amdhsa_exception_fp_denorm_src 0
		.amdhsa_exception_fp_ieee_div_zero 0
		.amdhsa_exception_fp_ieee_overflow 0
		.amdhsa_exception_fp_ieee_underflow 0
		.amdhsa_exception_fp_ieee_inexact 0
		.amdhsa_exception_int_div_zero 0
	.end_amdhsa_kernel
	.section	.text._ZN4vllm3moe22topkGatingSoftplusSqrtILi8ELi128ELi4ELi16ELi64ELb1Ei14__hip_bfloat16EEvPKT6_PKbPfiPT5_PiiiibdPKfPKS9_SF_,"axG",@progbits,_ZN4vllm3moe22topkGatingSoftplusSqrtILi8ELi128ELi4ELi16ELi64ELb1Ei14__hip_bfloat16EEvPKT6_PKbPfiPT5_PiiiibdPKfPKS9_SF_,comdat
.Lfunc_end388:
	.size	_ZN4vllm3moe22topkGatingSoftplusSqrtILi8ELi128ELi4ELi16ELi64ELb1Ei14__hip_bfloat16EEvPKT6_PKbPfiPT5_PiiiibdPKfPKS9_SF_, .Lfunc_end388-_ZN4vllm3moe22topkGatingSoftplusSqrtILi8ELi128ELi4ELi16ELi64ELb1Ei14__hip_bfloat16EEvPKT6_PKbPfiPT5_PiiiibdPKfPKS9_SF_
                                        ; -- End function
	.section	.AMDGPU.csdata,"",@progbits
; Kernel info:
; codeLenInByte = 4532
; NumSgprs: 40
; NumVgprs: 28
; NumAgprs: 0
; TotalNumVgprs: 28
; ScratchSize: 48
; MemoryBound: 0
; FloatMode: 240
; IeeeMode: 1
; LDSByteSize: 0 bytes/workgroup (compile time only)
; SGPRBlocks: 4
; VGPRBlocks: 3
; NumSGPRsForWavesPerEU: 40
; NumVGPRsForWavesPerEU: 28
; AccumOffset: 28
; Occupancy: 8
; WaveLimiterHint : 1
; COMPUTE_PGM_RSRC2:SCRATCH_EN: 1
; COMPUTE_PGM_RSRC2:USER_SGPR: 2
; COMPUTE_PGM_RSRC2:TRAP_HANDLER: 0
; COMPUTE_PGM_RSRC2:TGID_X_EN: 1
; COMPUTE_PGM_RSRC2:TGID_Y_EN: 0
; COMPUTE_PGM_RSRC2:TGID_Z_EN: 0
; COMPUTE_PGM_RSRC2:TIDIG_COMP_CNT: 1
; COMPUTE_PGM_RSRC3_GFX90A:ACCUM_OFFSET: 6
; COMPUTE_PGM_RSRC3_GFX90A:TG_SPLIT: 0
	.section	.text._ZN4vllm3moe22topkGatingSoftplusSqrtILi8ELi128ELi4ELi16ELi64ELb0Ei14__hip_bfloat16EEvPKT6_PKbPfiPT5_PiiiibdPKfPKS9_SF_,"axG",@progbits,_ZN4vllm3moe22topkGatingSoftplusSqrtILi8ELi128ELi4ELi16ELi64ELb0Ei14__hip_bfloat16EEvPKT6_PKbPfiPT5_PiiiibdPKfPKS9_SF_,comdat
	.protected	_ZN4vllm3moe22topkGatingSoftplusSqrtILi8ELi128ELi4ELi16ELi64ELb0Ei14__hip_bfloat16EEvPKT6_PKbPfiPT5_PiiiibdPKfPKS9_SF_ ; -- Begin function _ZN4vllm3moe22topkGatingSoftplusSqrtILi8ELi128ELi4ELi16ELi64ELb0Ei14__hip_bfloat16EEvPKT6_PKbPfiPT5_PiiiibdPKfPKS9_SF_
	.globl	_ZN4vllm3moe22topkGatingSoftplusSqrtILi8ELi128ELi4ELi16ELi64ELb0Ei14__hip_bfloat16EEvPKT6_PKbPfiPT5_PiiiibdPKfPKS9_SF_
	.p2align	8
	.type	_ZN4vllm3moe22topkGatingSoftplusSqrtILi8ELi128ELi4ELi16ELi64ELb0Ei14__hip_bfloat16EEvPKT6_PKbPfiPT5_PiiiibdPKfPKS9_SF_,@function
_ZN4vllm3moe22topkGatingSoftplusSqrtILi8ELi128ELi4ELi16ELi64ELb0Ei14__hip_bfloat16EEvPKT6_PKbPfiPT5_PiiiibdPKfPKS9_SF_: ; @_ZN4vllm3moe22topkGatingSoftplusSqrtILi8ELi128ELi4ELi16ELi64ELb0Ei14__hip_bfloat16EEvPKT6_PKbPfiPT5_PiiiibdPKfPKS9_SF_
; %bb.0:
	s_load_dword s33, s[0:1], 0x18
	v_bfe_u32 v1, v0, 10, 10
	v_and_b32_e32 v0, 0x3ff, v0
	s_lshl_b32 s2, s2, 4
	v_lshlrev_b32_e32 v1, 2, v1
	v_lshrrev_b32_e32 v2, 4, v0
	v_add3_u32 v8, s2, v1, v2
	s_waitcnt lgkmcnt(0)
	v_cmp_gt_i32_e32 vcc, s33, v8
	s_and_saveexec_b64 s[2:3], vcc
	s_cbranch_execz .LBB389_61
; %bb.1:
	s_load_dwordx4 s[4:7], s[0:1], 0x0
	s_load_dwordx2 s[34:35], s[0:1], 0x10
	s_waitcnt lgkmcnt(0)
	s_cmp_eq_u64 s[6:7], 0
	s_cbranch_scc1 .LBB389_3
; %bb.2:
	v_ashrrev_i32_e32 v9, 31, v8
	v_lshl_add_u64 v[2:3], s[6:7], 0, v[8:9]
	global_load_ubyte v1, v[2:3], off
	s_waitcnt vmcnt(0)
	v_and_b32_e32 v1, 1, v1
	v_cmp_eq_u32_e32 vcc, 1, v1
	s_xor_b64 s[2:3], vcc, -1
	s_orn2_b64 s[36:37], s[2:3], exec
	s_branch .LBB389_4
.LBB389_3:
	s_mov_b64 s[36:37], -1
.LBB389_4:
	v_lshlrev_b32_e32 v4, 7, v8
	v_mov_b32_e32 v2, s4
	v_mov_b32_e32 v3, s5
	v_ashrrev_i32_e32 v5, 31, v4
	v_and_b32_e32 v9, 15, v0
	v_lshl_add_u64 v[2:3], v[4:5], 1, v[2:3]
	v_mov_b32_e32 v1, 0
	v_lshlrev_b32_e32 v0, 4, v9
	v_lshl_add_u64 v[0:1], v[2:3], 0, v[0:1]
	global_load_dwordx4 v[4:7], v[0:1], off
	s_mov_b32 s12, 0x800000
	v_mov_b32_e32 v2, 0x4f800000
	s_mov_b32 s9, 0x3f317217
	s_mov_b32 s10, 0x7f800000
	v_mov_b32_e32 v3, 0x41b17218
	s_mov_b32 s8, 0x41a00000
	s_mov_b32 s11, 0xf800000
	s_load_dwordx4 s[20:23], s[0:1], 0x40
	v_lshlrev_b32_e32 v12, 3, v9
	s_waitcnt lgkmcnt(0)
	s_cmp_lg_u64 s[22:23], 0
	s_cselect_b64 s[6:7], -1, 0
	s_and_b64 s[2:3], exec, s[6:7]
	s_waitcnt vmcnt(0)
	v_lshlrev_b32_e32 v0, 16, v4
	v_mul_f32_e32 v1, 0x3fb8aa3b, v0
	v_exp_f32_e32 v10, v1
	v_mov_b32_e32 v1, 0x260
	v_add_f32_e32 v10, 1.0, v10
	v_cmp_gt_f32_e32 vcc, s12, v10
	s_nop 1
	v_cndmask_b32_e32 v11, 1.0, v2, vcc
	v_mul_f32_e32 v10, v10, v11
	v_log_f32_e32 v11, v10
	v_cndmask_b32_e32 v13, 0, v3, vcc
	v_lshlrev_b32_e32 v10, 2, v12
	v_mul_f32_e32 v14, 0x3f317217, v11
	v_fma_f32 v14, v11, s9, -v14
	v_fmac_f32_e32 v14, 0x3377d1cf, v11
	v_fmac_f32_e32 v14, 0x3f317217, v11
	v_cmp_lt_f32_e64 vcc, |v11|, s10
	s_nop 1
	v_cndmask_b32_e32 v11, v11, v14, vcc
	v_sub_f32_e32 v11, v11, v13
	v_cmp_lt_f32_e32 vcc, s8, v0
	s_nop 1
	v_cndmask_b32_e32 v0, v11, v0, vcc
	v_mul_f32_e32 v11, 0x4f800000, v0
	v_cmp_gt_f32_e32 vcc, s11, v0
	s_nop 1
	v_cndmask_b32_e32 v0, v0, v11, vcc
	v_sqrt_f32_e32 v11, v0
	s_nop 0
	v_add_u32_e32 v13, -1, v11
	v_add_u32_e32 v14, 1, v11
	v_fma_f32 v15, -v13, v11, v0
	v_fma_f32 v16, -v14, v11, v0
	v_cmp_ge_f32_e64 s[4:5], 0, v15
	s_nop 1
	v_cndmask_b32_e64 v11, v11, v13, s[4:5]
	v_cmp_lt_f32_e64 s[4:5], 0, v16
	s_nop 1
	v_cndmask_b32_e64 v11, v11, v14, s[4:5]
	v_mul_f32_e32 v13, 0x37800000, v11
	v_cndmask_b32_e32 v11, v11, v13, vcc
	v_cmp_class_f32_e32 vcc, v0, v1
	s_nop 1
	v_cndmask_b32_e32 v0, v11, v0, vcc
	s_mov_b64 vcc, s[2:3]
	s_cbranch_vccz .LBB389_6
; %bb.5:
	global_load_dword v11, v10, s[22:23]
	s_waitcnt vmcnt(0)
	v_add_f32_e32 v0, v0, v11
.LBB389_6:
	v_and_b32_e32 v4, 0xffff0000, v4
	v_mul_f32_e32 v11, 0x3fb8aa3b, v4
	v_exp_f32_e32 v11, v11
	s_nop 0
	v_add_f32_e32 v11, 1.0, v11
	v_cmp_gt_f32_e32 vcc, s12, v11
	s_nop 1
	v_cndmask_b32_e32 v2, 1.0, v2, vcc
	v_mul_f32_e32 v2, v11, v2
	v_log_f32_e32 v2, v2
	v_cndmask_b32_e32 v3, 0, v3, vcc
	v_mul_f32_e32 v11, 0x3f317217, v2
	v_fma_f32 v11, v2, s9, -v11
	v_fmac_f32_e32 v11, 0x3377d1cf, v2
	v_fmac_f32_e32 v11, 0x3f317217, v2
	v_cmp_lt_f32_e64 vcc, |v2|, s10
	s_nop 1
	v_cndmask_b32_e32 v2, v2, v11, vcc
	v_sub_f32_e32 v2, v2, v3
	v_cmp_lt_f32_e32 vcc, s8, v4
	s_nop 1
	v_cndmask_b32_e32 v2, v2, v4, vcc
	v_mul_f32_e32 v3, 0x4f800000, v2
	v_cmp_gt_f32_e32 vcc, s11, v2
	s_nop 1
	v_cndmask_b32_e32 v2, v2, v3, vcc
	v_sqrt_f32_e32 v3, v2
	v_cmp_class_f32_e64 s[4:5], v2, v1
	v_add_u32_e32 v4, -1, v3
	v_add_u32_e32 v11, 1, v3
	v_fma_f32 v13, -v4, v3, v2
	v_fma_f32 v14, -v11, v3, v2
	v_cmp_ge_f32_e64 s[2:3], 0, v13
	s_nop 1
	v_cndmask_b32_e64 v3, v3, v4, s[2:3]
	v_cmp_lt_f32_e64 s[2:3], 0, v14
	s_nop 1
	v_cndmask_b32_e64 v3, v3, v11, s[2:3]
	v_mul_f32_e32 v4, 0x37800000, v3
	v_cndmask_b32_e32 v3, v3, v4, vcc
	v_cndmask_b32_e64 v4, 0, 1, s[6:7]
	v_cmp_ne_u32_e64 s[2:3], 1, v4
	s_andn2_b64 vcc, exec, s[6:7]
	v_cndmask_b32_e64 v1, v3, v2, s[4:5]
	s_cbranch_vccnz .LBB389_8
; %bb.7:
	global_load_dword v2, v10, s[22:23] offset:4
	s_waitcnt vmcnt(0)
	v_add_f32_e32 v1, v1, v2
.LBB389_8:
	v_lshlrev_b32_e32 v2, 16, v5
	v_mul_f32_e32 v3, 0x3fb8aa3b, v2
	v_exp_f32_e32 v3, v3
	s_mov_b32 s10, 0x800000
	v_mov_b32_e32 v4, 0x4f800000
	s_mov_b32 s7, 0x3f317217
	v_add_f32_e32 v3, 1.0, v3
	v_cmp_gt_f32_e32 vcc, s10, v3
	s_mov_b32 s8, 0x7f800000
	s_mov_b32 s6, 0x41a00000
	v_cndmask_b32_e32 v11, 1.0, v4, vcc
	v_mul_f32_e32 v3, v3, v11
	v_log_f32_e32 v3, v3
	s_mov_b32 s9, 0xf800000
	v_mul_f32_e32 v11, 0x3f317217, v3
	v_fma_f32 v11, v3, s7, -v11
	v_fmac_f32_e32 v11, 0x3377d1cf, v3
	v_fmac_f32_e32 v11, 0x3f317217, v3
	v_cmp_lt_f32_e64 s[4:5], |v3|, s8
	s_nop 1
	v_cndmask_b32_e64 v3, v3, v11, s[4:5]
	v_mov_b32_e32 v11, 0x41b17218
	v_cndmask_b32_e32 v13, 0, v11, vcc
	v_sub_f32_e32 v3, v3, v13
	v_cmp_lt_f32_e32 vcc, s6, v2
	s_nop 1
	v_cndmask_b32_e32 v2, v3, v2, vcc
	v_mul_f32_e32 v3, 0x4f800000, v2
	v_cmp_gt_f32_e32 vcc, s9, v2
	s_nop 1
	v_cndmask_b32_e32 v2, v2, v3, vcc
	v_sqrt_f32_e32 v3, v2
	s_nop 0
	v_add_u32_e32 v13, -1, v3
	v_fma_f32 v14, -v13, v3, v2
	v_cmp_ge_f32_e64 s[4:5], 0, v14
	v_add_u32_e32 v14, 1, v3
	s_nop 0
	v_cndmask_b32_e64 v13, v3, v13, s[4:5]
	v_fma_f32 v3, -v14, v3, v2
	v_cmp_lt_f32_e64 s[4:5], 0, v3
	s_nop 1
	v_cndmask_b32_e64 v3, v13, v14, s[4:5]
	v_mul_f32_e32 v13, 0x37800000, v3
	v_cndmask_b32_e32 v13, v3, v13, vcc
	v_mov_b32_e32 v3, 0x260
	v_cmp_class_f32_e64 s[4:5], v2, v3
	s_and_b64 vcc, exec, s[2:3]
	s_nop 0
	v_cndmask_b32_e64 v2, v13, v2, s[4:5]
	s_cbranch_vccnz .LBB389_10
; %bb.9:
	global_load_dword v13, v10, s[22:23] offset:8
	s_waitcnt vmcnt(0)
	v_add_f32_e32 v2, v2, v13
.LBB389_10:
	v_and_b32_e32 v5, 0xffff0000, v5
	v_mul_f32_e32 v13, 0x3fb8aa3b, v5
	v_exp_f32_e32 v13, v13
	s_nop 0
	v_add_f32_e32 v13, 1.0, v13
	v_cmp_gt_f32_e32 vcc, s10, v13
	s_nop 1
	v_cndmask_b32_e32 v4, 1.0, v4, vcc
	v_mul_f32_e32 v4, v13, v4
	v_log_f32_e32 v4, v4
	v_cndmask_b32_e32 v11, 0, v11, vcc
	v_mul_f32_e32 v13, 0x3f317217, v4
	v_fma_f32 v13, v4, s7, -v13
	v_fmac_f32_e32 v13, 0x3377d1cf, v4
	v_fmac_f32_e32 v13, 0x3f317217, v4
	v_cmp_lt_f32_e64 vcc, |v4|, s8
	s_nop 1
	v_cndmask_b32_e32 v4, v4, v13, vcc
	v_sub_f32_e32 v4, v4, v11
	v_cmp_lt_f32_e32 vcc, s6, v5
	s_nop 1
	v_cndmask_b32_e32 v4, v4, v5, vcc
	v_mul_f32_e32 v5, 0x4f800000, v4
	v_cmp_gt_f32_e32 vcc, s9, v4
	s_nop 1
	v_cndmask_b32_e32 v4, v4, v5, vcc
	v_sqrt_f32_e32 v5, v4
	s_nop 0
	v_add_u32_e32 v11, -1, v5
	v_add_u32_e32 v13, 1, v5
	v_fma_f32 v14, -v11, v5, v4
	v_fma_f32 v15, -v13, v5, v4
	v_cmp_ge_f32_e64 s[4:5], 0, v14
	s_nop 1
	v_cndmask_b32_e64 v5, v5, v11, s[4:5]
	v_cmp_lt_f32_e64 s[4:5], 0, v15
	s_nop 1
	v_cndmask_b32_e64 v5, v5, v13, s[4:5]
	v_mul_f32_e32 v11, 0x37800000, v5
	v_cndmask_b32_e32 v5, v5, v11, vcc
	v_cmp_class_f32_e64 s[4:5], v4, v3
	s_and_b64 vcc, exec, s[2:3]
	s_nop 0
	v_cndmask_b32_e64 v3, v5, v4, s[4:5]
	s_cbranch_vccnz .LBB389_12
; %bb.11:
	global_load_dword v4, v10, s[22:23] offset:12
	s_waitcnt vmcnt(0)
	v_add_f32_e32 v3, v3, v4
.LBB389_12:
	v_lshlrev_b32_e32 v4, 16, v6
	v_mul_f32_e32 v5, 0x3fb8aa3b, v4
	v_exp_f32_e32 v5, v5
	v_mov_b32_e32 v11, 0x4f800000
	v_add_f32_e32 v5, 1.0, v5
	v_cmp_gt_f32_e32 vcc, s10, v5
	s_nop 1
	v_cndmask_b32_e32 v13, 1.0, v11, vcc
	v_mul_f32_e32 v5, v5, v13
	v_log_f32_e32 v5, v5
	s_nop 0
	v_mul_f32_e32 v13, 0x3f317217, v5
	v_fma_f32 v13, v5, s7, -v13
	v_fmac_f32_e32 v13, 0x3377d1cf, v5
	v_fmac_f32_e32 v13, 0x3f317217, v5
	v_cmp_lt_f32_e64 s[4:5], |v5|, s8
	s_nop 1
	v_cndmask_b32_e64 v5, v5, v13, s[4:5]
	v_mov_b32_e32 v13, 0x41b17218
	v_cndmask_b32_e32 v14, 0, v13, vcc
	v_sub_f32_e32 v5, v5, v14
	v_cmp_lt_f32_e32 vcc, s6, v4
	s_nop 1
	v_cndmask_b32_e32 v4, v5, v4, vcc
	v_mul_f32_e32 v5, 0x4f800000, v4
	v_cmp_gt_f32_e32 vcc, s9, v4
	s_nop 1
	v_cndmask_b32_e32 v4, v4, v5, vcc
	v_sqrt_f32_e32 v5, v4
	s_nop 0
	v_add_u32_e32 v14, -1, v5
	v_fma_f32 v15, -v14, v5, v4
	v_cmp_ge_f32_e64 s[4:5], 0, v15
	v_add_u32_e32 v15, 1, v5
	s_nop 0
	v_cndmask_b32_e64 v14, v5, v14, s[4:5]
	v_fma_f32 v5, -v15, v5, v4
	v_cmp_lt_f32_e64 s[4:5], 0, v5
	s_nop 1
	v_cndmask_b32_e64 v5, v14, v15, s[4:5]
	v_mul_f32_e32 v14, 0x37800000, v5
	v_cndmask_b32_e32 v14, v5, v14, vcc
	v_mov_b32_e32 v5, 0x260
	v_cmp_class_f32_e64 s[4:5], v4, v5
	s_and_b64 vcc, exec, s[2:3]
	s_nop 0
	v_cndmask_b32_e64 v4, v14, v4, s[4:5]
	s_cbranch_vccnz .LBB389_14
; %bb.13:
	global_load_dword v14, v10, s[22:23] offset:16
	s_waitcnt vmcnt(0)
	v_add_f32_e32 v4, v4, v14
.LBB389_14:
	v_and_b32_e32 v6, 0xffff0000, v6
	v_mul_f32_e32 v14, 0x3fb8aa3b, v6
	v_exp_f32_e32 v14, v14
	s_nop 0
	v_add_f32_e32 v14, 1.0, v14
	v_cmp_gt_f32_e32 vcc, s10, v14
	s_nop 1
	v_cndmask_b32_e32 v11, 1.0, v11, vcc
	v_mul_f32_e32 v11, v14, v11
	v_log_f32_e32 v11, v11
	v_cndmask_b32_e32 v13, 0, v13, vcc
	v_mul_f32_e32 v14, 0x3f317217, v11
	v_fma_f32 v14, v11, s7, -v14
	v_fmac_f32_e32 v14, 0x3377d1cf, v11
	v_fmac_f32_e32 v14, 0x3f317217, v11
	v_cmp_lt_f32_e64 vcc, |v11|, s8
	s_nop 1
	v_cndmask_b32_e32 v11, v11, v14, vcc
	v_sub_f32_e32 v11, v11, v13
	v_cmp_lt_f32_e32 vcc, s6, v6
	s_nop 1
	v_cndmask_b32_e32 v6, v11, v6, vcc
	v_mul_f32_e32 v11, 0x4f800000, v6
	v_cmp_gt_f32_e32 vcc, s9, v6
	s_nop 1
	v_cndmask_b32_e32 v6, v6, v11, vcc
	v_sqrt_f32_e32 v11, v6
	s_nop 0
	v_add_u32_e32 v13, -1, v11
	v_add_u32_e32 v14, 1, v11
	v_fma_f32 v15, -v13, v11, v6
	v_fma_f32 v16, -v14, v11, v6
	v_cmp_ge_f32_e64 s[4:5], 0, v15
	s_nop 1
	v_cndmask_b32_e64 v11, v11, v13, s[4:5]
	v_cmp_lt_f32_e64 s[4:5], 0, v16
	s_nop 1
	v_cndmask_b32_e64 v11, v11, v14, s[4:5]
	v_mul_f32_e32 v13, 0x37800000, v11
	v_cndmask_b32_e32 v11, v11, v13, vcc
	v_cmp_class_f32_e64 s[4:5], v6, v5
	s_and_b64 vcc, exec, s[2:3]
	s_nop 0
	v_cndmask_b32_e64 v5, v11, v6, s[4:5]
	s_cbranch_vccnz .LBB389_16
; %bb.15:
	global_load_dword v6, v10, s[22:23] offset:20
	s_waitcnt vmcnt(0)
	v_add_f32_e32 v5, v5, v6
.LBB389_16:
	v_lshlrev_b32_e32 v6, 16, v7
	v_mul_f32_e32 v11, 0x3fb8aa3b, v6
	v_exp_f32_e32 v11, v11
	v_mov_b32_e32 v13, 0x4f800000
	v_add_f32_e32 v11, 1.0, v11
	v_cmp_gt_f32_e32 vcc, s10, v11
	s_nop 1
	v_cndmask_b32_e32 v14, 1.0, v13, vcc
	v_mul_f32_e32 v11, v11, v14
	v_log_f32_e32 v11, v11
	s_nop 0
	v_mul_f32_e32 v14, 0x3f317217, v11
	v_fma_f32 v14, v11, s7, -v14
	v_fmac_f32_e32 v14, 0x3377d1cf, v11
	v_fmac_f32_e32 v14, 0x3f317217, v11
	v_cmp_lt_f32_e64 s[4:5], |v11|, s8
	s_nop 1
	v_cndmask_b32_e64 v11, v11, v14, s[4:5]
	v_mov_b32_e32 v14, 0x41b17218
	v_cndmask_b32_e32 v15, 0, v14, vcc
	v_sub_f32_e32 v11, v11, v15
	v_cmp_lt_f32_e32 vcc, s6, v6
	s_nop 1
	v_cndmask_b32_e32 v6, v11, v6, vcc
	v_mul_f32_e32 v11, 0x4f800000, v6
	v_cmp_gt_f32_e32 vcc, s9, v6
	s_nop 1
	v_cndmask_b32_e32 v6, v6, v11, vcc
	v_sqrt_f32_e32 v11, v6
	s_nop 0
	v_add_u32_e32 v15, -1, v11
	v_fma_f32 v16, -v15, v11, v6
	v_cmp_ge_f32_e64 s[4:5], 0, v16
	v_add_u32_e32 v16, 1, v11
	s_nop 0
	v_cndmask_b32_e64 v15, v11, v15, s[4:5]
	v_fma_f32 v11, -v16, v11, v6
	v_cmp_lt_f32_e64 s[4:5], 0, v11
	s_nop 1
	v_cndmask_b32_e64 v11, v15, v16, s[4:5]
	v_mul_f32_e32 v15, 0x37800000, v11
	v_cndmask_b32_e32 v15, v11, v15, vcc
	v_mov_b32_e32 v11, 0x260
	v_cmp_class_f32_e64 s[4:5], v6, v11
	s_and_b64 vcc, exec, s[2:3]
	s_nop 0
	v_cndmask_b32_e64 v6, v15, v6, s[4:5]
	s_cbranch_vccnz .LBB389_18
; %bb.17:
	global_load_dword v15, v10, s[22:23] offset:24
	s_waitcnt vmcnt(0)
	v_add_f32_e32 v6, v6, v15
.LBB389_18:
	v_and_b32_e32 v7, 0xffff0000, v7
	v_mul_f32_e32 v15, 0x3fb8aa3b, v7
	v_exp_f32_e32 v15, v15
	s_nop 0
	v_add_f32_e32 v15, 1.0, v15
	v_cmp_gt_f32_e32 vcc, s10, v15
	s_nop 1
	v_cndmask_b32_e32 v13, 1.0, v13, vcc
	v_mul_f32_e32 v13, v15, v13
	v_log_f32_e32 v13, v13
	v_cndmask_b32_e32 v14, 0, v14, vcc
	v_mul_f32_e32 v15, 0x3f317217, v13
	v_fma_f32 v15, v13, s7, -v15
	v_fmac_f32_e32 v15, 0x3377d1cf, v13
	v_fmac_f32_e32 v15, 0x3f317217, v13
	v_cmp_lt_f32_e64 vcc, |v13|, s8
	s_nop 1
	v_cndmask_b32_e32 v13, v13, v15, vcc
	v_sub_f32_e32 v13, v13, v14
	v_cmp_lt_f32_e32 vcc, s6, v7
	s_nop 1
	v_cndmask_b32_e32 v7, v13, v7, vcc
	v_mul_f32_e32 v13, 0x4f800000, v7
	v_cmp_gt_f32_e32 vcc, s9, v7
	s_nop 1
	v_cndmask_b32_e32 v7, v7, v13, vcc
	v_sqrt_f32_e32 v13, v7
	s_nop 0
	v_add_u32_e32 v14, -1, v13
	v_add_u32_e32 v15, 1, v13
	v_fma_f32 v16, -v14, v13, v7
	v_fma_f32 v17, -v15, v13, v7
	v_cmp_ge_f32_e64 s[4:5], 0, v16
	s_nop 1
	v_cndmask_b32_e64 v13, v13, v14, s[4:5]
	v_cmp_lt_f32_e64 s[4:5], 0, v17
	s_nop 1
	v_cndmask_b32_e64 v13, v13, v15, s[4:5]
	v_mul_f32_e32 v14, 0x37800000, v13
	v_cndmask_b32_e32 v13, v13, v14, vcc
	v_cmp_class_f32_e64 s[4:5], v7, v11
	s_and_b64 vcc, exec, s[2:3]
	s_nop 0
	v_cndmask_b32_e64 v7, v13, v7, s[4:5]
	s_cbranch_vccnz .LBB389_20
; %bb.19:
	global_load_dword v10, v10, s[22:23] offset:28
	s_waitcnt vmcnt(0)
	v_add_f32_e32 v7, v7, v10
.LBB389_20:
	s_load_dwordx4 s[24:27], s[0:1], 0x30
	s_mov_b32 s42, 0
	v_cmp_eq_u32_e64 s[6:7], 0, v9
	s_waitcnt lgkmcnt(0)
	s_bitcmp1_b32 s27, 0
	s_cselect_b64 s[4:5], -1, 0
	s_cmp_gt_i32 s24, 0
	s_cselect_b64 s[38:39], -1, 0
	s_and_b64 vcc, exec, s[38:39]
	s_cbranch_vccz .LBB389_47
; %bb.21:
	v_mbcnt_lo_u32_b32 v10, -1, 0
	v_mbcnt_hi_u32_b32 v10, -1, v10
	v_and_b32_e32 v11, 0x70, v10
	v_add_u32_e32 v11, 16, v11
	v_xor_b32_e32 v13, 8, v10
	v_cmp_lt_i32_e32 vcc, v13, v11
	s_load_dwordx4 s[28:31], s[0:1], 0x20
	v_mul_lo_u32 v14, v8, s24
	v_cndmask_b32_e32 v13, v10, v13, vcc
	v_lshlrev_b32_e32 v15, 2, v13
	v_xor_b32_e32 v13, 4, v10
	v_cmp_lt_i32_e32 vcc, v13, v11
	v_mov_b32_e32 v19, 0x80
	v_mov_b32_e32 v20, 0xc61c4000
	v_cndmask_b32_e32 v13, v10, v13, vcc
	v_lshlrev_b32_e32 v16, 2, v13
	v_xor_b32_e32 v13, 2, v10
	v_cmp_lt_i32_e32 vcc, v13, v11
	v_mov_b32_e32 v21, v8
	s_nop 0
	v_cndmask_b32_e32 v13, v10, v13, vcc
	v_lshlrev_b32_e32 v17, 2, v13
	v_xor_b32_e32 v13, 1, v10
	v_cmp_lt_i32_e32 vcc, v13, v11
	s_nop 1
	v_cndmask_b32_e32 v10, v10, v13, vcc
	v_lshlrev_b32_e32 v18, 2, v10
	v_mov_b32_e32 v13, 0
	s_branch .LBB389_24
.LBB389_22:                             ;   in Loop: Header=BB389_24 Depth=1
	s_or_b64 exec, exec, s[40:41]
.LBB389_23:                             ;   in Loop: Header=BB389_24 Depth=1
	s_cmp_eq_u32 s24, s42
	v_add_u32_e32 v21, s33, v21
	s_cbranch_scc1 .LBB389_48
.LBB389_24:                             ; =>This Inner Loop Header: Depth=1
	v_cmp_gt_f32_e32 vcc, v1, v0
	s_nop 1
	v_cndmask_b32_e32 v11, v0, v1, vcc
	v_cndmask_b32_e64 v10, 0, 1, vcc
	v_cmp_gt_f32_e32 vcc, v2, v11
	s_nop 1
	v_cndmask_b32_e32 v11, v11, v2, vcc
	v_cndmask_b32_e64 v10, v10, 2, vcc
	;; [unrolled: 4-line block ×6, first 2 shown]
	v_cmp_gt_f32_e32 vcc, v7, v11
	s_nop 1
	v_cndmask_b32_e64 v10, v10, 7, vcc
	v_cndmask_b32_e32 v22, v11, v7, vcc
	ds_bpermute_b32 v11, v15, v22
	v_or_b32_e32 v10, v12, v10
	s_waitcnt lgkmcnt(0)
	ds_bpermute_b32 v23, v15, v10
	s_waitcnt lgkmcnt(0)
	v_cmp_lt_f32_e64 s[8:9], v22, v11
	v_cmp_nlt_f32_e32 vcc, v22, v11
	s_and_saveexec_b64 s[10:11], vcc
; %bb.25:                               ;   in Loop: Header=BB389_24 Depth=1
	v_cmp_eq_f32_e32 vcc, v22, v11
	v_cmp_lt_i32_e64 s[0:1], v23, v10
	s_and_b64 s[0:1], vcc, s[0:1]
	s_andn2_b64 s[8:9], s[8:9], exec
	s_and_b64 s[0:1], s[0:1], exec
	s_or_b64 s[8:9], s[8:9], s[0:1]
; %bb.26:                               ;   in Loop: Header=BB389_24 Depth=1
	s_or_b64 exec, exec, s[10:11]
	s_and_saveexec_b64 s[0:1], s[8:9]
; %bb.27:                               ;   in Loop: Header=BB389_24 Depth=1
	v_mov_b32_e32 v22, v11
	v_mov_b32_e32 v10, v23
; %bb.28:                               ;   in Loop: Header=BB389_24 Depth=1
	s_or_b64 exec, exec, s[0:1]
	ds_bpermute_b32 v11, v16, v22
	ds_bpermute_b32 v23, v16, v10
	s_waitcnt lgkmcnt(1)
	v_cmp_lt_f32_e64 s[8:9], v22, v11
	v_cmp_nlt_f32_e32 vcc, v22, v11
	s_and_saveexec_b64 s[10:11], vcc
	s_cbranch_execz .LBB389_30
; %bb.29:                               ;   in Loop: Header=BB389_24 Depth=1
	v_cmp_eq_f32_e32 vcc, v22, v11
	s_waitcnt lgkmcnt(0)
	v_cmp_lt_i32_e64 s[0:1], v23, v10
	s_and_b64 s[0:1], vcc, s[0:1]
	s_andn2_b64 s[8:9], s[8:9], exec
	s_and_b64 s[0:1], s[0:1], exec
	s_or_b64 s[8:9], s[8:9], s[0:1]
.LBB389_30:                             ;   in Loop: Header=BB389_24 Depth=1
	s_or_b64 exec, exec, s[10:11]
	s_and_saveexec_b64 s[0:1], s[8:9]
	s_cbranch_execz .LBB389_32
; %bb.31:                               ;   in Loop: Header=BB389_24 Depth=1
	v_mov_b32_e32 v22, v11
	s_waitcnt lgkmcnt(0)
	v_mov_b32_e32 v10, v23
.LBB389_32:                             ;   in Loop: Header=BB389_24 Depth=1
	s_or_b64 exec, exec, s[0:1]
	ds_bpermute_b32 v11, v17, v22
	s_waitcnt lgkmcnt(1)
	ds_bpermute_b32 v23, v17, v10
	s_waitcnt lgkmcnt(1)
	v_cmp_lt_f32_e64 s[8:9], v22, v11
	v_cmp_nlt_f32_e32 vcc, v22, v11
	s_and_saveexec_b64 s[10:11], vcc
	s_cbranch_execz .LBB389_34
; %bb.33:                               ;   in Loop: Header=BB389_24 Depth=1
	v_cmp_eq_f32_e32 vcc, v22, v11
	s_waitcnt lgkmcnt(0)
	v_cmp_lt_i32_e64 s[0:1], v23, v10
	s_and_b64 s[0:1], vcc, s[0:1]
	s_andn2_b64 s[8:9], s[8:9], exec
	s_and_b64 s[0:1], s[0:1], exec
	s_or_b64 s[8:9], s[8:9], s[0:1]
.LBB389_34:                             ;   in Loop: Header=BB389_24 Depth=1
	s_or_b64 exec, exec, s[10:11]
	s_and_saveexec_b64 s[0:1], s[8:9]
	s_cbranch_execz .LBB389_36
; %bb.35:                               ;   in Loop: Header=BB389_24 Depth=1
	v_mov_b32_e32 v22, v11
	s_waitcnt lgkmcnt(0)
	v_mov_b32_e32 v10, v23
.LBB389_36:                             ;   in Loop: Header=BB389_24 Depth=1
	s_or_b64 exec, exec, s[0:1]
	ds_bpermute_b32 v11, v18, v22
	s_waitcnt lgkmcnt(1)
	ds_bpermute_b32 v23, v18, v10
	s_waitcnt lgkmcnt(1)
	v_cmp_lt_f32_e64 s[8:9], v22, v11
	v_cmp_nlt_f32_e32 vcc, v22, v11
	s_and_saveexec_b64 s[10:11], vcc
	s_cbranch_execnz .LBB389_40
; %bb.37:                               ;   in Loop: Header=BB389_24 Depth=1
	s_or_b64 exec, exec, s[10:11]
	s_and_saveexec_b64 s[0:1], s[8:9]
	s_cbranch_execnz .LBB389_41
.LBB389_38:                             ;   in Loop: Header=BB389_24 Depth=1
	s_or_b64 exec, exec, s[0:1]
	s_and_saveexec_b64 s[8:9], s[6:7]
	s_cbranch_execnz .LBB389_42
.LBB389_39:                             ;   in Loop: Header=BB389_24 Depth=1
	s_or_b64 exec, exec, s[8:9]
	s_add_i32 s42, s42, 1
	s_cmp_ge_i32 s42, s24
	s_cbranch_scc1 .LBB389_23
	s_branch .LBB389_45
.LBB389_40:                             ;   in Loop: Header=BB389_24 Depth=1
	v_cmp_eq_f32_e32 vcc, v22, v11
	s_waitcnt lgkmcnt(0)
	v_cmp_lt_i32_e64 s[0:1], v23, v10
	s_and_b64 s[0:1], vcc, s[0:1]
	s_andn2_b64 s[8:9], s[8:9], exec
	s_and_b64 s[0:1], s[0:1], exec
	s_or_b64 s[8:9], s[8:9], s[0:1]
	s_or_b64 exec, exec, s[10:11]
	s_and_saveexec_b64 s[0:1], s[8:9]
	s_cbranch_execz .LBB389_38
.LBB389_41:                             ;   in Loop: Header=BB389_24 Depth=1
	s_waitcnt lgkmcnt(0)
	v_mov_b32_e32 v10, v23
	v_mov_b32_e32 v22, v11
	s_or_b64 exec, exec, s[0:1]
	s_and_saveexec_b64 s[8:9], s[6:7]
	s_cbranch_execz .LBB389_39
.LBB389_42:                             ;   in Loop: Header=BB389_24 Depth=1
	s_and_b64 vcc, exec, s[2:3]
	s_cbranch_vccnz .LBB389_44
; %bb.43:                               ;   in Loop: Header=BB389_24 Depth=1
	v_ashrrev_i32_e32 v11, 31, v10
	v_lshl_add_u64 v[24:25], v[10:11], 2, s[22:23]
	global_load_dword v11, v[24:25], off
	s_waitcnt vmcnt(0)
	v_sub_f32_e32 v22, v22, v11
.LBB389_44:                             ;   in Loop: Header=BB389_24 Depth=1
	v_add_u32_e32 v24, s42, v14
	v_cmp_le_i32_e32 vcc, s25, v10
	v_cmp_gt_i32_e64 s[0:1], s26, v10
	v_ashrrev_i32_e32 v25, 31, v24
	s_and_b64 s[0:1], vcc, s[0:1]
	v_lshlrev_b64 v[24:25], 2, v[24:25]
	v_lshl_add_u64 v[26:27], s[34:35], 0, v[24:25]
	v_subrev_u32_e32 v11, s25, v10
	s_and_b64 vcc, s[36:37], s[0:1]
	global_store_dword v[26:27], v22, off
	v_cndmask_b32_e32 v11, v19, v11, vcc
	v_lshl_add_u64 v[26:27], s[28:29], 0, v[24:25]
	global_store_dword v[26:27], v11, off
	v_add_f32_e32 v11, v13, v22
	v_lshl_add_u64 v[24:25], s[30:31], 0, v[24:25]
	v_cndmask_b32_e64 v13, v13, v11, s[4:5]
	global_store_dword v[24:25], v21, off
	s_or_b64 exec, exec, s[8:9]
	s_add_i32 s42, s42, 1
	s_cmp_ge_i32 s42, s24
	s_cbranch_scc1 .LBB389_23
.LBB389_45:                             ;   in Loop: Header=BB389_24 Depth=1
	v_ashrrev_i32_e32 v22, 31, v10
	v_lshrrev_b32_e32 v11, 29, v22
	v_add_u32_e32 v11, v10, v11
	v_ashrrev_i32_e32 v11, 3, v11
	s_waitcnt lgkmcnt(0)
	v_lshrrev_b32_e32 v23, 28, v11
	v_add_u32_e32 v23, v11, v23
	v_and_b32_e32 v23, -16, v23
	v_sub_u32_e32 v23, v11, v23
	v_cmp_eq_u32_e32 vcc, v9, v23
	s_and_saveexec_b64 s[40:41], vcc
	s_cbranch_execz .LBB389_22
; %bb.46:                               ;   in Loop: Header=BB389_24 Depth=1
	v_lshrrev_b32_e32 v22, 25, v22
	v_add_u32_e32 v22, v10, v22
	v_lshlrev_b32_e32 v11, 3, v11
	v_sub_u32_e32 v10, v10, v11
	v_ashrrev_i32_e32 v11, 7, v22
	v_lshl_add_u32 v10, v11, 3, v10
	v_cmp_ne_u32_e32 vcc, 6, v10
	v_cmp_ne_u32_e64 s[0:1], 5, v10
	v_cmp_ne_u32_e64 s[8:9], 4, v10
	;; [unrolled: 1-line block ×7, first 2 shown]
	v_cndmask_b32_e32 v6, v20, v6, vcc
	v_cndmask_b32_e64 v5, v20, v5, s[0:1]
	v_cndmask_b32_e64 v7, v20, v7, s[18:19]
	;; [unrolled: 1-line block ×7, first 2 shown]
	s_branch .LBB389_22
.LBB389_47:
	v_mov_b32_e32 v13, 0
.LBB389_48:
	v_cmp_eq_u32_e32 vcc, 0, v9
	s_and_b64 exec, exec, vcc
	s_cbranch_execz .LBB389_61
; %bb.49:
	s_andn2_b64 vcc, exec, s[4:5]
	v_cvt_f32_f64_e32 v0, s[20:21]
	s_cbranch_vccnz .LBB389_51
; %bb.50:
	v_cmp_lt_f32_e32 vcc, 0, v13
	s_nop 1
	v_cndmask_b32_e32 v1, 1.0, v13, vcc
	v_div_scale_f32 v2, s[0:1], v1, v1, v0
	v_rcp_f32_e32 v3, v2
	s_nop 0
	v_fma_f32 v4, -v2, v3, 1.0
	v_fmac_f32_e32 v3, v4, v3
	v_div_scale_f32 v4, vcc, v0, v1, v0
	v_mul_f32_e32 v5, v4, v3
	v_fma_f32 v6, -v2, v5, v4
	v_fmac_f32_e32 v5, v6, v3
	v_fma_f32 v2, -v2, v5, v4
	v_div_fmas_f32 v2, v2, v3, v5
	v_div_fixup_f32 v0, v2, v1, v0
.LBB389_51:
	s_andn2_b64 vcc, exec, s[38:39]
	s_cbranch_vccnz .LBB389_61
; %bb.52:
	v_mul_lo_u32 v2, v8, s24
	s_cmp_gt_u32 s24, 3
	v_ashrrev_i32_e32 v3, 31, v2
	s_cbranch_scc0 .LBB389_56
; %bb.53:
	s_and_b32 s0, s24, 0x7ffffffc
	v_lshl_add_u64 v[4:5], v[2:3], 2, s[34:35]
	v_mov_b32_e32 v1, v0
	v_lshl_add_u64 v[4:5], v[4:5], 0, 8
	s_mov_b32 s1, s0
.LBB389_54:                             ; =>This Inner Loop Header: Depth=1
	global_load_dwordx4 v[6:9], v[4:5], off offset:-8
	s_add_i32 s1, s1, -4
	s_cmp_lg_u32 s1, 0
	s_waitcnt vmcnt(0)
	v_pk_mul_f32 v[6:7], v[0:1], v[6:7]
	v_pk_mul_f32 v[8:9], v[0:1], v[8:9]
	global_store_dwordx4 v[4:5], v[6:9], off offset:-8
	v_lshl_add_u64 v[4:5], v[4:5], 0, 16
	s_cbranch_scc1 .LBB389_54
; %bb.55:
	s_cmp_lg_u32 s0, s24
	s_cselect_b64 s[2:3], -1, 0
	s_branch .LBB389_58
.LBB389_56:
	s_mov_b64 s[2:3], 0
                                        ; implicit-def: $sgpr0
	s_cbranch_execz .LBB389_58
; %bb.57:
	s_mov_b64 s[2:3], -1
	s_mov_b32 s0, 0
.LBB389_58:
	s_andn2_b64 vcc, exec, s[2:3]
	s_cbranch_vccnz .LBB389_61
; %bb.59:
	s_mov_b32 s1, 0
	v_lshl_add_u64 v[2:3], v[2:3], 0, s[0:1]
	s_sub_i32 s2, s24, s0
	v_lshl_add_u64 v[2:3], v[2:3], 2, s[34:35]
.LBB389_60:                             ; =>This Inner Loop Header: Depth=1
	global_load_dword v1, v[2:3], off
	s_add_i32 s2, s2, -1
	s_cmp_lg_u32 s2, 0
	s_waitcnt vmcnt(0)
	v_mul_f32_e32 v1, v0, v1
	global_store_dword v[2:3], v1, off
	v_lshl_add_u64 v[2:3], v[2:3], 0, 4
	s_cbranch_scc1 .LBB389_60
.LBB389_61:
	s_endpgm
	.section	.rodata,"a",@progbits
	.p2align	6, 0x0
	.amdhsa_kernel _ZN4vllm3moe22topkGatingSoftplusSqrtILi8ELi128ELi4ELi16ELi64ELb0Ei14__hip_bfloat16EEvPKT6_PKbPfiPT5_PiiiibdPKfPKS9_SF_
		.amdhsa_group_segment_fixed_size 0
		.amdhsa_private_segment_fixed_size 0
		.amdhsa_kernarg_size 96
		.amdhsa_user_sgpr_count 2
		.amdhsa_user_sgpr_dispatch_ptr 0
		.amdhsa_user_sgpr_queue_ptr 0
		.amdhsa_user_sgpr_kernarg_segment_ptr 1
		.amdhsa_user_sgpr_dispatch_id 0
		.amdhsa_user_sgpr_kernarg_preload_length 0
		.amdhsa_user_sgpr_kernarg_preload_offset 0
		.amdhsa_user_sgpr_private_segment_size 0
		.amdhsa_uses_dynamic_stack 0
		.amdhsa_enable_private_segment 0
		.amdhsa_system_sgpr_workgroup_id_x 1
		.amdhsa_system_sgpr_workgroup_id_y 0
		.amdhsa_system_sgpr_workgroup_id_z 0
		.amdhsa_system_sgpr_workgroup_info 0
		.amdhsa_system_vgpr_workitem_id 1
		.amdhsa_next_free_vgpr 28
		.amdhsa_next_free_sgpr 43
		.amdhsa_accum_offset 28
		.amdhsa_reserve_vcc 1
		.amdhsa_float_round_mode_32 0
		.amdhsa_float_round_mode_16_64 0
		.amdhsa_float_denorm_mode_32 3
		.amdhsa_float_denorm_mode_16_64 3
		.amdhsa_dx10_clamp 1
		.amdhsa_ieee_mode 1
		.amdhsa_fp16_overflow 0
		.amdhsa_tg_split 0
		.amdhsa_exception_fp_ieee_invalid_op 0
		.amdhsa_exception_fp_denorm_src 0
		.amdhsa_exception_fp_ieee_div_zero 0
		.amdhsa_exception_fp_ieee_overflow 0
		.amdhsa_exception_fp_ieee_underflow 0
		.amdhsa_exception_fp_ieee_inexact 0
		.amdhsa_exception_int_div_zero 0
	.end_amdhsa_kernel
	.section	.text._ZN4vllm3moe22topkGatingSoftplusSqrtILi8ELi128ELi4ELi16ELi64ELb0Ei14__hip_bfloat16EEvPKT6_PKbPfiPT5_PiiiibdPKfPKS9_SF_,"axG",@progbits,_ZN4vllm3moe22topkGatingSoftplusSqrtILi8ELi128ELi4ELi16ELi64ELb0Ei14__hip_bfloat16EEvPKT6_PKbPfiPT5_PiiiibdPKfPKS9_SF_,comdat
.Lfunc_end389:
	.size	_ZN4vllm3moe22topkGatingSoftplusSqrtILi8ELi128ELi4ELi16ELi64ELb0Ei14__hip_bfloat16EEvPKT6_PKbPfiPT5_PiiiibdPKfPKS9_SF_, .Lfunc_end389-_ZN4vllm3moe22topkGatingSoftplusSqrtILi8ELi128ELi4ELi16ELi64ELb0Ei14__hip_bfloat16EEvPKT6_PKbPfiPT5_PiiiibdPKfPKS9_SF_
                                        ; -- End function
	.section	.AMDGPU.csdata,"",@progbits
; Kernel info:
; codeLenInByte = 3992
; NumSgprs: 49
; NumVgprs: 28
; NumAgprs: 0
; TotalNumVgprs: 28
; ScratchSize: 0
; MemoryBound: 0
; FloatMode: 240
; IeeeMode: 1
; LDSByteSize: 0 bytes/workgroup (compile time only)
; SGPRBlocks: 6
; VGPRBlocks: 3
; NumSGPRsForWavesPerEU: 49
; NumVGPRsForWavesPerEU: 28
; AccumOffset: 28
; Occupancy: 8
; WaveLimiterHint : 0
; COMPUTE_PGM_RSRC2:SCRATCH_EN: 0
; COMPUTE_PGM_RSRC2:USER_SGPR: 2
; COMPUTE_PGM_RSRC2:TRAP_HANDLER: 0
; COMPUTE_PGM_RSRC2:TGID_X_EN: 1
; COMPUTE_PGM_RSRC2:TGID_Y_EN: 0
; COMPUTE_PGM_RSRC2:TGID_Z_EN: 0
; COMPUTE_PGM_RSRC2:TIDIG_COMP_CNT: 1
; COMPUTE_PGM_RSRC3_GFX90A:ACCUM_OFFSET: 6
; COMPUTE_PGM_RSRC3_GFX90A:TG_SPLIT: 0
	.section	.text._ZN4vllm3moe22topkGatingSoftplusSqrtILi8ELi128ELi4ELi16ELi32ELb1Ei14__hip_bfloat16EEvPKT6_PKbPfiPT5_PiiiibdPKfPKS9_SF_,"axG",@progbits,_ZN4vllm3moe22topkGatingSoftplusSqrtILi8ELi128ELi4ELi16ELi32ELb1Ei14__hip_bfloat16EEvPKT6_PKbPfiPT5_PiiiibdPKfPKS9_SF_,comdat
	.protected	_ZN4vllm3moe22topkGatingSoftplusSqrtILi8ELi128ELi4ELi16ELi32ELb1Ei14__hip_bfloat16EEvPKT6_PKbPfiPT5_PiiiibdPKfPKS9_SF_ ; -- Begin function _ZN4vllm3moe22topkGatingSoftplusSqrtILi8ELi128ELi4ELi16ELi32ELb1Ei14__hip_bfloat16EEvPKT6_PKbPfiPT5_PiiiibdPKfPKS9_SF_
	.globl	_ZN4vllm3moe22topkGatingSoftplusSqrtILi8ELi128ELi4ELi16ELi32ELb1Ei14__hip_bfloat16EEvPKT6_PKbPfiPT5_PiiiibdPKfPKS9_SF_
	.p2align	8
	.type	_ZN4vllm3moe22topkGatingSoftplusSqrtILi8ELi128ELi4ELi16ELi32ELb1Ei14__hip_bfloat16EEvPKT6_PKbPfiPT5_PiiiibdPKfPKS9_SF_,@function
_ZN4vllm3moe22topkGatingSoftplusSqrtILi8ELi128ELi4ELi16ELi32ELb1Ei14__hip_bfloat16EEvPKT6_PKbPfiPT5_PiiiibdPKfPKS9_SF_: ; @_ZN4vllm3moe22topkGatingSoftplusSqrtILi8ELi128ELi4ELi16ELi32ELb1Ei14__hip_bfloat16EEvPKT6_PKbPfiPT5_PiiiibdPKfPKS9_SF_
; %bb.0:
	s_load_dword s3, s[0:1], 0x18
	v_bfe_u32 v1, v0, 10, 10
	v_and_b32_e32 v8, 0x3ff, v0
	s_lshl_b32 s2, s2, 3
	v_lshlrev_b32_e32 v1, 1, v1
	v_lshrrev_b32_e32 v0, 4, v8
	v_add3_u32 v6, s2, v1, v0
	s_waitcnt lgkmcnt(0)
	v_cmp_gt_i32_e32 vcc, s3, v6
	s_and_saveexec_b64 s[2:3], vcc
	s_cbranch_execz .LBB390_31
; %bb.1:
	s_load_dwordx2 s[2:3], s[0:1], 0x0
	s_load_dword s33, s[0:1], 0x30
	v_lshlrev_b32_e32 v0, 7, v6
	v_lshlrev_b32_e32 v2, 3, v8
	v_ashrrev_i32_e32 v1, 31, v0
	v_and_b32_e32 v10, 0x78, v2
	s_waitcnt lgkmcnt(0)
	v_lshl_add_u64 v[0:1], v[0:1], 1, s[2:3]
	v_lshlrev_b32_e32 v4, 1, v10
	v_mov_b32_e32 v5, 0
	v_lshl_add_u64 v[0:1], v[0:1], 0, v[4:5]
	global_load_dwordx4 v[0:3], v[0:1], off
	s_load_dwordx4 s[8:11], s[0:1], 0x50
	v_ashrrev_i32_e32 v7, 31, v6
	s_mov_b32 s15, 0x800000
	s_mov_b32 s13, 0x3f317217
	;; [unrolled: 1-line block ×3, first 2 shown]
	s_waitcnt lgkmcnt(0)
	v_mov_b32_e32 v12, s8
	v_mov_b32_e32 v13, s9
	v_lshl_add_u64 v[12:13], v[6:7], 2, v[12:13]
	global_load_dword v4, v[12:13], off
	v_mov_b32_e32 v7, 0x4f800000
	v_mov_b32_e32 v9, 0x41b17218
	s_mov_b32 s9, 0x41a00000
	s_mov_b32 s12, 0xf800000
	v_mov_b32_e32 v11, 0x260
	s_cmp_gt_i32 s33, 0
	s_mov_b32 s8, 0
	s_waitcnt vmcnt(1)
	v_and_b32_e32 v16, 0xffff0000, v0
	v_lshlrev_b32_e32 v17, 16, v0
	v_and_b32_e32 v18, 0xffff0000, v1
	v_lshlrev_b32_e32 v19, 16, v1
	v_mul_f32_e32 v0, 0x3fb8aa3b, v17
	v_mul_f32_e32 v1, 0x3fb8aa3b, v16
	v_exp_f32_e32 v12, v0
	v_exp_f32_e32 v13, v1
	v_mul_f32_e32 v14, 0x3fb8aa3b, v19
	v_mul_f32_e32 v15, 0x3fb8aa3b, v18
	v_exp_f32_e32 v14, v14
	v_exp_f32_e32 v15, v15
	v_pk_add_f32 v[12:13], v[12:13], 1.0 op_sel_hi:[1,0]
	s_waitcnt vmcnt(0)
	v_mul_lo_u32 v0, v4, s33
	v_cmp_gt_f32_e32 vcc, s15, v13
	v_pk_add_f32 v[14:15], v[14:15], 1.0 op_sel_hi:[1,0]
	v_cmp_gt_f32_e64 s[2:3], s15, v12
	v_cndmask_b32_e32 v4, 1.0, v7, vcc
	v_cmp_gt_f32_e64 s[4:5], s15, v15
	v_cndmask_b32_e64 v20, 1.0, v7, s[2:3]
	v_mul_f32_e32 v4, v13, v4
	v_cndmask_b32_e64 v21, 1.0, v7, s[4:5]
	v_mul_f32_e32 v12, v12, v20
	v_log_f32_e32 v4, v4
	v_mul_f32_e32 v15, v15, v21
	v_log_f32_e32 v12, v12
	v_cmp_gt_f32_e64 s[6:7], s15, v14
	v_log_f32_e32 v15, v15
	v_cndmask_b32_e32 v13, 0, v9, vcc
	v_cndmask_b32_e64 v22, 1.0, v7, s[6:7]
	v_mul_f32_e32 v14, v14, v22
	v_mul_f32_e32 v22, 0x3f317217, v4
	;; [unrolled: 1-line block ×3, first 2 shown]
	v_fma_f32 v22, v4, s13, -v22
	v_mul_f32_e32 v24, 0x3f317217, v15
	v_fma_f32 v23, v12, s13, -v23
	v_fmac_f32_e32 v22, 0x3377d1cf, v4
	v_fma_f32 v24, v15, s13, -v24
	v_fmac_f32_e32 v23, 0x3377d1cf, v12
	v_fmac_f32_e32 v22, 0x3f317217, v4
	v_cmp_lt_f32_e64 vcc, |v4|, s14
	v_fmac_f32_e32 v24, 0x3377d1cf, v15
	v_fmac_f32_e32 v23, 0x3f317217, v12
	v_cndmask_b32_e32 v4, v4, v22, vcc
	v_cmp_lt_f32_e64 vcc, |v12|, s14
	v_cndmask_b32_e64 v20, 0, v9, s[2:3]
	v_fmac_f32_e32 v24, 0x3f317217, v15
	v_cndmask_b32_e32 v12, v12, v23, vcc
	v_cmp_lt_f32_e64 vcc, |v15|, s14
	v_sub_f32_e32 v12, v12, v20
	v_sub_f32_e32 v4, v4, v13
	v_cndmask_b32_e32 v15, v15, v24, vcc
	v_cmp_lt_f32_e32 vcc, s9, v17
	v_cndmask_b32_e64 v21, 0, v9, s[4:5]
	v_sub_f32_e32 v15, v15, v21
	v_cndmask_b32_e32 v12, v12, v17, vcc
	v_cmp_lt_f32_e32 vcc, s9, v16
	v_cmp_gt_f32_e64 s[2:3], s12, v12
	v_log_f32_e32 v14, v14
	v_cndmask_b32_e32 v4, v4, v16, vcc
	v_mul_f32_e32 v13, 0x4f800000, v4
	v_cmp_gt_f32_e32 vcc, s12, v4
	v_mul_f32_e32 v16, 0x4f800000, v12
	v_cndmask_b32_e64 v12, v12, v16, s[2:3]
	v_cndmask_b32_e32 v4, v4, v13, vcc
	v_sqrt_f32_e32 v13, v4
	v_sqrt_f32_e32 v16, v12
	v_mul_f32_e32 v25, 0x3f317217, v14
	v_fma_f32 v25, v14, s13, -v25
	v_add_u32_e32 v17, -1, v13
	v_add_u32_e32 v21, -1, v16
	v_fma_f32 v23, -v17, v13, v4
	v_add_u32_e32 v20, 1, v13
	v_fma_f32 v26, -v21, v16, v12
	v_cmp_ge_f32_e64 s[4:5], 0, v23
	v_add_u32_e32 v22, 1, v16
	v_fma_f32 v24, -v20, v13, v4
	v_cndmask_b32_e64 v13, v13, v17, s[4:5]
	v_cmp_ge_f32_e64 s[4:5], 0, v26
	v_fma_f32 v27, -v22, v16, v12
	v_fmac_f32_e32 v25, 0x3377d1cf, v14
	v_cndmask_b32_e64 v16, v16, v21, s[4:5]
	v_cmp_lt_f32_e64 s[4:5], 0, v24
	v_fmac_f32_e32 v25, 0x3f317217, v14
	v_ashrrev_i32_e32 v1, 31, v0
	v_cndmask_b32_e64 v13, v13, v20, s[4:5]
	v_cmp_lt_f32_e64 s[4:5], 0, v27
	v_mul_f32_e32 v17, 0x37800000, v13
	v_cndmask_b32_e32 v13, v13, v17, vcc
	v_cndmask_b32_e64 v16, v16, v22, s[4:5]
	v_mul_f32_e32 v20, 0x37800000, v16
	v_cmp_class_f32_e32 vcc, v4, v11
	v_cndmask_b32_e64 v16, v16, v20, s[2:3]
	v_cmp_lt_f32_e64 s[2:3], s9, v19
	v_cndmask_b32_e32 v13, v13, v4, vcc
	v_cmp_class_f32_e32 vcc, v12, v11
	v_and_b32_e32 v20, 0xffff0000, v2
	v_lshlrev_b32_e32 v2, 16, v2
	v_cndmask_b32_e32 v12, v16, v12, vcc
	v_cmp_lt_f32_e64 vcc, |v14|, s14
	s_nop 1
	v_cndmask_b32_e32 v4, v14, v25, vcc
	v_cmp_lt_f32_e32 vcc, s9, v18
	v_cndmask_b32_e64 v14, 0, v9, s[6:7]
	v_sub_f32_e32 v4, v4, v14
	v_cndmask_b32_e32 v15, v15, v18, vcc
	v_mul_f32_e32 v16, 0x4f800000, v15
	v_cmp_gt_f32_e32 vcc, s12, v15
	v_cndmask_b32_e64 v4, v4, v19, s[2:3]
	s_nop 0
	v_cndmask_b32_e32 v15, v15, v16, vcc
	v_sqrt_f32_e32 v16, v15
	s_nop 0
	v_add_u32_e32 v14, -1, v16
	v_fma_f32 v17, -v14, v16, v15
	v_cmp_ge_f32_e64 s[2:3], 0, v17
	v_add_u32_e32 v17, 1, v16
	s_nop 0
	v_cndmask_b32_e64 v14, v16, v14, s[2:3]
	v_fma_f32 v16, -v17, v16, v15
	v_cmp_lt_f32_e64 s[2:3], 0, v16
	s_nop 1
	v_cndmask_b32_e64 v14, v14, v17, s[2:3]
	v_mul_f32_e32 v17, 0x4f800000, v4
	v_cmp_gt_f32_e64 s[2:3], s12, v4
	v_mul_f32_e32 v16, 0x37800000, v14
	v_cndmask_b32_e32 v14, v14, v16, vcc
	v_cndmask_b32_e64 v4, v4, v17, s[2:3]
	v_sqrt_f32_e32 v17, v4
	v_cmp_class_f32_e32 vcc, v15, v11
	v_add_u32_e32 v18, 1, v17
	s_nop 0
	v_cndmask_b32_e32 v15, v14, v15, vcc
	v_add_u32_e32 v14, -1, v17
	v_fma_f32 v16, -v14, v17, v4
	v_cmp_ge_f32_e32 vcc, 0, v16
	v_fma_f32 v19, -v18, v17, v4
	v_mul_f32_e32 v16, 0x3fb8aa3b, v2
	v_cndmask_b32_e32 v14, v17, v14, vcc
	v_mul_f32_e32 v17, 0x3fb8aa3b, v20
	v_exp_f32_e32 v16, v16
	v_exp_f32_e32 v17, v17
	v_cmp_lt_f32_e32 vcc, 0, v19
	v_pk_add_f32 v[16:17], v[16:17], 1.0 op_sel_hi:[1,0]
	s_nop 0
	v_cndmask_b32_e32 v14, v14, v18, vcc
	v_mul_f32_e32 v18, 0x37800000, v14
	v_cmp_gt_f32_e32 vcc, s15, v17
	v_cndmask_b32_e64 v14, v14, v18, s[2:3]
	v_cmp_class_f32_e64 s[2:3], v4, v11
	v_cndmask_b32_e32 v18, 1.0, v7, vcc
	v_mul_f32_e32 v17, v17, v18
	v_log_f32_e32 v17, v17
	v_cndmask_b32_e64 v14, v14, v4, s[2:3]
	v_cmp_gt_f32_e64 s[2:3], s15, v16
	scratch_store_dwordx4 off, v[12:15], off
	v_mul_f32_e32 v4, 0x3f317217, v17
	v_fma_f32 v4, v17, s13, -v4
	v_cndmask_b32_e64 v12, 1.0, v7, s[2:3]
	v_mul_f32_e32 v12, v16, v12
	v_log_f32_e32 v12, v12
	v_fmac_f32_e32 v4, 0x3377d1cf, v17
	v_fmac_f32_e32 v4, 0x3f317217, v17
	v_cmp_lt_f32_e64 s[4:5], |v17|, s14
	v_cndmask_b32_e32 v13, 0, v9, vcc
	v_cmp_lt_f32_e64 vcc, |v12|, s14
	v_cndmask_b32_e64 v4, v17, v4, s[4:5]
	v_sub_f32_e32 v4, v4, v13
	v_mul_f32_e32 v13, 0x3f317217, v12
	v_fma_f32 v13, v12, s13, -v13
	v_fmac_f32_e32 v13, 0x3377d1cf, v12
	v_fmac_f32_e32 v13, 0x3f317217, v12
	v_cndmask_b32_e32 v12, v12, v13, vcc
	v_cmp_lt_f32_e32 vcc, s9, v20
	v_cndmask_b32_e64 v13, 0, v9, s[2:3]
	v_sub_f32_e32 v12, v12, v13
	v_cndmask_b32_e32 v4, v4, v20, vcc
	v_mul_f32_e32 v14, 0x4f800000, v4
	v_cmp_gt_f32_e32 vcc, s12, v4
	v_cmp_lt_f32_e64 s[2:3], s9, v2
	v_and_b32_e32 v16, 0xffff0000, v3
	v_cndmask_b32_e32 v4, v4, v14, vcc
	v_sqrt_f32_e32 v14, v4
	v_cndmask_b32_e64 v2, v12, v2, s[2:3]
	v_lshlrev_b32_e32 v17, 16, v3
	v_mul_f32_e32 v3, 0x3fb8aa3b, v16
	v_add_u32_e32 v12, -1, v14
	v_fma_f32 v13, -v12, v14, v4
	v_cmp_ge_f32_e64 s[2:3], 0, v13
	v_add_u32_e32 v13, 1, v14
	v_exp_f32_e32 v3, v3
	v_cndmask_b32_e64 v12, v14, v12, s[2:3]
	v_fma_f32 v14, -v13, v14, v4
	v_cmp_lt_f32_e64 s[2:3], 0, v14
	v_mul_f32_e32 v14, 0x4f800000, v2
	s_nop 0
	v_cndmask_b32_e64 v12, v12, v13, s[2:3]
	v_cmp_gt_f32_e64 s[2:3], s12, v2
	v_mul_f32_e32 v13, 0x37800000, v12
	v_cndmask_b32_e32 v12, v12, v13, vcc
	v_cndmask_b32_e64 v14, v2, v14, s[2:3]
	v_sqrt_f32_e32 v2, v14
	v_cmp_class_f32_e32 vcc, v4, v11
	s_nop 1
	v_cndmask_b32_e32 v13, v12, v4, vcc
	v_add_u32_e32 v4, -1, v2
	v_fma_f32 v12, -v4, v2, v14
	v_cmp_ge_f32_e32 vcc, 0, v12
	v_add_u32_e32 v12, 1, v2
	v_fma_f32 v15, -v12, v2, v14
	v_cndmask_b32_e32 v4, v2, v4, vcc
	v_mul_f32_e32 v2, 0x3fb8aa3b, v17
	v_exp_f32_e32 v2, v2
	v_cmp_lt_f32_e32 vcc, 0, v15
	v_pk_add_f32 v[2:3], v[2:3], 1.0 op_sel_hi:[1,0]
	s_nop 0
	v_cndmask_b32_e32 v4, v4, v12, vcc
	v_cmp_gt_f32_e32 vcc, s15, v3
	v_mul_f32_e32 v12, 0x37800000, v4
	v_cndmask_b32_e64 v4, v4, v12, s[2:3]
	v_cndmask_b32_e32 v15, 1.0, v7, vcc
	v_mul_f32_e32 v3, v3, v15
	v_log_f32_e32 v3, v3
	v_cmp_class_f32_e64 s[2:3], v14, v11
	v_cmp_lt_f32_e64 s[4:5], |v3|, s14
	s_nop 0
	v_cndmask_b32_e64 v12, v4, v14, s[2:3]
	v_cmp_gt_f32_e64 s[2:3], s15, v2
	v_mul_f32_e32 v4, 0x3f317217, v3
	v_fma_f32 v4, v3, s13, -v4
	v_cndmask_b32_e64 v7, 1.0, v7, s[2:3]
	v_mul_f32_e32 v2, v2, v7
	v_log_f32_e32 v2, v2
	v_fmac_f32_e32 v4, 0x3377d1cf, v3
	v_fmac_f32_e32 v4, 0x3f317217, v3
	v_cndmask_b32_e64 v3, v3, v4, s[4:5]
	v_cndmask_b32_e32 v4, 0, v9, vcc
	v_sub_f32_e32 v3, v3, v4
	v_mul_f32_e32 v4, 0x3f317217, v2
	v_fma_f32 v4, v2, s13, -v4
	v_fmac_f32_e32 v4, 0x3377d1cf, v2
	v_fmac_f32_e32 v4, 0x3f317217, v2
	v_cmp_lt_f32_e64 vcc, |v2|, s14
	s_cselect_b64 s[4:5], -1, 0
	s_cmp_lt_i32 s33, 1
	v_cndmask_b32_e32 v2, v2, v4, vcc
	v_cmp_lt_f32_e32 vcc, s9, v16
	v_cndmask_b32_e64 v4, 0, v9, s[2:3]
	v_sub_f32_e32 v2, v2, v4
	v_cndmask_b32_e32 v3, v3, v16, vcc
	v_mul_f32_e32 v7, 0x4f800000, v3
	v_cmp_gt_f32_e32 vcc, s12, v3
	v_cmp_lt_f32_e64 s[2:3], s9, v17
	s_nop 0
	v_cndmask_b32_e32 v3, v3, v7, vcc
	v_sqrt_f32_e32 v7, v3
	v_cndmask_b32_e64 v2, v2, v17, s[2:3]
	v_add_u32_e32 v4, -1, v7
	v_fma_f32 v9, -v4, v7, v3
	v_cmp_ge_f32_e64 s[2:3], 0, v9
	v_add_u32_e32 v9, 1, v7
	s_nop 0
	v_cndmask_b32_e64 v4, v7, v4, s[2:3]
	v_fma_f32 v7, -v9, v7, v3
	v_cmp_lt_f32_e64 s[2:3], 0, v7
	s_nop 1
	v_cndmask_b32_e64 v4, v4, v9, s[2:3]
	v_mul_f32_e32 v9, 0x4f800000, v2
	v_cmp_gt_f32_e64 s[2:3], s12, v2
	v_mul_f32_e32 v7, 0x37800000, v4
	v_cndmask_b32_e32 v4, v4, v7, vcc
	v_cndmask_b32_e64 v2, v2, v9, s[2:3]
	v_sqrt_f32_e32 v9, v2
	v_cmp_class_f32_e32 vcc, v3, v11
	s_nop 1
	v_cndmask_b32_e32 v15, v4, v3, vcc
	v_add_u32_e32 v3, -1, v9
	v_fma_f32 v4, -v3, v9, v2
	v_cmp_ge_f32_e32 vcc, 0, v4
	v_add_u32_e32 v4, 1, v9
	v_fma_f32 v7, -v4, v9, v2
	v_cndmask_b32_e32 v3, v9, v3, vcc
	v_cmp_lt_f32_e32 vcc, 0, v7
	s_nop 1
	v_cndmask_b32_e32 v3, v3, v4, vcc
	v_mul_f32_e32 v4, 0x37800000, v3
	v_cndmask_b32_e64 v3, v3, v4, s[2:3]
	v_cmp_class_f32_e32 vcc, v2, v11
	s_nop 1
	v_cndmask_b32_e32 v14, v3, v2, vcc
	v_lshl_add_u64 v[2:3], v[0:1], 2, s[10:11]
	v_mul_lo_u32 v0, v6, s33
	scratch_store_dwordx4 off, v[12:15], off offset:16
	s_cbranch_scc1 .LBB390_28
; %bb.2:
	s_load_dwordx2 s[6:7], s[0:1], 0x20
	s_cmp_lt_u32 s33, 4
	v_and_b32_e32 v4, 15, v8
	s_cbranch_scc1 .LBB390_21
; %bb.3:
	v_lshlrev_b32_e32 v5, 3, v4
	s_mov_b32 s11, 0
	s_and_b32 s8, s33, 0x7ffffffc
	v_ashrrev_i32_e32 v1, 31, v0
	v_sub_u32_e32 v11, 0, v5
	v_mov_b32_e32 v5, 0
	s_mov_b32 s10, s11
	s_branch .LBB390_5
.LBB390_4:                              ;   in Loop: Header=BB390_5 Depth=1
	s_or_b64 exec, exec, s[12:13]
	s_add_i32 s10, s10, 4
	s_cmp_eq_u32 s10, s8
	s_cbranch_scc1 .LBB390_21
.LBB390_5:                              ; =>This Loop Header: Depth=1
                                        ;     Child Loop BB390_7 Depth 2
                                        ;     Child Loop BB390_11 Depth 2
	;; [unrolled: 1-line block ×4, first 2 shown]
	v_lshl_add_u64 v[6:7], s[10:11], 2, v[2:3]
	global_load_dword v12, v[6:7], off
	v_add_u32_e32 v8, s10, v0
	v_ashrrev_i32_e32 v9, 31, v8
	v_mov_b32_e32 v13, 0
	s_mov_b64 s[12:13], 0
	s_waitcnt lgkmcnt(0)
	v_lshl_add_u64 v[8:9], v[8:9], 2, s[6:7]
	s_mov_b32 s9, 0
	s_waitcnt vmcnt(0)
	v_add_u32_e32 v14, v11, v12
	s_branch .LBB390_7
.LBB390_6:                              ;   in Loop: Header=BB390_7 Depth=2
	s_or_b64 exec, exec, s[14:15]
	s_add_i32 s16, s9, 1
	s_cmp_gt_u32 s9, 6
	s_cselect_b64 s[2:3], -1, 0
	s_xor_b64 s[14:15], vcc, -1
	s_or_b64 s[2:3], s[14:15], s[2:3]
	s_and_b64 s[2:3], exec, s[2:3]
	v_add_u32_e32 v13, 4, v13
	s_or_b64 s[12:13], s[2:3], s[12:13]
	s_mov_b32 s9, s16
	s_andn2_b64 exec, exec, s[12:13]
	s_cbranch_execz .LBB390_9
.LBB390_7:                              ;   Parent Loop BB390_5 Depth=1
                                        ; =>  This Inner Loop Header: Depth=2
	v_cmp_ne_u32_e32 vcc, s9, v14
	v_cmp_eq_u32_e64 s[2:3], s9, v14
	s_and_saveexec_b64 s[14:15], s[2:3]
	s_cbranch_execz .LBB390_6
; %bb.8:                                ;   in Loop: Header=BB390_7 Depth=2
	scratch_load_dword v15, v13, off
	s_waitcnt vmcnt(0)
	v_add_f32_e32 v5, v5, v15
	global_store_dword v[8:9], v12, off
	s_branch .LBB390_6
.LBB390_9:                              ;   in Loop: Header=BB390_5 Depth=1
	s_or_b64 exec, exec, s[12:13]
	global_load_dword v12, v[6:7], off offset:4
	s_ashr_i32 s3, s10, 31
	s_mov_b32 s2, s10
	v_lshl_add_u64 v[8:9], s[2:3], 0, v[0:1]
	v_mov_b32_e32 v13, 0
	s_mov_b32 s9, 0
	v_lshl_add_u64 v[8:9], v[8:9], 2, s[6:7]
	s_mov_b64 s[12:13], 0
	s_waitcnt vmcnt(0)
	v_add_u32_e32 v14, v11, v12
	s_branch .LBB390_11
.LBB390_10:                             ;   in Loop: Header=BB390_11 Depth=2
	s_or_b64 exec, exec, s[14:15]
	s_add_i32 s16, s9, 1
	s_cmp_gt_u32 s9, 6
	s_cselect_b64 s[2:3], -1, 0
	s_xor_b64 s[14:15], vcc, -1
	s_or_b64 s[2:3], s[14:15], s[2:3]
	s_and_b64 s[2:3], exec, s[2:3]
	v_add_u32_e32 v13, 4, v13
	s_or_b64 s[12:13], s[2:3], s[12:13]
	s_mov_b32 s9, s16
	s_andn2_b64 exec, exec, s[12:13]
	s_cbranch_execz .LBB390_13
.LBB390_11:                             ;   Parent Loop BB390_5 Depth=1
                                        ; =>  This Inner Loop Header: Depth=2
	v_cmp_ne_u32_e32 vcc, s9, v14
	v_cmp_eq_u32_e64 s[2:3], s9, v14
	s_and_saveexec_b64 s[14:15], s[2:3]
	s_cbranch_execz .LBB390_10
; %bb.12:                               ;   in Loop: Header=BB390_11 Depth=2
	scratch_load_dword v15, v13, off
	s_waitcnt vmcnt(0)
	v_add_f32_e32 v5, v5, v15
	global_store_dword v[8:9], v12, off offset:4
	s_branch .LBB390_10
.LBB390_13:                             ;   in Loop: Header=BB390_5 Depth=1
	s_or_b64 exec, exec, s[12:13]
	global_load_dword v12, v[6:7], off offset:8
	v_mov_b32_e32 v13, 0
	s_mov_b32 s9, 0
	s_mov_b64 s[12:13], 0
	s_waitcnt vmcnt(0)
	v_add_u32_e32 v14, v11, v12
	s_branch .LBB390_15
.LBB390_14:                             ;   in Loop: Header=BB390_15 Depth=2
	s_or_b64 exec, exec, s[14:15]
	s_add_i32 s16, s9, 1
	s_cmp_gt_u32 s9, 6
	s_cselect_b64 s[2:3], -1, 0
	s_xor_b64 s[14:15], vcc, -1
	s_or_b64 s[2:3], s[14:15], s[2:3]
	s_and_b64 s[2:3], exec, s[2:3]
	v_add_u32_e32 v13, 4, v13
	s_or_b64 s[12:13], s[2:3], s[12:13]
	s_mov_b32 s9, s16
	s_andn2_b64 exec, exec, s[12:13]
	s_cbranch_execz .LBB390_17
.LBB390_15:                             ;   Parent Loop BB390_5 Depth=1
                                        ; =>  This Inner Loop Header: Depth=2
	v_cmp_ne_u32_e32 vcc, s9, v14
	v_cmp_eq_u32_e64 s[2:3], s9, v14
	s_and_saveexec_b64 s[14:15], s[2:3]
	s_cbranch_execz .LBB390_14
; %bb.16:                               ;   in Loop: Header=BB390_15 Depth=2
	scratch_load_dword v15, v13, off
	s_waitcnt vmcnt(0)
	v_add_f32_e32 v5, v5, v15
	global_store_dword v[8:9], v12, off offset:8
	s_branch .LBB390_14
.LBB390_17:                             ;   in Loop: Header=BB390_5 Depth=1
	s_or_b64 exec, exec, s[12:13]
	global_load_dword v6, v[6:7], off offset:12
	v_mov_b32_e32 v7, 0
	s_mov_b32 s9, 0
	s_mov_b64 s[12:13], 0
	s_waitcnt vmcnt(0)
	v_add_u32_e32 v12, v11, v6
	s_branch .LBB390_19
.LBB390_18:                             ;   in Loop: Header=BB390_19 Depth=2
	s_or_b64 exec, exec, s[14:15]
	s_add_i32 s16, s9, 1
	s_cmp_gt_u32 s9, 6
	s_cselect_b64 s[2:3], -1, 0
	s_xor_b64 s[14:15], vcc, -1
	s_or_b64 s[2:3], s[14:15], s[2:3]
	s_and_b64 s[2:3], exec, s[2:3]
	v_add_u32_e32 v7, 4, v7
	s_or_b64 s[12:13], s[2:3], s[12:13]
	s_mov_b32 s9, s16
	s_andn2_b64 exec, exec, s[12:13]
	s_cbranch_execz .LBB390_4
.LBB390_19:                             ;   Parent Loop BB390_5 Depth=1
                                        ; =>  This Inner Loop Header: Depth=2
	v_cmp_ne_u32_e32 vcc, s9, v12
	v_cmp_eq_u32_e64 s[2:3], s9, v12
	s_and_saveexec_b64 s[14:15], s[2:3]
	s_cbranch_execz .LBB390_18
; %bb.20:                               ;   in Loop: Header=BB390_19 Depth=2
	scratch_load_dword v13, v7, off
	s_waitcnt vmcnt(0)
	v_add_f32_e32 v5, v5, v13
	global_store_dword v[8:9], v6, off offset:12
	s_branch .LBB390_18
.LBB390_21:
	s_and_b32 s14, s33, 3
	s_cmp_eq_u32 s14, 0
	s_mov_b32 s9, 0
	s_cbranch_scc1 .LBB390_28
; %bb.22:
	v_lshlrev_b32_e32 v1, 3, v4
	v_sub_u32_e32 v1, 0, v1
	s_mov_b32 s15, s9
	s_branch .LBB390_24
.LBB390_23:                             ;   in Loop: Header=BB390_24 Depth=1
	s_or_b64 exec, exec, s[10:11]
	s_add_i32 s8, s8, 1
	s_add_i32 s15, s15, 1
	s_cmp_lg_u32 s15, s14
	s_cbranch_scc0 .LBB390_28
.LBB390_24:                             ; =>This Loop Header: Depth=1
                                        ;     Child Loop BB390_26 Depth 2
	v_lshl_add_u64 v[6:7], s[8:9], 2, v[2:3]
	global_load_dword v4, v[6:7], off
	v_add_u32_e32 v6, s8, v0
	v_ashrrev_i32_e32 v7, 31, v6
	v_mov_b32_e32 v8, 0
	s_mov_b32 s16, 0
	s_waitcnt lgkmcnt(0)
	v_lshl_add_u64 v[6:7], v[6:7], 2, s[6:7]
	s_mov_b64 s[10:11], 0
	s_waitcnt vmcnt(0)
	v_add_u32_e32 v9, v1, v4
	s_branch .LBB390_26
.LBB390_25:                             ;   in Loop: Header=BB390_26 Depth=2
	s_or_b64 exec, exec, s[12:13]
	s_add_i32 s17, s16, 1
	s_cmp_gt_u32 s16, 6
	s_cselect_b64 s[2:3], -1, 0
	s_xor_b64 s[12:13], vcc, -1
	s_or_b64 s[2:3], s[12:13], s[2:3]
	s_and_b64 s[2:3], exec, s[2:3]
	v_add_u32_e32 v8, 4, v8
	s_or_b64 s[10:11], s[2:3], s[10:11]
	s_mov_b32 s16, s17
	s_andn2_b64 exec, exec, s[10:11]
	s_cbranch_execz .LBB390_23
.LBB390_26:                             ;   Parent Loop BB390_24 Depth=1
                                        ; =>  This Inner Loop Header: Depth=2
	v_cmp_ne_u32_e32 vcc, s16, v9
	v_cmp_eq_u32_e64 s[2:3], s16, v9
	s_and_saveexec_b64 s[12:13], s[2:3]
	s_cbranch_execz .LBB390_25
; %bb.27:                               ;   in Loop: Header=BB390_26 Depth=2
	scratch_load_dword v11, v8, off
	s_waitcnt vmcnt(0)
	v_add_f32_e32 v5, v5, v11
	global_store_dword v[6:7], v4, off
	s_branch .LBB390_25
.LBB390_28:
	s_waitcnt lgkmcnt(0)
	s_load_dword s6, s[0:1], 0x3c
	s_waitcnt lgkmcnt(0)
	s_bitcmp1_b32 s6, 0
	s_cselect_b64 s[2:3], -1, 0
	s_bitcmp0_b32 s6, 0
	s_cbranch_scc0 .LBB390_32
; %bb.29:
	s_load_dwordx2 s[6:7], s[0:1], 0x40
	s_andn2_b64 vcc, exec, s[2:3]
	s_waitcnt lgkmcnt(0)
	v_cvt_f32_f64_e32 v8, s[6:7]
	s_cbranch_vccz .LBB390_33
.LBB390_30:
	s_andn2_b64 vcc, exec, s[4:5]
	s_cbranch_vccz .LBB390_34
.LBB390_31:
	s_endpgm
.LBB390_32:
	v_mbcnt_lo_u32_b32 v1, -1, 0
	v_mbcnt_hi_u32_b32 v1, -1, v1
	v_and_b32_e32 v4, 0x70, v1
	v_add_u32_e32 v4, 16, v4
	v_xor_b32_e32 v6, 8, v1
	v_cmp_lt_i32_e32 vcc, v6, v4
	v_xor_b32_e32 v7, 4, v1
	s_nop 0
	v_cndmask_b32_e32 v6, v1, v6, vcc
	v_lshlrev_b32_e32 v6, 2, v6
	ds_bpermute_b32 v6, v6, v5
	v_cmp_lt_i32_e32 vcc, v7, v4
	s_waitcnt lgkmcnt(0)
	v_add_f32_e32 v5, v5, v6
	v_cndmask_b32_e32 v6, v1, v7, vcc
	v_lshlrev_b32_e32 v6, 2, v6
	ds_bpermute_b32 v6, v6, v5
	v_xor_b32_e32 v7, 2, v1
	v_cmp_lt_i32_e32 vcc, v7, v4
	s_waitcnt lgkmcnt(0)
	v_add_f32_e32 v5, v5, v6
	v_cndmask_b32_e32 v6, v1, v7, vcc
	v_lshlrev_b32_e32 v6, 2, v6
	ds_bpermute_b32 v6, v6, v5
	v_xor_b32_e32 v7, 1, v1
	v_cmp_lt_i32_e32 vcc, v7, v4
	s_waitcnt lgkmcnt(0)
	v_add_f32_e32 v5, v5, v6
	v_cndmask_b32_e32 v1, v1, v7, vcc
	v_lshlrev_b32_e32 v1, 2, v1
	ds_bpermute_b32 v1, v1, v5
	s_waitcnt lgkmcnt(0)
	v_add_f32_e32 v5, v5, v1
	s_load_dwordx2 s[6:7], s[0:1], 0x40
	s_andn2_b64 vcc, exec, s[2:3]
	s_waitcnt lgkmcnt(0)
	v_cvt_f32_f64_e32 v8, s[6:7]
	s_cbranch_vccnz .LBB390_30
.LBB390_33:
	v_cmp_lt_f32_e32 vcc, 0, v5
	s_nop 1
	v_cndmask_b32_e32 v1, 1.0, v5, vcc
	v_div_scale_f32 v4, s[2:3], v1, v1, v8
	v_rcp_f32_e32 v5, v4
	s_nop 0
	v_fma_f32 v6, -v4, v5, 1.0
	v_fmac_f32_e32 v5, v6, v5
	v_div_scale_f32 v6, vcc, v8, v1, v8
	v_mul_f32_e32 v7, v6, v5
	v_fma_f32 v9, -v4, v7, v6
	v_fmac_f32_e32 v7, v9, v5
	v_fma_f32 v4, -v4, v7, v6
	v_div_fmas_f32 v4, v4, v5, v7
	v_div_fixup_f32 v8, v4, v1, v8
	s_andn2_b64 vcc, exec, s[4:5]
	s_cbranch_vccnz .LBB390_31
.LBB390_34:
	s_load_dwordx2 s[12:13], s[0:1], 0x10
	v_mov_b32_e32 v1, 0
	v_or_b32_e32 v20, 4, v1
	v_or_b32_e32 v18, 8, v1
	;; [unrolled: 1-line block ×3, first 2 shown]
	v_add_u32_e32 v14, 16, v1
	v_add_u32_e32 v12, 20, v1
	;; [unrolled: 1-line block ×4, first 2 shown]
	v_or_b32_e32 v23, 1, v10
	v_or_b32_e32 v22, 2, v10
	;; [unrolled: 1-line block ×7, first 2 shown]
	s_cmp_eq_u32 s33, 1
	s_mov_b32 s14, 0
	s_cbranch_scc1 .LBB390_69
; %bb.35:
	v_ashrrev_i32_e32 v1, 31, v0
	s_waitcnt lgkmcnt(0)
	v_lshl_add_u64 v[4:5], v[0:1], 2, s[12:13]
	s_and_b32 s14, s33, 0x7ffffffe
	v_lshl_add_u64 v[4:5], v[4:5], 0, 4
	v_lshl_add_u64 v[6:7], v[2:3], 0, 4
	s_mov_b32 s15, 0
	s_branch .LBB390_37
.LBB390_36:                             ;   in Loop: Header=BB390_37 Depth=1
	s_or_b64 exec, exec, s[0:1]
	s_add_i32 s15, s15, 2
	v_lshl_add_u64 v[4:5], v[4:5], 0, 8
	s_cmp_eq_u32 s14, s15
	v_lshl_add_u64 v[6:7], v[6:7], 0, 8
	s_cbranch_scc1 .LBB390_69
.LBB390_37:                             ; =>This Inner Loop Header: Depth=1
	global_load_dword v24, v[6:7], off offset:-4
	v_mov_b32_e32 v1, 0
	s_waitcnt vmcnt(0)
	v_cmp_eq_u32_e32 vcc, v24, v10
	v_cmp_ne_u32_e64 s[0:1], v24, v10
	s_and_saveexec_b64 s[16:17], s[0:1]
	s_cbranch_execz .LBB390_51
; %bb.38:                               ;   in Loop: Header=BB390_37 Depth=1
	v_cmp_eq_u32_e64 s[0:1], v24, v23
	v_cmp_ne_u32_e64 s[2:3], v24, v23
	v_mov_b32_e32 v1, v20
	s_and_saveexec_b64 s[18:19], s[2:3]
	s_cbranch_execz .LBB390_50
; %bb.39:                               ;   in Loop: Header=BB390_37 Depth=1
	v_cmp_eq_u32_e64 s[2:3], v24, v22
	v_cmp_ne_u32_e64 s[4:5], v24, v22
	v_mov_b32_e32 v1, v18
	;; [unrolled: 6-line block ×6, first 2 shown]
	s_and_saveexec_b64 s[30:31], s[10:11]
	s_xor_b64 s[30:31], exec, s[30:31]
; %bb.44:                               ;   in Loop: Header=BB390_37 Depth=1
	v_cmp_eq_u32_e64 s[10:11], v24, v13
	s_andn2_b64 s[28:29], s[28:29], exec
	s_and_b64 s[10:11], s[10:11], exec
	s_or_b64 s[28:29], s[28:29], s[10:11]
	v_mov_b32_e32 v1, v11
; %bb.45:                               ;   in Loop: Header=BB390_37 Depth=1
	s_or_b64 exec, exec, s[30:31]
	s_andn2_b64 s[8:9], s[8:9], exec
	s_and_b64 s[10:11], s[28:29], exec
	s_or_b64 s[8:9], s[8:9], s[10:11]
.LBB390_46:                             ;   in Loop: Header=BB390_37 Depth=1
	s_or_b64 exec, exec, s[26:27]
	s_andn2_b64 s[6:7], s[6:7], exec
	s_and_b64 s[8:9], s[8:9], exec
	s_or_b64 s[6:7], s[6:7], s[8:9]
.LBB390_47:                             ;   in Loop: Header=BB390_37 Depth=1
	s_or_b64 exec, exec, s[24:25]
	s_andn2_b64 s[4:5], s[4:5], exec
	s_and_b64 s[6:7], s[6:7], exec
	s_or_b64 s[4:5], s[4:5], s[6:7]
.LBB390_48:                             ;   in Loop: Header=BB390_37 Depth=1
	s_or_b64 exec, exec, s[22:23]
	s_andn2_b64 s[2:3], s[2:3], exec
	s_and_b64 s[4:5], s[4:5], exec
	s_or_b64 s[2:3], s[2:3], s[4:5]
.LBB390_49:                             ;   in Loop: Header=BB390_37 Depth=1
	s_or_b64 exec, exec, s[20:21]
	s_andn2_b64 s[0:1], s[0:1], exec
	s_and_b64 s[2:3], s[2:3], exec
	s_or_b64 s[0:1], s[0:1], s[2:3]
.LBB390_50:                             ;   in Loop: Header=BB390_37 Depth=1
	s_or_b64 exec, exec, s[18:19]
	s_andn2_b64 s[2:3], vcc, exec
	s_and_b64 s[0:1], s[0:1], exec
	s_or_b64 vcc, s[2:3], s[0:1]
.LBB390_51:                             ;   in Loop: Header=BB390_37 Depth=1
	s_or_b64 exec, exec, s[16:17]
	s_and_saveexec_b64 s[0:1], vcc
	s_cbranch_execz .LBB390_53
; %bb.52:                               ;   in Loop: Header=BB390_37 Depth=1
	scratch_load_dword v1, v1, off
	v_add_u32_e32 v24, s15, v0
	v_ashrrev_i32_e32 v25, 31, v24
	v_lshl_add_u64 v[24:25], v[24:25], 2, s[12:13]
	s_waitcnt vmcnt(0)
	v_mul_f32_e32 v1, v8, v1
	global_store_dword v[24:25], v1, off
.LBB390_53:                             ;   in Loop: Header=BB390_37 Depth=1
	s_or_b64 exec, exec, s[0:1]
	global_load_dword v24, v[6:7], off
	v_mov_b32_e32 v1, 0
	s_waitcnt vmcnt(0)
	v_cmp_eq_u32_e64 s[8:9], v24, v10
	v_cmp_ne_u32_e32 vcc, v24, v10
	s_and_saveexec_b64 s[10:11], vcc
	s_cbranch_execz .LBB390_67
; %bb.54:                               ;   in Loop: Header=BB390_37 Depth=1
	v_cmp_eq_u32_e32 vcc, v24, v23
	v_cmp_ne_u32_e64 s[0:1], v24, v23
	v_mov_b32_e32 v1, v20
	s_and_saveexec_b64 s[16:17], s[0:1]
	s_cbranch_execz .LBB390_66
; %bb.55:                               ;   in Loop: Header=BB390_37 Depth=1
	v_cmp_eq_u32_e64 s[0:1], v24, v22
	v_cmp_ne_u32_e64 s[2:3], v24, v22
	v_mov_b32_e32 v1, v18
	s_and_saveexec_b64 s[18:19], s[2:3]
	s_cbranch_execz .LBB390_65
; %bb.56:                               ;   in Loop: Header=BB390_37 Depth=1
	v_cmp_eq_u32_e64 s[2:3], v24, v21
	;; [unrolled: 6-line block ×5, first 2 shown]
	v_cmp_ne_u32_e64 s[6:7], v24, v15
	v_mov_b32_e32 v1, v9
	s_and_saveexec_b64 s[30:31], s[6:7]
; %bb.60:                               ;   in Loop: Header=BB390_37 Depth=1
	v_cmp_eq_u32_e64 s[6:7], v24, v13
	s_andn2_b64 s[28:29], s[28:29], exec
	s_and_b64 s[6:7], s[6:7], exec
	s_or_b64 s[28:29], s[28:29], s[6:7]
	v_mov_b32_e32 v1, v11
; %bb.61:                               ;   in Loop: Header=BB390_37 Depth=1
	s_or_b64 exec, exec, s[30:31]
	s_andn2_b64 s[6:7], s[24:25], exec
	s_and_b64 s[24:25], s[28:29], exec
	s_or_b64 s[24:25], s[6:7], s[24:25]
.LBB390_62:                             ;   in Loop: Header=BB390_37 Depth=1
	s_or_b64 exec, exec, s[26:27]
	s_andn2_b64 s[4:5], s[4:5], exec
	s_and_b64 s[6:7], s[24:25], exec
	s_or_b64 s[4:5], s[4:5], s[6:7]
.LBB390_63:                             ;   in Loop: Header=BB390_37 Depth=1
	s_or_b64 exec, exec, s[22:23]
	s_andn2_b64 s[2:3], s[2:3], exec
	s_and_b64 s[4:5], s[4:5], exec
	s_or_b64 s[2:3], s[2:3], s[4:5]
.LBB390_64:                             ;   in Loop: Header=BB390_37 Depth=1
	s_or_b64 exec, exec, s[20:21]
	s_andn2_b64 s[0:1], s[0:1], exec
	s_and_b64 s[2:3], s[2:3], exec
	s_or_b64 s[0:1], s[0:1], s[2:3]
.LBB390_65:                             ;   in Loop: Header=BB390_37 Depth=1
	s_or_b64 exec, exec, s[18:19]
	s_andn2_b64 s[2:3], vcc, exec
	s_and_b64 s[0:1], s[0:1], exec
	s_or_b64 vcc, s[2:3], s[0:1]
.LBB390_66:                             ;   in Loop: Header=BB390_37 Depth=1
	s_or_b64 exec, exec, s[16:17]
	s_andn2_b64 s[0:1], s[8:9], exec
	s_and_b64 s[2:3], vcc, exec
	s_or_b64 s[8:9], s[0:1], s[2:3]
.LBB390_67:                             ;   in Loop: Header=BB390_37 Depth=1
	s_or_b64 exec, exec, s[10:11]
	s_and_saveexec_b64 s[0:1], s[8:9]
	s_cbranch_execz .LBB390_36
; %bb.68:                               ;   in Loop: Header=BB390_37 Depth=1
	scratch_load_dword v1, v1, off
	s_waitcnt vmcnt(0)
	v_mul_f32_e32 v1, v8, v1
	global_store_dword v[4:5], v1, off
	s_branch .LBB390_36
.LBB390_69:
	s_bitcmp0_b32 s33, 0
	s_mov_b32 s15, 0
	s_cbranch_scc1 .LBB390_31
; %bb.70:
	v_lshl_add_u64 v[2:3], s[14:15], 2, v[2:3]
	global_load_dword v1, v[2:3], off
	v_mov_b32_e32 v2, 0
	s_waitcnt vmcnt(0)
	v_cmp_eq_u32_e64 s[8:9], v1, v10
	v_cmp_ne_u32_e32 vcc, v1, v10
	s_and_saveexec_b64 s[10:11], vcc
	s_cbranch_execz .LBB390_84
; %bb.71:
	v_cmp_eq_u32_e32 vcc, v1, v23
	v_cmp_ne_u32_e64 s[0:1], v1, v23
	s_and_saveexec_b64 s[16:17], s[0:1]
	s_cbranch_execz .LBB390_83
; %bb.72:
	v_cmp_eq_u32_e64 s[0:1], v1, v22
	v_cmp_ne_u32_e64 s[2:3], v1, v22
	s_and_saveexec_b64 s[18:19], s[2:3]
	s_cbranch_execz .LBB390_82
; %bb.73:
	v_cmp_eq_u32_e64 s[2:3], v1, v21
	;; [unrolled: 5-line block ×5, first 2 shown]
	v_cmp_ne_u32_e64 s[6:7], v1, v15
	s_and_saveexec_b64 s[30:31], s[6:7]
; %bb.77:
	v_cmp_eq_u32_e64 s[6:7], v1, v13
	s_andn2_b64 s[28:29], s[28:29], exec
	s_and_b64 s[6:7], s[6:7], exec
	s_or_b64 s[28:29], s[28:29], s[6:7]
	v_mov_b32_e32 v9, v11
; %bb.78:
	s_or_b64 exec, exec, s[30:31]
	s_andn2_b64 s[6:7], s[24:25], exec
	s_and_b64 s[24:25], s[28:29], exec
	s_or_b64 s[24:25], s[6:7], s[24:25]
	v_mov_b32_e32 v12, v9
.LBB390_79:
	s_or_b64 exec, exec, s[26:27]
	s_andn2_b64 s[4:5], s[4:5], exec
	s_and_b64 s[6:7], s[24:25], exec
	s_or_b64 s[4:5], s[4:5], s[6:7]
	v_mov_b32_e32 v14, v12
.LBB390_80:
	s_or_b64 exec, exec, s[22:23]
	s_andn2_b64 s[2:3], s[2:3], exec
	s_and_b64 s[4:5], s[4:5], exec
	s_or_b64 s[2:3], s[2:3], s[4:5]
	v_mov_b32_e32 v16, v14
.LBB390_81:
	s_or_b64 exec, exec, s[20:21]
	s_andn2_b64 s[0:1], s[0:1], exec
	s_and_b64 s[2:3], s[2:3], exec
	s_or_b64 s[0:1], s[0:1], s[2:3]
	v_mov_b32_e32 v18, v16
.LBB390_82:
	s_or_b64 exec, exec, s[18:19]
	s_andn2_b64 s[2:3], vcc, exec
	s_and_b64 s[0:1], s[0:1], exec
	s_or_b64 vcc, s[2:3], s[0:1]
	v_mov_b32_e32 v20, v18
.LBB390_83:
	s_or_b64 exec, exec, s[16:17]
	s_andn2_b64 s[0:1], s[8:9], exec
	s_and_b64 s[2:3], vcc, exec
	s_or_b64 s[8:9], s[0:1], s[2:3]
	v_mov_b32_e32 v2, v20
.LBB390_84:
	s_or_b64 exec, exec, s[10:11]
	s_and_b64 exec, exec, s[8:9]
	s_cbranch_execz .LBB390_31
; %bb.85:
	scratch_load_dword v2, v2, off
	v_add_u32_e32 v0, s14, v0
	v_ashrrev_i32_e32 v1, 31, v0
	s_waitcnt lgkmcnt(0)
	v_lshl_add_u64 v[0:1], v[0:1], 2, s[12:13]
	s_waitcnt vmcnt(0)
	v_mul_f32_e32 v2, v8, v2
	global_store_dword v[0:1], v2, off
	s_endpgm
	.section	.rodata,"a",@progbits
	.p2align	6, 0x0
	.amdhsa_kernel _ZN4vllm3moe22topkGatingSoftplusSqrtILi8ELi128ELi4ELi16ELi32ELb1Ei14__hip_bfloat16EEvPKT6_PKbPfiPT5_PiiiibdPKfPKS9_SF_
		.amdhsa_group_segment_fixed_size 0
		.amdhsa_private_segment_fixed_size 48
		.amdhsa_kernarg_size 96
		.amdhsa_user_sgpr_count 2
		.amdhsa_user_sgpr_dispatch_ptr 0
		.amdhsa_user_sgpr_queue_ptr 0
		.amdhsa_user_sgpr_kernarg_segment_ptr 1
		.amdhsa_user_sgpr_dispatch_id 0
		.amdhsa_user_sgpr_kernarg_preload_length 0
		.amdhsa_user_sgpr_kernarg_preload_offset 0
		.amdhsa_user_sgpr_private_segment_size 0
		.amdhsa_uses_dynamic_stack 0
		.amdhsa_enable_private_segment 1
		.amdhsa_system_sgpr_workgroup_id_x 1
		.amdhsa_system_sgpr_workgroup_id_y 0
		.amdhsa_system_sgpr_workgroup_id_z 0
		.amdhsa_system_sgpr_workgroup_info 0
		.amdhsa_system_vgpr_workitem_id 1
		.amdhsa_next_free_vgpr 28
		.amdhsa_next_free_sgpr 34
		.amdhsa_accum_offset 28
		.amdhsa_reserve_vcc 1
		.amdhsa_float_round_mode_32 0
		.amdhsa_float_round_mode_16_64 0
		.amdhsa_float_denorm_mode_32 3
		.amdhsa_float_denorm_mode_16_64 3
		.amdhsa_dx10_clamp 1
		.amdhsa_ieee_mode 1
		.amdhsa_fp16_overflow 0
		.amdhsa_tg_split 0
		.amdhsa_exception_fp_ieee_invalid_op 0
		.amdhsa_exception_fp_denorm_src 0
		.amdhsa_exception_fp_ieee_div_zero 0
		.amdhsa_exception_fp_ieee_overflow 0
		.amdhsa_exception_fp_ieee_underflow 0
		.amdhsa_exception_fp_ieee_inexact 0
		.amdhsa_exception_int_div_zero 0
	.end_amdhsa_kernel
	.section	.text._ZN4vllm3moe22topkGatingSoftplusSqrtILi8ELi128ELi4ELi16ELi32ELb1Ei14__hip_bfloat16EEvPKT6_PKbPfiPT5_PiiiibdPKfPKS9_SF_,"axG",@progbits,_ZN4vllm3moe22topkGatingSoftplusSqrtILi8ELi128ELi4ELi16ELi32ELb1Ei14__hip_bfloat16EEvPKT6_PKbPfiPT5_PiiiibdPKfPKS9_SF_,comdat
.Lfunc_end390:
	.size	_ZN4vllm3moe22topkGatingSoftplusSqrtILi8ELi128ELi4ELi16ELi32ELb1Ei14__hip_bfloat16EEvPKT6_PKbPfiPT5_PiiiibdPKfPKS9_SF_, .Lfunc_end390-_ZN4vllm3moe22topkGatingSoftplusSqrtILi8ELi128ELi4ELi16ELi32ELb1Ei14__hip_bfloat16EEvPKT6_PKbPfiPT5_PiiiibdPKfPKS9_SF_
                                        ; -- End function
	.section	.AMDGPU.csdata,"",@progbits
; Kernel info:
; codeLenInByte = 4532
; NumSgprs: 40
; NumVgprs: 28
; NumAgprs: 0
; TotalNumVgprs: 28
; ScratchSize: 48
; MemoryBound: 0
; FloatMode: 240
; IeeeMode: 1
; LDSByteSize: 0 bytes/workgroup (compile time only)
; SGPRBlocks: 4
; VGPRBlocks: 3
; NumSGPRsForWavesPerEU: 40
; NumVGPRsForWavesPerEU: 28
; AccumOffset: 28
; Occupancy: 8
; WaveLimiterHint : 1
; COMPUTE_PGM_RSRC2:SCRATCH_EN: 1
; COMPUTE_PGM_RSRC2:USER_SGPR: 2
; COMPUTE_PGM_RSRC2:TRAP_HANDLER: 0
; COMPUTE_PGM_RSRC2:TGID_X_EN: 1
; COMPUTE_PGM_RSRC2:TGID_Y_EN: 0
; COMPUTE_PGM_RSRC2:TGID_Z_EN: 0
; COMPUTE_PGM_RSRC2:TIDIG_COMP_CNT: 1
; COMPUTE_PGM_RSRC3_GFX90A:ACCUM_OFFSET: 6
; COMPUTE_PGM_RSRC3_GFX90A:TG_SPLIT: 0
	.section	.text._ZN4vllm3moe22topkGatingSoftplusSqrtILi8ELi128ELi4ELi16ELi32ELb0Ei14__hip_bfloat16EEvPKT6_PKbPfiPT5_PiiiibdPKfPKS9_SF_,"axG",@progbits,_ZN4vllm3moe22topkGatingSoftplusSqrtILi8ELi128ELi4ELi16ELi32ELb0Ei14__hip_bfloat16EEvPKT6_PKbPfiPT5_PiiiibdPKfPKS9_SF_,comdat
	.protected	_ZN4vllm3moe22topkGatingSoftplusSqrtILi8ELi128ELi4ELi16ELi32ELb0Ei14__hip_bfloat16EEvPKT6_PKbPfiPT5_PiiiibdPKfPKS9_SF_ ; -- Begin function _ZN4vllm3moe22topkGatingSoftplusSqrtILi8ELi128ELi4ELi16ELi32ELb0Ei14__hip_bfloat16EEvPKT6_PKbPfiPT5_PiiiibdPKfPKS9_SF_
	.globl	_ZN4vllm3moe22topkGatingSoftplusSqrtILi8ELi128ELi4ELi16ELi32ELb0Ei14__hip_bfloat16EEvPKT6_PKbPfiPT5_PiiiibdPKfPKS9_SF_
	.p2align	8
	.type	_ZN4vllm3moe22topkGatingSoftplusSqrtILi8ELi128ELi4ELi16ELi32ELb0Ei14__hip_bfloat16EEvPKT6_PKbPfiPT5_PiiiibdPKfPKS9_SF_,@function
_ZN4vllm3moe22topkGatingSoftplusSqrtILi8ELi128ELi4ELi16ELi32ELb0Ei14__hip_bfloat16EEvPKT6_PKbPfiPT5_PiiiibdPKfPKS9_SF_: ; @_ZN4vllm3moe22topkGatingSoftplusSqrtILi8ELi128ELi4ELi16ELi32ELb0Ei14__hip_bfloat16EEvPKT6_PKbPfiPT5_PiiiibdPKfPKS9_SF_
; %bb.0:
	s_load_dword s33, s[0:1], 0x18
	v_bfe_u32 v1, v0, 10, 10
	v_and_b32_e32 v0, 0x3ff, v0
	s_lshl_b32 s2, s2, 3
	v_lshlrev_b32_e32 v1, 1, v1
	v_lshrrev_b32_e32 v2, 4, v0
	v_add3_u32 v8, s2, v1, v2
	s_waitcnt lgkmcnt(0)
	v_cmp_gt_i32_e32 vcc, s33, v8
	s_and_saveexec_b64 s[2:3], vcc
	s_cbranch_execz .LBB391_61
; %bb.1:
	s_load_dwordx4 s[4:7], s[0:1], 0x0
	s_load_dwordx2 s[34:35], s[0:1], 0x10
	s_waitcnt lgkmcnt(0)
	s_cmp_eq_u64 s[6:7], 0
	s_cbranch_scc1 .LBB391_3
; %bb.2:
	v_ashrrev_i32_e32 v9, 31, v8
	v_lshl_add_u64 v[2:3], s[6:7], 0, v[8:9]
	global_load_ubyte v1, v[2:3], off
	s_waitcnt vmcnt(0)
	v_and_b32_e32 v1, 1, v1
	v_cmp_eq_u32_e32 vcc, 1, v1
	s_xor_b64 s[2:3], vcc, -1
	s_orn2_b64 s[36:37], s[2:3], exec
	s_branch .LBB391_4
.LBB391_3:
	s_mov_b64 s[36:37], -1
.LBB391_4:
	v_lshlrev_b32_e32 v4, 7, v8
	v_mov_b32_e32 v2, s4
	v_mov_b32_e32 v3, s5
	v_ashrrev_i32_e32 v5, 31, v4
	v_and_b32_e32 v9, 15, v0
	v_lshl_add_u64 v[2:3], v[4:5], 1, v[2:3]
	v_mov_b32_e32 v1, 0
	v_lshlrev_b32_e32 v0, 4, v9
	v_lshl_add_u64 v[0:1], v[2:3], 0, v[0:1]
	global_load_dwordx4 v[4:7], v[0:1], off
	s_mov_b32 s12, 0x800000
	v_mov_b32_e32 v2, 0x4f800000
	s_mov_b32 s9, 0x3f317217
	s_mov_b32 s10, 0x7f800000
	v_mov_b32_e32 v3, 0x41b17218
	s_mov_b32 s8, 0x41a00000
	s_mov_b32 s11, 0xf800000
	s_load_dwordx4 s[20:23], s[0:1], 0x40
	v_lshlrev_b32_e32 v12, 3, v9
	s_waitcnt lgkmcnt(0)
	s_cmp_lg_u64 s[22:23], 0
	s_cselect_b64 s[6:7], -1, 0
	s_and_b64 s[2:3], exec, s[6:7]
	s_waitcnt vmcnt(0)
	v_lshlrev_b32_e32 v0, 16, v4
	v_mul_f32_e32 v1, 0x3fb8aa3b, v0
	v_exp_f32_e32 v10, v1
	v_mov_b32_e32 v1, 0x260
	v_add_f32_e32 v10, 1.0, v10
	v_cmp_gt_f32_e32 vcc, s12, v10
	s_nop 1
	v_cndmask_b32_e32 v11, 1.0, v2, vcc
	v_mul_f32_e32 v10, v10, v11
	v_log_f32_e32 v11, v10
	v_cndmask_b32_e32 v13, 0, v3, vcc
	v_lshlrev_b32_e32 v10, 2, v12
	v_mul_f32_e32 v14, 0x3f317217, v11
	v_fma_f32 v14, v11, s9, -v14
	v_fmac_f32_e32 v14, 0x3377d1cf, v11
	v_fmac_f32_e32 v14, 0x3f317217, v11
	v_cmp_lt_f32_e64 vcc, |v11|, s10
	s_nop 1
	v_cndmask_b32_e32 v11, v11, v14, vcc
	v_sub_f32_e32 v11, v11, v13
	v_cmp_lt_f32_e32 vcc, s8, v0
	s_nop 1
	v_cndmask_b32_e32 v0, v11, v0, vcc
	v_mul_f32_e32 v11, 0x4f800000, v0
	v_cmp_gt_f32_e32 vcc, s11, v0
	s_nop 1
	v_cndmask_b32_e32 v0, v0, v11, vcc
	v_sqrt_f32_e32 v11, v0
	s_nop 0
	v_add_u32_e32 v13, -1, v11
	v_add_u32_e32 v14, 1, v11
	v_fma_f32 v15, -v13, v11, v0
	v_fma_f32 v16, -v14, v11, v0
	v_cmp_ge_f32_e64 s[4:5], 0, v15
	s_nop 1
	v_cndmask_b32_e64 v11, v11, v13, s[4:5]
	v_cmp_lt_f32_e64 s[4:5], 0, v16
	s_nop 1
	v_cndmask_b32_e64 v11, v11, v14, s[4:5]
	v_mul_f32_e32 v13, 0x37800000, v11
	v_cndmask_b32_e32 v11, v11, v13, vcc
	v_cmp_class_f32_e32 vcc, v0, v1
	s_nop 1
	v_cndmask_b32_e32 v0, v11, v0, vcc
	s_mov_b64 vcc, s[2:3]
	s_cbranch_vccz .LBB391_6
; %bb.5:
	global_load_dword v11, v10, s[22:23]
	s_waitcnt vmcnt(0)
	v_add_f32_e32 v0, v0, v11
.LBB391_6:
	v_and_b32_e32 v4, 0xffff0000, v4
	v_mul_f32_e32 v11, 0x3fb8aa3b, v4
	v_exp_f32_e32 v11, v11
	s_nop 0
	v_add_f32_e32 v11, 1.0, v11
	v_cmp_gt_f32_e32 vcc, s12, v11
	s_nop 1
	v_cndmask_b32_e32 v2, 1.0, v2, vcc
	v_mul_f32_e32 v2, v11, v2
	v_log_f32_e32 v2, v2
	v_cndmask_b32_e32 v3, 0, v3, vcc
	v_mul_f32_e32 v11, 0x3f317217, v2
	v_fma_f32 v11, v2, s9, -v11
	v_fmac_f32_e32 v11, 0x3377d1cf, v2
	v_fmac_f32_e32 v11, 0x3f317217, v2
	v_cmp_lt_f32_e64 vcc, |v2|, s10
	s_nop 1
	v_cndmask_b32_e32 v2, v2, v11, vcc
	v_sub_f32_e32 v2, v2, v3
	v_cmp_lt_f32_e32 vcc, s8, v4
	s_nop 1
	v_cndmask_b32_e32 v2, v2, v4, vcc
	v_mul_f32_e32 v3, 0x4f800000, v2
	v_cmp_gt_f32_e32 vcc, s11, v2
	s_nop 1
	v_cndmask_b32_e32 v2, v2, v3, vcc
	v_sqrt_f32_e32 v3, v2
	v_cmp_class_f32_e64 s[4:5], v2, v1
	v_add_u32_e32 v4, -1, v3
	v_add_u32_e32 v11, 1, v3
	v_fma_f32 v13, -v4, v3, v2
	v_fma_f32 v14, -v11, v3, v2
	v_cmp_ge_f32_e64 s[2:3], 0, v13
	s_nop 1
	v_cndmask_b32_e64 v3, v3, v4, s[2:3]
	v_cmp_lt_f32_e64 s[2:3], 0, v14
	s_nop 1
	v_cndmask_b32_e64 v3, v3, v11, s[2:3]
	v_mul_f32_e32 v4, 0x37800000, v3
	v_cndmask_b32_e32 v3, v3, v4, vcc
	v_cndmask_b32_e64 v4, 0, 1, s[6:7]
	v_cmp_ne_u32_e64 s[2:3], 1, v4
	s_andn2_b64 vcc, exec, s[6:7]
	v_cndmask_b32_e64 v1, v3, v2, s[4:5]
	s_cbranch_vccnz .LBB391_8
; %bb.7:
	global_load_dword v2, v10, s[22:23] offset:4
	s_waitcnt vmcnt(0)
	v_add_f32_e32 v1, v1, v2
.LBB391_8:
	v_lshlrev_b32_e32 v2, 16, v5
	v_mul_f32_e32 v3, 0x3fb8aa3b, v2
	v_exp_f32_e32 v3, v3
	s_mov_b32 s10, 0x800000
	v_mov_b32_e32 v4, 0x4f800000
	s_mov_b32 s7, 0x3f317217
	v_add_f32_e32 v3, 1.0, v3
	v_cmp_gt_f32_e32 vcc, s10, v3
	s_mov_b32 s8, 0x7f800000
	s_mov_b32 s6, 0x41a00000
	v_cndmask_b32_e32 v11, 1.0, v4, vcc
	v_mul_f32_e32 v3, v3, v11
	v_log_f32_e32 v3, v3
	s_mov_b32 s9, 0xf800000
	v_mul_f32_e32 v11, 0x3f317217, v3
	v_fma_f32 v11, v3, s7, -v11
	v_fmac_f32_e32 v11, 0x3377d1cf, v3
	v_fmac_f32_e32 v11, 0x3f317217, v3
	v_cmp_lt_f32_e64 s[4:5], |v3|, s8
	s_nop 1
	v_cndmask_b32_e64 v3, v3, v11, s[4:5]
	v_mov_b32_e32 v11, 0x41b17218
	v_cndmask_b32_e32 v13, 0, v11, vcc
	v_sub_f32_e32 v3, v3, v13
	v_cmp_lt_f32_e32 vcc, s6, v2
	s_nop 1
	v_cndmask_b32_e32 v2, v3, v2, vcc
	v_mul_f32_e32 v3, 0x4f800000, v2
	v_cmp_gt_f32_e32 vcc, s9, v2
	s_nop 1
	v_cndmask_b32_e32 v2, v2, v3, vcc
	v_sqrt_f32_e32 v3, v2
	s_nop 0
	v_add_u32_e32 v13, -1, v3
	v_fma_f32 v14, -v13, v3, v2
	v_cmp_ge_f32_e64 s[4:5], 0, v14
	v_add_u32_e32 v14, 1, v3
	s_nop 0
	v_cndmask_b32_e64 v13, v3, v13, s[4:5]
	v_fma_f32 v3, -v14, v3, v2
	v_cmp_lt_f32_e64 s[4:5], 0, v3
	s_nop 1
	v_cndmask_b32_e64 v3, v13, v14, s[4:5]
	v_mul_f32_e32 v13, 0x37800000, v3
	v_cndmask_b32_e32 v13, v3, v13, vcc
	v_mov_b32_e32 v3, 0x260
	v_cmp_class_f32_e64 s[4:5], v2, v3
	s_and_b64 vcc, exec, s[2:3]
	s_nop 0
	v_cndmask_b32_e64 v2, v13, v2, s[4:5]
	s_cbranch_vccnz .LBB391_10
; %bb.9:
	global_load_dword v13, v10, s[22:23] offset:8
	s_waitcnt vmcnt(0)
	v_add_f32_e32 v2, v2, v13
.LBB391_10:
	v_and_b32_e32 v5, 0xffff0000, v5
	v_mul_f32_e32 v13, 0x3fb8aa3b, v5
	v_exp_f32_e32 v13, v13
	s_nop 0
	v_add_f32_e32 v13, 1.0, v13
	v_cmp_gt_f32_e32 vcc, s10, v13
	s_nop 1
	v_cndmask_b32_e32 v4, 1.0, v4, vcc
	v_mul_f32_e32 v4, v13, v4
	v_log_f32_e32 v4, v4
	v_cndmask_b32_e32 v11, 0, v11, vcc
	v_mul_f32_e32 v13, 0x3f317217, v4
	v_fma_f32 v13, v4, s7, -v13
	v_fmac_f32_e32 v13, 0x3377d1cf, v4
	v_fmac_f32_e32 v13, 0x3f317217, v4
	v_cmp_lt_f32_e64 vcc, |v4|, s8
	s_nop 1
	v_cndmask_b32_e32 v4, v4, v13, vcc
	v_sub_f32_e32 v4, v4, v11
	v_cmp_lt_f32_e32 vcc, s6, v5
	s_nop 1
	v_cndmask_b32_e32 v4, v4, v5, vcc
	v_mul_f32_e32 v5, 0x4f800000, v4
	v_cmp_gt_f32_e32 vcc, s9, v4
	s_nop 1
	v_cndmask_b32_e32 v4, v4, v5, vcc
	v_sqrt_f32_e32 v5, v4
	s_nop 0
	v_add_u32_e32 v11, -1, v5
	v_add_u32_e32 v13, 1, v5
	v_fma_f32 v14, -v11, v5, v4
	v_fma_f32 v15, -v13, v5, v4
	v_cmp_ge_f32_e64 s[4:5], 0, v14
	s_nop 1
	v_cndmask_b32_e64 v5, v5, v11, s[4:5]
	v_cmp_lt_f32_e64 s[4:5], 0, v15
	s_nop 1
	v_cndmask_b32_e64 v5, v5, v13, s[4:5]
	v_mul_f32_e32 v11, 0x37800000, v5
	v_cndmask_b32_e32 v5, v5, v11, vcc
	v_cmp_class_f32_e64 s[4:5], v4, v3
	s_and_b64 vcc, exec, s[2:3]
	s_nop 0
	v_cndmask_b32_e64 v3, v5, v4, s[4:5]
	s_cbranch_vccnz .LBB391_12
; %bb.11:
	global_load_dword v4, v10, s[22:23] offset:12
	s_waitcnt vmcnt(0)
	v_add_f32_e32 v3, v3, v4
.LBB391_12:
	v_lshlrev_b32_e32 v4, 16, v6
	v_mul_f32_e32 v5, 0x3fb8aa3b, v4
	v_exp_f32_e32 v5, v5
	v_mov_b32_e32 v11, 0x4f800000
	v_add_f32_e32 v5, 1.0, v5
	v_cmp_gt_f32_e32 vcc, s10, v5
	s_nop 1
	v_cndmask_b32_e32 v13, 1.0, v11, vcc
	v_mul_f32_e32 v5, v5, v13
	v_log_f32_e32 v5, v5
	s_nop 0
	v_mul_f32_e32 v13, 0x3f317217, v5
	v_fma_f32 v13, v5, s7, -v13
	v_fmac_f32_e32 v13, 0x3377d1cf, v5
	v_fmac_f32_e32 v13, 0x3f317217, v5
	v_cmp_lt_f32_e64 s[4:5], |v5|, s8
	s_nop 1
	v_cndmask_b32_e64 v5, v5, v13, s[4:5]
	v_mov_b32_e32 v13, 0x41b17218
	v_cndmask_b32_e32 v14, 0, v13, vcc
	v_sub_f32_e32 v5, v5, v14
	v_cmp_lt_f32_e32 vcc, s6, v4
	s_nop 1
	v_cndmask_b32_e32 v4, v5, v4, vcc
	v_mul_f32_e32 v5, 0x4f800000, v4
	v_cmp_gt_f32_e32 vcc, s9, v4
	s_nop 1
	v_cndmask_b32_e32 v4, v4, v5, vcc
	v_sqrt_f32_e32 v5, v4
	s_nop 0
	v_add_u32_e32 v14, -1, v5
	v_fma_f32 v15, -v14, v5, v4
	v_cmp_ge_f32_e64 s[4:5], 0, v15
	v_add_u32_e32 v15, 1, v5
	s_nop 0
	v_cndmask_b32_e64 v14, v5, v14, s[4:5]
	v_fma_f32 v5, -v15, v5, v4
	v_cmp_lt_f32_e64 s[4:5], 0, v5
	s_nop 1
	v_cndmask_b32_e64 v5, v14, v15, s[4:5]
	v_mul_f32_e32 v14, 0x37800000, v5
	v_cndmask_b32_e32 v14, v5, v14, vcc
	v_mov_b32_e32 v5, 0x260
	v_cmp_class_f32_e64 s[4:5], v4, v5
	s_and_b64 vcc, exec, s[2:3]
	s_nop 0
	v_cndmask_b32_e64 v4, v14, v4, s[4:5]
	s_cbranch_vccnz .LBB391_14
; %bb.13:
	global_load_dword v14, v10, s[22:23] offset:16
	s_waitcnt vmcnt(0)
	v_add_f32_e32 v4, v4, v14
.LBB391_14:
	v_and_b32_e32 v6, 0xffff0000, v6
	v_mul_f32_e32 v14, 0x3fb8aa3b, v6
	v_exp_f32_e32 v14, v14
	s_nop 0
	v_add_f32_e32 v14, 1.0, v14
	v_cmp_gt_f32_e32 vcc, s10, v14
	s_nop 1
	v_cndmask_b32_e32 v11, 1.0, v11, vcc
	v_mul_f32_e32 v11, v14, v11
	v_log_f32_e32 v11, v11
	v_cndmask_b32_e32 v13, 0, v13, vcc
	v_mul_f32_e32 v14, 0x3f317217, v11
	v_fma_f32 v14, v11, s7, -v14
	v_fmac_f32_e32 v14, 0x3377d1cf, v11
	v_fmac_f32_e32 v14, 0x3f317217, v11
	v_cmp_lt_f32_e64 vcc, |v11|, s8
	s_nop 1
	v_cndmask_b32_e32 v11, v11, v14, vcc
	v_sub_f32_e32 v11, v11, v13
	v_cmp_lt_f32_e32 vcc, s6, v6
	s_nop 1
	v_cndmask_b32_e32 v6, v11, v6, vcc
	v_mul_f32_e32 v11, 0x4f800000, v6
	v_cmp_gt_f32_e32 vcc, s9, v6
	s_nop 1
	v_cndmask_b32_e32 v6, v6, v11, vcc
	v_sqrt_f32_e32 v11, v6
	s_nop 0
	v_add_u32_e32 v13, -1, v11
	v_add_u32_e32 v14, 1, v11
	v_fma_f32 v15, -v13, v11, v6
	v_fma_f32 v16, -v14, v11, v6
	v_cmp_ge_f32_e64 s[4:5], 0, v15
	s_nop 1
	v_cndmask_b32_e64 v11, v11, v13, s[4:5]
	v_cmp_lt_f32_e64 s[4:5], 0, v16
	s_nop 1
	v_cndmask_b32_e64 v11, v11, v14, s[4:5]
	v_mul_f32_e32 v13, 0x37800000, v11
	v_cndmask_b32_e32 v11, v11, v13, vcc
	v_cmp_class_f32_e64 s[4:5], v6, v5
	s_and_b64 vcc, exec, s[2:3]
	s_nop 0
	v_cndmask_b32_e64 v5, v11, v6, s[4:5]
	s_cbranch_vccnz .LBB391_16
; %bb.15:
	global_load_dword v6, v10, s[22:23] offset:20
	s_waitcnt vmcnt(0)
	v_add_f32_e32 v5, v5, v6
.LBB391_16:
	v_lshlrev_b32_e32 v6, 16, v7
	v_mul_f32_e32 v11, 0x3fb8aa3b, v6
	v_exp_f32_e32 v11, v11
	v_mov_b32_e32 v13, 0x4f800000
	v_add_f32_e32 v11, 1.0, v11
	v_cmp_gt_f32_e32 vcc, s10, v11
	s_nop 1
	v_cndmask_b32_e32 v14, 1.0, v13, vcc
	v_mul_f32_e32 v11, v11, v14
	v_log_f32_e32 v11, v11
	s_nop 0
	v_mul_f32_e32 v14, 0x3f317217, v11
	v_fma_f32 v14, v11, s7, -v14
	v_fmac_f32_e32 v14, 0x3377d1cf, v11
	v_fmac_f32_e32 v14, 0x3f317217, v11
	v_cmp_lt_f32_e64 s[4:5], |v11|, s8
	s_nop 1
	v_cndmask_b32_e64 v11, v11, v14, s[4:5]
	v_mov_b32_e32 v14, 0x41b17218
	v_cndmask_b32_e32 v15, 0, v14, vcc
	v_sub_f32_e32 v11, v11, v15
	v_cmp_lt_f32_e32 vcc, s6, v6
	s_nop 1
	v_cndmask_b32_e32 v6, v11, v6, vcc
	v_mul_f32_e32 v11, 0x4f800000, v6
	v_cmp_gt_f32_e32 vcc, s9, v6
	s_nop 1
	v_cndmask_b32_e32 v6, v6, v11, vcc
	v_sqrt_f32_e32 v11, v6
	s_nop 0
	v_add_u32_e32 v15, -1, v11
	v_fma_f32 v16, -v15, v11, v6
	v_cmp_ge_f32_e64 s[4:5], 0, v16
	v_add_u32_e32 v16, 1, v11
	s_nop 0
	v_cndmask_b32_e64 v15, v11, v15, s[4:5]
	v_fma_f32 v11, -v16, v11, v6
	v_cmp_lt_f32_e64 s[4:5], 0, v11
	s_nop 1
	v_cndmask_b32_e64 v11, v15, v16, s[4:5]
	v_mul_f32_e32 v15, 0x37800000, v11
	v_cndmask_b32_e32 v15, v11, v15, vcc
	v_mov_b32_e32 v11, 0x260
	v_cmp_class_f32_e64 s[4:5], v6, v11
	s_and_b64 vcc, exec, s[2:3]
	s_nop 0
	v_cndmask_b32_e64 v6, v15, v6, s[4:5]
	s_cbranch_vccnz .LBB391_18
; %bb.17:
	global_load_dword v15, v10, s[22:23] offset:24
	s_waitcnt vmcnt(0)
	v_add_f32_e32 v6, v6, v15
.LBB391_18:
	v_and_b32_e32 v7, 0xffff0000, v7
	v_mul_f32_e32 v15, 0x3fb8aa3b, v7
	v_exp_f32_e32 v15, v15
	s_nop 0
	v_add_f32_e32 v15, 1.0, v15
	v_cmp_gt_f32_e32 vcc, s10, v15
	s_nop 1
	v_cndmask_b32_e32 v13, 1.0, v13, vcc
	v_mul_f32_e32 v13, v15, v13
	v_log_f32_e32 v13, v13
	v_cndmask_b32_e32 v14, 0, v14, vcc
	v_mul_f32_e32 v15, 0x3f317217, v13
	v_fma_f32 v15, v13, s7, -v15
	v_fmac_f32_e32 v15, 0x3377d1cf, v13
	v_fmac_f32_e32 v15, 0x3f317217, v13
	v_cmp_lt_f32_e64 vcc, |v13|, s8
	s_nop 1
	v_cndmask_b32_e32 v13, v13, v15, vcc
	v_sub_f32_e32 v13, v13, v14
	v_cmp_lt_f32_e32 vcc, s6, v7
	s_nop 1
	v_cndmask_b32_e32 v7, v13, v7, vcc
	v_mul_f32_e32 v13, 0x4f800000, v7
	v_cmp_gt_f32_e32 vcc, s9, v7
	s_nop 1
	v_cndmask_b32_e32 v7, v7, v13, vcc
	v_sqrt_f32_e32 v13, v7
	s_nop 0
	v_add_u32_e32 v14, -1, v13
	v_add_u32_e32 v15, 1, v13
	v_fma_f32 v16, -v14, v13, v7
	v_fma_f32 v17, -v15, v13, v7
	v_cmp_ge_f32_e64 s[4:5], 0, v16
	s_nop 1
	v_cndmask_b32_e64 v13, v13, v14, s[4:5]
	v_cmp_lt_f32_e64 s[4:5], 0, v17
	s_nop 1
	v_cndmask_b32_e64 v13, v13, v15, s[4:5]
	v_mul_f32_e32 v14, 0x37800000, v13
	v_cndmask_b32_e32 v13, v13, v14, vcc
	v_cmp_class_f32_e64 s[4:5], v7, v11
	s_and_b64 vcc, exec, s[2:3]
	s_nop 0
	v_cndmask_b32_e64 v7, v13, v7, s[4:5]
	s_cbranch_vccnz .LBB391_20
; %bb.19:
	global_load_dword v10, v10, s[22:23] offset:28
	s_waitcnt vmcnt(0)
	v_add_f32_e32 v7, v7, v10
.LBB391_20:
	s_load_dwordx4 s[24:27], s[0:1], 0x30
	s_mov_b32 s42, 0
	v_cmp_eq_u32_e64 s[6:7], 0, v9
	s_waitcnt lgkmcnt(0)
	s_bitcmp1_b32 s27, 0
	s_cselect_b64 s[4:5], -1, 0
	s_cmp_gt_i32 s24, 0
	s_cselect_b64 s[38:39], -1, 0
	s_and_b64 vcc, exec, s[38:39]
	s_cbranch_vccz .LBB391_47
; %bb.21:
	v_mbcnt_lo_u32_b32 v10, -1, 0
	v_mbcnt_hi_u32_b32 v10, -1, v10
	v_and_b32_e32 v11, 0x70, v10
	v_add_u32_e32 v11, 16, v11
	v_xor_b32_e32 v13, 8, v10
	v_cmp_lt_i32_e32 vcc, v13, v11
	s_load_dwordx4 s[28:31], s[0:1], 0x20
	v_mul_lo_u32 v14, v8, s24
	v_cndmask_b32_e32 v13, v10, v13, vcc
	v_lshlrev_b32_e32 v15, 2, v13
	v_xor_b32_e32 v13, 4, v10
	v_cmp_lt_i32_e32 vcc, v13, v11
	v_mov_b32_e32 v19, 0x80
	v_mov_b32_e32 v20, 0xc61c4000
	v_cndmask_b32_e32 v13, v10, v13, vcc
	v_lshlrev_b32_e32 v16, 2, v13
	v_xor_b32_e32 v13, 2, v10
	v_cmp_lt_i32_e32 vcc, v13, v11
	v_mov_b32_e32 v21, v8
	s_nop 0
	v_cndmask_b32_e32 v13, v10, v13, vcc
	v_lshlrev_b32_e32 v17, 2, v13
	v_xor_b32_e32 v13, 1, v10
	v_cmp_lt_i32_e32 vcc, v13, v11
	s_nop 1
	v_cndmask_b32_e32 v10, v10, v13, vcc
	v_lshlrev_b32_e32 v18, 2, v10
	v_mov_b32_e32 v13, 0
	s_branch .LBB391_24
.LBB391_22:                             ;   in Loop: Header=BB391_24 Depth=1
	s_or_b64 exec, exec, s[40:41]
.LBB391_23:                             ;   in Loop: Header=BB391_24 Depth=1
	s_cmp_eq_u32 s24, s42
	v_add_u32_e32 v21, s33, v21
	s_cbranch_scc1 .LBB391_48
.LBB391_24:                             ; =>This Inner Loop Header: Depth=1
	v_cmp_gt_f32_e32 vcc, v1, v0
	s_nop 1
	v_cndmask_b32_e32 v11, v0, v1, vcc
	v_cndmask_b32_e64 v10, 0, 1, vcc
	v_cmp_gt_f32_e32 vcc, v2, v11
	s_nop 1
	v_cndmask_b32_e32 v11, v11, v2, vcc
	v_cndmask_b32_e64 v10, v10, 2, vcc
	;; [unrolled: 4-line block ×6, first 2 shown]
	v_cmp_gt_f32_e32 vcc, v7, v11
	s_nop 1
	v_cndmask_b32_e64 v10, v10, 7, vcc
	v_cndmask_b32_e32 v22, v11, v7, vcc
	ds_bpermute_b32 v11, v15, v22
	v_or_b32_e32 v10, v12, v10
	s_waitcnt lgkmcnt(0)
	ds_bpermute_b32 v23, v15, v10
	s_waitcnt lgkmcnt(0)
	v_cmp_lt_f32_e64 s[8:9], v22, v11
	v_cmp_nlt_f32_e32 vcc, v22, v11
	s_and_saveexec_b64 s[10:11], vcc
; %bb.25:                               ;   in Loop: Header=BB391_24 Depth=1
	v_cmp_eq_f32_e32 vcc, v22, v11
	v_cmp_lt_i32_e64 s[0:1], v23, v10
	s_and_b64 s[0:1], vcc, s[0:1]
	s_andn2_b64 s[8:9], s[8:9], exec
	s_and_b64 s[0:1], s[0:1], exec
	s_or_b64 s[8:9], s[8:9], s[0:1]
; %bb.26:                               ;   in Loop: Header=BB391_24 Depth=1
	s_or_b64 exec, exec, s[10:11]
	s_and_saveexec_b64 s[0:1], s[8:9]
; %bb.27:                               ;   in Loop: Header=BB391_24 Depth=1
	v_mov_b32_e32 v22, v11
	v_mov_b32_e32 v10, v23
; %bb.28:                               ;   in Loop: Header=BB391_24 Depth=1
	s_or_b64 exec, exec, s[0:1]
	ds_bpermute_b32 v11, v16, v22
	ds_bpermute_b32 v23, v16, v10
	s_waitcnt lgkmcnt(1)
	v_cmp_lt_f32_e64 s[8:9], v22, v11
	v_cmp_nlt_f32_e32 vcc, v22, v11
	s_and_saveexec_b64 s[10:11], vcc
	s_cbranch_execz .LBB391_30
; %bb.29:                               ;   in Loop: Header=BB391_24 Depth=1
	v_cmp_eq_f32_e32 vcc, v22, v11
	s_waitcnt lgkmcnt(0)
	v_cmp_lt_i32_e64 s[0:1], v23, v10
	s_and_b64 s[0:1], vcc, s[0:1]
	s_andn2_b64 s[8:9], s[8:9], exec
	s_and_b64 s[0:1], s[0:1], exec
	s_or_b64 s[8:9], s[8:9], s[0:1]
.LBB391_30:                             ;   in Loop: Header=BB391_24 Depth=1
	s_or_b64 exec, exec, s[10:11]
	s_and_saveexec_b64 s[0:1], s[8:9]
	s_cbranch_execz .LBB391_32
; %bb.31:                               ;   in Loop: Header=BB391_24 Depth=1
	v_mov_b32_e32 v22, v11
	s_waitcnt lgkmcnt(0)
	v_mov_b32_e32 v10, v23
.LBB391_32:                             ;   in Loop: Header=BB391_24 Depth=1
	s_or_b64 exec, exec, s[0:1]
	ds_bpermute_b32 v11, v17, v22
	s_waitcnt lgkmcnt(1)
	ds_bpermute_b32 v23, v17, v10
	s_waitcnt lgkmcnt(1)
	v_cmp_lt_f32_e64 s[8:9], v22, v11
	v_cmp_nlt_f32_e32 vcc, v22, v11
	s_and_saveexec_b64 s[10:11], vcc
	s_cbranch_execz .LBB391_34
; %bb.33:                               ;   in Loop: Header=BB391_24 Depth=1
	v_cmp_eq_f32_e32 vcc, v22, v11
	s_waitcnt lgkmcnt(0)
	v_cmp_lt_i32_e64 s[0:1], v23, v10
	s_and_b64 s[0:1], vcc, s[0:1]
	s_andn2_b64 s[8:9], s[8:9], exec
	s_and_b64 s[0:1], s[0:1], exec
	s_or_b64 s[8:9], s[8:9], s[0:1]
.LBB391_34:                             ;   in Loop: Header=BB391_24 Depth=1
	s_or_b64 exec, exec, s[10:11]
	s_and_saveexec_b64 s[0:1], s[8:9]
	s_cbranch_execz .LBB391_36
; %bb.35:                               ;   in Loop: Header=BB391_24 Depth=1
	v_mov_b32_e32 v22, v11
	s_waitcnt lgkmcnt(0)
	v_mov_b32_e32 v10, v23
.LBB391_36:                             ;   in Loop: Header=BB391_24 Depth=1
	s_or_b64 exec, exec, s[0:1]
	ds_bpermute_b32 v11, v18, v22
	s_waitcnt lgkmcnt(1)
	ds_bpermute_b32 v23, v18, v10
	s_waitcnt lgkmcnt(1)
	v_cmp_lt_f32_e64 s[8:9], v22, v11
	v_cmp_nlt_f32_e32 vcc, v22, v11
	s_and_saveexec_b64 s[10:11], vcc
	s_cbranch_execnz .LBB391_40
; %bb.37:                               ;   in Loop: Header=BB391_24 Depth=1
	s_or_b64 exec, exec, s[10:11]
	s_and_saveexec_b64 s[0:1], s[8:9]
	s_cbranch_execnz .LBB391_41
.LBB391_38:                             ;   in Loop: Header=BB391_24 Depth=1
	s_or_b64 exec, exec, s[0:1]
	s_and_saveexec_b64 s[8:9], s[6:7]
	s_cbranch_execnz .LBB391_42
.LBB391_39:                             ;   in Loop: Header=BB391_24 Depth=1
	s_or_b64 exec, exec, s[8:9]
	s_add_i32 s42, s42, 1
	s_cmp_ge_i32 s42, s24
	s_cbranch_scc1 .LBB391_23
	s_branch .LBB391_45
.LBB391_40:                             ;   in Loop: Header=BB391_24 Depth=1
	v_cmp_eq_f32_e32 vcc, v22, v11
	s_waitcnt lgkmcnt(0)
	v_cmp_lt_i32_e64 s[0:1], v23, v10
	s_and_b64 s[0:1], vcc, s[0:1]
	s_andn2_b64 s[8:9], s[8:9], exec
	s_and_b64 s[0:1], s[0:1], exec
	s_or_b64 s[8:9], s[8:9], s[0:1]
	s_or_b64 exec, exec, s[10:11]
	s_and_saveexec_b64 s[0:1], s[8:9]
	s_cbranch_execz .LBB391_38
.LBB391_41:                             ;   in Loop: Header=BB391_24 Depth=1
	s_waitcnt lgkmcnt(0)
	v_mov_b32_e32 v10, v23
	v_mov_b32_e32 v22, v11
	s_or_b64 exec, exec, s[0:1]
	s_and_saveexec_b64 s[8:9], s[6:7]
	s_cbranch_execz .LBB391_39
.LBB391_42:                             ;   in Loop: Header=BB391_24 Depth=1
	s_and_b64 vcc, exec, s[2:3]
	s_cbranch_vccnz .LBB391_44
; %bb.43:                               ;   in Loop: Header=BB391_24 Depth=1
	v_ashrrev_i32_e32 v11, 31, v10
	v_lshl_add_u64 v[24:25], v[10:11], 2, s[22:23]
	global_load_dword v11, v[24:25], off
	s_waitcnt vmcnt(0)
	v_sub_f32_e32 v22, v22, v11
.LBB391_44:                             ;   in Loop: Header=BB391_24 Depth=1
	v_add_u32_e32 v24, s42, v14
	v_cmp_le_i32_e32 vcc, s25, v10
	v_cmp_gt_i32_e64 s[0:1], s26, v10
	v_ashrrev_i32_e32 v25, 31, v24
	s_and_b64 s[0:1], vcc, s[0:1]
	v_lshlrev_b64 v[24:25], 2, v[24:25]
	v_lshl_add_u64 v[26:27], s[34:35], 0, v[24:25]
	v_subrev_u32_e32 v11, s25, v10
	s_and_b64 vcc, s[36:37], s[0:1]
	global_store_dword v[26:27], v22, off
	v_cndmask_b32_e32 v11, v19, v11, vcc
	v_lshl_add_u64 v[26:27], s[28:29], 0, v[24:25]
	global_store_dword v[26:27], v11, off
	v_add_f32_e32 v11, v13, v22
	v_lshl_add_u64 v[24:25], s[30:31], 0, v[24:25]
	v_cndmask_b32_e64 v13, v13, v11, s[4:5]
	global_store_dword v[24:25], v21, off
	s_or_b64 exec, exec, s[8:9]
	s_add_i32 s42, s42, 1
	s_cmp_ge_i32 s42, s24
	s_cbranch_scc1 .LBB391_23
.LBB391_45:                             ;   in Loop: Header=BB391_24 Depth=1
	v_ashrrev_i32_e32 v22, 31, v10
	v_lshrrev_b32_e32 v11, 29, v22
	v_add_u32_e32 v11, v10, v11
	v_ashrrev_i32_e32 v11, 3, v11
	s_waitcnt lgkmcnt(0)
	v_lshrrev_b32_e32 v23, 28, v11
	v_add_u32_e32 v23, v11, v23
	v_and_b32_e32 v23, -16, v23
	v_sub_u32_e32 v23, v11, v23
	v_cmp_eq_u32_e32 vcc, v9, v23
	s_and_saveexec_b64 s[40:41], vcc
	s_cbranch_execz .LBB391_22
; %bb.46:                               ;   in Loop: Header=BB391_24 Depth=1
	v_lshrrev_b32_e32 v22, 25, v22
	v_add_u32_e32 v22, v10, v22
	v_lshlrev_b32_e32 v11, 3, v11
	v_sub_u32_e32 v10, v10, v11
	v_ashrrev_i32_e32 v11, 7, v22
	v_lshl_add_u32 v10, v11, 3, v10
	v_cmp_ne_u32_e32 vcc, 6, v10
	v_cmp_ne_u32_e64 s[0:1], 5, v10
	v_cmp_ne_u32_e64 s[8:9], 4, v10
	;; [unrolled: 1-line block ×7, first 2 shown]
	v_cndmask_b32_e32 v6, v20, v6, vcc
	v_cndmask_b32_e64 v5, v20, v5, s[0:1]
	v_cndmask_b32_e64 v7, v20, v7, s[18:19]
	;; [unrolled: 1-line block ×7, first 2 shown]
	s_branch .LBB391_22
.LBB391_47:
	v_mov_b32_e32 v13, 0
.LBB391_48:
	v_cmp_eq_u32_e32 vcc, 0, v9
	s_and_b64 exec, exec, vcc
	s_cbranch_execz .LBB391_61
; %bb.49:
	s_andn2_b64 vcc, exec, s[4:5]
	v_cvt_f32_f64_e32 v0, s[20:21]
	s_cbranch_vccnz .LBB391_51
; %bb.50:
	v_cmp_lt_f32_e32 vcc, 0, v13
	s_nop 1
	v_cndmask_b32_e32 v1, 1.0, v13, vcc
	v_div_scale_f32 v2, s[0:1], v1, v1, v0
	v_rcp_f32_e32 v3, v2
	s_nop 0
	v_fma_f32 v4, -v2, v3, 1.0
	v_fmac_f32_e32 v3, v4, v3
	v_div_scale_f32 v4, vcc, v0, v1, v0
	v_mul_f32_e32 v5, v4, v3
	v_fma_f32 v6, -v2, v5, v4
	v_fmac_f32_e32 v5, v6, v3
	v_fma_f32 v2, -v2, v5, v4
	v_div_fmas_f32 v2, v2, v3, v5
	v_div_fixup_f32 v0, v2, v1, v0
.LBB391_51:
	s_andn2_b64 vcc, exec, s[38:39]
	s_cbranch_vccnz .LBB391_61
; %bb.52:
	v_mul_lo_u32 v2, v8, s24
	s_cmp_gt_u32 s24, 3
	v_ashrrev_i32_e32 v3, 31, v2
	s_cbranch_scc0 .LBB391_56
; %bb.53:
	s_and_b32 s0, s24, 0x7ffffffc
	v_lshl_add_u64 v[4:5], v[2:3], 2, s[34:35]
	v_mov_b32_e32 v1, v0
	v_lshl_add_u64 v[4:5], v[4:5], 0, 8
	s_mov_b32 s1, s0
.LBB391_54:                             ; =>This Inner Loop Header: Depth=1
	global_load_dwordx4 v[6:9], v[4:5], off offset:-8
	s_add_i32 s1, s1, -4
	s_cmp_lg_u32 s1, 0
	s_waitcnt vmcnt(0)
	v_pk_mul_f32 v[6:7], v[0:1], v[6:7]
	v_pk_mul_f32 v[8:9], v[0:1], v[8:9]
	global_store_dwordx4 v[4:5], v[6:9], off offset:-8
	v_lshl_add_u64 v[4:5], v[4:5], 0, 16
	s_cbranch_scc1 .LBB391_54
; %bb.55:
	s_cmp_lg_u32 s0, s24
	s_cselect_b64 s[2:3], -1, 0
	s_branch .LBB391_58
.LBB391_56:
	s_mov_b64 s[2:3], 0
                                        ; implicit-def: $sgpr0
	s_cbranch_execz .LBB391_58
; %bb.57:
	s_mov_b64 s[2:3], -1
	s_mov_b32 s0, 0
.LBB391_58:
	s_andn2_b64 vcc, exec, s[2:3]
	s_cbranch_vccnz .LBB391_61
; %bb.59:
	s_mov_b32 s1, 0
	v_lshl_add_u64 v[2:3], v[2:3], 0, s[0:1]
	s_sub_i32 s2, s24, s0
	v_lshl_add_u64 v[2:3], v[2:3], 2, s[34:35]
.LBB391_60:                             ; =>This Inner Loop Header: Depth=1
	global_load_dword v1, v[2:3], off
	s_add_i32 s2, s2, -1
	s_cmp_lg_u32 s2, 0
	s_waitcnt vmcnt(0)
	v_mul_f32_e32 v1, v0, v1
	global_store_dword v[2:3], v1, off
	v_lshl_add_u64 v[2:3], v[2:3], 0, 4
	s_cbranch_scc1 .LBB391_60
.LBB391_61:
	s_endpgm
	.section	.rodata,"a",@progbits
	.p2align	6, 0x0
	.amdhsa_kernel _ZN4vllm3moe22topkGatingSoftplusSqrtILi8ELi128ELi4ELi16ELi32ELb0Ei14__hip_bfloat16EEvPKT6_PKbPfiPT5_PiiiibdPKfPKS9_SF_
		.amdhsa_group_segment_fixed_size 0
		.amdhsa_private_segment_fixed_size 0
		.amdhsa_kernarg_size 96
		.amdhsa_user_sgpr_count 2
		.amdhsa_user_sgpr_dispatch_ptr 0
		.amdhsa_user_sgpr_queue_ptr 0
		.amdhsa_user_sgpr_kernarg_segment_ptr 1
		.amdhsa_user_sgpr_dispatch_id 0
		.amdhsa_user_sgpr_kernarg_preload_length 0
		.amdhsa_user_sgpr_kernarg_preload_offset 0
		.amdhsa_user_sgpr_private_segment_size 0
		.amdhsa_uses_dynamic_stack 0
		.amdhsa_enable_private_segment 0
		.amdhsa_system_sgpr_workgroup_id_x 1
		.amdhsa_system_sgpr_workgroup_id_y 0
		.amdhsa_system_sgpr_workgroup_id_z 0
		.amdhsa_system_sgpr_workgroup_info 0
		.amdhsa_system_vgpr_workitem_id 1
		.amdhsa_next_free_vgpr 28
		.amdhsa_next_free_sgpr 43
		.amdhsa_accum_offset 28
		.amdhsa_reserve_vcc 1
		.amdhsa_float_round_mode_32 0
		.amdhsa_float_round_mode_16_64 0
		.amdhsa_float_denorm_mode_32 3
		.amdhsa_float_denorm_mode_16_64 3
		.amdhsa_dx10_clamp 1
		.amdhsa_ieee_mode 1
		.amdhsa_fp16_overflow 0
		.amdhsa_tg_split 0
		.amdhsa_exception_fp_ieee_invalid_op 0
		.amdhsa_exception_fp_denorm_src 0
		.amdhsa_exception_fp_ieee_div_zero 0
		.amdhsa_exception_fp_ieee_overflow 0
		.amdhsa_exception_fp_ieee_underflow 0
		.amdhsa_exception_fp_ieee_inexact 0
		.amdhsa_exception_int_div_zero 0
	.end_amdhsa_kernel
	.section	.text._ZN4vllm3moe22topkGatingSoftplusSqrtILi8ELi128ELi4ELi16ELi32ELb0Ei14__hip_bfloat16EEvPKT6_PKbPfiPT5_PiiiibdPKfPKS9_SF_,"axG",@progbits,_ZN4vllm3moe22topkGatingSoftplusSqrtILi8ELi128ELi4ELi16ELi32ELb0Ei14__hip_bfloat16EEvPKT6_PKbPfiPT5_PiiiibdPKfPKS9_SF_,comdat
.Lfunc_end391:
	.size	_ZN4vllm3moe22topkGatingSoftplusSqrtILi8ELi128ELi4ELi16ELi32ELb0Ei14__hip_bfloat16EEvPKT6_PKbPfiPT5_PiiiibdPKfPKS9_SF_, .Lfunc_end391-_ZN4vllm3moe22topkGatingSoftplusSqrtILi8ELi128ELi4ELi16ELi32ELb0Ei14__hip_bfloat16EEvPKT6_PKbPfiPT5_PiiiibdPKfPKS9_SF_
                                        ; -- End function
	.section	.AMDGPU.csdata,"",@progbits
; Kernel info:
; codeLenInByte = 3992
; NumSgprs: 49
; NumVgprs: 28
; NumAgprs: 0
; TotalNumVgprs: 28
; ScratchSize: 0
; MemoryBound: 0
; FloatMode: 240
; IeeeMode: 1
; LDSByteSize: 0 bytes/workgroup (compile time only)
; SGPRBlocks: 6
; VGPRBlocks: 3
; NumSGPRsForWavesPerEU: 49
; NumVGPRsForWavesPerEU: 28
; AccumOffset: 28
; Occupancy: 8
; WaveLimiterHint : 0
; COMPUTE_PGM_RSRC2:SCRATCH_EN: 0
; COMPUTE_PGM_RSRC2:USER_SGPR: 2
; COMPUTE_PGM_RSRC2:TRAP_HANDLER: 0
; COMPUTE_PGM_RSRC2:TGID_X_EN: 1
; COMPUTE_PGM_RSRC2:TGID_Y_EN: 0
; COMPUTE_PGM_RSRC2:TGID_Z_EN: 0
; COMPUTE_PGM_RSRC2:TIDIG_COMP_CNT: 1
; COMPUTE_PGM_RSRC3_GFX90A:ACCUM_OFFSET: 6
; COMPUTE_PGM_RSRC3_GFX90A:TG_SPLIT: 0
	.section	.text._ZN4vllm3moe22topkGatingSoftplusSqrtILi8ELi256ELi4ELi16ELi64ELb1Ei14__hip_bfloat16EEvPKT6_PKbPfiPT5_PiiiibdPKfPKS9_SF_,"axG",@progbits,_ZN4vllm3moe22topkGatingSoftplusSqrtILi8ELi256ELi4ELi16ELi64ELb1Ei14__hip_bfloat16EEvPKT6_PKbPfiPT5_PiiiibdPKfPKS9_SF_,comdat
	.protected	_ZN4vllm3moe22topkGatingSoftplusSqrtILi8ELi256ELi4ELi16ELi64ELb1Ei14__hip_bfloat16EEvPKT6_PKbPfiPT5_PiiiibdPKfPKS9_SF_ ; -- Begin function _ZN4vllm3moe22topkGatingSoftplusSqrtILi8ELi256ELi4ELi16ELi64ELb1Ei14__hip_bfloat16EEvPKT6_PKbPfiPT5_PiiiibdPKfPKS9_SF_
	.globl	_ZN4vllm3moe22topkGatingSoftplusSqrtILi8ELi256ELi4ELi16ELi64ELb1Ei14__hip_bfloat16EEvPKT6_PKbPfiPT5_PiiiibdPKfPKS9_SF_
	.p2align	8
	.type	_ZN4vllm3moe22topkGatingSoftplusSqrtILi8ELi256ELi4ELi16ELi64ELb1Ei14__hip_bfloat16EEvPKT6_PKbPfiPT5_PiiiibdPKfPKS9_SF_,@function
_ZN4vllm3moe22topkGatingSoftplusSqrtILi8ELi256ELi4ELi16ELi64ELb1Ei14__hip_bfloat16EEvPKT6_PKbPfiPT5_PiiiibdPKfPKS9_SF_: ; @_ZN4vllm3moe22topkGatingSoftplusSqrtILi8ELi256ELi4ELi16ELi64ELb1Ei14__hip_bfloat16EEvPKT6_PKbPfiPT5_PiiiibdPKfPKS9_SF_
; %bb.0:
	s_load_dword s3, s[0:1], 0x18
	v_bfe_u32 v1, v0, 10, 10
	v_and_b32_e32 v8, 0x3ff, v0
	s_lshl_b32 s2, s2, 3
	v_lshlrev_b32_e32 v1, 1, v1
	v_lshrrev_b32_e32 v0, 5, v8
	v_add3_u32 v6, s2, v1, v0
	s_waitcnt lgkmcnt(0)
	v_cmp_gt_i32_e32 vcc, s3, v6
	s_and_saveexec_b64 s[2:3], vcc
	s_cbranch_execz .LBB392_31
; %bb.1:
	s_load_dwordx2 s[2:3], s[0:1], 0x0
	s_load_dword s33, s[0:1], 0x30
	v_lshlrev_b32_e32 v0, 8, v6
	v_lshlrev_b32_e32 v2, 3, v8
	v_ashrrev_i32_e32 v1, 31, v0
	v_and_b32_e32 v10, 0xf8, v2
	s_waitcnt lgkmcnt(0)
	v_lshl_add_u64 v[0:1], v[0:1], 1, s[2:3]
	v_lshlrev_b32_e32 v4, 1, v10
	v_mov_b32_e32 v5, 0
	v_lshl_add_u64 v[0:1], v[0:1], 0, v[4:5]
	global_load_dwordx4 v[0:3], v[0:1], off
	s_load_dwordx4 s[8:11], s[0:1], 0x50
	v_ashrrev_i32_e32 v7, 31, v6
	s_mov_b32 s15, 0x800000
	s_mov_b32 s13, 0x3f317217
	;; [unrolled: 1-line block ×3, first 2 shown]
	s_waitcnt lgkmcnt(0)
	v_mov_b32_e32 v12, s8
	v_mov_b32_e32 v13, s9
	v_lshl_add_u64 v[12:13], v[6:7], 2, v[12:13]
	global_load_dword v4, v[12:13], off
	v_mov_b32_e32 v7, 0x4f800000
	v_mov_b32_e32 v9, 0x41b17218
	s_mov_b32 s9, 0x41a00000
	s_mov_b32 s12, 0xf800000
	v_mov_b32_e32 v11, 0x260
	s_cmp_gt_i32 s33, 0
	s_mov_b32 s8, 0
	s_waitcnt vmcnt(1)
	v_and_b32_e32 v16, 0xffff0000, v0
	v_lshlrev_b32_e32 v17, 16, v0
	v_and_b32_e32 v18, 0xffff0000, v1
	v_lshlrev_b32_e32 v19, 16, v1
	v_mul_f32_e32 v0, 0x3fb8aa3b, v17
	v_mul_f32_e32 v1, 0x3fb8aa3b, v16
	v_exp_f32_e32 v12, v0
	v_exp_f32_e32 v13, v1
	v_mul_f32_e32 v14, 0x3fb8aa3b, v19
	v_mul_f32_e32 v15, 0x3fb8aa3b, v18
	v_exp_f32_e32 v14, v14
	v_exp_f32_e32 v15, v15
	v_pk_add_f32 v[12:13], v[12:13], 1.0 op_sel_hi:[1,0]
	s_waitcnt vmcnt(0)
	v_mul_lo_u32 v0, v4, s33
	v_cmp_gt_f32_e32 vcc, s15, v13
	v_pk_add_f32 v[14:15], v[14:15], 1.0 op_sel_hi:[1,0]
	v_cmp_gt_f32_e64 s[2:3], s15, v12
	v_cndmask_b32_e32 v4, 1.0, v7, vcc
	v_cmp_gt_f32_e64 s[4:5], s15, v15
	v_cndmask_b32_e64 v20, 1.0, v7, s[2:3]
	v_mul_f32_e32 v4, v13, v4
	v_cndmask_b32_e64 v21, 1.0, v7, s[4:5]
	v_mul_f32_e32 v12, v12, v20
	v_log_f32_e32 v4, v4
	v_mul_f32_e32 v15, v15, v21
	v_log_f32_e32 v12, v12
	v_cmp_gt_f32_e64 s[6:7], s15, v14
	v_log_f32_e32 v15, v15
	v_cndmask_b32_e32 v13, 0, v9, vcc
	v_cndmask_b32_e64 v22, 1.0, v7, s[6:7]
	v_mul_f32_e32 v14, v14, v22
	v_mul_f32_e32 v22, 0x3f317217, v4
	;; [unrolled: 1-line block ×3, first 2 shown]
	v_fma_f32 v22, v4, s13, -v22
	v_mul_f32_e32 v24, 0x3f317217, v15
	v_fma_f32 v23, v12, s13, -v23
	v_fmac_f32_e32 v22, 0x3377d1cf, v4
	v_fma_f32 v24, v15, s13, -v24
	v_fmac_f32_e32 v23, 0x3377d1cf, v12
	v_fmac_f32_e32 v22, 0x3f317217, v4
	v_cmp_lt_f32_e64 vcc, |v4|, s14
	v_fmac_f32_e32 v24, 0x3377d1cf, v15
	v_fmac_f32_e32 v23, 0x3f317217, v12
	v_cndmask_b32_e32 v4, v4, v22, vcc
	v_cmp_lt_f32_e64 vcc, |v12|, s14
	v_cndmask_b32_e64 v20, 0, v9, s[2:3]
	v_fmac_f32_e32 v24, 0x3f317217, v15
	v_cndmask_b32_e32 v12, v12, v23, vcc
	v_cmp_lt_f32_e64 vcc, |v15|, s14
	v_sub_f32_e32 v12, v12, v20
	v_sub_f32_e32 v4, v4, v13
	v_cndmask_b32_e32 v15, v15, v24, vcc
	v_cmp_lt_f32_e32 vcc, s9, v17
	v_cndmask_b32_e64 v21, 0, v9, s[4:5]
	v_sub_f32_e32 v15, v15, v21
	v_cndmask_b32_e32 v12, v12, v17, vcc
	v_cmp_lt_f32_e32 vcc, s9, v16
	v_cmp_gt_f32_e64 s[2:3], s12, v12
	v_log_f32_e32 v14, v14
	v_cndmask_b32_e32 v4, v4, v16, vcc
	v_mul_f32_e32 v13, 0x4f800000, v4
	v_cmp_gt_f32_e32 vcc, s12, v4
	v_mul_f32_e32 v16, 0x4f800000, v12
	v_cndmask_b32_e64 v12, v12, v16, s[2:3]
	v_cndmask_b32_e32 v4, v4, v13, vcc
	v_sqrt_f32_e32 v13, v4
	v_sqrt_f32_e32 v16, v12
	v_mul_f32_e32 v25, 0x3f317217, v14
	v_fma_f32 v25, v14, s13, -v25
	v_add_u32_e32 v17, -1, v13
	v_add_u32_e32 v21, -1, v16
	v_fma_f32 v23, -v17, v13, v4
	v_add_u32_e32 v20, 1, v13
	v_fma_f32 v26, -v21, v16, v12
	v_cmp_ge_f32_e64 s[4:5], 0, v23
	v_add_u32_e32 v22, 1, v16
	v_fma_f32 v24, -v20, v13, v4
	v_cndmask_b32_e64 v13, v13, v17, s[4:5]
	v_cmp_ge_f32_e64 s[4:5], 0, v26
	v_fma_f32 v27, -v22, v16, v12
	v_fmac_f32_e32 v25, 0x3377d1cf, v14
	v_cndmask_b32_e64 v16, v16, v21, s[4:5]
	v_cmp_lt_f32_e64 s[4:5], 0, v24
	v_fmac_f32_e32 v25, 0x3f317217, v14
	v_ashrrev_i32_e32 v1, 31, v0
	v_cndmask_b32_e64 v13, v13, v20, s[4:5]
	v_cmp_lt_f32_e64 s[4:5], 0, v27
	v_mul_f32_e32 v17, 0x37800000, v13
	v_cndmask_b32_e32 v13, v13, v17, vcc
	v_cndmask_b32_e64 v16, v16, v22, s[4:5]
	v_mul_f32_e32 v20, 0x37800000, v16
	v_cmp_class_f32_e32 vcc, v4, v11
	v_cndmask_b32_e64 v16, v16, v20, s[2:3]
	v_cmp_lt_f32_e64 s[2:3], s9, v19
	v_cndmask_b32_e32 v13, v13, v4, vcc
	v_cmp_class_f32_e32 vcc, v12, v11
	v_and_b32_e32 v20, 0xffff0000, v2
	v_lshlrev_b32_e32 v2, 16, v2
	v_cndmask_b32_e32 v12, v16, v12, vcc
	v_cmp_lt_f32_e64 vcc, |v14|, s14
	s_nop 1
	v_cndmask_b32_e32 v4, v14, v25, vcc
	v_cmp_lt_f32_e32 vcc, s9, v18
	v_cndmask_b32_e64 v14, 0, v9, s[6:7]
	v_sub_f32_e32 v4, v4, v14
	v_cndmask_b32_e32 v15, v15, v18, vcc
	v_mul_f32_e32 v16, 0x4f800000, v15
	v_cmp_gt_f32_e32 vcc, s12, v15
	v_cndmask_b32_e64 v4, v4, v19, s[2:3]
	s_nop 0
	v_cndmask_b32_e32 v15, v15, v16, vcc
	v_sqrt_f32_e32 v16, v15
	s_nop 0
	v_add_u32_e32 v14, -1, v16
	v_fma_f32 v17, -v14, v16, v15
	v_cmp_ge_f32_e64 s[2:3], 0, v17
	v_add_u32_e32 v17, 1, v16
	s_nop 0
	v_cndmask_b32_e64 v14, v16, v14, s[2:3]
	v_fma_f32 v16, -v17, v16, v15
	v_cmp_lt_f32_e64 s[2:3], 0, v16
	s_nop 1
	v_cndmask_b32_e64 v14, v14, v17, s[2:3]
	v_mul_f32_e32 v17, 0x4f800000, v4
	v_cmp_gt_f32_e64 s[2:3], s12, v4
	v_mul_f32_e32 v16, 0x37800000, v14
	v_cndmask_b32_e32 v14, v14, v16, vcc
	v_cndmask_b32_e64 v4, v4, v17, s[2:3]
	v_sqrt_f32_e32 v17, v4
	v_cmp_class_f32_e32 vcc, v15, v11
	v_add_u32_e32 v18, 1, v17
	s_nop 0
	v_cndmask_b32_e32 v15, v14, v15, vcc
	v_add_u32_e32 v14, -1, v17
	v_fma_f32 v16, -v14, v17, v4
	v_cmp_ge_f32_e32 vcc, 0, v16
	v_fma_f32 v19, -v18, v17, v4
	v_mul_f32_e32 v16, 0x3fb8aa3b, v2
	v_cndmask_b32_e32 v14, v17, v14, vcc
	v_mul_f32_e32 v17, 0x3fb8aa3b, v20
	v_exp_f32_e32 v16, v16
	v_exp_f32_e32 v17, v17
	v_cmp_lt_f32_e32 vcc, 0, v19
	v_pk_add_f32 v[16:17], v[16:17], 1.0 op_sel_hi:[1,0]
	s_nop 0
	v_cndmask_b32_e32 v14, v14, v18, vcc
	v_mul_f32_e32 v18, 0x37800000, v14
	v_cmp_gt_f32_e32 vcc, s15, v17
	v_cndmask_b32_e64 v14, v14, v18, s[2:3]
	v_cmp_class_f32_e64 s[2:3], v4, v11
	v_cndmask_b32_e32 v18, 1.0, v7, vcc
	v_mul_f32_e32 v17, v17, v18
	v_log_f32_e32 v17, v17
	v_cndmask_b32_e64 v14, v14, v4, s[2:3]
	v_cmp_gt_f32_e64 s[2:3], s15, v16
	scratch_store_dwordx4 off, v[12:15], off
	v_mul_f32_e32 v4, 0x3f317217, v17
	v_fma_f32 v4, v17, s13, -v4
	v_cndmask_b32_e64 v12, 1.0, v7, s[2:3]
	v_mul_f32_e32 v12, v16, v12
	v_log_f32_e32 v12, v12
	v_fmac_f32_e32 v4, 0x3377d1cf, v17
	v_fmac_f32_e32 v4, 0x3f317217, v17
	v_cmp_lt_f32_e64 s[4:5], |v17|, s14
	v_cndmask_b32_e32 v13, 0, v9, vcc
	v_cmp_lt_f32_e64 vcc, |v12|, s14
	v_cndmask_b32_e64 v4, v17, v4, s[4:5]
	v_sub_f32_e32 v4, v4, v13
	v_mul_f32_e32 v13, 0x3f317217, v12
	v_fma_f32 v13, v12, s13, -v13
	v_fmac_f32_e32 v13, 0x3377d1cf, v12
	v_fmac_f32_e32 v13, 0x3f317217, v12
	v_cndmask_b32_e32 v12, v12, v13, vcc
	v_cmp_lt_f32_e32 vcc, s9, v20
	v_cndmask_b32_e64 v13, 0, v9, s[2:3]
	v_sub_f32_e32 v12, v12, v13
	v_cndmask_b32_e32 v4, v4, v20, vcc
	v_mul_f32_e32 v14, 0x4f800000, v4
	v_cmp_gt_f32_e32 vcc, s12, v4
	v_cmp_lt_f32_e64 s[2:3], s9, v2
	v_and_b32_e32 v16, 0xffff0000, v3
	v_cndmask_b32_e32 v4, v4, v14, vcc
	v_sqrt_f32_e32 v14, v4
	v_cndmask_b32_e64 v2, v12, v2, s[2:3]
	v_lshlrev_b32_e32 v17, 16, v3
	v_mul_f32_e32 v3, 0x3fb8aa3b, v16
	v_add_u32_e32 v12, -1, v14
	v_fma_f32 v13, -v12, v14, v4
	v_cmp_ge_f32_e64 s[2:3], 0, v13
	v_add_u32_e32 v13, 1, v14
	v_exp_f32_e32 v3, v3
	v_cndmask_b32_e64 v12, v14, v12, s[2:3]
	v_fma_f32 v14, -v13, v14, v4
	v_cmp_lt_f32_e64 s[2:3], 0, v14
	v_mul_f32_e32 v14, 0x4f800000, v2
	s_nop 0
	v_cndmask_b32_e64 v12, v12, v13, s[2:3]
	v_cmp_gt_f32_e64 s[2:3], s12, v2
	v_mul_f32_e32 v13, 0x37800000, v12
	v_cndmask_b32_e32 v12, v12, v13, vcc
	v_cndmask_b32_e64 v14, v2, v14, s[2:3]
	v_sqrt_f32_e32 v2, v14
	v_cmp_class_f32_e32 vcc, v4, v11
	s_nop 1
	v_cndmask_b32_e32 v13, v12, v4, vcc
	v_add_u32_e32 v4, -1, v2
	v_fma_f32 v12, -v4, v2, v14
	v_cmp_ge_f32_e32 vcc, 0, v12
	v_add_u32_e32 v12, 1, v2
	v_fma_f32 v15, -v12, v2, v14
	v_cndmask_b32_e32 v4, v2, v4, vcc
	v_mul_f32_e32 v2, 0x3fb8aa3b, v17
	v_exp_f32_e32 v2, v2
	v_cmp_lt_f32_e32 vcc, 0, v15
	v_pk_add_f32 v[2:3], v[2:3], 1.0 op_sel_hi:[1,0]
	s_nop 0
	v_cndmask_b32_e32 v4, v4, v12, vcc
	v_cmp_gt_f32_e32 vcc, s15, v3
	v_mul_f32_e32 v12, 0x37800000, v4
	v_cndmask_b32_e64 v4, v4, v12, s[2:3]
	v_cndmask_b32_e32 v15, 1.0, v7, vcc
	v_mul_f32_e32 v3, v3, v15
	v_log_f32_e32 v3, v3
	v_cmp_class_f32_e64 s[2:3], v14, v11
	v_cmp_lt_f32_e64 s[4:5], |v3|, s14
	s_nop 0
	v_cndmask_b32_e64 v12, v4, v14, s[2:3]
	v_cmp_gt_f32_e64 s[2:3], s15, v2
	v_mul_f32_e32 v4, 0x3f317217, v3
	v_fma_f32 v4, v3, s13, -v4
	v_cndmask_b32_e64 v7, 1.0, v7, s[2:3]
	v_mul_f32_e32 v2, v2, v7
	v_log_f32_e32 v2, v2
	v_fmac_f32_e32 v4, 0x3377d1cf, v3
	v_fmac_f32_e32 v4, 0x3f317217, v3
	v_cndmask_b32_e64 v3, v3, v4, s[4:5]
	v_cndmask_b32_e32 v4, 0, v9, vcc
	v_sub_f32_e32 v3, v3, v4
	v_mul_f32_e32 v4, 0x3f317217, v2
	v_fma_f32 v4, v2, s13, -v4
	v_fmac_f32_e32 v4, 0x3377d1cf, v2
	v_fmac_f32_e32 v4, 0x3f317217, v2
	v_cmp_lt_f32_e64 vcc, |v2|, s14
	s_cselect_b64 s[4:5], -1, 0
	s_cmp_lt_i32 s33, 1
	v_cndmask_b32_e32 v2, v2, v4, vcc
	v_cmp_lt_f32_e32 vcc, s9, v16
	v_cndmask_b32_e64 v4, 0, v9, s[2:3]
	v_sub_f32_e32 v2, v2, v4
	v_cndmask_b32_e32 v3, v3, v16, vcc
	v_mul_f32_e32 v7, 0x4f800000, v3
	v_cmp_gt_f32_e32 vcc, s12, v3
	v_cmp_lt_f32_e64 s[2:3], s9, v17
	s_nop 0
	v_cndmask_b32_e32 v3, v3, v7, vcc
	v_sqrt_f32_e32 v7, v3
	v_cndmask_b32_e64 v2, v2, v17, s[2:3]
	v_add_u32_e32 v4, -1, v7
	v_fma_f32 v9, -v4, v7, v3
	v_cmp_ge_f32_e64 s[2:3], 0, v9
	v_add_u32_e32 v9, 1, v7
	s_nop 0
	v_cndmask_b32_e64 v4, v7, v4, s[2:3]
	v_fma_f32 v7, -v9, v7, v3
	v_cmp_lt_f32_e64 s[2:3], 0, v7
	s_nop 1
	v_cndmask_b32_e64 v4, v4, v9, s[2:3]
	v_mul_f32_e32 v9, 0x4f800000, v2
	v_cmp_gt_f32_e64 s[2:3], s12, v2
	v_mul_f32_e32 v7, 0x37800000, v4
	v_cndmask_b32_e32 v4, v4, v7, vcc
	v_cndmask_b32_e64 v2, v2, v9, s[2:3]
	v_sqrt_f32_e32 v9, v2
	v_cmp_class_f32_e32 vcc, v3, v11
	s_nop 1
	v_cndmask_b32_e32 v15, v4, v3, vcc
	v_add_u32_e32 v3, -1, v9
	v_fma_f32 v4, -v3, v9, v2
	v_cmp_ge_f32_e32 vcc, 0, v4
	v_add_u32_e32 v4, 1, v9
	v_fma_f32 v7, -v4, v9, v2
	v_cndmask_b32_e32 v3, v9, v3, vcc
	v_cmp_lt_f32_e32 vcc, 0, v7
	s_nop 1
	v_cndmask_b32_e32 v3, v3, v4, vcc
	v_mul_f32_e32 v4, 0x37800000, v3
	v_cndmask_b32_e64 v3, v3, v4, s[2:3]
	v_cmp_class_f32_e32 vcc, v2, v11
	s_nop 1
	v_cndmask_b32_e32 v14, v3, v2, vcc
	v_lshl_add_u64 v[2:3], v[0:1], 2, s[10:11]
	v_mul_lo_u32 v0, v6, s33
	scratch_store_dwordx4 off, v[12:15], off offset:16
	s_cbranch_scc1 .LBB392_28
; %bb.2:
	s_load_dwordx2 s[6:7], s[0:1], 0x20
	s_cmp_lt_u32 s33, 4
	v_and_b32_e32 v4, 31, v8
	s_cbranch_scc1 .LBB392_21
; %bb.3:
	v_lshlrev_b32_e32 v5, 3, v4
	s_mov_b32 s11, 0
	s_and_b32 s8, s33, 0x7ffffffc
	v_ashrrev_i32_e32 v1, 31, v0
	v_sub_u32_e32 v11, 0, v5
	v_mov_b32_e32 v5, 0
	s_mov_b32 s10, s11
	s_branch .LBB392_5
.LBB392_4:                              ;   in Loop: Header=BB392_5 Depth=1
	s_or_b64 exec, exec, s[12:13]
	s_add_i32 s10, s10, 4
	s_cmp_eq_u32 s10, s8
	s_cbranch_scc1 .LBB392_21
.LBB392_5:                              ; =>This Loop Header: Depth=1
                                        ;     Child Loop BB392_7 Depth 2
                                        ;     Child Loop BB392_11 Depth 2
	;; [unrolled: 1-line block ×4, first 2 shown]
	v_lshl_add_u64 v[6:7], s[10:11], 2, v[2:3]
	global_load_dword v12, v[6:7], off
	v_add_u32_e32 v8, s10, v0
	v_ashrrev_i32_e32 v9, 31, v8
	v_mov_b32_e32 v13, 0
	s_mov_b64 s[12:13], 0
	s_waitcnt lgkmcnt(0)
	v_lshl_add_u64 v[8:9], v[8:9], 2, s[6:7]
	s_mov_b32 s9, 0
	s_waitcnt vmcnt(0)
	v_add_u32_e32 v14, v11, v12
	s_branch .LBB392_7
.LBB392_6:                              ;   in Loop: Header=BB392_7 Depth=2
	s_or_b64 exec, exec, s[14:15]
	s_add_i32 s16, s9, 1
	s_cmp_gt_u32 s9, 6
	s_cselect_b64 s[2:3], -1, 0
	s_xor_b64 s[14:15], vcc, -1
	s_or_b64 s[2:3], s[14:15], s[2:3]
	s_and_b64 s[2:3], exec, s[2:3]
	v_add_u32_e32 v13, 4, v13
	s_or_b64 s[12:13], s[2:3], s[12:13]
	s_mov_b32 s9, s16
	s_andn2_b64 exec, exec, s[12:13]
	s_cbranch_execz .LBB392_9
.LBB392_7:                              ;   Parent Loop BB392_5 Depth=1
                                        ; =>  This Inner Loop Header: Depth=2
	v_cmp_ne_u32_e32 vcc, s9, v14
	v_cmp_eq_u32_e64 s[2:3], s9, v14
	s_and_saveexec_b64 s[14:15], s[2:3]
	s_cbranch_execz .LBB392_6
; %bb.8:                                ;   in Loop: Header=BB392_7 Depth=2
	scratch_load_dword v15, v13, off
	s_waitcnt vmcnt(0)
	v_add_f32_e32 v5, v5, v15
	global_store_dword v[8:9], v12, off
	s_branch .LBB392_6
.LBB392_9:                              ;   in Loop: Header=BB392_5 Depth=1
	s_or_b64 exec, exec, s[12:13]
	global_load_dword v12, v[6:7], off offset:4
	s_ashr_i32 s3, s10, 31
	s_mov_b32 s2, s10
	v_lshl_add_u64 v[8:9], s[2:3], 0, v[0:1]
	v_mov_b32_e32 v13, 0
	s_mov_b32 s9, 0
	v_lshl_add_u64 v[8:9], v[8:9], 2, s[6:7]
	s_mov_b64 s[12:13], 0
	s_waitcnt vmcnt(0)
	v_add_u32_e32 v14, v11, v12
	s_branch .LBB392_11
.LBB392_10:                             ;   in Loop: Header=BB392_11 Depth=2
	s_or_b64 exec, exec, s[14:15]
	s_add_i32 s16, s9, 1
	s_cmp_gt_u32 s9, 6
	s_cselect_b64 s[2:3], -1, 0
	s_xor_b64 s[14:15], vcc, -1
	s_or_b64 s[2:3], s[14:15], s[2:3]
	s_and_b64 s[2:3], exec, s[2:3]
	v_add_u32_e32 v13, 4, v13
	s_or_b64 s[12:13], s[2:3], s[12:13]
	s_mov_b32 s9, s16
	s_andn2_b64 exec, exec, s[12:13]
	s_cbranch_execz .LBB392_13
.LBB392_11:                             ;   Parent Loop BB392_5 Depth=1
                                        ; =>  This Inner Loop Header: Depth=2
	v_cmp_ne_u32_e32 vcc, s9, v14
	v_cmp_eq_u32_e64 s[2:3], s9, v14
	s_and_saveexec_b64 s[14:15], s[2:3]
	s_cbranch_execz .LBB392_10
; %bb.12:                               ;   in Loop: Header=BB392_11 Depth=2
	scratch_load_dword v15, v13, off
	s_waitcnt vmcnt(0)
	v_add_f32_e32 v5, v5, v15
	global_store_dword v[8:9], v12, off offset:4
	s_branch .LBB392_10
.LBB392_13:                             ;   in Loop: Header=BB392_5 Depth=1
	s_or_b64 exec, exec, s[12:13]
	global_load_dword v12, v[6:7], off offset:8
	v_mov_b32_e32 v13, 0
	s_mov_b32 s9, 0
	s_mov_b64 s[12:13], 0
	s_waitcnt vmcnt(0)
	v_add_u32_e32 v14, v11, v12
	s_branch .LBB392_15
.LBB392_14:                             ;   in Loop: Header=BB392_15 Depth=2
	s_or_b64 exec, exec, s[14:15]
	s_add_i32 s16, s9, 1
	s_cmp_gt_u32 s9, 6
	s_cselect_b64 s[2:3], -1, 0
	s_xor_b64 s[14:15], vcc, -1
	s_or_b64 s[2:3], s[14:15], s[2:3]
	s_and_b64 s[2:3], exec, s[2:3]
	v_add_u32_e32 v13, 4, v13
	s_or_b64 s[12:13], s[2:3], s[12:13]
	s_mov_b32 s9, s16
	s_andn2_b64 exec, exec, s[12:13]
	s_cbranch_execz .LBB392_17
.LBB392_15:                             ;   Parent Loop BB392_5 Depth=1
                                        ; =>  This Inner Loop Header: Depth=2
	v_cmp_ne_u32_e32 vcc, s9, v14
	v_cmp_eq_u32_e64 s[2:3], s9, v14
	s_and_saveexec_b64 s[14:15], s[2:3]
	s_cbranch_execz .LBB392_14
; %bb.16:                               ;   in Loop: Header=BB392_15 Depth=2
	scratch_load_dword v15, v13, off
	s_waitcnt vmcnt(0)
	v_add_f32_e32 v5, v5, v15
	global_store_dword v[8:9], v12, off offset:8
	s_branch .LBB392_14
.LBB392_17:                             ;   in Loop: Header=BB392_5 Depth=1
	s_or_b64 exec, exec, s[12:13]
	global_load_dword v6, v[6:7], off offset:12
	v_mov_b32_e32 v7, 0
	s_mov_b32 s9, 0
	s_mov_b64 s[12:13], 0
	s_waitcnt vmcnt(0)
	v_add_u32_e32 v12, v11, v6
	s_branch .LBB392_19
.LBB392_18:                             ;   in Loop: Header=BB392_19 Depth=2
	s_or_b64 exec, exec, s[14:15]
	s_add_i32 s16, s9, 1
	s_cmp_gt_u32 s9, 6
	s_cselect_b64 s[2:3], -1, 0
	s_xor_b64 s[14:15], vcc, -1
	s_or_b64 s[2:3], s[14:15], s[2:3]
	s_and_b64 s[2:3], exec, s[2:3]
	v_add_u32_e32 v7, 4, v7
	s_or_b64 s[12:13], s[2:3], s[12:13]
	s_mov_b32 s9, s16
	s_andn2_b64 exec, exec, s[12:13]
	s_cbranch_execz .LBB392_4
.LBB392_19:                             ;   Parent Loop BB392_5 Depth=1
                                        ; =>  This Inner Loop Header: Depth=2
	v_cmp_ne_u32_e32 vcc, s9, v12
	v_cmp_eq_u32_e64 s[2:3], s9, v12
	s_and_saveexec_b64 s[14:15], s[2:3]
	s_cbranch_execz .LBB392_18
; %bb.20:                               ;   in Loop: Header=BB392_19 Depth=2
	scratch_load_dword v13, v7, off
	s_waitcnt vmcnt(0)
	v_add_f32_e32 v5, v5, v13
	global_store_dword v[8:9], v6, off offset:12
	s_branch .LBB392_18
.LBB392_21:
	s_and_b32 s14, s33, 3
	s_cmp_eq_u32 s14, 0
	s_mov_b32 s9, 0
	s_cbranch_scc1 .LBB392_28
; %bb.22:
	v_lshlrev_b32_e32 v1, 3, v4
	v_sub_u32_e32 v1, 0, v1
	s_mov_b32 s15, s9
	s_branch .LBB392_24
.LBB392_23:                             ;   in Loop: Header=BB392_24 Depth=1
	s_or_b64 exec, exec, s[10:11]
	s_add_i32 s8, s8, 1
	s_add_i32 s15, s15, 1
	s_cmp_lg_u32 s15, s14
	s_cbranch_scc0 .LBB392_28
.LBB392_24:                             ; =>This Loop Header: Depth=1
                                        ;     Child Loop BB392_26 Depth 2
	v_lshl_add_u64 v[6:7], s[8:9], 2, v[2:3]
	global_load_dword v4, v[6:7], off
	v_add_u32_e32 v6, s8, v0
	v_ashrrev_i32_e32 v7, 31, v6
	v_mov_b32_e32 v8, 0
	s_mov_b32 s16, 0
	s_waitcnt lgkmcnt(0)
	v_lshl_add_u64 v[6:7], v[6:7], 2, s[6:7]
	s_mov_b64 s[10:11], 0
	s_waitcnt vmcnt(0)
	v_add_u32_e32 v9, v1, v4
	s_branch .LBB392_26
.LBB392_25:                             ;   in Loop: Header=BB392_26 Depth=2
	s_or_b64 exec, exec, s[12:13]
	s_add_i32 s17, s16, 1
	s_cmp_gt_u32 s16, 6
	s_cselect_b64 s[2:3], -1, 0
	s_xor_b64 s[12:13], vcc, -1
	s_or_b64 s[2:3], s[12:13], s[2:3]
	s_and_b64 s[2:3], exec, s[2:3]
	v_add_u32_e32 v8, 4, v8
	s_or_b64 s[10:11], s[2:3], s[10:11]
	s_mov_b32 s16, s17
	s_andn2_b64 exec, exec, s[10:11]
	s_cbranch_execz .LBB392_23
.LBB392_26:                             ;   Parent Loop BB392_24 Depth=1
                                        ; =>  This Inner Loop Header: Depth=2
	v_cmp_ne_u32_e32 vcc, s16, v9
	v_cmp_eq_u32_e64 s[2:3], s16, v9
	s_and_saveexec_b64 s[12:13], s[2:3]
	s_cbranch_execz .LBB392_25
; %bb.27:                               ;   in Loop: Header=BB392_26 Depth=2
	scratch_load_dword v11, v8, off
	s_waitcnt vmcnt(0)
	v_add_f32_e32 v5, v5, v11
	global_store_dword v[6:7], v4, off
	s_branch .LBB392_25
.LBB392_28:
	s_waitcnt lgkmcnt(0)
	s_load_dword s6, s[0:1], 0x3c
	s_waitcnt lgkmcnt(0)
	s_bitcmp1_b32 s6, 0
	s_cselect_b64 s[2:3], -1, 0
	s_bitcmp0_b32 s6, 0
	s_cbranch_scc0 .LBB392_32
; %bb.29:
	s_load_dwordx2 s[6:7], s[0:1], 0x40
	s_andn2_b64 vcc, exec, s[2:3]
	s_waitcnt lgkmcnt(0)
	v_cvt_f32_f64_e32 v8, s[6:7]
	s_cbranch_vccz .LBB392_33
.LBB392_30:
	s_andn2_b64 vcc, exec, s[4:5]
	s_cbranch_vccz .LBB392_34
.LBB392_31:
	s_endpgm
.LBB392_32:
	v_mbcnt_lo_u32_b32 v1, -1, 0
	v_mbcnt_hi_u32_b32 v1, -1, v1
	v_and_b32_e32 v4, 0x60, v1
	v_add_u32_e32 v4, 32, v4
	v_xor_b32_e32 v6, 16, v1
	v_cmp_lt_i32_e32 vcc, v6, v4
	v_xor_b32_e32 v7, 8, v1
	s_nop 0
	v_cndmask_b32_e32 v6, v1, v6, vcc
	v_lshlrev_b32_e32 v6, 2, v6
	ds_bpermute_b32 v6, v6, v5
	v_cmp_lt_i32_e32 vcc, v7, v4
	s_waitcnt lgkmcnt(0)
	v_add_f32_e32 v5, v5, v6
	v_cndmask_b32_e32 v6, v1, v7, vcc
	v_lshlrev_b32_e32 v6, 2, v6
	ds_bpermute_b32 v6, v6, v5
	v_xor_b32_e32 v7, 4, v1
	v_cmp_lt_i32_e32 vcc, v7, v4
	s_waitcnt lgkmcnt(0)
	v_add_f32_e32 v5, v5, v6
	v_cndmask_b32_e32 v6, v1, v7, vcc
	v_lshlrev_b32_e32 v6, 2, v6
	ds_bpermute_b32 v6, v6, v5
	v_xor_b32_e32 v7, 2, v1
	;; [unrolled: 7-line block ×3, first 2 shown]
	v_cmp_lt_i32_e32 vcc, v7, v4
	s_waitcnt lgkmcnt(0)
	v_add_f32_e32 v5, v5, v6
	v_cndmask_b32_e32 v1, v1, v7, vcc
	v_lshlrev_b32_e32 v1, 2, v1
	ds_bpermute_b32 v1, v1, v5
	s_waitcnt lgkmcnt(0)
	v_add_f32_e32 v5, v5, v1
	s_load_dwordx2 s[6:7], s[0:1], 0x40
	s_andn2_b64 vcc, exec, s[2:3]
	s_waitcnt lgkmcnt(0)
	v_cvt_f32_f64_e32 v8, s[6:7]
	s_cbranch_vccnz .LBB392_30
.LBB392_33:
	v_cmp_lt_f32_e32 vcc, 0, v5
	s_nop 1
	v_cndmask_b32_e32 v1, 1.0, v5, vcc
	v_div_scale_f32 v4, s[2:3], v1, v1, v8
	v_rcp_f32_e32 v5, v4
	s_nop 0
	v_fma_f32 v6, -v4, v5, 1.0
	v_fmac_f32_e32 v5, v6, v5
	v_div_scale_f32 v6, vcc, v8, v1, v8
	v_mul_f32_e32 v7, v6, v5
	v_fma_f32 v9, -v4, v7, v6
	v_fmac_f32_e32 v7, v9, v5
	v_fma_f32 v4, -v4, v7, v6
	v_div_fmas_f32 v4, v4, v5, v7
	v_div_fixup_f32 v8, v4, v1, v8
	s_andn2_b64 vcc, exec, s[4:5]
	s_cbranch_vccnz .LBB392_31
.LBB392_34:
	s_load_dwordx2 s[12:13], s[0:1], 0x10
	v_mov_b32_e32 v1, 0
	v_or_b32_e32 v20, 4, v1
	v_or_b32_e32 v18, 8, v1
	;; [unrolled: 1-line block ×3, first 2 shown]
	v_add_u32_e32 v14, 16, v1
	v_add_u32_e32 v12, 20, v1
	;; [unrolled: 1-line block ×4, first 2 shown]
	v_or_b32_e32 v23, 1, v10
	v_or_b32_e32 v22, 2, v10
	;; [unrolled: 1-line block ×7, first 2 shown]
	s_cmp_eq_u32 s33, 1
	s_mov_b32 s14, 0
	s_cbranch_scc1 .LBB392_69
; %bb.35:
	v_ashrrev_i32_e32 v1, 31, v0
	s_waitcnt lgkmcnt(0)
	v_lshl_add_u64 v[4:5], v[0:1], 2, s[12:13]
	s_and_b32 s14, s33, 0x7ffffffe
	v_lshl_add_u64 v[4:5], v[4:5], 0, 4
	v_lshl_add_u64 v[6:7], v[2:3], 0, 4
	s_mov_b32 s15, 0
	s_branch .LBB392_37
.LBB392_36:                             ;   in Loop: Header=BB392_37 Depth=1
	s_or_b64 exec, exec, s[0:1]
	s_add_i32 s15, s15, 2
	v_lshl_add_u64 v[4:5], v[4:5], 0, 8
	s_cmp_eq_u32 s14, s15
	v_lshl_add_u64 v[6:7], v[6:7], 0, 8
	s_cbranch_scc1 .LBB392_69
.LBB392_37:                             ; =>This Inner Loop Header: Depth=1
	global_load_dword v24, v[6:7], off offset:-4
	v_mov_b32_e32 v1, 0
	s_waitcnt vmcnt(0)
	v_cmp_eq_u32_e32 vcc, v24, v10
	v_cmp_ne_u32_e64 s[0:1], v24, v10
	s_and_saveexec_b64 s[16:17], s[0:1]
	s_cbranch_execz .LBB392_51
; %bb.38:                               ;   in Loop: Header=BB392_37 Depth=1
	v_cmp_eq_u32_e64 s[0:1], v24, v23
	v_cmp_ne_u32_e64 s[2:3], v24, v23
	v_mov_b32_e32 v1, v20
	s_and_saveexec_b64 s[18:19], s[2:3]
	s_cbranch_execz .LBB392_50
; %bb.39:                               ;   in Loop: Header=BB392_37 Depth=1
	v_cmp_eq_u32_e64 s[2:3], v24, v22
	v_cmp_ne_u32_e64 s[4:5], v24, v22
	v_mov_b32_e32 v1, v18
	;; [unrolled: 6-line block ×6, first 2 shown]
	s_and_saveexec_b64 s[30:31], s[10:11]
	s_xor_b64 s[30:31], exec, s[30:31]
; %bb.44:                               ;   in Loop: Header=BB392_37 Depth=1
	v_cmp_eq_u32_e64 s[10:11], v24, v13
	s_andn2_b64 s[28:29], s[28:29], exec
	s_and_b64 s[10:11], s[10:11], exec
	s_or_b64 s[28:29], s[28:29], s[10:11]
	v_mov_b32_e32 v1, v11
; %bb.45:                               ;   in Loop: Header=BB392_37 Depth=1
	s_or_b64 exec, exec, s[30:31]
	s_andn2_b64 s[8:9], s[8:9], exec
	s_and_b64 s[10:11], s[28:29], exec
	s_or_b64 s[8:9], s[8:9], s[10:11]
.LBB392_46:                             ;   in Loop: Header=BB392_37 Depth=1
	s_or_b64 exec, exec, s[26:27]
	s_andn2_b64 s[6:7], s[6:7], exec
	s_and_b64 s[8:9], s[8:9], exec
	s_or_b64 s[6:7], s[6:7], s[8:9]
.LBB392_47:                             ;   in Loop: Header=BB392_37 Depth=1
	s_or_b64 exec, exec, s[24:25]
	s_andn2_b64 s[4:5], s[4:5], exec
	s_and_b64 s[6:7], s[6:7], exec
	s_or_b64 s[4:5], s[4:5], s[6:7]
.LBB392_48:                             ;   in Loop: Header=BB392_37 Depth=1
	s_or_b64 exec, exec, s[22:23]
	s_andn2_b64 s[2:3], s[2:3], exec
	s_and_b64 s[4:5], s[4:5], exec
	s_or_b64 s[2:3], s[2:3], s[4:5]
.LBB392_49:                             ;   in Loop: Header=BB392_37 Depth=1
	s_or_b64 exec, exec, s[20:21]
	s_andn2_b64 s[0:1], s[0:1], exec
	s_and_b64 s[2:3], s[2:3], exec
	s_or_b64 s[0:1], s[0:1], s[2:3]
.LBB392_50:                             ;   in Loop: Header=BB392_37 Depth=1
	s_or_b64 exec, exec, s[18:19]
	s_andn2_b64 s[2:3], vcc, exec
	s_and_b64 s[0:1], s[0:1], exec
	s_or_b64 vcc, s[2:3], s[0:1]
.LBB392_51:                             ;   in Loop: Header=BB392_37 Depth=1
	s_or_b64 exec, exec, s[16:17]
	s_and_saveexec_b64 s[0:1], vcc
	s_cbranch_execz .LBB392_53
; %bb.52:                               ;   in Loop: Header=BB392_37 Depth=1
	scratch_load_dword v1, v1, off
	v_add_u32_e32 v24, s15, v0
	v_ashrrev_i32_e32 v25, 31, v24
	v_lshl_add_u64 v[24:25], v[24:25], 2, s[12:13]
	s_waitcnt vmcnt(0)
	v_mul_f32_e32 v1, v8, v1
	global_store_dword v[24:25], v1, off
.LBB392_53:                             ;   in Loop: Header=BB392_37 Depth=1
	s_or_b64 exec, exec, s[0:1]
	global_load_dword v24, v[6:7], off
	v_mov_b32_e32 v1, 0
	s_waitcnt vmcnt(0)
	v_cmp_eq_u32_e64 s[8:9], v24, v10
	v_cmp_ne_u32_e32 vcc, v24, v10
	s_and_saveexec_b64 s[10:11], vcc
	s_cbranch_execz .LBB392_67
; %bb.54:                               ;   in Loop: Header=BB392_37 Depth=1
	v_cmp_eq_u32_e32 vcc, v24, v23
	v_cmp_ne_u32_e64 s[0:1], v24, v23
	v_mov_b32_e32 v1, v20
	s_and_saveexec_b64 s[16:17], s[0:1]
	s_cbranch_execz .LBB392_66
; %bb.55:                               ;   in Loop: Header=BB392_37 Depth=1
	v_cmp_eq_u32_e64 s[0:1], v24, v22
	v_cmp_ne_u32_e64 s[2:3], v24, v22
	v_mov_b32_e32 v1, v18
	s_and_saveexec_b64 s[18:19], s[2:3]
	s_cbranch_execz .LBB392_65
; %bb.56:                               ;   in Loop: Header=BB392_37 Depth=1
	v_cmp_eq_u32_e64 s[2:3], v24, v21
	;; [unrolled: 6-line block ×5, first 2 shown]
	v_cmp_ne_u32_e64 s[6:7], v24, v15
	v_mov_b32_e32 v1, v9
	s_and_saveexec_b64 s[30:31], s[6:7]
; %bb.60:                               ;   in Loop: Header=BB392_37 Depth=1
	v_cmp_eq_u32_e64 s[6:7], v24, v13
	s_andn2_b64 s[28:29], s[28:29], exec
	s_and_b64 s[6:7], s[6:7], exec
	s_or_b64 s[28:29], s[28:29], s[6:7]
	v_mov_b32_e32 v1, v11
; %bb.61:                               ;   in Loop: Header=BB392_37 Depth=1
	s_or_b64 exec, exec, s[30:31]
	s_andn2_b64 s[6:7], s[24:25], exec
	s_and_b64 s[24:25], s[28:29], exec
	s_or_b64 s[24:25], s[6:7], s[24:25]
.LBB392_62:                             ;   in Loop: Header=BB392_37 Depth=1
	s_or_b64 exec, exec, s[26:27]
	s_andn2_b64 s[4:5], s[4:5], exec
	s_and_b64 s[6:7], s[24:25], exec
	s_or_b64 s[4:5], s[4:5], s[6:7]
.LBB392_63:                             ;   in Loop: Header=BB392_37 Depth=1
	s_or_b64 exec, exec, s[22:23]
	s_andn2_b64 s[2:3], s[2:3], exec
	s_and_b64 s[4:5], s[4:5], exec
	s_or_b64 s[2:3], s[2:3], s[4:5]
.LBB392_64:                             ;   in Loop: Header=BB392_37 Depth=1
	s_or_b64 exec, exec, s[20:21]
	s_andn2_b64 s[0:1], s[0:1], exec
	s_and_b64 s[2:3], s[2:3], exec
	s_or_b64 s[0:1], s[0:1], s[2:3]
.LBB392_65:                             ;   in Loop: Header=BB392_37 Depth=1
	s_or_b64 exec, exec, s[18:19]
	s_andn2_b64 s[2:3], vcc, exec
	s_and_b64 s[0:1], s[0:1], exec
	s_or_b64 vcc, s[2:3], s[0:1]
.LBB392_66:                             ;   in Loop: Header=BB392_37 Depth=1
	s_or_b64 exec, exec, s[16:17]
	s_andn2_b64 s[0:1], s[8:9], exec
	s_and_b64 s[2:3], vcc, exec
	s_or_b64 s[8:9], s[0:1], s[2:3]
.LBB392_67:                             ;   in Loop: Header=BB392_37 Depth=1
	s_or_b64 exec, exec, s[10:11]
	s_and_saveexec_b64 s[0:1], s[8:9]
	s_cbranch_execz .LBB392_36
; %bb.68:                               ;   in Loop: Header=BB392_37 Depth=1
	scratch_load_dword v1, v1, off
	s_waitcnt vmcnt(0)
	v_mul_f32_e32 v1, v8, v1
	global_store_dword v[4:5], v1, off
	s_branch .LBB392_36
.LBB392_69:
	s_bitcmp0_b32 s33, 0
	s_mov_b32 s15, 0
	s_cbranch_scc1 .LBB392_31
; %bb.70:
	v_lshl_add_u64 v[2:3], s[14:15], 2, v[2:3]
	global_load_dword v1, v[2:3], off
	v_mov_b32_e32 v2, 0
	s_waitcnt vmcnt(0)
	v_cmp_eq_u32_e64 s[8:9], v1, v10
	v_cmp_ne_u32_e32 vcc, v1, v10
	s_and_saveexec_b64 s[10:11], vcc
	s_cbranch_execz .LBB392_84
; %bb.71:
	v_cmp_eq_u32_e32 vcc, v1, v23
	v_cmp_ne_u32_e64 s[0:1], v1, v23
	s_and_saveexec_b64 s[16:17], s[0:1]
	s_cbranch_execz .LBB392_83
; %bb.72:
	v_cmp_eq_u32_e64 s[0:1], v1, v22
	v_cmp_ne_u32_e64 s[2:3], v1, v22
	s_and_saveexec_b64 s[18:19], s[2:3]
	s_cbranch_execz .LBB392_82
; %bb.73:
	v_cmp_eq_u32_e64 s[2:3], v1, v21
	;; [unrolled: 5-line block ×5, first 2 shown]
	v_cmp_ne_u32_e64 s[6:7], v1, v15
	s_and_saveexec_b64 s[30:31], s[6:7]
; %bb.77:
	v_cmp_eq_u32_e64 s[6:7], v1, v13
	s_andn2_b64 s[28:29], s[28:29], exec
	s_and_b64 s[6:7], s[6:7], exec
	s_or_b64 s[28:29], s[28:29], s[6:7]
	v_mov_b32_e32 v9, v11
; %bb.78:
	s_or_b64 exec, exec, s[30:31]
	s_andn2_b64 s[6:7], s[24:25], exec
	s_and_b64 s[24:25], s[28:29], exec
	s_or_b64 s[24:25], s[6:7], s[24:25]
	v_mov_b32_e32 v12, v9
.LBB392_79:
	s_or_b64 exec, exec, s[26:27]
	s_andn2_b64 s[4:5], s[4:5], exec
	s_and_b64 s[6:7], s[24:25], exec
	s_or_b64 s[4:5], s[4:5], s[6:7]
	v_mov_b32_e32 v14, v12
.LBB392_80:
	s_or_b64 exec, exec, s[22:23]
	s_andn2_b64 s[2:3], s[2:3], exec
	s_and_b64 s[4:5], s[4:5], exec
	s_or_b64 s[2:3], s[2:3], s[4:5]
	v_mov_b32_e32 v16, v14
.LBB392_81:
	s_or_b64 exec, exec, s[20:21]
	s_andn2_b64 s[0:1], s[0:1], exec
	s_and_b64 s[2:3], s[2:3], exec
	s_or_b64 s[0:1], s[0:1], s[2:3]
	v_mov_b32_e32 v18, v16
.LBB392_82:
	s_or_b64 exec, exec, s[18:19]
	s_andn2_b64 s[2:3], vcc, exec
	s_and_b64 s[0:1], s[0:1], exec
	s_or_b64 vcc, s[2:3], s[0:1]
	v_mov_b32_e32 v20, v18
.LBB392_83:
	s_or_b64 exec, exec, s[16:17]
	s_andn2_b64 s[0:1], s[8:9], exec
	s_and_b64 s[2:3], vcc, exec
	s_or_b64 s[8:9], s[0:1], s[2:3]
	v_mov_b32_e32 v2, v20
.LBB392_84:
	s_or_b64 exec, exec, s[10:11]
	s_and_b64 exec, exec, s[8:9]
	s_cbranch_execz .LBB392_31
; %bb.85:
	scratch_load_dword v2, v2, off
	v_add_u32_e32 v0, s14, v0
	v_ashrrev_i32_e32 v1, 31, v0
	s_waitcnt lgkmcnt(0)
	v_lshl_add_u64 v[0:1], v[0:1], 2, s[12:13]
	s_waitcnt vmcnt(0)
	v_mul_f32_e32 v2, v8, v2
	global_store_dword v[0:1], v2, off
	s_endpgm
	.section	.rodata,"a",@progbits
	.p2align	6, 0x0
	.amdhsa_kernel _ZN4vllm3moe22topkGatingSoftplusSqrtILi8ELi256ELi4ELi16ELi64ELb1Ei14__hip_bfloat16EEvPKT6_PKbPfiPT5_PiiiibdPKfPKS9_SF_
		.amdhsa_group_segment_fixed_size 0
		.amdhsa_private_segment_fixed_size 48
		.amdhsa_kernarg_size 96
		.amdhsa_user_sgpr_count 2
		.amdhsa_user_sgpr_dispatch_ptr 0
		.amdhsa_user_sgpr_queue_ptr 0
		.amdhsa_user_sgpr_kernarg_segment_ptr 1
		.amdhsa_user_sgpr_dispatch_id 0
		.amdhsa_user_sgpr_kernarg_preload_length 0
		.amdhsa_user_sgpr_kernarg_preload_offset 0
		.amdhsa_user_sgpr_private_segment_size 0
		.amdhsa_uses_dynamic_stack 0
		.amdhsa_enable_private_segment 1
		.amdhsa_system_sgpr_workgroup_id_x 1
		.amdhsa_system_sgpr_workgroup_id_y 0
		.amdhsa_system_sgpr_workgroup_id_z 0
		.amdhsa_system_sgpr_workgroup_info 0
		.amdhsa_system_vgpr_workitem_id 1
		.amdhsa_next_free_vgpr 28
		.amdhsa_next_free_sgpr 34
		.amdhsa_accum_offset 28
		.amdhsa_reserve_vcc 1
		.amdhsa_float_round_mode_32 0
		.amdhsa_float_round_mode_16_64 0
		.amdhsa_float_denorm_mode_32 3
		.amdhsa_float_denorm_mode_16_64 3
		.amdhsa_dx10_clamp 1
		.amdhsa_ieee_mode 1
		.amdhsa_fp16_overflow 0
		.amdhsa_tg_split 0
		.amdhsa_exception_fp_ieee_invalid_op 0
		.amdhsa_exception_fp_denorm_src 0
		.amdhsa_exception_fp_ieee_div_zero 0
		.amdhsa_exception_fp_ieee_overflow 0
		.amdhsa_exception_fp_ieee_underflow 0
		.amdhsa_exception_fp_ieee_inexact 0
		.amdhsa_exception_int_div_zero 0
	.end_amdhsa_kernel
	.section	.text._ZN4vllm3moe22topkGatingSoftplusSqrtILi8ELi256ELi4ELi16ELi64ELb1Ei14__hip_bfloat16EEvPKT6_PKbPfiPT5_PiiiibdPKfPKS9_SF_,"axG",@progbits,_ZN4vllm3moe22topkGatingSoftplusSqrtILi8ELi256ELi4ELi16ELi64ELb1Ei14__hip_bfloat16EEvPKT6_PKbPfiPT5_PiiiibdPKfPKS9_SF_,comdat
.Lfunc_end392:
	.size	_ZN4vllm3moe22topkGatingSoftplusSqrtILi8ELi256ELi4ELi16ELi64ELb1Ei14__hip_bfloat16EEvPKT6_PKbPfiPT5_PiiiibdPKfPKS9_SF_, .Lfunc_end392-_ZN4vllm3moe22topkGatingSoftplusSqrtILi8ELi256ELi4ELi16ELi64ELb1Ei14__hip_bfloat16EEvPKT6_PKbPfiPT5_PiiiibdPKfPKS9_SF_
                                        ; -- End function
	.section	.AMDGPU.csdata,"",@progbits
; Kernel info:
; codeLenInByte = 4564
; NumSgprs: 40
; NumVgprs: 28
; NumAgprs: 0
; TotalNumVgprs: 28
; ScratchSize: 48
; MemoryBound: 0
; FloatMode: 240
; IeeeMode: 1
; LDSByteSize: 0 bytes/workgroup (compile time only)
; SGPRBlocks: 4
; VGPRBlocks: 3
; NumSGPRsForWavesPerEU: 40
; NumVGPRsForWavesPerEU: 28
; AccumOffset: 28
; Occupancy: 8
; WaveLimiterHint : 1
; COMPUTE_PGM_RSRC2:SCRATCH_EN: 1
; COMPUTE_PGM_RSRC2:USER_SGPR: 2
; COMPUTE_PGM_RSRC2:TRAP_HANDLER: 0
; COMPUTE_PGM_RSRC2:TGID_X_EN: 1
; COMPUTE_PGM_RSRC2:TGID_Y_EN: 0
; COMPUTE_PGM_RSRC2:TGID_Z_EN: 0
; COMPUTE_PGM_RSRC2:TIDIG_COMP_CNT: 1
; COMPUTE_PGM_RSRC3_GFX90A:ACCUM_OFFSET: 6
; COMPUTE_PGM_RSRC3_GFX90A:TG_SPLIT: 0
	.section	.text._ZN4vllm3moe22topkGatingSoftplusSqrtILi8ELi256ELi4ELi16ELi64ELb0Ei14__hip_bfloat16EEvPKT6_PKbPfiPT5_PiiiibdPKfPKS9_SF_,"axG",@progbits,_ZN4vllm3moe22topkGatingSoftplusSqrtILi8ELi256ELi4ELi16ELi64ELb0Ei14__hip_bfloat16EEvPKT6_PKbPfiPT5_PiiiibdPKfPKS9_SF_,comdat
	.protected	_ZN4vllm3moe22topkGatingSoftplusSqrtILi8ELi256ELi4ELi16ELi64ELb0Ei14__hip_bfloat16EEvPKT6_PKbPfiPT5_PiiiibdPKfPKS9_SF_ ; -- Begin function _ZN4vllm3moe22topkGatingSoftplusSqrtILi8ELi256ELi4ELi16ELi64ELb0Ei14__hip_bfloat16EEvPKT6_PKbPfiPT5_PiiiibdPKfPKS9_SF_
	.globl	_ZN4vllm3moe22topkGatingSoftplusSqrtILi8ELi256ELi4ELi16ELi64ELb0Ei14__hip_bfloat16EEvPKT6_PKbPfiPT5_PiiiibdPKfPKS9_SF_
	.p2align	8
	.type	_ZN4vllm3moe22topkGatingSoftplusSqrtILi8ELi256ELi4ELi16ELi64ELb0Ei14__hip_bfloat16EEvPKT6_PKbPfiPT5_PiiiibdPKfPKS9_SF_,@function
_ZN4vllm3moe22topkGatingSoftplusSqrtILi8ELi256ELi4ELi16ELi64ELb0Ei14__hip_bfloat16EEvPKT6_PKbPfiPT5_PiiiibdPKfPKS9_SF_: ; @_ZN4vllm3moe22topkGatingSoftplusSqrtILi8ELi256ELi4ELi16ELi64ELb0Ei14__hip_bfloat16EEvPKT6_PKbPfiPT5_PiiiibdPKfPKS9_SF_
; %bb.0:
	s_load_dword s33, s[0:1], 0x18
	v_bfe_u32 v1, v0, 10, 10
	v_and_b32_e32 v0, 0x3ff, v0
	s_lshl_b32 s2, s2, 3
	v_lshlrev_b32_e32 v1, 1, v1
	v_lshrrev_b32_e32 v2, 5, v0
	v_add3_u32 v8, s2, v1, v2
	s_waitcnt lgkmcnt(0)
	v_cmp_gt_i32_e32 vcc, s33, v8
	s_and_saveexec_b64 s[2:3], vcc
	s_cbranch_execz .LBB393_65
; %bb.1:
	s_load_dwordx4 s[4:7], s[0:1], 0x0
	s_load_dwordx2 s[34:35], s[0:1], 0x10
	s_waitcnt lgkmcnt(0)
	s_cmp_eq_u64 s[6:7], 0
	s_cbranch_scc1 .LBB393_3
; %bb.2:
	v_ashrrev_i32_e32 v9, 31, v8
	v_lshl_add_u64 v[2:3], s[6:7], 0, v[8:9]
	global_load_ubyte v1, v[2:3], off
	s_waitcnt vmcnt(0)
	v_and_b32_e32 v1, 1, v1
	v_cmp_eq_u32_e32 vcc, 1, v1
	s_xor_b64 s[2:3], vcc, -1
	s_orn2_b64 s[36:37], s[2:3], exec
	s_branch .LBB393_4
.LBB393_3:
	s_mov_b64 s[36:37], -1
.LBB393_4:
	v_lshlrev_b32_e32 v4, 8, v8
	v_mov_b32_e32 v2, s4
	v_mov_b32_e32 v3, s5
	v_ashrrev_i32_e32 v5, 31, v4
	v_and_b32_e32 v9, 31, v0
	v_lshl_add_u64 v[2:3], v[4:5], 1, v[2:3]
	v_mov_b32_e32 v1, 0
	v_lshlrev_b32_e32 v0, 4, v9
	v_lshl_add_u64 v[0:1], v[2:3], 0, v[0:1]
	global_load_dwordx4 v[4:7], v[0:1], off
	s_mov_b32 s12, 0x800000
	v_mov_b32_e32 v2, 0x4f800000
	s_mov_b32 s9, 0x3f317217
	s_mov_b32 s10, 0x7f800000
	v_mov_b32_e32 v3, 0x41b17218
	s_mov_b32 s8, 0x41a00000
	s_mov_b32 s11, 0xf800000
	s_load_dwordx4 s[20:23], s[0:1], 0x40
	v_lshlrev_b32_e32 v12, 3, v9
	s_waitcnt lgkmcnt(0)
	s_cmp_lg_u64 s[22:23], 0
	s_cselect_b64 s[6:7], -1, 0
	s_and_b64 s[2:3], exec, s[6:7]
	s_waitcnt vmcnt(0)
	v_lshlrev_b32_e32 v0, 16, v4
	v_mul_f32_e32 v1, 0x3fb8aa3b, v0
	v_exp_f32_e32 v10, v1
	v_mov_b32_e32 v1, 0x260
	v_add_f32_e32 v10, 1.0, v10
	v_cmp_gt_f32_e32 vcc, s12, v10
	s_nop 1
	v_cndmask_b32_e32 v11, 1.0, v2, vcc
	v_mul_f32_e32 v10, v10, v11
	v_log_f32_e32 v11, v10
	v_cndmask_b32_e32 v13, 0, v3, vcc
	v_lshlrev_b32_e32 v10, 2, v12
	v_mul_f32_e32 v14, 0x3f317217, v11
	v_fma_f32 v14, v11, s9, -v14
	v_fmac_f32_e32 v14, 0x3377d1cf, v11
	v_fmac_f32_e32 v14, 0x3f317217, v11
	v_cmp_lt_f32_e64 vcc, |v11|, s10
	s_nop 1
	v_cndmask_b32_e32 v11, v11, v14, vcc
	v_sub_f32_e32 v11, v11, v13
	v_cmp_lt_f32_e32 vcc, s8, v0
	s_nop 1
	v_cndmask_b32_e32 v0, v11, v0, vcc
	v_mul_f32_e32 v11, 0x4f800000, v0
	v_cmp_gt_f32_e32 vcc, s11, v0
	s_nop 1
	v_cndmask_b32_e32 v0, v0, v11, vcc
	v_sqrt_f32_e32 v11, v0
	s_nop 0
	v_add_u32_e32 v13, -1, v11
	v_add_u32_e32 v14, 1, v11
	v_fma_f32 v15, -v13, v11, v0
	v_fma_f32 v16, -v14, v11, v0
	v_cmp_ge_f32_e64 s[4:5], 0, v15
	s_nop 1
	v_cndmask_b32_e64 v11, v11, v13, s[4:5]
	v_cmp_lt_f32_e64 s[4:5], 0, v16
	s_nop 1
	v_cndmask_b32_e64 v11, v11, v14, s[4:5]
	v_mul_f32_e32 v13, 0x37800000, v11
	v_cndmask_b32_e32 v11, v11, v13, vcc
	v_cmp_class_f32_e32 vcc, v0, v1
	s_nop 1
	v_cndmask_b32_e32 v0, v11, v0, vcc
	s_mov_b64 vcc, s[2:3]
	s_cbranch_vccz .LBB393_6
; %bb.5:
	global_load_dword v11, v10, s[22:23]
	s_waitcnt vmcnt(0)
	v_add_f32_e32 v0, v0, v11
.LBB393_6:
	v_and_b32_e32 v4, 0xffff0000, v4
	v_mul_f32_e32 v11, 0x3fb8aa3b, v4
	v_exp_f32_e32 v11, v11
	s_nop 0
	v_add_f32_e32 v11, 1.0, v11
	v_cmp_gt_f32_e32 vcc, s12, v11
	s_nop 1
	v_cndmask_b32_e32 v2, 1.0, v2, vcc
	v_mul_f32_e32 v2, v11, v2
	v_log_f32_e32 v2, v2
	v_cndmask_b32_e32 v3, 0, v3, vcc
	v_mul_f32_e32 v11, 0x3f317217, v2
	v_fma_f32 v11, v2, s9, -v11
	v_fmac_f32_e32 v11, 0x3377d1cf, v2
	v_fmac_f32_e32 v11, 0x3f317217, v2
	v_cmp_lt_f32_e64 vcc, |v2|, s10
	s_nop 1
	v_cndmask_b32_e32 v2, v2, v11, vcc
	v_sub_f32_e32 v2, v2, v3
	v_cmp_lt_f32_e32 vcc, s8, v4
	s_nop 1
	v_cndmask_b32_e32 v2, v2, v4, vcc
	v_mul_f32_e32 v3, 0x4f800000, v2
	v_cmp_gt_f32_e32 vcc, s11, v2
	s_nop 1
	v_cndmask_b32_e32 v2, v2, v3, vcc
	v_sqrt_f32_e32 v3, v2
	v_cmp_class_f32_e64 s[4:5], v2, v1
	v_add_u32_e32 v4, -1, v3
	v_add_u32_e32 v11, 1, v3
	v_fma_f32 v13, -v4, v3, v2
	v_fma_f32 v14, -v11, v3, v2
	v_cmp_ge_f32_e64 s[2:3], 0, v13
	s_nop 1
	v_cndmask_b32_e64 v3, v3, v4, s[2:3]
	v_cmp_lt_f32_e64 s[2:3], 0, v14
	s_nop 1
	v_cndmask_b32_e64 v3, v3, v11, s[2:3]
	v_mul_f32_e32 v4, 0x37800000, v3
	v_cndmask_b32_e32 v3, v3, v4, vcc
	v_cndmask_b32_e64 v4, 0, 1, s[6:7]
	v_cmp_ne_u32_e64 s[2:3], 1, v4
	s_andn2_b64 vcc, exec, s[6:7]
	v_cndmask_b32_e64 v1, v3, v2, s[4:5]
	s_cbranch_vccnz .LBB393_8
; %bb.7:
	global_load_dword v2, v10, s[22:23] offset:4
	s_waitcnt vmcnt(0)
	v_add_f32_e32 v1, v1, v2
.LBB393_8:
	v_lshlrev_b32_e32 v2, 16, v5
	v_mul_f32_e32 v3, 0x3fb8aa3b, v2
	v_exp_f32_e32 v3, v3
	s_mov_b32 s10, 0x800000
	v_mov_b32_e32 v4, 0x4f800000
	s_mov_b32 s7, 0x3f317217
	v_add_f32_e32 v3, 1.0, v3
	v_cmp_gt_f32_e32 vcc, s10, v3
	s_mov_b32 s8, 0x7f800000
	s_mov_b32 s6, 0x41a00000
	v_cndmask_b32_e32 v11, 1.0, v4, vcc
	v_mul_f32_e32 v3, v3, v11
	v_log_f32_e32 v3, v3
	s_mov_b32 s9, 0xf800000
	v_mul_f32_e32 v11, 0x3f317217, v3
	v_fma_f32 v11, v3, s7, -v11
	v_fmac_f32_e32 v11, 0x3377d1cf, v3
	v_fmac_f32_e32 v11, 0x3f317217, v3
	v_cmp_lt_f32_e64 s[4:5], |v3|, s8
	s_nop 1
	v_cndmask_b32_e64 v3, v3, v11, s[4:5]
	v_mov_b32_e32 v11, 0x41b17218
	v_cndmask_b32_e32 v13, 0, v11, vcc
	v_sub_f32_e32 v3, v3, v13
	v_cmp_lt_f32_e32 vcc, s6, v2
	s_nop 1
	v_cndmask_b32_e32 v2, v3, v2, vcc
	v_mul_f32_e32 v3, 0x4f800000, v2
	v_cmp_gt_f32_e32 vcc, s9, v2
	s_nop 1
	v_cndmask_b32_e32 v2, v2, v3, vcc
	v_sqrt_f32_e32 v3, v2
	s_nop 0
	v_add_u32_e32 v13, -1, v3
	v_fma_f32 v14, -v13, v3, v2
	v_cmp_ge_f32_e64 s[4:5], 0, v14
	v_add_u32_e32 v14, 1, v3
	s_nop 0
	v_cndmask_b32_e64 v13, v3, v13, s[4:5]
	v_fma_f32 v3, -v14, v3, v2
	v_cmp_lt_f32_e64 s[4:5], 0, v3
	s_nop 1
	v_cndmask_b32_e64 v3, v13, v14, s[4:5]
	v_mul_f32_e32 v13, 0x37800000, v3
	v_cndmask_b32_e32 v13, v3, v13, vcc
	v_mov_b32_e32 v3, 0x260
	v_cmp_class_f32_e64 s[4:5], v2, v3
	s_and_b64 vcc, exec, s[2:3]
	s_nop 0
	v_cndmask_b32_e64 v2, v13, v2, s[4:5]
	s_cbranch_vccnz .LBB393_10
; %bb.9:
	global_load_dword v13, v10, s[22:23] offset:8
	s_waitcnt vmcnt(0)
	v_add_f32_e32 v2, v2, v13
.LBB393_10:
	v_and_b32_e32 v5, 0xffff0000, v5
	v_mul_f32_e32 v13, 0x3fb8aa3b, v5
	v_exp_f32_e32 v13, v13
	s_nop 0
	v_add_f32_e32 v13, 1.0, v13
	v_cmp_gt_f32_e32 vcc, s10, v13
	s_nop 1
	v_cndmask_b32_e32 v4, 1.0, v4, vcc
	v_mul_f32_e32 v4, v13, v4
	v_log_f32_e32 v4, v4
	v_cndmask_b32_e32 v11, 0, v11, vcc
	v_mul_f32_e32 v13, 0x3f317217, v4
	v_fma_f32 v13, v4, s7, -v13
	v_fmac_f32_e32 v13, 0x3377d1cf, v4
	v_fmac_f32_e32 v13, 0x3f317217, v4
	v_cmp_lt_f32_e64 vcc, |v4|, s8
	s_nop 1
	v_cndmask_b32_e32 v4, v4, v13, vcc
	v_sub_f32_e32 v4, v4, v11
	v_cmp_lt_f32_e32 vcc, s6, v5
	s_nop 1
	v_cndmask_b32_e32 v4, v4, v5, vcc
	v_mul_f32_e32 v5, 0x4f800000, v4
	v_cmp_gt_f32_e32 vcc, s9, v4
	s_nop 1
	v_cndmask_b32_e32 v4, v4, v5, vcc
	v_sqrt_f32_e32 v5, v4
	s_nop 0
	v_add_u32_e32 v11, -1, v5
	v_add_u32_e32 v13, 1, v5
	v_fma_f32 v14, -v11, v5, v4
	v_fma_f32 v15, -v13, v5, v4
	v_cmp_ge_f32_e64 s[4:5], 0, v14
	s_nop 1
	v_cndmask_b32_e64 v5, v5, v11, s[4:5]
	v_cmp_lt_f32_e64 s[4:5], 0, v15
	s_nop 1
	v_cndmask_b32_e64 v5, v5, v13, s[4:5]
	v_mul_f32_e32 v11, 0x37800000, v5
	v_cndmask_b32_e32 v5, v5, v11, vcc
	v_cmp_class_f32_e64 s[4:5], v4, v3
	s_and_b64 vcc, exec, s[2:3]
	s_nop 0
	v_cndmask_b32_e64 v3, v5, v4, s[4:5]
	s_cbranch_vccnz .LBB393_12
; %bb.11:
	global_load_dword v4, v10, s[22:23] offset:12
	s_waitcnt vmcnt(0)
	v_add_f32_e32 v3, v3, v4
.LBB393_12:
	v_lshlrev_b32_e32 v4, 16, v6
	v_mul_f32_e32 v5, 0x3fb8aa3b, v4
	v_exp_f32_e32 v5, v5
	v_mov_b32_e32 v11, 0x4f800000
	v_add_f32_e32 v5, 1.0, v5
	v_cmp_gt_f32_e32 vcc, s10, v5
	s_nop 1
	v_cndmask_b32_e32 v13, 1.0, v11, vcc
	v_mul_f32_e32 v5, v5, v13
	v_log_f32_e32 v5, v5
	s_nop 0
	v_mul_f32_e32 v13, 0x3f317217, v5
	v_fma_f32 v13, v5, s7, -v13
	v_fmac_f32_e32 v13, 0x3377d1cf, v5
	v_fmac_f32_e32 v13, 0x3f317217, v5
	v_cmp_lt_f32_e64 s[4:5], |v5|, s8
	s_nop 1
	v_cndmask_b32_e64 v5, v5, v13, s[4:5]
	v_mov_b32_e32 v13, 0x41b17218
	v_cndmask_b32_e32 v14, 0, v13, vcc
	v_sub_f32_e32 v5, v5, v14
	v_cmp_lt_f32_e32 vcc, s6, v4
	s_nop 1
	v_cndmask_b32_e32 v4, v5, v4, vcc
	v_mul_f32_e32 v5, 0x4f800000, v4
	v_cmp_gt_f32_e32 vcc, s9, v4
	s_nop 1
	v_cndmask_b32_e32 v4, v4, v5, vcc
	v_sqrt_f32_e32 v5, v4
	s_nop 0
	v_add_u32_e32 v14, -1, v5
	v_fma_f32 v15, -v14, v5, v4
	v_cmp_ge_f32_e64 s[4:5], 0, v15
	v_add_u32_e32 v15, 1, v5
	s_nop 0
	v_cndmask_b32_e64 v14, v5, v14, s[4:5]
	v_fma_f32 v5, -v15, v5, v4
	v_cmp_lt_f32_e64 s[4:5], 0, v5
	s_nop 1
	v_cndmask_b32_e64 v5, v14, v15, s[4:5]
	v_mul_f32_e32 v14, 0x37800000, v5
	v_cndmask_b32_e32 v14, v5, v14, vcc
	v_mov_b32_e32 v5, 0x260
	v_cmp_class_f32_e64 s[4:5], v4, v5
	s_and_b64 vcc, exec, s[2:3]
	s_nop 0
	v_cndmask_b32_e64 v4, v14, v4, s[4:5]
	s_cbranch_vccnz .LBB393_14
; %bb.13:
	global_load_dword v14, v10, s[22:23] offset:16
	s_waitcnt vmcnt(0)
	v_add_f32_e32 v4, v4, v14
.LBB393_14:
	v_and_b32_e32 v6, 0xffff0000, v6
	v_mul_f32_e32 v14, 0x3fb8aa3b, v6
	v_exp_f32_e32 v14, v14
	s_nop 0
	v_add_f32_e32 v14, 1.0, v14
	v_cmp_gt_f32_e32 vcc, s10, v14
	s_nop 1
	v_cndmask_b32_e32 v11, 1.0, v11, vcc
	v_mul_f32_e32 v11, v14, v11
	v_log_f32_e32 v11, v11
	v_cndmask_b32_e32 v13, 0, v13, vcc
	v_mul_f32_e32 v14, 0x3f317217, v11
	v_fma_f32 v14, v11, s7, -v14
	v_fmac_f32_e32 v14, 0x3377d1cf, v11
	v_fmac_f32_e32 v14, 0x3f317217, v11
	v_cmp_lt_f32_e64 vcc, |v11|, s8
	s_nop 1
	v_cndmask_b32_e32 v11, v11, v14, vcc
	v_sub_f32_e32 v11, v11, v13
	v_cmp_lt_f32_e32 vcc, s6, v6
	s_nop 1
	v_cndmask_b32_e32 v6, v11, v6, vcc
	v_mul_f32_e32 v11, 0x4f800000, v6
	v_cmp_gt_f32_e32 vcc, s9, v6
	s_nop 1
	v_cndmask_b32_e32 v6, v6, v11, vcc
	v_sqrt_f32_e32 v11, v6
	s_nop 0
	v_add_u32_e32 v13, -1, v11
	v_add_u32_e32 v14, 1, v11
	v_fma_f32 v15, -v13, v11, v6
	v_fma_f32 v16, -v14, v11, v6
	v_cmp_ge_f32_e64 s[4:5], 0, v15
	s_nop 1
	v_cndmask_b32_e64 v11, v11, v13, s[4:5]
	v_cmp_lt_f32_e64 s[4:5], 0, v16
	s_nop 1
	v_cndmask_b32_e64 v11, v11, v14, s[4:5]
	v_mul_f32_e32 v13, 0x37800000, v11
	v_cndmask_b32_e32 v11, v11, v13, vcc
	v_cmp_class_f32_e64 s[4:5], v6, v5
	s_and_b64 vcc, exec, s[2:3]
	s_nop 0
	v_cndmask_b32_e64 v5, v11, v6, s[4:5]
	s_cbranch_vccnz .LBB393_16
; %bb.15:
	global_load_dword v6, v10, s[22:23] offset:20
	s_waitcnt vmcnt(0)
	v_add_f32_e32 v5, v5, v6
.LBB393_16:
	v_lshlrev_b32_e32 v6, 16, v7
	v_mul_f32_e32 v11, 0x3fb8aa3b, v6
	v_exp_f32_e32 v11, v11
	v_mov_b32_e32 v13, 0x4f800000
	v_add_f32_e32 v11, 1.0, v11
	v_cmp_gt_f32_e32 vcc, s10, v11
	s_nop 1
	v_cndmask_b32_e32 v14, 1.0, v13, vcc
	v_mul_f32_e32 v11, v11, v14
	v_log_f32_e32 v11, v11
	s_nop 0
	v_mul_f32_e32 v14, 0x3f317217, v11
	v_fma_f32 v14, v11, s7, -v14
	v_fmac_f32_e32 v14, 0x3377d1cf, v11
	v_fmac_f32_e32 v14, 0x3f317217, v11
	v_cmp_lt_f32_e64 s[4:5], |v11|, s8
	s_nop 1
	v_cndmask_b32_e64 v11, v11, v14, s[4:5]
	v_mov_b32_e32 v14, 0x41b17218
	v_cndmask_b32_e32 v15, 0, v14, vcc
	v_sub_f32_e32 v11, v11, v15
	v_cmp_lt_f32_e32 vcc, s6, v6
	s_nop 1
	v_cndmask_b32_e32 v6, v11, v6, vcc
	v_mul_f32_e32 v11, 0x4f800000, v6
	v_cmp_gt_f32_e32 vcc, s9, v6
	s_nop 1
	v_cndmask_b32_e32 v6, v6, v11, vcc
	v_sqrt_f32_e32 v11, v6
	s_nop 0
	v_add_u32_e32 v15, -1, v11
	v_fma_f32 v16, -v15, v11, v6
	v_cmp_ge_f32_e64 s[4:5], 0, v16
	v_add_u32_e32 v16, 1, v11
	s_nop 0
	v_cndmask_b32_e64 v15, v11, v15, s[4:5]
	v_fma_f32 v11, -v16, v11, v6
	v_cmp_lt_f32_e64 s[4:5], 0, v11
	s_nop 1
	v_cndmask_b32_e64 v11, v15, v16, s[4:5]
	v_mul_f32_e32 v15, 0x37800000, v11
	v_cndmask_b32_e32 v15, v11, v15, vcc
	v_mov_b32_e32 v11, 0x260
	v_cmp_class_f32_e64 s[4:5], v6, v11
	s_and_b64 vcc, exec, s[2:3]
	s_nop 0
	v_cndmask_b32_e64 v6, v15, v6, s[4:5]
	s_cbranch_vccnz .LBB393_18
; %bb.17:
	global_load_dword v15, v10, s[22:23] offset:24
	s_waitcnt vmcnt(0)
	v_add_f32_e32 v6, v6, v15
.LBB393_18:
	v_and_b32_e32 v7, 0xffff0000, v7
	v_mul_f32_e32 v15, 0x3fb8aa3b, v7
	v_exp_f32_e32 v15, v15
	s_nop 0
	v_add_f32_e32 v15, 1.0, v15
	v_cmp_gt_f32_e32 vcc, s10, v15
	s_nop 1
	v_cndmask_b32_e32 v13, 1.0, v13, vcc
	v_mul_f32_e32 v13, v15, v13
	v_log_f32_e32 v13, v13
	v_cndmask_b32_e32 v14, 0, v14, vcc
	v_mul_f32_e32 v15, 0x3f317217, v13
	v_fma_f32 v15, v13, s7, -v15
	v_fmac_f32_e32 v15, 0x3377d1cf, v13
	v_fmac_f32_e32 v15, 0x3f317217, v13
	v_cmp_lt_f32_e64 vcc, |v13|, s8
	s_nop 1
	v_cndmask_b32_e32 v13, v13, v15, vcc
	v_sub_f32_e32 v13, v13, v14
	v_cmp_lt_f32_e32 vcc, s6, v7
	s_nop 1
	v_cndmask_b32_e32 v7, v13, v7, vcc
	v_mul_f32_e32 v13, 0x4f800000, v7
	v_cmp_gt_f32_e32 vcc, s9, v7
	s_nop 1
	v_cndmask_b32_e32 v7, v7, v13, vcc
	v_sqrt_f32_e32 v13, v7
	s_nop 0
	v_add_u32_e32 v14, -1, v13
	v_add_u32_e32 v15, 1, v13
	v_fma_f32 v16, -v14, v13, v7
	v_fma_f32 v17, -v15, v13, v7
	v_cmp_ge_f32_e64 s[4:5], 0, v16
	s_nop 1
	v_cndmask_b32_e64 v13, v13, v14, s[4:5]
	v_cmp_lt_f32_e64 s[4:5], 0, v17
	s_nop 1
	v_cndmask_b32_e64 v13, v13, v15, s[4:5]
	v_mul_f32_e32 v14, 0x37800000, v13
	v_cndmask_b32_e32 v13, v13, v14, vcc
	v_cmp_class_f32_e64 s[4:5], v7, v11
	s_and_b64 vcc, exec, s[2:3]
	s_nop 0
	v_cndmask_b32_e64 v7, v13, v7, s[4:5]
	s_cbranch_vccnz .LBB393_20
; %bb.19:
	global_load_dword v10, v10, s[22:23] offset:28
	s_waitcnt vmcnt(0)
	v_add_f32_e32 v7, v7, v10
.LBB393_20:
	s_load_dwordx4 s[24:27], s[0:1], 0x30
	s_mov_b32 s42, 0
	v_cmp_eq_u32_e64 s[6:7], 0, v9
	s_waitcnt lgkmcnt(0)
	s_bitcmp1_b32 s27, 0
	s_cselect_b64 s[4:5], -1, 0
	s_cmp_gt_i32 s24, 0
	s_cselect_b64 s[38:39], -1, 0
	s_and_b64 vcc, exec, s[38:39]
	s_cbranch_vccz .LBB393_51
; %bb.21:
	v_mbcnt_lo_u32_b32 v10, -1, 0
	v_mbcnt_hi_u32_b32 v10, -1, v10
	v_and_b32_e32 v11, 0x60, v10
	v_add_u32_e32 v11, 32, v11
	v_xor_b32_e32 v13, 16, v10
	v_cmp_lt_i32_e32 vcc, v13, v11
	s_load_dwordx4 s[28:31], s[0:1], 0x20
	v_mul_lo_u32 v14, v8, s24
	v_cndmask_b32_e32 v13, v10, v13, vcc
	v_lshlrev_b32_e32 v15, 2, v13
	v_xor_b32_e32 v13, 8, v10
	v_cmp_lt_i32_e32 vcc, v13, v11
	v_mov_b32_e32 v20, 0x100
	v_mov_b32_e32 v21, 0xc61c4000
	v_cndmask_b32_e32 v13, v10, v13, vcc
	v_lshlrev_b32_e32 v16, 2, v13
	v_xor_b32_e32 v13, 4, v10
	v_cmp_lt_i32_e32 vcc, v13, v11
	v_mov_b32_e32 v22, v8
	s_nop 0
	v_cndmask_b32_e32 v13, v10, v13, vcc
	v_lshlrev_b32_e32 v17, 2, v13
	v_xor_b32_e32 v13, 2, v10
	v_cmp_lt_i32_e32 vcc, v13, v11
	s_nop 1
	v_cndmask_b32_e32 v13, v10, v13, vcc
	v_lshlrev_b32_e32 v18, 2, v13
	v_xor_b32_e32 v13, 1, v10
	v_cmp_lt_i32_e32 vcc, v13, v11
	s_nop 1
	v_cndmask_b32_e32 v10, v10, v13, vcc
	v_lshlrev_b32_e32 v19, 2, v10
	v_mov_b32_e32 v13, 0
	s_branch .LBB393_24
.LBB393_22:                             ;   in Loop: Header=BB393_24 Depth=1
	s_or_b64 exec, exec, s[40:41]
.LBB393_23:                             ;   in Loop: Header=BB393_24 Depth=1
	s_cmp_eq_u32 s24, s42
	v_add_u32_e32 v22, s33, v22
	s_cbranch_scc1 .LBB393_52
.LBB393_24:                             ; =>This Inner Loop Header: Depth=1
	v_cmp_gt_f32_e32 vcc, v1, v0
	s_nop 1
	v_cndmask_b32_e32 v11, v0, v1, vcc
	v_cndmask_b32_e64 v10, 0, 1, vcc
	v_cmp_gt_f32_e32 vcc, v2, v11
	s_nop 1
	v_cndmask_b32_e32 v11, v11, v2, vcc
	v_cndmask_b32_e64 v10, v10, 2, vcc
	;; [unrolled: 4-line block ×6, first 2 shown]
	v_cmp_gt_f32_e32 vcc, v7, v11
	s_nop 1
	v_cndmask_b32_e64 v10, v10, 7, vcc
	v_cndmask_b32_e32 v23, v11, v7, vcc
	ds_bpermute_b32 v11, v15, v23
	v_or_b32_e32 v10, v12, v10
	s_waitcnt lgkmcnt(0)
	ds_bpermute_b32 v24, v15, v10
	s_waitcnt lgkmcnt(0)
	v_cmp_lt_f32_e64 s[8:9], v23, v11
	v_cmp_nlt_f32_e32 vcc, v23, v11
	s_and_saveexec_b64 s[10:11], vcc
; %bb.25:                               ;   in Loop: Header=BB393_24 Depth=1
	v_cmp_eq_f32_e32 vcc, v23, v11
	v_cmp_lt_i32_e64 s[0:1], v24, v10
	s_and_b64 s[0:1], vcc, s[0:1]
	s_andn2_b64 s[8:9], s[8:9], exec
	s_and_b64 s[0:1], s[0:1], exec
	s_or_b64 s[8:9], s[8:9], s[0:1]
; %bb.26:                               ;   in Loop: Header=BB393_24 Depth=1
	s_or_b64 exec, exec, s[10:11]
	s_and_saveexec_b64 s[0:1], s[8:9]
; %bb.27:                               ;   in Loop: Header=BB393_24 Depth=1
	v_mov_b32_e32 v23, v11
	v_mov_b32_e32 v10, v24
; %bb.28:                               ;   in Loop: Header=BB393_24 Depth=1
	s_or_b64 exec, exec, s[0:1]
	ds_bpermute_b32 v11, v16, v23
	ds_bpermute_b32 v24, v16, v10
	s_waitcnt lgkmcnt(1)
	v_cmp_lt_f32_e64 s[8:9], v23, v11
	v_cmp_nlt_f32_e32 vcc, v23, v11
	s_and_saveexec_b64 s[10:11], vcc
	s_cbranch_execz .LBB393_30
; %bb.29:                               ;   in Loop: Header=BB393_24 Depth=1
	v_cmp_eq_f32_e32 vcc, v23, v11
	s_waitcnt lgkmcnt(0)
	v_cmp_lt_i32_e64 s[0:1], v24, v10
	s_and_b64 s[0:1], vcc, s[0:1]
	s_andn2_b64 s[8:9], s[8:9], exec
	s_and_b64 s[0:1], s[0:1], exec
	s_or_b64 s[8:9], s[8:9], s[0:1]
.LBB393_30:                             ;   in Loop: Header=BB393_24 Depth=1
	s_or_b64 exec, exec, s[10:11]
	s_and_saveexec_b64 s[0:1], s[8:9]
	s_cbranch_execz .LBB393_32
; %bb.31:                               ;   in Loop: Header=BB393_24 Depth=1
	v_mov_b32_e32 v23, v11
	s_waitcnt lgkmcnt(0)
	v_mov_b32_e32 v10, v24
.LBB393_32:                             ;   in Loop: Header=BB393_24 Depth=1
	s_or_b64 exec, exec, s[0:1]
	ds_bpermute_b32 v11, v17, v23
	s_waitcnt lgkmcnt(1)
	ds_bpermute_b32 v24, v17, v10
	s_waitcnt lgkmcnt(1)
	v_cmp_lt_f32_e64 s[8:9], v23, v11
	v_cmp_nlt_f32_e32 vcc, v23, v11
	s_and_saveexec_b64 s[10:11], vcc
	s_cbranch_execz .LBB393_34
; %bb.33:                               ;   in Loop: Header=BB393_24 Depth=1
	v_cmp_eq_f32_e32 vcc, v23, v11
	s_waitcnt lgkmcnt(0)
	v_cmp_lt_i32_e64 s[0:1], v24, v10
	s_and_b64 s[0:1], vcc, s[0:1]
	s_andn2_b64 s[8:9], s[8:9], exec
	s_and_b64 s[0:1], s[0:1], exec
	s_or_b64 s[8:9], s[8:9], s[0:1]
.LBB393_34:                             ;   in Loop: Header=BB393_24 Depth=1
	s_or_b64 exec, exec, s[10:11]
	s_and_saveexec_b64 s[0:1], s[8:9]
	s_cbranch_execz .LBB393_36
; %bb.35:                               ;   in Loop: Header=BB393_24 Depth=1
	v_mov_b32_e32 v23, v11
	s_waitcnt lgkmcnt(0)
	v_mov_b32_e32 v10, v24
.LBB393_36:                             ;   in Loop: Header=BB393_24 Depth=1
	s_or_b64 exec, exec, s[0:1]
	ds_bpermute_b32 v11, v18, v23
	s_waitcnt lgkmcnt(1)
	;; [unrolled: 26-line block ×3, first 2 shown]
	ds_bpermute_b32 v24, v19, v10
	s_waitcnt lgkmcnt(1)
	v_cmp_lt_f32_e64 s[8:9], v23, v11
	v_cmp_nlt_f32_e32 vcc, v23, v11
	s_and_saveexec_b64 s[10:11], vcc
	s_cbranch_execnz .LBB393_44
; %bb.41:                               ;   in Loop: Header=BB393_24 Depth=1
	s_or_b64 exec, exec, s[10:11]
	s_and_saveexec_b64 s[0:1], s[8:9]
	s_cbranch_execnz .LBB393_45
.LBB393_42:                             ;   in Loop: Header=BB393_24 Depth=1
	s_or_b64 exec, exec, s[0:1]
	s_and_saveexec_b64 s[8:9], s[6:7]
	s_cbranch_execnz .LBB393_46
.LBB393_43:                             ;   in Loop: Header=BB393_24 Depth=1
	s_or_b64 exec, exec, s[8:9]
	s_add_i32 s42, s42, 1
	s_cmp_ge_i32 s42, s24
	s_cbranch_scc1 .LBB393_23
	s_branch .LBB393_49
.LBB393_44:                             ;   in Loop: Header=BB393_24 Depth=1
	v_cmp_eq_f32_e32 vcc, v23, v11
	s_waitcnt lgkmcnt(0)
	v_cmp_lt_i32_e64 s[0:1], v24, v10
	s_and_b64 s[0:1], vcc, s[0:1]
	s_andn2_b64 s[8:9], s[8:9], exec
	s_and_b64 s[0:1], s[0:1], exec
	s_or_b64 s[8:9], s[8:9], s[0:1]
	s_or_b64 exec, exec, s[10:11]
	s_and_saveexec_b64 s[0:1], s[8:9]
	s_cbranch_execz .LBB393_42
.LBB393_45:                             ;   in Loop: Header=BB393_24 Depth=1
	s_waitcnt lgkmcnt(0)
	v_mov_b32_e32 v10, v24
	v_mov_b32_e32 v23, v11
	s_or_b64 exec, exec, s[0:1]
	s_and_saveexec_b64 s[8:9], s[6:7]
	s_cbranch_execz .LBB393_43
.LBB393_46:                             ;   in Loop: Header=BB393_24 Depth=1
	s_and_b64 vcc, exec, s[2:3]
	s_cbranch_vccnz .LBB393_48
; %bb.47:                               ;   in Loop: Header=BB393_24 Depth=1
	v_ashrrev_i32_e32 v11, 31, v10
	s_waitcnt lgkmcnt(0)
	v_lshl_add_u64 v[24:25], v[10:11], 2, s[22:23]
	global_load_dword v11, v[24:25], off
	s_waitcnt vmcnt(0)
	v_sub_f32_e32 v23, v23, v11
.LBB393_48:                             ;   in Loop: Header=BB393_24 Depth=1
	s_waitcnt lgkmcnt(0)
	v_add_u32_e32 v24, s42, v14
	v_cmp_le_i32_e32 vcc, s25, v10
	v_cmp_gt_i32_e64 s[0:1], s26, v10
	v_ashrrev_i32_e32 v25, 31, v24
	s_and_b64 s[0:1], vcc, s[0:1]
	v_lshlrev_b64 v[24:25], 2, v[24:25]
	v_lshl_add_u64 v[26:27], s[34:35], 0, v[24:25]
	v_subrev_u32_e32 v11, s25, v10
	s_and_b64 vcc, s[36:37], s[0:1]
	global_store_dword v[26:27], v23, off
	v_cndmask_b32_e32 v11, v20, v11, vcc
	v_lshl_add_u64 v[26:27], s[28:29], 0, v[24:25]
	global_store_dword v[26:27], v11, off
	v_add_f32_e32 v11, v13, v23
	v_lshl_add_u64 v[24:25], s[30:31], 0, v[24:25]
	v_cndmask_b32_e64 v13, v13, v11, s[4:5]
	global_store_dword v[24:25], v22, off
	s_or_b64 exec, exec, s[8:9]
	s_add_i32 s42, s42, 1
	s_cmp_ge_i32 s42, s24
	s_cbranch_scc1 .LBB393_23
.LBB393_49:                             ;   in Loop: Header=BB393_24 Depth=1
	v_ashrrev_i32_e32 v11, 31, v10
	v_lshrrev_b32_e32 v23, 29, v11
	s_waitcnt lgkmcnt(0)
	v_add_u32_e32 v24, v10, v23
	v_ashrrev_i32_e32 v23, 3, v24
	v_ashrrev_i32_e32 v24, 31, v24
	v_lshrrev_b32_e32 v24, 27, v24
	v_add_u32_e32 v24, v23, v24
	v_and_b32_e32 v24, 0xffffffe0, v24
	v_sub_u32_e32 v24, v23, v24
	v_cmp_eq_u32_e32 vcc, v9, v24
	s_and_saveexec_b64 s[40:41], vcc
	s_cbranch_execz .LBB393_22
; %bb.50:                               ;   in Loop: Header=BB393_24 Depth=1
	v_add_u32_sdwa v11, v10, v11 dst_sel:DWORD dst_unused:UNUSED_PAD src0_sel:DWORD src1_sel:BYTE_3
	v_lshlrev_b32_e32 v23, 3, v23
	v_sub_u32_e32 v10, v10, v23
	v_ashrrev_i32_e32 v11, 8, v11
	v_lshl_add_u32 v10, v11, 3, v10
	v_cmp_ne_u32_e32 vcc, 6, v10
	v_cmp_ne_u32_e64 s[0:1], 5, v10
	v_cmp_ne_u32_e64 s[8:9], 4, v10
	;; [unrolled: 1-line block ×7, first 2 shown]
	v_cndmask_b32_e32 v6, v21, v6, vcc
	v_cndmask_b32_e64 v5, v21, v5, s[0:1]
	v_cndmask_b32_e64 v7, v21, v7, s[18:19]
	v_cndmask_b32_e64 v4, v21, v4, s[8:9]
	v_cndmask_b32_e64 v3, v21, v3, s[10:11]
	v_cndmask_b32_e64 v2, v21, v2, s[12:13]
	v_cndmask_b32_e64 v1, v21, v1, s[14:15]
	v_cndmask_b32_e64 v0, v21, v0, s[16:17]
	s_branch .LBB393_22
.LBB393_51:
	v_mov_b32_e32 v13, 0
.LBB393_52:
	v_cmp_eq_u32_e32 vcc, 0, v9
	s_and_b64 exec, exec, vcc
	s_cbranch_execz .LBB393_65
; %bb.53:
	s_andn2_b64 vcc, exec, s[4:5]
	v_cvt_f32_f64_e32 v0, s[20:21]
	s_cbranch_vccnz .LBB393_55
; %bb.54:
	v_cmp_lt_f32_e32 vcc, 0, v13
	s_nop 1
	v_cndmask_b32_e32 v1, 1.0, v13, vcc
	v_div_scale_f32 v2, s[0:1], v1, v1, v0
	v_rcp_f32_e32 v3, v2
	s_nop 0
	v_fma_f32 v4, -v2, v3, 1.0
	v_fmac_f32_e32 v3, v4, v3
	v_div_scale_f32 v4, vcc, v0, v1, v0
	v_mul_f32_e32 v5, v4, v3
	v_fma_f32 v6, -v2, v5, v4
	v_fmac_f32_e32 v5, v6, v3
	v_fma_f32 v2, -v2, v5, v4
	v_div_fmas_f32 v2, v2, v3, v5
	v_div_fixup_f32 v0, v2, v1, v0
.LBB393_55:
	s_andn2_b64 vcc, exec, s[38:39]
	s_cbranch_vccnz .LBB393_65
; %bb.56:
	v_mul_lo_u32 v2, v8, s24
	s_cmp_gt_u32 s24, 3
	v_ashrrev_i32_e32 v3, 31, v2
	s_cbranch_scc0 .LBB393_60
; %bb.57:
	s_and_b32 s0, s24, 0x7ffffffc
	v_lshl_add_u64 v[4:5], v[2:3], 2, s[34:35]
	v_mov_b32_e32 v1, v0
	v_lshl_add_u64 v[4:5], v[4:5], 0, 8
	s_mov_b32 s1, s0
.LBB393_58:                             ; =>This Inner Loop Header: Depth=1
	global_load_dwordx4 v[6:9], v[4:5], off offset:-8
	s_add_i32 s1, s1, -4
	s_cmp_lg_u32 s1, 0
	s_waitcnt vmcnt(0)
	v_pk_mul_f32 v[6:7], v[0:1], v[6:7]
	v_pk_mul_f32 v[8:9], v[0:1], v[8:9]
	global_store_dwordx4 v[4:5], v[6:9], off offset:-8
	v_lshl_add_u64 v[4:5], v[4:5], 0, 16
	s_cbranch_scc1 .LBB393_58
; %bb.59:
	s_cmp_lg_u32 s0, s24
	s_cselect_b64 s[2:3], -1, 0
	s_branch .LBB393_62
.LBB393_60:
	s_mov_b64 s[2:3], 0
                                        ; implicit-def: $sgpr0
	s_cbranch_execz .LBB393_62
; %bb.61:
	s_mov_b64 s[2:3], -1
	s_mov_b32 s0, 0
.LBB393_62:
	s_andn2_b64 vcc, exec, s[2:3]
	s_cbranch_vccnz .LBB393_65
; %bb.63:
	s_mov_b32 s1, 0
	v_lshl_add_u64 v[2:3], v[2:3], 0, s[0:1]
	s_sub_i32 s2, s24, s0
	v_lshl_add_u64 v[2:3], v[2:3], 2, s[34:35]
.LBB393_64:                             ; =>This Inner Loop Header: Depth=1
	global_load_dword v1, v[2:3], off
	s_add_i32 s2, s2, -1
	s_cmp_lg_u32 s2, 0
	s_waitcnt vmcnt(0)
	v_mul_f32_e32 v1, v0, v1
	global_store_dword v[2:3], v1, off
	v_lshl_add_u64 v[2:3], v[2:3], 0, 4
	s_cbranch_scc1 .LBB393_64
.LBB393_65:
	s_endpgm
	.section	.rodata,"a",@progbits
	.p2align	6, 0x0
	.amdhsa_kernel _ZN4vllm3moe22topkGatingSoftplusSqrtILi8ELi256ELi4ELi16ELi64ELb0Ei14__hip_bfloat16EEvPKT6_PKbPfiPT5_PiiiibdPKfPKS9_SF_
		.amdhsa_group_segment_fixed_size 0
		.amdhsa_private_segment_fixed_size 0
		.amdhsa_kernarg_size 96
		.amdhsa_user_sgpr_count 2
		.amdhsa_user_sgpr_dispatch_ptr 0
		.amdhsa_user_sgpr_queue_ptr 0
		.amdhsa_user_sgpr_kernarg_segment_ptr 1
		.amdhsa_user_sgpr_dispatch_id 0
		.amdhsa_user_sgpr_kernarg_preload_length 0
		.amdhsa_user_sgpr_kernarg_preload_offset 0
		.amdhsa_user_sgpr_private_segment_size 0
		.amdhsa_uses_dynamic_stack 0
		.amdhsa_enable_private_segment 0
		.amdhsa_system_sgpr_workgroup_id_x 1
		.amdhsa_system_sgpr_workgroup_id_y 0
		.amdhsa_system_sgpr_workgroup_id_z 0
		.amdhsa_system_sgpr_workgroup_info 0
		.amdhsa_system_vgpr_workitem_id 1
		.amdhsa_next_free_vgpr 28
		.amdhsa_next_free_sgpr 43
		.amdhsa_accum_offset 28
		.amdhsa_reserve_vcc 1
		.amdhsa_float_round_mode_32 0
		.amdhsa_float_round_mode_16_64 0
		.amdhsa_float_denorm_mode_32 3
		.amdhsa_float_denorm_mode_16_64 3
		.amdhsa_dx10_clamp 1
		.amdhsa_ieee_mode 1
		.amdhsa_fp16_overflow 0
		.amdhsa_tg_split 0
		.amdhsa_exception_fp_ieee_invalid_op 0
		.amdhsa_exception_fp_denorm_src 0
		.amdhsa_exception_fp_ieee_div_zero 0
		.amdhsa_exception_fp_ieee_overflow 0
		.amdhsa_exception_fp_ieee_underflow 0
		.amdhsa_exception_fp_ieee_inexact 0
		.amdhsa_exception_int_div_zero 0
	.end_amdhsa_kernel
	.section	.text._ZN4vllm3moe22topkGatingSoftplusSqrtILi8ELi256ELi4ELi16ELi64ELb0Ei14__hip_bfloat16EEvPKT6_PKbPfiPT5_PiiiibdPKfPKS9_SF_,"axG",@progbits,_ZN4vllm3moe22topkGatingSoftplusSqrtILi8ELi256ELi4ELi16ELi64ELb0Ei14__hip_bfloat16EEvPKT6_PKbPfiPT5_PiiiibdPKfPKS9_SF_,comdat
.Lfunc_end393:
	.size	_ZN4vllm3moe22topkGatingSoftplusSqrtILi8ELi256ELi4ELi16ELi64ELb0Ei14__hip_bfloat16EEvPKT6_PKbPfiPT5_PiiiibdPKfPKS9_SF_, .Lfunc_end393-_ZN4vllm3moe22topkGatingSoftplusSqrtILi8ELi256ELi4ELi16ELi64ELb0Ei14__hip_bfloat16EEvPKT6_PKbPfiPT5_PiiiibdPKfPKS9_SF_
                                        ; -- End function
	.section	.AMDGPU.csdata,"",@progbits
; Kernel info:
; codeLenInByte = 4132
; NumSgprs: 49
; NumVgprs: 28
; NumAgprs: 0
; TotalNumVgprs: 28
; ScratchSize: 0
; MemoryBound: 0
; FloatMode: 240
; IeeeMode: 1
; LDSByteSize: 0 bytes/workgroup (compile time only)
; SGPRBlocks: 6
; VGPRBlocks: 3
; NumSGPRsForWavesPerEU: 49
; NumVGPRsForWavesPerEU: 28
; AccumOffset: 28
; Occupancy: 8
; WaveLimiterHint : 0
; COMPUTE_PGM_RSRC2:SCRATCH_EN: 0
; COMPUTE_PGM_RSRC2:USER_SGPR: 2
; COMPUTE_PGM_RSRC2:TRAP_HANDLER: 0
; COMPUTE_PGM_RSRC2:TGID_X_EN: 1
; COMPUTE_PGM_RSRC2:TGID_Y_EN: 0
; COMPUTE_PGM_RSRC2:TGID_Z_EN: 0
; COMPUTE_PGM_RSRC2:TIDIG_COMP_CNT: 1
; COMPUTE_PGM_RSRC3_GFX90A:ACCUM_OFFSET: 6
; COMPUTE_PGM_RSRC3_GFX90A:TG_SPLIT: 0
	.section	.text._ZN4vllm3moe22topkGatingSoftplusSqrtILi8ELi256ELi4ELi16ELi32ELb1Ei14__hip_bfloat16EEvPKT6_PKbPfiPT5_PiiiibdPKfPKS9_SF_,"axG",@progbits,_ZN4vllm3moe22topkGatingSoftplusSqrtILi8ELi256ELi4ELi16ELi32ELb1Ei14__hip_bfloat16EEvPKT6_PKbPfiPT5_PiiiibdPKfPKS9_SF_,comdat
	.protected	_ZN4vllm3moe22topkGatingSoftplusSqrtILi8ELi256ELi4ELi16ELi32ELb1Ei14__hip_bfloat16EEvPKT6_PKbPfiPT5_PiiiibdPKfPKS9_SF_ ; -- Begin function _ZN4vllm3moe22topkGatingSoftplusSqrtILi8ELi256ELi4ELi16ELi32ELb1Ei14__hip_bfloat16EEvPKT6_PKbPfiPT5_PiiiibdPKfPKS9_SF_
	.globl	_ZN4vllm3moe22topkGatingSoftplusSqrtILi8ELi256ELi4ELi16ELi32ELb1Ei14__hip_bfloat16EEvPKT6_PKbPfiPT5_PiiiibdPKfPKS9_SF_
	.p2align	8
	.type	_ZN4vllm3moe22topkGatingSoftplusSqrtILi8ELi256ELi4ELi16ELi32ELb1Ei14__hip_bfloat16EEvPKT6_PKbPfiPT5_PiiiibdPKfPKS9_SF_,@function
_ZN4vllm3moe22topkGatingSoftplusSqrtILi8ELi256ELi4ELi16ELi32ELb1Ei14__hip_bfloat16EEvPKT6_PKbPfiPT5_PiiiibdPKfPKS9_SF_: ; @_ZN4vllm3moe22topkGatingSoftplusSqrtILi8ELi256ELi4ELi16ELi32ELb1Ei14__hip_bfloat16EEvPKT6_PKbPfiPT5_PiiiibdPKfPKS9_SF_
; %bb.0:
	s_load_dword s3, s[0:1], 0x18
	v_and_b32_e32 v8, 0x3ff, v0
	s_lshl_b32 s2, s2, 2
	v_lshrrev_b32_e32 v1, 5, v8
	v_bfe_u32 v0, v0, 10, 10
	v_add3_u32 v6, s2, v0, v1
	s_waitcnt lgkmcnt(0)
	v_cmp_gt_i32_e32 vcc, s3, v6
	s_and_saveexec_b64 s[2:3], vcc
	s_cbranch_execz .LBB394_31
; %bb.1:
	s_load_dwordx2 s[2:3], s[0:1], 0x0
	s_load_dword s33, s[0:1], 0x30
	v_lshlrev_b32_e32 v0, 8, v6
	v_lshlrev_b32_e32 v2, 3, v8
	v_ashrrev_i32_e32 v1, 31, v0
	v_and_b32_e32 v10, 0xf8, v2
	s_waitcnt lgkmcnt(0)
	v_lshl_add_u64 v[0:1], v[0:1], 1, s[2:3]
	v_lshlrev_b32_e32 v4, 1, v10
	v_mov_b32_e32 v5, 0
	v_lshl_add_u64 v[0:1], v[0:1], 0, v[4:5]
	global_load_dwordx4 v[0:3], v[0:1], off
	s_load_dwordx4 s[8:11], s[0:1], 0x50
	v_ashrrev_i32_e32 v7, 31, v6
	s_mov_b32 s15, 0x800000
	s_mov_b32 s13, 0x3f317217
	;; [unrolled: 1-line block ×3, first 2 shown]
	s_waitcnt lgkmcnt(0)
	v_mov_b32_e32 v12, s8
	v_mov_b32_e32 v13, s9
	v_lshl_add_u64 v[12:13], v[6:7], 2, v[12:13]
	global_load_dword v4, v[12:13], off
	v_mov_b32_e32 v7, 0x4f800000
	v_mov_b32_e32 v9, 0x41b17218
	s_mov_b32 s9, 0x41a00000
	s_mov_b32 s12, 0xf800000
	v_mov_b32_e32 v11, 0x260
	s_cmp_gt_i32 s33, 0
	s_mov_b32 s8, 0
	s_waitcnt vmcnt(1)
	v_and_b32_e32 v16, 0xffff0000, v0
	v_lshlrev_b32_e32 v17, 16, v0
	v_and_b32_e32 v18, 0xffff0000, v1
	v_lshlrev_b32_e32 v19, 16, v1
	v_mul_f32_e32 v0, 0x3fb8aa3b, v17
	v_mul_f32_e32 v1, 0x3fb8aa3b, v16
	v_exp_f32_e32 v12, v0
	v_exp_f32_e32 v13, v1
	v_mul_f32_e32 v14, 0x3fb8aa3b, v19
	v_mul_f32_e32 v15, 0x3fb8aa3b, v18
	v_exp_f32_e32 v14, v14
	v_exp_f32_e32 v15, v15
	v_pk_add_f32 v[12:13], v[12:13], 1.0 op_sel_hi:[1,0]
	s_waitcnt vmcnt(0)
	v_mul_lo_u32 v0, v4, s33
	v_cmp_gt_f32_e32 vcc, s15, v13
	v_pk_add_f32 v[14:15], v[14:15], 1.0 op_sel_hi:[1,0]
	v_cmp_gt_f32_e64 s[2:3], s15, v12
	v_cndmask_b32_e32 v4, 1.0, v7, vcc
	v_cmp_gt_f32_e64 s[4:5], s15, v15
	v_cndmask_b32_e64 v20, 1.0, v7, s[2:3]
	v_mul_f32_e32 v4, v13, v4
	v_cndmask_b32_e64 v21, 1.0, v7, s[4:5]
	v_mul_f32_e32 v12, v12, v20
	v_log_f32_e32 v4, v4
	v_mul_f32_e32 v15, v15, v21
	v_log_f32_e32 v12, v12
	v_cmp_gt_f32_e64 s[6:7], s15, v14
	v_log_f32_e32 v15, v15
	v_cndmask_b32_e32 v13, 0, v9, vcc
	v_cndmask_b32_e64 v22, 1.0, v7, s[6:7]
	v_mul_f32_e32 v14, v14, v22
	v_mul_f32_e32 v22, 0x3f317217, v4
	;; [unrolled: 1-line block ×3, first 2 shown]
	v_fma_f32 v22, v4, s13, -v22
	v_mul_f32_e32 v24, 0x3f317217, v15
	v_fma_f32 v23, v12, s13, -v23
	v_fmac_f32_e32 v22, 0x3377d1cf, v4
	v_fma_f32 v24, v15, s13, -v24
	v_fmac_f32_e32 v23, 0x3377d1cf, v12
	v_fmac_f32_e32 v22, 0x3f317217, v4
	v_cmp_lt_f32_e64 vcc, |v4|, s14
	v_fmac_f32_e32 v24, 0x3377d1cf, v15
	v_fmac_f32_e32 v23, 0x3f317217, v12
	v_cndmask_b32_e32 v4, v4, v22, vcc
	v_cmp_lt_f32_e64 vcc, |v12|, s14
	v_cndmask_b32_e64 v20, 0, v9, s[2:3]
	v_fmac_f32_e32 v24, 0x3f317217, v15
	v_cndmask_b32_e32 v12, v12, v23, vcc
	v_cmp_lt_f32_e64 vcc, |v15|, s14
	v_sub_f32_e32 v12, v12, v20
	v_sub_f32_e32 v4, v4, v13
	v_cndmask_b32_e32 v15, v15, v24, vcc
	v_cmp_lt_f32_e32 vcc, s9, v17
	v_cndmask_b32_e64 v21, 0, v9, s[4:5]
	v_sub_f32_e32 v15, v15, v21
	v_cndmask_b32_e32 v12, v12, v17, vcc
	v_cmp_lt_f32_e32 vcc, s9, v16
	v_cmp_gt_f32_e64 s[2:3], s12, v12
	v_log_f32_e32 v14, v14
	v_cndmask_b32_e32 v4, v4, v16, vcc
	v_mul_f32_e32 v13, 0x4f800000, v4
	v_cmp_gt_f32_e32 vcc, s12, v4
	v_mul_f32_e32 v16, 0x4f800000, v12
	v_cndmask_b32_e64 v12, v12, v16, s[2:3]
	v_cndmask_b32_e32 v4, v4, v13, vcc
	v_sqrt_f32_e32 v13, v4
	v_sqrt_f32_e32 v16, v12
	v_mul_f32_e32 v25, 0x3f317217, v14
	v_fma_f32 v25, v14, s13, -v25
	v_add_u32_e32 v17, -1, v13
	v_add_u32_e32 v21, -1, v16
	v_fma_f32 v23, -v17, v13, v4
	v_add_u32_e32 v20, 1, v13
	v_fma_f32 v26, -v21, v16, v12
	v_cmp_ge_f32_e64 s[4:5], 0, v23
	v_add_u32_e32 v22, 1, v16
	v_fma_f32 v24, -v20, v13, v4
	v_cndmask_b32_e64 v13, v13, v17, s[4:5]
	v_cmp_ge_f32_e64 s[4:5], 0, v26
	v_fma_f32 v27, -v22, v16, v12
	v_fmac_f32_e32 v25, 0x3377d1cf, v14
	v_cndmask_b32_e64 v16, v16, v21, s[4:5]
	v_cmp_lt_f32_e64 s[4:5], 0, v24
	v_fmac_f32_e32 v25, 0x3f317217, v14
	v_ashrrev_i32_e32 v1, 31, v0
	v_cndmask_b32_e64 v13, v13, v20, s[4:5]
	v_cmp_lt_f32_e64 s[4:5], 0, v27
	v_mul_f32_e32 v17, 0x37800000, v13
	v_cndmask_b32_e32 v13, v13, v17, vcc
	v_cndmask_b32_e64 v16, v16, v22, s[4:5]
	v_mul_f32_e32 v20, 0x37800000, v16
	v_cmp_class_f32_e32 vcc, v4, v11
	v_cndmask_b32_e64 v16, v16, v20, s[2:3]
	v_cmp_lt_f32_e64 s[2:3], s9, v19
	v_cndmask_b32_e32 v13, v13, v4, vcc
	v_cmp_class_f32_e32 vcc, v12, v11
	v_and_b32_e32 v20, 0xffff0000, v2
	v_lshlrev_b32_e32 v2, 16, v2
	v_cndmask_b32_e32 v12, v16, v12, vcc
	v_cmp_lt_f32_e64 vcc, |v14|, s14
	s_nop 1
	v_cndmask_b32_e32 v4, v14, v25, vcc
	v_cmp_lt_f32_e32 vcc, s9, v18
	v_cndmask_b32_e64 v14, 0, v9, s[6:7]
	v_sub_f32_e32 v4, v4, v14
	v_cndmask_b32_e32 v15, v15, v18, vcc
	v_mul_f32_e32 v16, 0x4f800000, v15
	v_cmp_gt_f32_e32 vcc, s12, v15
	v_cndmask_b32_e64 v4, v4, v19, s[2:3]
	s_nop 0
	v_cndmask_b32_e32 v15, v15, v16, vcc
	v_sqrt_f32_e32 v16, v15
	s_nop 0
	v_add_u32_e32 v14, -1, v16
	v_fma_f32 v17, -v14, v16, v15
	v_cmp_ge_f32_e64 s[2:3], 0, v17
	v_add_u32_e32 v17, 1, v16
	s_nop 0
	v_cndmask_b32_e64 v14, v16, v14, s[2:3]
	v_fma_f32 v16, -v17, v16, v15
	v_cmp_lt_f32_e64 s[2:3], 0, v16
	s_nop 1
	v_cndmask_b32_e64 v14, v14, v17, s[2:3]
	v_mul_f32_e32 v17, 0x4f800000, v4
	v_cmp_gt_f32_e64 s[2:3], s12, v4
	v_mul_f32_e32 v16, 0x37800000, v14
	v_cndmask_b32_e32 v14, v14, v16, vcc
	v_cndmask_b32_e64 v4, v4, v17, s[2:3]
	v_sqrt_f32_e32 v17, v4
	v_cmp_class_f32_e32 vcc, v15, v11
	v_add_u32_e32 v18, 1, v17
	s_nop 0
	v_cndmask_b32_e32 v15, v14, v15, vcc
	v_add_u32_e32 v14, -1, v17
	v_fma_f32 v16, -v14, v17, v4
	v_cmp_ge_f32_e32 vcc, 0, v16
	v_fma_f32 v19, -v18, v17, v4
	v_mul_f32_e32 v16, 0x3fb8aa3b, v2
	v_cndmask_b32_e32 v14, v17, v14, vcc
	v_mul_f32_e32 v17, 0x3fb8aa3b, v20
	v_exp_f32_e32 v16, v16
	v_exp_f32_e32 v17, v17
	v_cmp_lt_f32_e32 vcc, 0, v19
	v_pk_add_f32 v[16:17], v[16:17], 1.0 op_sel_hi:[1,0]
	s_nop 0
	v_cndmask_b32_e32 v14, v14, v18, vcc
	v_mul_f32_e32 v18, 0x37800000, v14
	v_cmp_gt_f32_e32 vcc, s15, v17
	v_cndmask_b32_e64 v14, v14, v18, s[2:3]
	v_cmp_class_f32_e64 s[2:3], v4, v11
	v_cndmask_b32_e32 v18, 1.0, v7, vcc
	v_mul_f32_e32 v17, v17, v18
	v_log_f32_e32 v17, v17
	v_cndmask_b32_e64 v14, v14, v4, s[2:3]
	v_cmp_gt_f32_e64 s[2:3], s15, v16
	scratch_store_dwordx4 off, v[12:15], off
	v_mul_f32_e32 v4, 0x3f317217, v17
	v_fma_f32 v4, v17, s13, -v4
	v_cndmask_b32_e64 v12, 1.0, v7, s[2:3]
	v_mul_f32_e32 v12, v16, v12
	v_log_f32_e32 v12, v12
	v_fmac_f32_e32 v4, 0x3377d1cf, v17
	v_fmac_f32_e32 v4, 0x3f317217, v17
	v_cmp_lt_f32_e64 s[4:5], |v17|, s14
	v_cndmask_b32_e32 v13, 0, v9, vcc
	v_cmp_lt_f32_e64 vcc, |v12|, s14
	v_cndmask_b32_e64 v4, v17, v4, s[4:5]
	v_sub_f32_e32 v4, v4, v13
	v_mul_f32_e32 v13, 0x3f317217, v12
	v_fma_f32 v13, v12, s13, -v13
	v_fmac_f32_e32 v13, 0x3377d1cf, v12
	v_fmac_f32_e32 v13, 0x3f317217, v12
	v_cndmask_b32_e32 v12, v12, v13, vcc
	v_cmp_lt_f32_e32 vcc, s9, v20
	v_cndmask_b32_e64 v13, 0, v9, s[2:3]
	v_sub_f32_e32 v12, v12, v13
	v_cndmask_b32_e32 v4, v4, v20, vcc
	v_mul_f32_e32 v14, 0x4f800000, v4
	v_cmp_gt_f32_e32 vcc, s12, v4
	v_cmp_lt_f32_e64 s[2:3], s9, v2
	v_and_b32_e32 v16, 0xffff0000, v3
	v_cndmask_b32_e32 v4, v4, v14, vcc
	v_sqrt_f32_e32 v14, v4
	v_cndmask_b32_e64 v2, v12, v2, s[2:3]
	v_lshlrev_b32_e32 v17, 16, v3
	v_mul_f32_e32 v3, 0x3fb8aa3b, v16
	v_add_u32_e32 v12, -1, v14
	v_fma_f32 v13, -v12, v14, v4
	v_cmp_ge_f32_e64 s[2:3], 0, v13
	v_add_u32_e32 v13, 1, v14
	v_exp_f32_e32 v3, v3
	v_cndmask_b32_e64 v12, v14, v12, s[2:3]
	v_fma_f32 v14, -v13, v14, v4
	v_cmp_lt_f32_e64 s[2:3], 0, v14
	v_mul_f32_e32 v14, 0x4f800000, v2
	s_nop 0
	v_cndmask_b32_e64 v12, v12, v13, s[2:3]
	v_cmp_gt_f32_e64 s[2:3], s12, v2
	v_mul_f32_e32 v13, 0x37800000, v12
	v_cndmask_b32_e32 v12, v12, v13, vcc
	v_cndmask_b32_e64 v14, v2, v14, s[2:3]
	v_sqrt_f32_e32 v2, v14
	v_cmp_class_f32_e32 vcc, v4, v11
	s_nop 1
	v_cndmask_b32_e32 v13, v12, v4, vcc
	v_add_u32_e32 v4, -1, v2
	v_fma_f32 v12, -v4, v2, v14
	v_cmp_ge_f32_e32 vcc, 0, v12
	v_add_u32_e32 v12, 1, v2
	v_fma_f32 v15, -v12, v2, v14
	v_cndmask_b32_e32 v4, v2, v4, vcc
	v_mul_f32_e32 v2, 0x3fb8aa3b, v17
	v_exp_f32_e32 v2, v2
	v_cmp_lt_f32_e32 vcc, 0, v15
	v_pk_add_f32 v[2:3], v[2:3], 1.0 op_sel_hi:[1,0]
	s_nop 0
	v_cndmask_b32_e32 v4, v4, v12, vcc
	v_cmp_gt_f32_e32 vcc, s15, v3
	v_mul_f32_e32 v12, 0x37800000, v4
	v_cndmask_b32_e64 v4, v4, v12, s[2:3]
	v_cndmask_b32_e32 v15, 1.0, v7, vcc
	v_mul_f32_e32 v3, v3, v15
	v_log_f32_e32 v3, v3
	v_cmp_class_f32_e64 s[2:3], v14, v11
	v_cmp_lt_f32_e64 s[4:5], |v3|, s14
	s_nop 0
	v_cndmask_b32_e64 v12, v4, v14, s[2:3]
	v_cmp_gt_f32_e64 s[2:3], s15, v2
	v_mul_f32_e32 v4, 0x3f317217, v3
	v_fma_f32 v4, v3, s13, -v4
	v_cndmask_b32_e64 v7, 1.0, v7, s[2:3]
	v_mul_f32_e32 v2, v2, v7
	v_log_f32_e32 v2, v2
	v_fmac_f32_e32 v4, 0x3377d1cf, v3
	v_fmac_f32_e32 v4, 0x3f317217, v3
	v_cndmask_b32_e64 v3, v3, v4, s[4:5]
	v_cndmask_b32_e32 v4, 0, v9, vcc
	v_sub_f32_e32 v3, v3, v4
	v_mul_f32_e32 v4, 0x3f317217, v2
	v_fma_f32 v4, v2, s13, -v4
	v_fmac_f32_e32 v4, 0x3377d1cf, v2
	v_fmac_f32_e32 v4, 0x3f317217, v2
	v_cmp_lt_f32_e64 vcc, |v2|, s14
	s_cselect_b64 s[4:5], -1, 0
	s_cmp_lt_i32 s33, 1
	v_cndmask_b32_e32 v2, v2, v4, vcc
	v_cmp_lt_f32_e32 vcc, s9, v16
	v_cndmask_b32_e64 v4, 0, v9, s[2:3]
	v_sub_f32_e32 v2, v2, v4
	v_cndmask_b32_e32 v3, v3, v16, vcc
	v_mul_f32_e32 v7, 0x4f800000, v3
	v_cmp_gt_f32_e32 vcc, s12, v3
	v_cmp_lt_f32_e64 s[2:3], s9, v17
	s_nop 0
	v_cndmask_b32_e32 v3, v3, v7, vcc
	v_sqrt_f32_e32 v7, v3
	v_cndmask_b32_e64 v2, v2, v17, s[2:3]
	v_add_u32_e32 v4, -1, v7
	v_fma_f32 v9, -v4, v7, v3
	v_cmp_ge_f32_e64 s[2:3], 0, v9
	v_add_u32_e32 v9, 1, v7
	s_nop 0
	v_cndmask_b32_e64 v4, v7, v4, s[2:3]
	v_fma_f32 v7, -v9, v7, v3
	v_cmp_lt_f32_e64 s[2:3], 0, v7
	s_nop 1
	v_cndmask_b32_e64 v4, v4, v9, s[2:3]
	v_mul_f32_e32 v9, 0x4f800000, v2
	v_cmp_gt_f32_e64 s[2:3], s12, v2
	v_mul_f32_e32 v7, 0x37800000, v4
	v_cndmask_b32_e32 v4, v4, v7, vcc
	v_cndmask_b32_e64 v2, v2, v9, s[2:3]
	v_sqrt_f32_e32 v9, v2
	v_cmp_class_f32_e32 vcc, v3, v11
	s_nop 1
	v_cndmask_b32_e32 v15, v4, v3, vcc
	v_add_u32_e32 v3, -1, v9
	v_fma_f32 v4, -v3, v9, v2
	v_cmp_ge_f32_e32 vcc, 0, v4
	v_add_u32_e32 v4, 1, v9
	v_fma_f32 v7, -v4, v9, v2
	v_cndmask_b32_e32 v3, v9, v3, vcc
	v_cmp_lt_f32_e32 vcc, 0, v7
	s_nop 1
	v_cndmask_b32_e32 v3, v3, v4, vcc
	v_mul_f32_e32 v4, 0x37800000, v3
	v_cndmask_b32_e64 v3, v3, v4, s[2:3]
	v_cmp_class_f32_e32 vcc, v2, v11
	s_nop 1
	v_cndmask_b32_e32 v14, v3, v2, vcc
	v_lshl_add_u64 v[2:3], v[0:1], 2, s[10:11]
	v_mul_lo_u32 v0, v6, s33
	scratch_store_dwordx4 off, v[12:15], off offset:16
	s_cbranch_scc1 .LBB394_28
; %bb.2:
	s_load_dwordx2 s[6:7], s[0:1], 0x20
	s_cmp_lt_u32 s33, 4
	v_and_b32_e32 v4, 31, v8
	s_cbranch_scc1 .LBB394_21
; %bb.3:
	v_lshlrev_b32_e32 v5, 3, v4
	s_mov_b32 s11, 0
	s_and_b32 s8, s33, 0x7ffffffc
	v_ashrrev_i32_e32 v1, 31, v0
	v_sub_u32_e32 v11, 0, v5
	v_mov_b32_e32 v5, 0
	s_mov_b32 s10, s11
	s_branch .LBB394_5
.LBB394_4:                              ;   in Loop: Header=BB394_5 Depth=1
	s_or_b64 exec, exec, s[12:13]
	s_add_i32 s10, s10, 4
	s_cmp_eq_u32 s10, s8
	s_cbranch_scc1 .LBB394_21
.LBB394_5:                              ; =>This Loop Header: Depth=1
                                        ;     Child Loop BB394_7 Depth 2
                                        ;     Child Loop BB394_11 Depth 2
	;; [unrolled: 1-line block ×4, first 2 shown]
	v_lshl_add_u64 v[6:7], s[10:11], 2, v[2:3]
	global_load_dword v12, v[6:7], off
	v_add_u32_e32 v8, s10, v0
	v_ashrrev_i32_e32 v9, 31, v8
	v_mov_b32_e32 v13, 0
	s_mov_b64 s[12:13], 0
	s_waitcnt lgkmcnt(0)
	v_lshl_add_u64 v[8:9], v[8:9], 2, s[6:7]
	s_mov_b32 s9, 0
	s_waitcnt vmcnt(0)
	v_add_u32_e32 v14, v11, v12
	s_branch .LBB394_7
.LBB394_6:                              ;   in Loop: Header=BB394_7 Depth=2
	s_or_b64 exec, exec, s[14:15]
	s_add_i32 s16, s9, 1
	s_cmp_gt_u32 s9, 6
	s_cselect_b64 s[2:3], -1, 0
	s_xor_b64 s[14:15], vcc, -1
	s_or_b64 s[2:3], s[14:15], s[2:3]
	s_and_b64 s[2:3], exec, s[2:3]
	v_add_u32_e32 v13, 4, v13
	s_or_b64 s[12:13], s[2:3], s[12:13]
	s_mov_b32 s9, s16
	s_andn2_b64 exec, exec, s[12:13]
	s_cbranch_execz .LBB394_9
.LBB394_7:                              ;   Parent Loop BB394_5 Depth=1
                                        ; =>  This Inner Loop Header: Depth=2
	v_cmp_ne_u32_e32 vcc, s9, v14
	v_cmp_eq_u32_e64 s[2:3], s9, v14
	s_and_saveexec_b64 s[14:15], s[2:3]
	s_cbranch_execz .LBB394_6
; %bb.8:                                ;   in Loop: Header=BB394_7 Depth=2
	scratch_load_dword v15, v13, off
	s_waitcnt vmcnt(0)
	v_add_f32_e32 v5, v5, v15
	global_store_dword v[8:9], v12, off
	s_branch .LBB394_6
.LBB394_9:                              ;   in Loop: Header=BB394_5 Depth=1
	s_or_b64 exec, exec, s[12:13]
	global_load_dword v12, v[6:7], off offset:4
	s_ashr_i32 s3, s10, 31
	s_mov_b32 s2, s10
	v_lshl_add_u64 v[8:9], s[2:3], 0, v[0:1]
	v_mov_b32_e32 v13, 0
	s_mov_b32 s9, 0
	v_lshl_add_u64 v[8:9], v[8:9], 2, s[6:7]
	s_mov_b64 s[12:13], 0
	s_waitcnt vmcnt(0)
	v_add_u32_e32 v14, v11, v12
	s_branch .LBB394_11
.LBB394_10:                             ;   in Loop: Header=BB394_11 Depth=2
	s_or_b64 exec, exec, s[14:15]
	s_add_i32 s16, s9, 1
	s_cmp_gt_u32 s9, 6
	s_cselect_b64 s[2:3], -1, 0
	s_xor_b64 s[14:15], vcc, -1
	s_or_b64 s[2:3], s[14:15], s[2:3]
	s_and_b64 s[2:3], exec, s[2:3]
	v_add_u32_e32 v13, 4, v13
	s_or_b64 s[12:13], s[2:3], s[12:13]
	s_mov_b32 s9, s16
	s_andn2_b64 exec, exec, s[12:13]
	s_cbranch_execz .LBB394_13
.LBB394_11:                             ;   Parent Loop BB394_5 Depth=1
                                        ; =>  This Inner Loop Header: Depth=2
	v_cmp_ne_u32_e32 vcc, s9, v14
	v_cmp_eq_u32_e64 s[2:3], s9, v14
	s_and_saveexec_b64 s[14:15], s[2:3]
	s_cbranch_execz .LBB394_10
; %bb.12:                               ;   in Loop: Header=BB394_11 Depth=2
	scratch_load_dword v15, v13, off
	s_waitcnt vmcnt(0)
	v_add_f32_e32 v5, v5, v15
	global_store_dword v[8:9], v12, off offset:4
	s_branch .LBB394_10
.LBB394_13:                             ;   in Loop: Header=BB394_5 Depth=1
	s_or_b64 exec, exec, s[12:13]
	global_load_dword v12, v[6:7], off offset:8
	v_mov_b32_e32 v13, 0
	s_mov_b32 s9, 0
	s_mov_b64 s[12:13], 0
	s_waitcnt vmcnt(0)
	v_add_u32_e32 v14, v11, v12
	s_branch .LBB394_15
.LBB394_14:                             ;   in Loop: Header=BB394_15 Depth=2
	s_or_b64 exec, exec, s[14:15]
	s_add_i32 s16, s9, 1
	s_cmp_gt_u32 s9, 6
	s_cselect_b64 s[2:3], -1, 0
	s_xor_b64 s[14:15], vcc, -1
	s_or_b64 s[2:3], s[14:15], s[2:3]
	s_and_b64 s[2:3], exec, s[2:3]
	v_add_u32_e32 v13, 4, v13
	s_or_b64 s[12:13], s[2:3], s[12:13]
	s_mov_b32 s9, s16
	s_andn2_b64 exec, exec, s[12:13]
	s_cbranch_execz .LBB394_17
.LBB394_15:                             ;   Parent Loop BB394_5 Depth=1
                                        ; =>  This Inner Loop Header: Depth=2
	v_cmp_ne_u32_e32 vcc, s9, v14
	v_cmp_eq_u32_e64 s[2:3], s9, v14
	s_and_saveexec_b64 s[14:15], s[2:3]
	s_cbranch_execz .LBB394_14
; %bb.16:                               ;   in Loop: Header=BB394_15 Depth=2
	scratch_load_dword v15, v13, off
	s_waitcnt vmcnt(0)
	v_add_f32_e32 v5, v5, v15
	global_store_dword v[8:9], v12, off offset:8
	s_branch .LBB394_14
.LBB394_17:                             ;   in Loop: Header=BB394_5 Depth=1
	s_or_b64 exec, exec, s[12:13]
	global_load_dword v6, v[6:7], off offset:12
	v_mov_b32_e32 v7, 0
	s_mov_b32 s9, 0
	s_mov_b64 s[12:13], 0
	s_waitcnt vmcnt(0)
	v_add_u32_e32 v12, v11, v6
	s_branch .LBB394_19
.LBB394_18:                             ;   in Loop: Header=BB394_19 Depth=2
	s_or_b64 exec, exec, s[14:15]
	s_add_i32 s16, s9, 1
	s_cmp_gt_u32 s9, 6
	s_cselect_b64 s[2:3], -1, 0
	s_xor_b64 s[14:15], vcc, -1
	s_or_b64 s[2:3], s[14:15], s[2:3]
	s_and_b64 s[2:3], exec, s[2:3]
	v_add_u32_e32 v7, 4, v7
	s_or_b64 s[12:13], s[2:3], s[12:13]
	s_mov_b32 s9, s16
	s_andn2_b64 exec, exec, s[12:13]
	s_cbranch_execz .LBB394_4
.LBB394_19:                             ;   Parent Loop BB394_5 Depth=1
                                        ; =>  This Inner Loop Header: Depth=2
	v_cmp_ne_u32_e32 vcc, s9, v12
	v_cmp_eq_u32_e64 s[2:3], s9, v12
	s_and_saveexec_b64 s[14:15], s[2:3]
	s_cbranch_execz .LBB394_18
; %bb.20:                               ;   in Loop: Header=BB394_19 Depth=2
	scratch_load_dword v13, v7, off
	s_waitcnt vmcnt(0)
	v_add_f32_e32 v5, v5, v13
	global_store_dword v[8:9], v6, off offset:12
	s_branch .LBB394_18
.LBB394_21:
	s_and_b32 s14, s33, 3
	s_cmp_eq_u32 s14, 0
	s_mov_b32 s9, 0
	s_cbranch_scc1 .LBB394_28
; %bb.22:
	v_lshlrev_b32_e32 v1, 3, v4
	v_sub_u32_e32 v1, 0, v1
	s_mov_b32 s15, s9
	s_branch .LBB394_24
.LBB394_23:                             ;   in Loop: Header=BB394_24 Depth=1
	s_or_b64 exec, exec, s[10:11]
	s_add_i32 s8, s8, 1
	s_add_i32 s15, s15, 1
	s_cmp_lg_u32 s15, s14
	s_cbranch_scc0 .LBB394_28
.LBB394_24:                             ; =>This Loop Header: Depth=1
                                        ;     Child Loop BB394_26 Depth 2
	v_lshl_add_u64 v[6:7], s[8:9], 2, v[2:3]
	global_load_dword v4, v[6:7], off
	v_add_u32_e32 v6, s8, v0
	v_ashrrev_i32_e32 v7, 31, v6
	v_mov_b32_e32 v8, 0
	s_mov_b32 s16, 0
	s_waitcnt lgkmcnt(0)
	v_lshl_add_u64 v[6:7], v[6:7], 2, s[6:7]
	s_mov_b64 s[10:11], 0
	s_waitcnt vmcnt(0)
	v_add_u32_e32 v9, v1, v4
	s_branch .LBB394_26
.LBB394_25:                             ;   in Loop: Header=BB394_26 Depth=2
	s_or_b64 exec, exec, s[12:13]
	s_add_i32 s17, s16, 1
	s_cmp_gt_u32 s16, 6
	s_cselect_b64 s[2:3], -1, 0
	s_xor_b64 s[12:13], vcc, -1
	s_or_b64 s[2:3], s[12:13], s[2:3]
	s_and_b64 s[2:3], exec, s[2:3]
	v_add_u32_e32 v8, 4, v8
	s_or_b64 s[10:11], s[2:3], s[10:11]
	s_mov_b32 s16, s17
	s_andn2_b64 exec, exec, s[10:11]
	s_cbranch_execz .LBB394_23
.LBB394_26:                             ;   Parent Loop BB394_24 Depth=1
                                        ; =>  This Inner Loop Header: Depth=2
	v_cmp_ne_u32_e32 vcc, s16, v9
	v_cmp_eq_u32_e64 s[2:3], s16, v9
	s_and_saveexec_b64 s[12:13], s[2:3]
	s_cbranch_execz .LBB394_25
; %bb.27:                               ;   in Loop: Header=BB394_26 Depth=2
	scratch_load_dword v11, v8, off
	s_waitcnt vmcnt(0)
	v_add_f32_e32 v5, v5, v11
	global_store_dword v[6:7], v4, off
	s_branch .LBB394_25
.LBB394_28:
	s_waitcnt lgkmcnt(0)
	s_load_dword s6, s[0:1], 0x3c
	s_waitcnt lgkmcnt(0)
	s_bitcmp1_b32 s6, 0
	s_cselect_b64 s[2:3], -1, 0
	s_bitcmp0_b32 s6, 0
	s_cbranch_scc0 .LBB394_32
; %bb.29:
	s_load_dwordx2 s[6:7], s[0:1], 0x40
	s_andn2_b64 vcc, exec, s[2:3]
	s_waitcnt lgkmcnt(0)
	v_cvt_f32_f64_e32 v8, s[6:7]
	s_cbranch_vccz .LBB394_33
.LBB394_30:
	s_andn2_b64 vcc, exec, s[4:5]
	s_cbranch_vccz .LBB394_34
.LBB394_31:
	s_endpgm
.LBB394_32:
	v_mbcnt_lo_u32_b32 v1, -1, 0
	v_mbcnt_hi_u32_b32 v1, -1, v1
	v_and_b32_e32 v4, 0x60, v1
	v_add_u32_e32 v4, 32, v4
	v_xor_b32_e32 v6, 16, v1
	v_cmp_lt_i32_e32 vcc, v6, v4
	v_xor_b32_e32 v7, 8, v1
	s_nop 0
	v_cndmask_b32_e32 v6, v1, v6, vcc
	v_lshlrev_b32_e32 v6, 2, v6
	ds_bpermute_b32 v6, v6, v5
	v_cmp_lt_i32_e32 vcc, v7, v4
	s_waitcnt lgkmcnt(0)
	v_add_f32_e32 v5, v5, v6
	v_cndmask_b32_e32 v6, v1, v7, vcc
	v_lshlrev_b32_e32 v6, 2, v6
	ds_bpermute_b32 v6, v6, v5
	v_xor_b32_e32 v7, 4, v1
	v_cmp_lt_i32_e32 vcc, v7, v4
	s_waitcnt lgkmcnt(0)
	v_add_f32_e32 v5, v5, v6
	v_cndmask_b32_e32 v6, v1, v7, vcc
	v_lshlrev_b32_e32 v6, 2, v6
	ds_bpermute_b32 v6, v6, v5
	v_xor_b32_e32 v7, 2, v1
	;; [unrolled: 7-line block ×3, first 2 shown]
	v_cmp_lt_i32_e32 vcc, v7, v4
	s_waitcnt lgkmcnt(0)
	v_add_f32_e32 v5, v5, v6
	v_cndmask_b32_e32 v1, v1, v7, vcc
	v_lshlrev_b32_e32 v1, 2, v1
	ds_bpermute_b32 v1, v1, v5
	s_waitcnt lgkmcnt(0)
	v_add_f32_e32 v5, v5, v1
	s_load_dwordx2 s[6:7], s[0:1], 0x40
	s_andn2_b64 vcc, exec, s[2:3]
	s_waitcnt lgkmcnt(0)
	v_cvt_f32_f64_e32 v8, s[6:7]
	s_cbranch_vccnz .LBB394_30
.LBB394_33:
	v_cmp_lt_f32_e32 vcc, 0, v5
	s_nop 1
	v_cndmask_b32_e32 v1, 1.0, v5, vcc
	v_div_scale_f32 v4, s[2:3], v1, v1, v8
	v_rcp_f32_e32 v5, v4
	s_nop 0
	v_fma_f32 v6, -v4, v5, 1.0
	v_fmac_f32_e32 v5, v6, v5
	v_div_scale_f32 v6, vcc, v8, v1, v8
	v_mul_f32_e32 v7, v6, v5
	v_fma_f32 v9, -v4, v7, v6
	v_fmac_f32_e32 v7, v9, v5
	v_fma_f32 v4, -v4, v7, v6
	v_div_fmas_f32 v4, v4, v5, v7
	v_div_fixup_f32 v8, v4, v1, v8
	s_andn2_b64 vcc, exec, s[4:5]
	s_cbranch_vccnz .LBB394_31
.LBB394_34:
	s_load_dwordx2 s[12:13], s[0:1], 0x10
	v_mov_b32_e32 v1, 0
	v_or_b32_e32 v20, 4, v1
	v_or_b32_e32 v18, 8, v1
	v_or_b32_e32 v16, 12, v1
	v_add_u32_e32 v14, 16, v1
	v_add_u32_e32 v12, 20, v1
	v_add_u32_e32 v9, 24, v1
	v_add_u32_e32 v11, 28, v1
	v_or_b32_e32 v23, 1, v10
	v_or_b32_e32 v22, 2, v10
	;; [unrolled: 1-line block ×7, first 2 shown]
	s_cmp_eq_u32 s33, 1
	s_mov_b32 s14, 0
	s_cbranch_scc1 .LBB394_69
; %bb.35:
	v_ashrrev_i32_e32 v1, 31, v0
	s_waitcnt lgkmcnt(0)
	v_lshl_add_u64 v[4:5], v[0:1], 2, s[12:13]
	s_and_b32 s14, s33, 0x7ffffffe
	v_lshl_add_u64 v[4:5], v[4:5], 0, 4
	v_lshl_add_u64 v[6:7], v[2:3], 0, 4
	s_mov_b32 s15, 0
	s_branch .LBB394_37
.LBB394_36:                             ;   in Loop: Header=BB394_37 Depth=1
	s_or_b64 exec, exec, s[0:1]
	s_add_i32 s15, s15, 2
	v_lshl_add_u64 v[4:5], v[4:5], 0, 8
	s_cmp_eq_u32 s14, s15
	v_lshl_add_u64 v[6:7], v[6:7], 0, 8
	s_cbranch_scc1 .LBB394_69
.LBB394_37:                             ; =>This Inner Loop Header: Depth=1
	global_load_dword v24, v[6:7], off offset:-4
	v_mov_b32_e32 v1, 0
	s_waitcnt vmcnt(0)
	v_cmp_eq_u32_e32 vcc, v24, v10
	v_cmp_ne_u32_e64 s[0:1], v24, v10
	s_and_saveexec_b64 s[16:17], s[0:1]
	s_cbranch_execz .LBB394_51
; %bb.38:                               ;   in Loop: Header=BB394_37 Depth=1
	v_cmp_eq_u32_e64 s[0:1], v24, v23
	v_cmp_ne_u32_e64 s[2:3], v24, v23
	v_mov_b32_e32 v1, v20
	s_and_saveexec_b64 s[18:19], s[2:3]
	s_cbranch_execz .LBB394_50
; %bb.39:                               ;   in Loop: Header=BB394_37 Depth=1
	v_cmp_eq_u32_e64 s[2:3], v24, v22
	v_cmp_ne_u32_e64 s[4:5], v24, v22
	v_mov_b32_e32 v1, v18
	s_and_saveexec_b64 s[20:21], s[4:5]
	s_cbranch_execz .LBB394_49
; %bb.40:                               ;   in Loop: Header=BB394_37 Depth=1
	v_cmp_eq_u32_e64 s[4:5], v24, v21
	v_cmp_ne_u32_e64 s[6:7], v24, v21
	v_mov_b32_e32 v1, v16
	s_and_saveexec_b64 s[22:23], s[6:7]
	s_cbranch_execz .LBB394_48
; %bb.41:                               ;   in Loop: Header=BB394_37 Depth=1
	v_cmp_eq_u32_e64 s[6:7], v24, v19
	v_cmp_ne_u32_e64 s[8:9], v24, v19
	v_mov_b32_e32 v1, v14
	s_and_saveexec_b64 s[24:25], s[8:9]
	s_cbranch_execz .LBB394_47
; %bb.42:                               ;   in Loop: Header=BB394_37 Depth=1
	v_cmp_eq_u32_e64 s[8:9], v24, v17
	v_cmp_ne_u32_e64 s[10:11], v24, v17
	v_mov_b32_e32 v1, v12
	s_and_saveexec_b64 s[26:27], s[10:11]
	s_cbranch_execz .LBB394_46
; %bb.43:                               ;   in Loop: Header=BB394_37 Depth=1
	v_cmp_eq_u32_e64 s[28:29], v24, v15
	v_cmp_ne_u32_e64 s[10:11], v24, v15
	v_mov_b32_e32 v1, v9
	s_and_saveexec_b64 s[30:31], s[10:11]
	s_xor_b64 s[30:31], exec, s[30:31]
; %bb.44:                               ;   in Loop: Header=BB394_37 Depth=1
	v_cmp_eq_u32_e64 s[10:11], v24, v13
	s_andn2_b64 s[28:29], s[28:29], exec
	s_and_b64 s[10:11], s[10:11], exec
	s_or_b64 s[28:29], s[28:29], s[10:11]
	v_mov_b32_e32 v1, v11
; %bb.45:                               ;   in Loop: Header=BB394_37 Depth=1
	s_or_b64 exec, exec, s[30:31]
	s_andn2_b64 s[8:9], s[8:9], exec
	s_and_b64 s[10:11], s[28:29], exec
	s_or_b64 s[8:9], s[8:9], s[10:11]
.LBB394_46:                             ;   in Loop: Header=BB394_37 Depth=1
	s_or_b64 exec, exec, s[26:27]
	s_andn2_b64 s[6:7], s[6:7], exec
	s_and_b64 s[8:9], s[8:9], exec
	s_or_b64 s[6:7], s[6:7], s[8:9]
.LBB394_47:                             ;   in Loop: Header=BB394_37 Depth=1
	s_or_b64 exec, exec, s[24:25]
	s_andn2_b64 s[4:5], s[4:5], exec
	s_and_b64 s[6:7], s[6:7], exec
	s_or_b64 s[4:5], s[4:5], s[6:7]
.LBB394_48:                             ;   in Loop: Header=BB394_37 Depth=1
	s_or_b64 exec, exec, s[22:23]
	s_andn2_b64 s[2:3], s[2:3], exec
	s_and_b64 s[4:5], s[4:5], exec
	s_or_b64 s[2:3], s[2:3], s[4:5]
.LBB394_49:                             ;   in Loop: Header=BB394_37 Depth=1
	s_or_b64 exec, exec, s[20:21]
	s_andn2_b64 s[0:1], s[0:1], exec
	s_and_b64 s[2:3], s[2:3], exec
	s_or_b64 s[0:1], s[0:1], s[2:3]
.LBB394_50:                             ;   in Loop: Header=BB394_37 Depth=1
	s_or_b64 exec, exec, s[18:19]
	s_andn2_b64 s[2:3], vcc, exec
	s_and_b64 s[0:1], s[0:1], exec
	s_or_b64 vcc, s[2:3], s[0:1]
.LBB394_51:                             ;   in Loop: Header=BB394_37 Depth=1
	s_or_b64 exec, exec, s[16:17]
	s_and_saveexec_b64 s[0:1], vcc
	s_cbranch_execz .LBB394_53
; %bb.52:                               ;   in Loop: Header=BB394_37 Depth=1
	scratch_load_dword v1, v1, off
	v_add_u32_e32 v24, s15, v0
	v_ashrrev_i32_e32 v25, 31, v24
	v_lshl_add_u64 v[24:25], v[24:25], 2, s[12:13]
	s_waitcnt vmcnt(0)
	v_mul_f32_e32 v1, v8, v1
	global_store_dword v[24:25], v1, off
.LBB394_53:                             ;   in Loop: Header=BB394_37 Depth=1
	s_or_b64 exec, exec, s[0:1]
	global_load_dword v24, v[6:7], off
	v_mov_b32_e32 v1, 0
	s_waitcnt vmcnt(0)
	v_cmp_eq_u32_e64 s[8:9], v24, v10
	v_cmp_ne_u32_e32 vcc, v24, v10
	s_and_saveexec_b64 s[10:11], vcc
	s_cbranch_execz .LBB394_67
; %bb.54:                               ;   in Loop: Header=BB394_37 Depth=1
	v_cmp_eq_u32_e32 vcc, v24, v23
	v_cmp_ne_u32_e64 s[0:1], v24, v23
	v_mov_b32_e32 v1, v20
	s_and_saveexec_b64 s[16:17], s[0:1]
	s_cbranch_execz .LBB394_66
; %bb.55:                               ;   in Loop: Header=BB394_37 Depth=1
	v_cmp_eq_u32_e64 s[0:1], v24, v22
	v_cmp_ne_u32_e64 s[2:3], v24, v22
	v_mov_b32_e32 v1, v18
	s_and_saveexec_b64 s[18:19], s[2:3]
	s_cbranch_execz .LBB394_65
; %bb.56:                               ;   in Loop: Header=BB394_37 Depth=1
	v_cmp_eq_u32_e64 s[2:3], v24, v21
	;; [unrolled: 6-line block ×5, first 2 shown]
	v_cmp_ne_u32_e64 s[6:7], v24, v15
	v_mov_b32_e32 v1, v9
	s_and_saveexec_b64 s[30:31], s[6:7]
; %bb.60:                               ;   in Loop: Header=BB394_37 Depth=1
	v_cmp_eq_u32_e64 s[6:7], v24, v13
	s_andn2_b64 s[28:29], s[28:29], exec
	s_and_b64 s[6:7], s[6:7], exec
	s_or_b64 s[28:29], s[28:29], s[6:7]
	v_mov_b32_e32 v1, v11
; %bb.61:                               ;   in Loop: Header=BB394_37 Depth=1
	s_or_b64 exec, exec, s[30:31]
	s_andn2_b64 s[6:7], s[24:25], exec
	s_and_b64 s[24:25], s[28:29], exec
	s_or_b64 s[24:25], s[6:7], s[24:25]
.LBB394_62:                             ;   in Loop: Header=BB394_37 Depth=1
	s_or_b64 exec, exec, s[26:27]
	s_andn2_b64 s[4:5], s[4:5], exec
	s_and_b64 s[6:7], s[24:25], exec
	s_or_b64 s[4:5], s[4:5], s[6:7]
.LBB394_63:                             ;   in Loop: Header=BB394_37 Depth=1
	s_or_b64 exec, exec, s[22:23]
	s_andn2_b64 s[2:3], s[2:3], exec
	s_and_b64 s[4:5], s[4:5], exec
	s_or_b64 s[2:3], s[2:3], s[4:5]
.LBB394_64:                             ;   in Loop: Header=BB394_37 Depth=1
	s_or_b64 exec, exec, s[20:21]
	s_andn2_b64 s[0:1], s[0:1], exec
	s_and_b64 s[2:3], s[2:3], exec
	s_or_b64 s[0:1], s[0:1], s[2:3]
.LBB394_65:                             ;   in Loop: Header=BB394_37 Depth=1
	s_or_b64 exec, exec, s[18:19]
	s_andn2_b64 s[2:3], vcc, exec
	s_and_b64 s[0:1], s[0:1], exec
	s_or_b64 vcc, s[2:3], s[0:1]
.LBB394_66:                             ;   in Loop: Header=BB394_37 Depth=1
	s_or_b64 exec, exec, s[16:17]
	s_andn2_b64 s[0:1], s[8:9], exec
	s_and_b64 s[2:3], vcc, exec
	s_or_b64 s[8:9], s[0:1], s[2:3]
.LBB394_67:                             ;   in Loop: Header=BB394_37 Depth=1
	s_or_b64 exec, exec, s[10:11]
	s_and_saveexec_b64 s[0:1], s[8:9]
	s_cbranch_execz .LBB394_36
; %bb.68:                               ;   in Loop: Header=BB394_37 Depth=1
	scratch_load_dword v1, v1, off
	s_waitcnt vmcnt(0)
	v_mul_f32_e32 v1, v8, v1
	global_store_dword v[4:5], v1, off
	s_branch .LBB394_36
.LBB394_69:
	s_bitcmp0_b32 s33, 0
	s_mov_b32 s15, 0
	s_cbranch_scc1 .LBB394_31
; %bb.70:
	v_lshl_add_u64 v[2:3], s[14:15], 2, v[2:3]
	global_load_dword v1, v[2:3], off
	v_mov_b32_e32 v2, 0
	s_waitcnt vmcnt(0)
	v_cmp_eq_u32_e64 s[8:9], v1, v10
	v_cmp_ne_u32_e32 vcc, v1, v10
	s_and_saveexec_b64 s[10:11], vcc
	s_cbranch_execz .LBB394_84
; %bb.71:
	v_cmp_eq_u32_e32 vcc, v1, v23
	v_cmp_ne_u32_e64 s[0:1], v1, v23
	s_and_saveexec_b64 s[16:17], s[0:1]
	s_cbranch_execz .LBB394_83
; %bb.72:
	v_cmp_eq_u32_e64 s[0:1], v1, v22
	v_cmp_ne_u32_e64 s[2:3], v1, v22
	s_and_saveexec_b64 s[18:19], s[2:3]
	s_cbranch_execz .LBB394_82
; %bb.73:
	v_cmp_eq_u32_e64 s[2:3], v1, v21
	;; [unrolled: 5-line block ×5, first 2 shown]
	v_cmp_ne_u32_e64 s[6:7], v1, v15
	s_and_saveexec_b64 s[30:31], s[6:7]
; %bb.77:
	v_cmp_eq_u32_e64 s[6:7], v1, v13
	s_andn2_b64 s[28:29], s[28:29], exec
	s_and_b64 s[6:7], s[6:7], exec
	s_or_b64 s[28:29], s[28:29], s[6:7]
	v_mov_b32_e32 v9, v11
; %bb.78:
	s_or_b64 exec, exec, s[30:31]
	s_andn2_b64 s[6:7], s[24:25], exec
	s_and_b64 s[24:25], s[28:29], exec
	s_or_b64 s[24:25], s[6:7], s[24:25]
	v_mov_b32_e32 v12, v9
.LBB394_79:
	s_or_b64 exec, exec, s[26:27]
	s_andn2_b64 s[4:5], s[4:5], exec
	s_and_b64 s[6:7], s[24:25], exec
	s_or_b64 s[4:5], s[4:5], s[6:7]
	v_mov_b32_e32 v14, v12
.LBB394_80:
	s_or_b64 exec, exec, s[22:23]
	s_andn2_b64 s[2:3], s[2:3], exec
	s_and_b64 s[4:5], s[4:5], exec
	s_or_b64 s[2:3], s[2:3], s[4:5]
	v_mov_b32_e32 v16, v14
.LBB394_81:
	s_or_b64 exec, exec, s[20:21]
	s_andn2_b64 s[0:1], s[0:1], exec
	s_and_b64 s[2:3], s[2:3], exec
	s_or_b64 s[0:1], s[0:1], s[2:3]
	v_mov_b32_e32 v18, v16
.LBB394_82:
	s_or_b64 exec, exec, s[18:19]
	s_andn2_b64 s[2:3], vcc, exec
	s_and_b64 s[0:1], s[0:1], exec
	s_or_b64 vcc, s[2:3], s[0:1]
	v_mov_b32_e32 v20, v18
.LBB394_83:
	s_or_b64 exec, exec, s[16:17]
	s_andn2_b64 s[0:1], s[8:9], exec
	s_and_b64 s[2:3], vcc, exec
	s_or_b64 s[8:9], s[0:1], s[2:3]
	v_mov_b32_e32 v2, v20
.LBB394_84:
	s_or_b64 exec, exec, s[10:11]
	s_and_b64 exec, exec, s[8:9]
	s_cbranch_execz .LBB394_31
; %bb.85:
	scratch_load_dword v2, v2, off
	v_add_u32_e32 v0, s14, v0
	v_ashrrev_i32_e32 v1, 31, v0
	s_waitcnt lgkmcnt(0)
	v_lshl_add_u64 v[0:1], v[0:1], 2, s[12:13]
	s_waitcnt vmcnt(0)
	v_mul_f32_e32 v2, v8, v2
	global_store_dword v[0:1], v2, off
	s_endpgm
	.section	.rodata,"a",@progbits
	.p2align	6, 0x0
	.amdhsa_kernel _ZN4vllm3moe22topkGatingSoftplusSqrtILi8ELi256ELi4ELi16ELi32ELb1Ei14__hip_bfloat16EEvPKT6_PKbPfiPT5_PiiiibdPKfPKS9_SF_
		.amdhsa_group_segment_fixed_size 0
		.amdhsa_private_segment_fixed_size 48
		.amdhsa_kernarg_size 96
		.amdhsa_user_sgpr_count 2
		.amdhsa_user_sgpr_dispatch_ptr 0
		.amdhsa_user_sgpr_queue_ptr 0
		.amdhsa_user_sgpr_kernarg_segment_ptr 1
		.amdhsa_user_sgpr_dispatch_id 0
		.amdhsa_user_sgpr_kernarg_preload_length 0
		.amdhsa_user_sgpr_kernarg_preload_offset 0
		.amdhsa_user_sgpr_private_segment_size 0
		.amdhsa_uses_dynamic_stack 0
		.amdhsa_enable_private_segment 1
		.amdhsa_system_sgpr_workgroup_id_x 1
		.amdhsa_system_sgpr_workgroup_id_y 0
		.amdhsa_system_sgpr_workgroup_id_z 0
		.amdhsa_system_sgpr_workgroup_info 0
		.amdhsa_system_vgpr_workitem_id 1
		.amdhsa_next_free_vgpr 28
		.amdhsa_next_free_sgpr 34
		.amdhsa_accum_offset 28
		.amdhsa_reserve_vcc 1
		.amdhsa_float_round_mode_32 0
		.amdhsa_float_round_mode_16_64 0
		.amdhsa_float_denorm_mode_32 3
		.amdhsa_float_denorm_mode_16_64 3
		.amdhsa_dx10_clamp 1
		.amdhsa_ieee_mode 1
		.amdhsa_fp16_overflow 0
		.amdhsa_tg_split 0
		.amdhsa_exception_fp_ieee_invalid_op 0
		.amdhsa_exception_fp_denorm_src 0
		.amdhsa_exception_fp_ieee_div_zero 0
		.amdhsa_exception_fp_ieee_overflow 0
		.amdhsa_exception_fp_ieee_underflow 0
		.amdhsa_exception_fp_ieee_inexact 0
		.amdhsa_exception_int_div_zero 0
	.end_amdhsa_kernel
	.section	.text._ZN4vllm3moe22topkGatingSoftplusSqrtILi8ELi256ELi4ELi16ELi32ELb1Ei14__hip_bfloat16EEvPKT6_PKbPfiPT5_PiiiibdPKfPKS9_SF_,"axG",@progbits,_ZN4vllm3moe22topkGatingSoftplusSqrtILi8ELi256ELi4ELi16ELi32ELb1Ei14__hip_bfloat16EEvPKT6_PKbPfiPT5_PiiiibdPKfPKS9_SF_,comdat
.Lfunc_end394:
	.size	_ZN4vllm3moe22topkGatingSoftplusSqrtILi8ELi256ELi4ELi16ELi32ELb1Ei14__hip_bfloat16EEvPKT6_PKbPfiPT5_PiiiibdPKfPKS9_SF_, .Lfunc_end394-_ZN4vllm3moe22topkGatingSoftplusSqrtILi8ELi256ELi4ELi16ELi32ELb1Ei14__hip_bfloat16EEvPKT6_PKbPfiPT5_PiiiibdPKfPKS9_SF_
                                        ; -- End function
	.section	.AMDGPU.csdata,"",@progbits
; Kernel info:
; codeLenInByte = 4560
; NumSgprs: 40
; NumVgprs: 28
; NumAgprs: 0
; TotalNumVgprs: 28
; ScratchSize: 48
; MemoryBound: 0
; FloatMode: 240
; IeeeMode: 1
; LDSByteSize: 0 bytes/workgroup (compile time only)
; SGPRBlocks: 4
; VGPRBlocks: 3
; NumSGPRsForWavesPerEU: 40
; NumVGPRsForWavesPerEU: 28
; AccumOffset: 28
; Occupancy: 8
; WaveLimiterHint : 1
; COMPUTE_PGM_RSRC2:SCRATCH_EN: 1
; COMPUTE_PGM_RSRC2:USER_SGPR: 2
; COMPUTE_PGM_RSRC2:TRAP_HANDLER: 0
; COMPUTE_PGM_RSRC2:TGID_X_EN: 1
; COMPUTE_PGM_RSRC2:TGID_Y_EN: 0
; COMPUTE_PGM_RSRC2:TGID_Z_EN: 0
; COMPUTE_PGM_RSRC2:TIDIG_COMP_CNT: 1
; COMPUTE_PGM_RSRC3_GFX90A:ACCUM_OFFSET: 6
; COMPUTE_PGM_RSRC3_GFX90A:TG_SPLIT: 0
	.section	.text._ZN4vllm3moe22topkGatingSoftplusSqrtILi8ELi256ELi4ELi16ELi32ELb0Ei14__hip_bfloat16EEvPKT6_PKbPfiPT5_PiiiibdPKfPKS9_SF_,"axG",@progbits,_ZN4vllm3moe22topkGatingSoftplusSqrtILi8ELi256ELi4ELi16ELi32ELb0Ei14__hip_bfloat16EEvPKT6_PKbPfiPT5_PiiiibdPKfPKS9_SF_,comdat
	.protected	_ZN4vllm3moe22topkGatingSoftplusSqrtILi8ELi256ELi4ELi16ELi32ELb0Ei14__hip_bfloat16EEvPKT6_PKbPfiPT5_PiiiibdPKfPKS9_SF_ ; -- Begin function _ZN4vllm3moe22topkGatingSoftplusSqrtILi8ELi256ELi4ELi16ELi32ELb0Ei14__hip_bfloat16EEvPKT6_PKbPfiPT5_PiiiibdPKfPKS9_SF_
	.globl	_ZN4vllm3moe22topkGatingSoftplusSqrtILi8ELi256ELi4ELi16ELi32ELb0Ei14__hip_bfloat16EEvPKT6_PKbPfiPT5_PiiiibdPKfPKS9_SF_
	.p2align	8
	.type	_ZN4vllm3moe22topkGatingSoftplusSqrtILi8ELi256ELi4ELi16ELi32ELb0Ei14__hip_bfloat16EEvPKT6_PKbPfiPT5_PiiiibdPKfPKS9_SF_,@function
_ZN4vllm3moe22topkGatingSoftplusSqrtILi8ELi256ELi4ELi16ELi32ELb0Ei14__hip_bfloat16EEvPKT6_PKbPfiPT5_PiiiibdPKfPKS9_SF_: ; @_ZN4vllm3moe22topkGatingSoftplusSqrtILi8ELi256ELi4ELi16ELi32ELb0Ei14__hip_bfloat16EEvPKT6_PKbPfiPT5_PiiiibdPKfPKS9_SF_
; %bb.0:
	s_load_dword s33, s[0:1], 0x18
	v_and_b32_e32 v1, 0x3ff, v0
	s_lshl_b32 s2, s2, 2
	v_lshrrev_b32_e32 v2, 5, v1
	v_bfe_u32 v0, v0, 10, 10
	v_add3_u32 v8, s2, v0, v2
	s_waitcnt lgkmcnt(0)
	v_cmp_gt_i32_e32 vcc, s33, v8
	s_and_saveexec_b64 s[2:3], vcc
	s_cbranch_execz .LBB395_65
; %bb.1:
	s_load_dwordx4 s[4:7], s[0:1], 0x0
	s_load_dwordx2 s[34:35], s[0:1], 0x10
	s_waitcnt lgkmcnt(0)
	s_cmp_eq_u64 s[6:7], 0
	s_cbranch_scc1 .LBB395_3
; %bb.2:
	v_ashrrev_i32_e32 v9, 31, v8
	v_lshl_add_u64 v[2:3], s[6:7], 0, v[8:9]
	global_load_ubyte v0, v[2:3], off
	s_waitcnt vmcnt(0)
	v_and_b32_e32 v0, 1, v0
	v_cmp_eq_u32_e32 vcc, 1, v0
	s_xor_b64 s[2:3], vcc, -1
	s_orn2_b64 s[36:37], s[2:3], exec
	s_branch .LBB395_4
.LBB395_3:
	s_mov_b64 s[36:37], -1
.LBB395_4:
	v_lshlrev_b32_e32 v4, 8, v8
	v_mov_b32_e32 v2, s4
	v_mov_b32_e32 v3, s5
	v_ashrrev_i32_e32 v5, 31, v4
	v_and_b32_e32 v9, 31, v1
	v_lshl_add_u64 v[2:3], v[4:5], 1, v[2:3]
	v_mov_b32_e32 v1, 0
	v_lshlrev_b32_e32 v0, 4, v9
	v_lshl_add_u64 v[0:1], v[2:3], 0, v[0:1]
	global_load_dwordx4 v[4:7], v[0:1], off
	s_mov_b32 s12, 0x800000
	v_mov_b32_e32 v2, 0x4f800000
	s_mov_b32 s9, 0x3f317217
	s_mov_b32 s10, 0x7f800000
	v_mov_b32_e32 v3, 0x41b17218
	s_mov_b32 s8, 0x41a00000
	s_mov_b32 s11, 0xf800000
	s_load_dwordx4 s[20:23], s[0:1], 0x40
	v_lshlrev_b32_e32 v12, 3, v9
	s_waitcnt lgkmcnt(0)
	s_cmp_lg_u64 s[22:23], 0
	s_cselect_b64 s[6:7], -1, 0
	s_and_b64 s[2:3], exec, s[6:7]
	s_waitcnt vmcnt(0)
	v_lshlrev_b32_e32 v0, 16, v4
	v_mul_f32_e32 v1, 0x3fb8aa3b, v0
	v_exp_f32_e32 v10, v1
	v_mov_b32_e32 v1, 0x260
	v_add_f32_e32 v10, 1.0, v10
	v_cmp_gt_f32_e32 vcc, s12, v10
	s_nop 1
	v_cndmask_b32_e32 v11, 1.0, v2, vcc
	v_mul_f32_e32 v10, v10, v11
	v_log_f32_e32 v11, v10
	v_cndmask_b32_e32 v13, 0, v3, vcc
	v_lshlrev_b32_e32 v10, 2, v12
	v_mul_f32_e32 v14, 0x3f317217, v11
	v_fma_f32 v14, v11, s9, -v14
	v_fmac_f32_e32 v14, 0x3377d1cf, v11
	v_fmac_f32_e32 v14, 0x3f317217, v11
	v_cmp_lt_f32_e64 vcc, |v11|, s10
	s_nop 1
	v_cndmask_b32_e32 v11, v11, v14, vcc
	v_sub_f32_e32 v11, v11, v13
	v_cmp_lt_f32_e32 vcc, s8, v0
	s_nop 1
	v_cndmask_b32_e32 v0, v11, v0, vcc
	v_mul_f32_e32 v11, 0x4f800000, v0
	v_cmp_gt_f32_e32 vcc, s11, v0
	s_nop 1
	v_cndmask_b32_e32 v0, v0, v11, vcc
	v_sqrt_f32_e32 v11, v0
	s_nop 0
	v_add_u32_e32 v13, -1, v11
	v_add_u32_e32 v14, 1, v11
	v_fma_f32 v15, -v13, v11, v0
	v_fma_f32 v16, -v14, v11, v0
	v_cmp_ge_f32_e64 s[4:5], 0, v15
	s_nop 1
	v_cndmask_b32_e64 v11, v11, v13, s[4:5]
	v_cmp_lt_f32_e64 s[4:5], 0, v16
	s_nop 1
	v_cndmask_b32_e64 v11, v11, v14, s[4:5]
	v_mul_f32_e32 v13, 0x37800000, v11
	v_cndmask_b32_e32 v11, v11, v13, vcc
	v_cmp_class_f32_e32 vcc, v0, v1
	s_nop 1
	v_cndmask_b32_e32 v0, v11, v0, vcc
	s_mov_b64 vcc, s[2:3]
	s_cbranch_vccz .LBB395_6
; %bb.5:
	global_load_dword v11, v10, s[22:23]
	s_waitcnt vmcnt(0)
	v_add_f32_e32 v0, v0, v11
.LBB395_6:
	v_and_b32_e32 v4, 0xffff0000, v4
	v_mul_f32_e32 v11, 0x3fb8aa3b, v4
	v_exp_f32_e32 v11, v11
	s_nop 0
	v_add_f32_e32 v11, 1.0, v11
	v_cmp_gt_f32_e32 vcc, s12, v11
	s_nop 1
	v_cndmask_b32_e32 v2, 1.0, v2, vcc
	v_mul_f32_e32 v2, v11, v2
	v_log_f32_e32 v2, v2
	v_cndmask_b32_e32 v3, 0, v3, vcc
	v_mul_f32_e32 v11, 0x3f317217, v2
	v_fma_f32 v11, v2, s9, -v11
	v_fmac_f32_e32 v11, 0x3377d1cf, v2
	v_fmac_f32_e32 v11, 0x3f317217, v2
	v_cmp_lt_f32_e64 vcc, |v2|, s10
	s_nop 1
	v_cndmask_b32_e32 v2, v2, v11, vcc
	v_sub_f32_e32 v2, v2, v3
	v_cmp_lt_f32_e32 vcc, s8, v4
	s_nop 1
	v_cndmask_b32_e32 v2, v2, v4, vcc
	v_mul_f32_e32 v3, 0x4f800000, v2
	v_cmp_gt_f32_e32 vcc, s11, v2
	s_nop 1
	v_cndmask_b32_e32 v2, v2, v3, vcc
	v_sqrt_f32_e32 v3, v2
	v_cmp_class_f32_e64 s[4:5], v2, v1
	v_add_u32_e32 v4, -1, v3
	v_add_u32_e32 v11, 1, v3
	v_fma_f32 v13, -v4, v3, v2
	v_fma_f32 v14, -v11, v3, v2
	v_cmp_ge_f32_e64 s[2:3], 0, v13
	s_nop 1
	v_cndmask_b32_e64 v3, v3, v4, s[2:3]
	v_cmp_lt_f32_e64 s[2:3], 0, v14
	s_nop 1
	v_cndmask_b32_e64 v3, v3, v11, s[2:3]
	v_mul_f32_e32 v4, 0x37800000, v3
	v_cndmask_b32_e32 v3, v3, v4, vcc
	v_cndmask_b32_e64 v4, 0, 1, s[6:7]
	v_cmp_ne_u32_e64 s[2:3], 1, v4
	s_andn2_b64 vcc, exec, s[6:7]
	v_cndmask_b32_e64 v1, v3, v2, s[4:5]
	s_cbranch_vccnz .LBB395_8
; %bb.7:
	global_load_dword v2, v10, s[22:23] offset:4
	s_waitcnt vmcnt(0)
	v_add_f32_e32 v1, v1, v2
.LBB395_8:
	v_lshlrev_b32_e32 v2, 16, v5
	v_mul_f32_e32 v3, 0x3fb8aa3b, v2
	v_exp_f32_e32 v3, v3
	s_mov_b32 s10, 0x800000
	v_mov_b32_e32 v4, 0x4f800000
	s_mov_b32 s7, 0x3f317217
	v_add_f32_e32 v3, 1.0, v3
	v_cmp_gt_f32_e32 vcc, s10, v3
	s_mov_b32 s8, 0x7f800000
	s_mov_b32 s6, 0x41a00000
	v_cndmask_b32_e32 v11, 1.0, v4, vcc
	v_mul_f32_e32 v3, v3, v11
	v_log_f32_e32 v3, v3
	s_mov_b32 s9, 0xf800000
	v_mul_f32_e32 v11, 0x3f317217, v3
	v_fma_f32 v11, v3, s7, -v11
	v_fmac_f32_e32 v11, 0x3377d1cf, v3
	v_fmac_f32_e32 v11, 0x3f317217, v3
	v_cmp_lt_f32_e64 s[4:5], |v3|, s8
	s_nop 1
	v_cndmask_b32_e64 v3, v3, v11, s[4:5]
	v_mov_b32_e32 v11, 0x41b17218
	v_cndmask_b32_e32 v13, 0, v11, vcc
	v_sub_f32_e32 v3, v3, v13
	v_cmp_lt_f32_e32 vcc, s6, v2
	s_nop 1
	v_cndmask_b32_e32 v2, v3, v2, vcc
	v_mul_f32_e32 v3, 0x4f800000, v2
	v_cmp_gt_f32_e32 vcc, s9, v2
	s_nop 1
	v_cndmask_b32_e32 v2, v2, v3, vcc
	v_sqrt_f32_e32 v3, v2
	s_nop 0
	v_add_u32_e32 v13, -1, v3
	v_fma_f32 v14, -v13, v3, v2
	v_cmp_ge_f32_e64 s[4:5], 0, v14
	v_add_u32_e32 v14, 1, v3
	s_nop 0
	v_cndmask_b32_e64 v13, v3, v13, s[4:5]
	v_fma_f32 v3, -v14, v3, v2
	v_cmp_lt_f32_e64 s[4:5], 0, v3
	s_nop 1
	v_cndmask_b32_e64 v3, v13, v14, s[4:5]
	v_mul_f32_e32 v13, 0x37800000, v3
	v_cndmask_b32_e32 v13, v3, v13, vcc
	v_mov_b32_e32 v3, 0x260
	v_cmp_class_f32_e64 s[4:5], v2, v3
	s_and_b64 vcc, exec, s[2:3]
	s_nop 0
	v_cndmask_b32_e64 v2, v13, v2, s[4:5]
	s_cbranch_vccnz .LBB395_10
; %bb.9:
	global_load_dword v13, v10, s[22:23] offset:8
	s_waitcnt vmcnt(0)
	v_add_f32_e32 v2, v2, v13
.LBB395_10:
	v_and_b32_e32 v5, 0xffff0000, v5
	v_mul_f32_e32 v13, 0x3fb8aa3b, v5
	v_exp_f32_e32 v13, v13
	s_nop 0
	v_add_f32_e32 v13, 1.0, v13
	v_cmp_gt_f32_e32 vcc, s10, v13
	s_nop 1
	v_cndmask_b32_e32 v4, 1.0, v4, vcc
	v_mul_f32_e32 v4, v13, v4
	v_log_f32_e32 v4, v4
	v_cndmask_b32_e32 v11, 0, v11, vcc
	v_mul_f32_e32 v13, 0x3f317217, v4
	v_fma_f32 v13, v4, s7, -v13
	v_fmac_f32_e32 v13, 0x3377d1cf, v4
	v_fmac_f32_e32 v13, 0x3f317217, v4
	v_cmp_lt_f32_e64 vcc, |v4|, s8
	s_nop 1
	v_cndmask_b32_e32 v4, v4, v13, vcc
	v_sub_f32_e32 v4, v4, v11
	v_cmp_lt_f32_e32 vcc, s6, v5
	s_nop 1
	v_cndmask_b32_e32 v4, v4, v5, vcc
	v_mul_f32_e32 v5, 0x4f800000, v4
	v_cmp_gt_f32_e32 vcc, s9, v4
	s_nop 1
	v_cndmask_b32_e32 v4, v4, v5, vcc
	v_sqrt_f32_e32 v5, v4
	s_nop 0
	v_add_u32_e32 v11, -1, v5
	v_add_u32_e32 v13, 1, v5
	v_fma_f32 v14, -v11, v5, v4
	v_fma_f32 v15, -v13, v5, v4
	v_cmp_ge_f32_e64 s[4:5], 0, v14
	s_nop 1
	v_cndmask_b32_e64 v5, v5, v11, s[4:5]
	v_cmp_lt_f32_e64 s[4:5], 0, v15
	s_nop 1
	v_cndmask_b32_e64 v5, v5, v13, s[4:5]
	v_mul_f32_e32 v11, 0x37800000, v5
	v_cndmask_b32_e32 v5, v5, v11, vcc
	v_cmp_class_f32_e64 s[4:5], v4, v3
	s_and_b64 vcc, exec, s[2:3]
	s_nop 0
	v_cndmask_b32_e64 v3, v5, v4, s[4:5]
	s_cbranch_vccnz .LBB395_12
; %bb.11:
	global_load_dword v4, v10, s[22:23] offset:12
	s_waitcnt vmcnt(0)
	v_add_f32_e32 v3, v3, v4
.LBB395_12:
	v_lshlrev_b32_e32 v4, 16, v6
	v_mul_f32_e32 v5, 0x3fb8aa3b, v4
	v_exp_f32_e32 v5, v5
	v_mov_b32_e32 v11, 0x4f800000
	v_add_f32_e32 v5, 1.0, v5
	v_cmp_gt_f32_e32 vcc, s10, v5
	s_nop 1
	v_cndmask_b32_e32 v13, 1.0, v11, vcc
	v_mul_f32_e32 v5, v5, v13
	v_log_f32_e32 v5, v5
	s_nop 0
	v_mul_f32_e32 v13, 0x3f317217, v5
	v_fma_f32 v13, v5, s7, -v13
	v_fmac_f32_e32 v13, 0x3377d1cf, v5
	v_fmac_f32_e32 v13, 0x3f317217, v5
	v_cmp_lt_f32_e64 s[4:5], |v5|, s8
	s_nop 1
	v_cndmask_b32_e64 v5, v5, v13, s[4:5]
	v_mov_b32_e32 v13, 0x41b17218
	v_cndmask_b32_e32 v14, 0, v13, vcc
	v_sub_f32_e32 v5, v5, v14
	v_cmp_lt_f32_e32 vcc, s6, v4
	s_nop 1
	v_cndmask_b32_e32 v4, v5, v4, vcc
	v_mul_f32_e32 v5, 0x4f800000, v4
	v_cmp_gt_f32_e32 vcc, s9, v4
	s_nop 1
	v_cndmask_b32_e32 v4, v4, v5, vcc
	v_sqrt_f32_e32 v5, v4
	s_nop 0
	v_add_u32_e32 v14, -1, v5
	v_fma_f32 v15, -v14, v5, v4
	v_cmp_ge_f32_e64 s[4:5], 0, v15
	v_add_u32_e32 v15, 1, v5
	s_nop 0
	v_cndmask_b32_e64 v14, v5, v14, s[4:5]
	v_fma_f32 v5, -v15, v5, v4
	v_cmp_lt_f32_e64 s[4:5], 0, v5
	s_nop 1
	v_cndmask_b32_e64 v5, v14, v15, s[4:5]
	v_mul_f32_e32 v14, 0x37800000, v5
	v_cndmask_b32_e32 v14, v5, v14, vcc
	v_mov_b32_e32 v5, 0x260
	v_cmp_class_f32_e64 s[4:5], v4, v5
	s_and_b64 vcc, exec, s[2:3]
	s_nop 0
	v_cndmask_b32_e64 v4, v14, v4, s[4:5]
	s_cbranch_vccnz .LBB395_14
; %bb.13:
	global_load_dword v14, v10, s[22:23] offset:16
	s_waitcnt vmcnt(0)
	v_add_f32_e32 v4, v4, v14
.LBB395_14:
	v_and_b32_e32 v6, 0xffff0000, v6
	v_mul_f32_e32 v14, 0x3fb8aa3b, v6
	v_exp_f32_e32 v14, v14
	s_nop 0
	v_add_f32_e32 v14, 1.0, v14
	v_cmp_gt_f32_e32 vcc, s10, v14
	s_nop 1
	v_cndmask_b32_e32 v11, 1.0, v11, vcc
	v_mul_f32_e32 v11, v14, v11
	v_log_f32_e32 v11, v11
	v_cndmask_b32_e32 v13, 0, v13, vcc
	v_mul_f32_e32 v14, 0x3f317217, v11
	v_fma_f32 v14, v11, s7, -v14
	v_fmac_f32_e32 v14, 0x3377d1cf, v11
	v_fmac_f32_e32 v14, 0x3f317217, v11
	v_cmp_lt_f32_e64 vcc, |v11|, s8
	s_nop 1
	v_cndmask_b32_e32 v11, v11, v14, vcc
	v_sub_f32_e32 v11, v11, v13
	v_cmp_lt_f32_e32 vcc, s6, v6
	s_nop 1
	v_cndmask_b32_e32 v6, v11, v6, vcc
	v_mul_f32_e32 v11, 0x4f800000, v6
	v_cmp_gt_f32_e32 vcc, s9, v6
	s_nop 1
	v_cndmask_b32_e32 v6, v6, v11, vcc
	v_sqrt_f32_e32 v11, v6
	s_nop 0
	v_add_u32_e32 v13, -1, v11
	v_add_u32_e32 v14, 1, v11
	v_fma_f32 v15, -v13, v11, v6
	v_fma_f32 v16, -v14, v11, v6
	v_cmp_ge_f32_e64 s[4:5], 0, v15
	s_nop 1
	v_cndmask_b32_e64 v11, v11, v13, s[4:5]
	v_cmp_lt_f32_e64 s[4:5], 0, v16
	s_nop 1
	v_cndmask_b32_e64 v11, v11, v14, s[4:5]
	v_mul_f32_e32 v13, 0x37800000, v11
	v_cndmask_b32_e32 v11, v11, v13, vcc
	v_cmp_class_f32_e64 s[4:5], v6, v5
	s_and_b64 vcc, exec, s[2:3]
	s_nop 0
	v_cndmask_b32_e64 v5, v11, v6, s[4:5]
	s_cbranch_vccnz .LBB395_16
; %bb.15:
	global_load_dword v6, v10, s[22:23] offset:20
	s_waitcnt vmcnt(0)
	v_add_f32_e32 v5, v5, v6
.LBB395_16:
	v_lshlrev_b32_e32 v6, 16, v7
	v_mul_f32_e32 v11, 0x3fb8aa3b, v6
	v_exp_f32_e32 v11, v11
	v_mov_b32_e32 v13, 0x4f800000
	v_add_f32_e32 v11, 1.0, v11
	v_cmp_gt_f32_e32 vcc, s10, v11
	s_nop 1
	v_cndmask_b32_e32 v14, 1.0, v13, vcc
	v_mul_f32_e32 v11, v11, v14
	v_log_f32_e32 v11, v11
	s_nop 0
	v_mul_f32_e32 v14, 0x3f317217, v11
	v_fma_f32 v14, v11, s7, -v14
	v_fmac_f32_e32 v14, 0x3377d1cf, v11
	v_fmac_f32_e32 v14, 0x3f317217, v11
	v_cmp_lt_f32_e64 s[4:5], |v11|, s8
	s_nop 1
	v_cndmask_b32_e64 v11, v11, v14, s[4:5]
	v_mov_b32_e32 v14, 0x41b17218
	v_cndmask_b32_e32 v15, 0, v14, vcc
	v_sub_f32_e32 v11, v11, v15
	v_cmp_lt_f32_e32 vcc, s6, v6
	s_nop 1
	v_cndmask_b32_e32 v6, v11, v6, vcc
	v_mul_f32_e32 v11, 0x4f800000, v6
	v_cmp_gt_f32_e32 vcc, s9, v6
	s_nop 1
	v_cndmask_b32_e32 v6, v6, v11, vcc
	v_sqrt_f32_e32 v11, v6
	s_nop 0
	v_add_u32_e32 v15, -1, v11
	v_fma_f32 v16, -v15, v11, v6
	v_cmp_ge_f32_e64 s[4:5], 0, v16
	v_add_u32_e32 v16, 1, v11
	s_nop 0
	v_cndmask_b32_e64 v15, v11, v15, s[4:5]
	v_fma_f32 v11, -v16, v11, v6
	v_cmp_lt_f32_e64 s[4:5], 0, v11
	s_nop 1
	v_cndmask_b32_e64 v11, v15, v16, s[4:5]
	v_mul_f32_e32 v15, 0x37800000, v11
	v_cndmask_b32_e32 v15, v11, v15, vcc
	v_mov_b32_e32 v11, 0x260
	v_cmp_class_f32_e64 s[4:5], v6, v11
	s_and_b64 vcc, exec, s[2:3]
	s_nop 0
	v_cndmask_b32_e64 v6, v15, v6, s[4:5]
	s_cbranch_vccnz .LBB395_18
; %bb.17:
	global_load_dword v15, v10, s[22:23] offset:24
	s_waitcnt vmcnt(0)
	v_add_f32_e32 v6, v6, v15
.LBB395_18:
	v_and_b32_e32 v7, 0xffff0000, v7
	v_mul_f32_e32 v15, 0x3fb8aa3b, v7
	v_exp_f32_e32 v15, v15
	s_nop 0
	v_add_f32_e32 v15, 1.0, v15
	v_cmp_gt_f32_e32 vcc, s10, v15
	s_nop 1
	v_cndmask_b32_e32 v13, 1.0, v13, vcc
	v_mul_f32_e32 v13, v15, v13
	v_log_f32_e32 v13, v13
	v_cndmask_b32_e32 v14, 0, v14, vcc
	v_mul_f32_e32 v15, 0x3f317217, v13
	v_fma_f32 v15, v13, s7, -v15
	v_fmac_f32_e32 v15, 0x3377d1cf, v13
	v_fmac_f32_e32 v15, 0x3f317217, v13
	v_cmp_lt_f32_e64 vcc, |v13|, s8
	s_nop 1
	v_cndmask_b32_e32 v13, v13, v15, vcc
	v_sub_f32_e32 v13, v13, v14
	v_cmp_lt_f32_e32 vcc, s6, v7
	s_nop 1
	v_cndmask_b32_e32 v7, v13, v7, vcc
	v_mul_f32_e32 v13, 0x4f800000, v7
	v_cmp_gt_f32_e32 vcc, s9, v7
	s_nop 1
	v_cndmask_b32_e32 v7, v7, v13, vcc
	v_sqrt_f32_e32 v13, v7
	s_nop 0
	v_add_u32_e32 v14, -1, v13
	v_add_u32_e32 v15, 1, v13
	v_fma_f32 v16, -v14, v13, v7
	v_fma_f32 v17, -v15, v13, v7
	v_cmp_ge_f32_e64 s[4:5], 0, v16
	s_nop 1
	v_cndmask_b32_e64 v13, v13, v14, s[4:5]
	v_cmp_lt_f32_e64 s[4:5], 0, v17
	s_nop 1
	v_cndmask_b32_e64 v13, v13, v15, s[4:5]
	v_mul_f32_e32 v14, 0x37800000, v13
	v_cndmask_b32_e32 v13, v13, v14, vcc
	v_cmp_class_f32_e64 s[4:5], v7, v11
	s_and_b64 vcc, exec, s[2:3]
	s_nop 0
	v_cndmask_b32_e64 v7, v13, v7, s[4:5]
	s_cbranch_vccnz .LBB395_20
; %bb.19:
	global_load_dword v10, v10, s[22:23] offset:28
	s_waitcnt vmcnt(0)
	v_add_f32_e32 v7, v7, v10
.LBB395_20:
	s_load_dwordx4 s[24:27], s[0:1], 0x30
	s_mov_b32 s42, 0
	v_cmp_eq_u32_e64 s[6:7], 0, v9
	s_waitcnt lgkmcnt(0)
	s_bitcmp1_b32 s27, 0
	s_cselect_b64 s[4:5], -1, 0
	s_cmp_gt_i32 s24, 0
	s_cselect_b64 s[38:39], -1, 0
	s_and_b64 vcc, exec, s[38:39]
	s_cbranch_vccz .LBB395_51
; %bb.21:
	v_mbcnt_lo_u32_b32 v10, -1, 0
	v_mbcnt_hi_u32_b32 v10, -1, v10
	v_and_b32_e32 v11, 0x60, v10
	v_add_u32_e32 v11, 32, v11
	v_xor_b32_e32 v13, 16, v10
	v_cmp_lt_i32_e32 vcc, v13, v11
	s_load_dwordx4 s[28:31], s[0:1], 0x20
	v_mul_lo_u32 v14, v8, s24
	v_cndmask_b32_e32 v13, v10, v13, vcc
	v_lshlrev_b32_e32 v15, 2, v13
	v_xor_b32_e32 v13, 8, v10
	v_cmp_lt_i32_e32 vcc, v13, v11
	v_mov_b32_e32 v20, 0x100
	v_mov_b32_e32 v21, 0xc61c4000
	v_cndmask_b32_e32 v13, v10, v13, vcc
	v_lshlrev_b32_e32 v16, 2, v13
	v_xor_b32_e32 v13, 4, v10
	v_cmp_lt_i32_e32 vcc, v13, v11
	v_mov_b32_e32 v22, v8
	s_nop 0
	v_cndmask_b32_e32 v13, v10, v13, vcc
	v_lshlrev_b32_e32 v17, 2, v13
	v_xor_b32_e32 v13, 2, v10
	v_cmp_lt_i32_e32 vcc, v13, v11
	s_nop 1
	v_cndmask_b32_e32 v13, v10, v13, vcc
	v_lshlrev_b32_e32 v18, 2, v13
	v_xor_b32_e32 v13, 1, v10
	v_cmp_lt_i32_e32 vcc, v13, v11
	s_nop 1
	v_cndmask_b32_e32 v10, v10, v13, vcc
	v_lshlrev_b32_e32 v19, 2, v10
	v_mov_b32_e32 v13, 0
	s_branch .LBB395_24
.LBB395_22:                             ;   in Loop: Header=BB395_24 Depth=1
	s_or_b64 exec, exec, s[40:41]
.LBB395_23:                             ;   in Loop: Header=BB395_24 Depth=1
	s_cmp_eq_u32 s24, s42
	v_add_u32_e32 v22, s33, v22
	s_cbranch_scc1 .LBB395_52
.LBB395_24:                             ; =>This Inner Loop Header: Depth=1
	v_cmp_gt_f32_e32 vcc, v1, v0
	s_nop 1
	v_cndmask_b32_e32 v11, v0, v1, vcc
	v_cndmask_b32_e64 v10, 0, 1, vcc
	v_cmp_gt_f32_e32 vcc, v2, v11
	s_nop 1
	v_cndmask_b32_e32 v11, v11, v2, vcc
	v_cndmask_b32_e64 v10, v10, 2, vcc
	;; [unrolled: 4-line block ×6, first 2 shown]
	v_cmp_gt_f32_e32 vcc, v7, v11
	s_nop 1
	v_cndmask_b32_e64 v10, v10, 7, vcc
	v_cndmask_b32_e32 v23, v11, v7, vcc
	ds_bpermute_b32 v11, v15, v23
	v_or_b32_e32 v10, v12, v10
	s_waitcnt lgkmcnt(0)
	ds_bpermute_b32 v24, v15, v10
	s_waitcnt lgkmcnt(0)
	v_cmp_lt_f32_e64 s[8:9], v23, v11
	v_cmp_nlt_f32_e32 vcc, v23, v11
	s_and_saveexec_b64 s[10:11], vcc
; %bb.25:                               ;   in Loop: Header=BB395_24 Depth=1
	v_cmp_eq_f32_e32 vcc, v23, v11
	v_cmp_lt_i32_e64 s[0:1], v24, v10
	s_and_b64 s[0:1], vcc, s[0:1]
	s_andn2_b64 s[8:9], s[8:9], exec
	s_and_b64 s[0:1], s[0:1], exec
	s_or_b64 s[8:9], s[8:9], s[0:1]
; %bb.26:                               ;   in Loop: Header=BB395_24 Depth=1
	s_or_b64 exec, exec, s[10:11]
	s_and_saveexec_b64 s[0:1], s[8:9]
; %bb.27:                               ;   in Loop: Header=BB395_24 Depth=1
	v_mov_b32_e32 v23, v11
	v_mov_b32_e32 v10, v24
; %bb.28:                               ;   in Loop: Header=BB395_24 Depth=1
	s_or_b64 exec, exec, s[0:1]
	ds_bpermute_b32 v11, v16, v23
	ds_bpermute_b32 v24, v16, v10
	s_waitcnt lgkmcnt(1)
	v_cmp_lt_f32_e64 s[8:9], v23, v11
	v_cmp_nlt_f32_e32 vcc, v23, v11
	s_and_saveexec_b64 s[10:11], vcc
	s_cbranch_execz .LBB395_30
; %bb.29:                               ;   in Loop: Header=BB395_24 Depth=1
	v_cmp_eq_f32_e32 vcc, v23, v11
	s_waitcnt lgkmcnt(0)
	v_cmp_lt_i32_e64 s[0:1], v24, v10
	s_and_b64 s[0:1], vcc, s[0:1]
	s_andn2_b64 s[8:9], s[8:9], exec
	s_and_b64 s[0:1], s[0:1], exec
	s_or_b64 s[8:9], s[8:9], s[0:1]
.LBB395_30:                             ;   in Loop: Header=BB395_24 Depth=1
	s_or_b64 exec, exec, s[10:11]
	s_and_saveexec_b64 s[0:1], s[8:9]
	s_cbranch_execz .LBB395_32
; %bb.31:                               ;   in Loop: Header=BB395_24 Depth=1
	v_mov_b32_e32 v23, v11
	s_waitcnt lgkmcnt(0)
	v_mov_b32_e32 v10, v24
.LBB395_32:                             ;   in Loop: Header=BB395_24 Depth=1
	s_or_b64 exec, exec, s[0:1]
	ds_bpermute_b32 v11, v17, v23
	s_waitcnt lgkmcnt(1)
	ds_bpermute_b32 v24, v17, v10
	s_waitcnt lgkmcnt(1)
	v_cmp_lt_f32_e64 s[8:9], v23, v11
	v_cmp_nlt_f32_e32 vcc, v23, v11
	s_and_saveexec_b64 s[10:11], vcc
	s_cbranch_execz .LBB395_34
; %bb.33:                               ;   in Loop: Header=BB395_24 Depth=1
	v_cmp_eq_f32_e32 vcc, v23, v11
	s_waitcnt lgkmcnt(0)
	v_cmp_lt_i32_e64 s[0:1], v24, v10
	s_and_b64 s[0:1], vcc, s[0:1]
	s_andn2_b64 s[8:9], s[8:9], exec
	s_and_b64 s[0:1], s[0:1], exec
	s_or_b64 s[8:9], s[8:9], s[0:1]
.LBB395_34:                             ;   in Loop: Header=BB395_24 Depth=1
	s_or_b64 exec, exec, s[10:11]
	s_and_saveexec_b64 s[0:1], s[8:9]
	s_cbranch_execz .LBB395_36
; %bb.35:                               ;   in Loop: Header=BB395_24 Depth=1
	v_mov_b32_e32 v23, v11
	s_waitcnt lgkmcnt(0)
	v_mov_b32_e32 v10, v24
.LBB395_36:                             ;   in Loop: Header=BB395_24 Depth=1
	s_or_b64 exec, exec, s[0:1]
	ds_bpermute_b32 v11, v18, v23
	s_waitcnt lgkmcnt(1)
	;; [unrolled: 26-line block ×3, first 2 shown]
	ds_bpermute_b32 v24, v19, v10
	s_waitcnt lgkmcnt(1)
	v_cmp_lt_f32_e64 s[8:9], v23, v11
	v_cmp_nlt_f32_e32 vcc, v23, v11
	s_and_saveexec_b64 s[10:11], vcc
	s_cbranch_execnz .LBB395_44
; %bb.41:                               ;   in Loop: Header=BB395_24 Depth=1
	s_or_b64 exec, exec, s[10:11]
	s_and_saveexec_b64 s[0:1], s[8:9]
	s_cbranch_execnz .LBB395_45
.LBB395_42:                             ;   in Loop: Header=BB395_24 Depth=1
	s_or_b64 exec, exec, s[0:1]
	s_and_saveexec_b64 s[8:9], s[6:7]
	s_cbranch_execnz .LBB395_46
.LBB395_43:                             ;   in Loop: Header=BB395_24 Depth=1
	s_or_b64 exec, exec, s[8:9]
	s_add_i32 s42, s42, 1
	s_cmp_ge_i32 s42, s24
	s_cbranch_scc1 .LBB395_23
	s_branch .LBB395_49
.LBB395_44:                             ;   in Loop: Header=BB395_24 Depth=1
	v_cmp_eq_f32_e32 vcc, v23, v11
	s_waitcnt lgkmcnt(0)
	v_cmp_lt_i32_e64 s[0:1], v24, v10
	s_and_b64 s[0:1], vcc, s[0:1]
	s_andn2_b64 s[8:9], s[8:9], exec
	s_and_b64 s[0:1], s[0:1], exec
	s_or_b64 s[8:9], s[8:9], s[0:1]
	s_or_b64 exec, exec, s[10:11]
	s_and_saveexec_b64 s[0:1], s[8:9]
	s_cbranch_execz .LBB395_42
.LBB395_45:                             ;   in Loop: Header=BB395_24 Depth=1
	s_waitcnt lgkmcnt(0)
	v_mov_b32_e32 v10, v24
	v_mov_b32_e32 v23, v11
	s_or_b64 exec, exec, s[0:1]
	s_and_saveexec_b64 s[8:9], s[6:7]
	s_cbranch_execz .LBB395_43
.LBB395_46:                             ;   in Loop: Header=BB395_24 Depth=1
	s_and_b64 vcc, exec, s[2:3]
	s_cbranch_vccnz .LBB395_48
; %bb.47:                               ;   in Loop: Header=BB395_24 Depth=1
	v_ashrrev_i32_e32 v11, 31, v10
	s_waitcnt lgkmcnt(0)
	v_lshl_add_u64 v[24:25], v[10:11], 2, s[22:23]
	global_load_dword v11, v[24:25], off
	s_waitcnt vmcnt(0)
	v_sub_f32_e32 v23, v23, v11
.LBB395_48:                             ;   in Loop: Header=BB395_24 Depth=1
	s_waitcnt lgkmcnt(0)
	v_add_u32_e32 v24, s42, v14
	v_cmp_le_i32_e32 vcc, s25, v10
	v_cmp_gt_i32_e64 s[0:1], s26, v10
	v_ashrrev_i32_e32 v25, 31, v24
	s_and_b64 s[0:1], vcc, s[0:1]
	v_lshlrev_b64 v[24:25], 2, v[24:25]
	v_lshl_add_u64 v[26:27], s[34:35], 0, v[24:25]
	v_subrev_u32_e32 v11, s25, v10
	s_and_b64 vcc, s[36:37], s[0:1]
	global_store_dword v[26:27], v23, off
	v_cndmask_b32_e32 v11, v20, v11, vcc
	v_lshl_add_u64 v[26:27], s[28:29], 0, v[24:25]
	global_store_dword v[26:27], v11, off
	v_add_f32_e32 v11, v13, v23
	v_lshl_add_u64 v[24:25], s[30:31], 0, v[24:25]
	v_cndmask_b32_e64 v13, v13, v11, s[4:5]
	global_store_dword v[24:25], v22, off
	s_or_b64 exec, exec, s[8:9]
	s_add_i32 s42, s42, 1
	s_cmp_ge_i32 s42, s24
	s_cbranch_scc1 .LBB395_23
.LBB395_49:                             ;   in Loop: Header=BB395_24 Depth=1
	v_ashrrev_i32_e32 v11, 31, v10
	v_lshrrev_b32_e32 v23, 29, v11
	s_waitcnt lgkmcnt(0)
	v_add_u32_e32 v24, v10, v23
	v_ashrrev_i32_e32 v23, 3, v24
	v_ashrrev_i32_e32 v24, 31, v24
	v_lshrrev_b32_e32 v24, 27, v24
	v_add_u32_e32 v24, v23, v24
	v_and_b32_e32 v24, 0xffffffe0, v24
	v_sub_u32_e32 v24, v23, v24
	v_cmp_eq_u32_e32 vcc, v9, v24
	s_and_saveexec_b64 s[40:41], vcc
	s_cbranch_execz .LBB395_22
; %bb.50:                               ;   in Loop: Header=BB395_24 Depth=1
	v_add_u32_sdwa v11, v10, v11 dst_sel:DWORD dst_unused:UNUSED_PAD src0_sel:DWORD src1_sel:BYTE_3
	v_lshlrev_b32_e32 v23, 3, v23
	v_sub_u32_e32 v10, v10, v23
	v_ashrrev_i32_e32 v11, 8, v11
	v_lshl_add_u32 v10, v11, 3, v10
	v_cmp_ne_u32_e32 vcc, 6, v10
	v_cmp_ne_u32_e64 s[0:1], 5, v10
	v_cmp_ne_u32_e64 s[8:9], 4, v10
	;; [unrolled: 1-line block ×7, first 2 shown]
	v_cndmask_b32_e32 v6, v21, v6, vcc
	v_cndmask_b32_e64 v5, v21, v5, s[0:1]
	v_cndmask_b32_e64 v7, v21, v7, s[18:19]
	;; [unrolled: 1-line block ×7, first 2 shown]
	s_branch .LBB395_22
.LBB395_51:
	v_mov_b32_e32 v13, 0
.LBB395_52:
	v_cmp_eq_u32_e32 vcc, 0, v9
	s_and_b64 exec, exec, vcc
	s_cbranch_execz .LBB395_65
; %bb.53:
	s_andn2_b64 vcc, exec, s[4:5]
	v_cvt_f32_f64_e32 v0, s[20:21]
	s_cbranch_vccnz .LBB395_55
; %bb.54:
	v_cmp_lt_f32_e32 vcc, 0, v13
	s_nop 1
	v_cndmask_b32_e32 v1, 1.0, v13, vcc
	v_div_scale_f32 v2, s[0:1], v1, v1, v0
	v_rcp_f32_e32 v3, v2
	s_nop 0
	v_fma_f32 v4, -v2, v3, 1.0
	v_fmac_f32_e32 v3, v4, v3
	v_div_scale_f32 v4, vcc, v0, v1, v0
	v_mul_f32_e32 v5, v4, v3
	v_fma_f32 v6, -v2, v5, v4
	v_fmac_f32_e32 v5, v6, v3
	v_fma_f32 v2, -v2, v5, v4
	v_div_fmas_f32 v2, v2, v3, v5
	v_div_fixup_f32 v0, v2, v1, v0
.LBB395_55:
	s_andn2_b64 vcc, exec, s[38:39]
	s_cbranch_vccnz .LBB395_65
; %bb.56:
	v_mul_lo_u32 v2, v8, s24
	s_cmp_gt_u32 s24, 3
	v_ashrrev_i32_e32 v3, 31, v2
	s_cbranch_scc0 .LBB395_60
; %bb.57:
	s_and_b32 s0, s24, 0x7ffffffc
	v_lshl_add_u64 v[4:5], v[2:3], 2, s[34:35]
	v_mov_b32_e32 v1, v0
	v_lshl_add_u64 v[4:5], v[4:5], 0, 8
	s_mov_b32 s1, s0
.LBB395_58:                             ; =>This Inner Loop Header: Depth=1
	global_load_dwordx4 v[6:9], v[4:5], off offset:-8
	s_add_i32 s1, s1, -4
	s_cmp_lg_u32 s1, 0
	s_waitcnt vmcnt(0)
	v_pk_mul_f32 v[6:7], v[0:1], v[6:7]
	v_pk_mul_f32 v[8:9], v[0:1], v[8:9]
	global_store_dwordx4 v[4:5], v[6:9], off offset:-8
	v_lshl_add_u64 v[4:5], v[4:5], 0, 16
	s_cbranch_scc1 .LBB395_58
; %bb.59:
	s_cmp_lg_u32 s0, s24
	s_cselect_b64 s[2:3], -1, 0
	s_branch .LBB395_62
.LBB395_60:
	s_mov_b64 s[2:3], 0
                                        ; implicit-def: $sgpr0
	s_cbranch_execz .LBB395_62
; %bb.61:
	s_mov_b64 s[2:3], -1
	s_mov_b32 s0, 0
.LBB395_62:
	s_andn2_b64 vcc, exec, s[2:3]
	s_cbranch_vccnz .LBB395_65
; %bb.63:
	s_mov_b32 s1, 0
	v_lshl_add_u64 v[2:3], v[2:3], 0, s[0:1]
	s_sub_i32 s2, s24, s0
	v_lshl_add_u64 v[2:3], v[2:3], 2, s[34:35]
.LBB395_64:                             ; =>This Inner Loop Header: Depth=1
	global_load_dword v1, v[2:3], off
	s_add_i32 s2, s2, -1
	s_cmp_lg_u32 s2, 0
	s_waitcnt vmcnt(0)
	v_mul_f32_e32 v1, v0, v1
	global_store_dword v[2:3], v1, off
	v_lshl_add_u64 v[2:3], v[2:3], 0, 4
	s_cbranch_scc1 .LBB395_64
.LBB395_65:
	s_endpgm
	.section	.rodata,"a",@progbits
	.p2align	6, 0x0
	.amdhsa_kernel _ZN4vllm3moe22topkGatingSoftplusSqrtILi8ELi256ELi4ELi16ELi32ELb0Ei14__hip_bfloat16EEvPKT6_PKbPfiPT5_PiiiibdPKfPKS9_SF_
		.amdhsa_group_segment_fixed_size 0
		.amdhsa_private_segment_fixed_size 0
		.amdhsa_kernarg_size 96
		.amdhsa_user_sgpr_count 2
		.amdhsa_user_sgpr_dispatch_ptr 0
		.amdhsa_user_sgpr_queue_ptr 0
		.amdhsa_user_sgpr_kernarg_segment_ptr 1
		.amdhsa_user_sgpr_dispatch_id 0
		.amdhsa_user_sgpr_kernarg_preload_length 0
		.amdhsa_user_sgpr_kernarg_preload_offset 0
		.amdhsa_user_sgpr_private_segment_size 0
		.amdhsa_uses_dynamic_stack 0
		.amdhsa_enable_private_segment 0
		.amdhsa_system_sgpr_workgroup_id_x 1
		.amdhsa_system_sgpr_workgroup_id_y 0
		.amdhsa_system_sgpr_workgroup_id_z 0
		.amdhsa_system_sgpr_workgroup_info 0
		.amdhsa_system_vgpr_workitem_id 1
		.amdhsa_next_free_vgpr 28
		.amdhsa_next_free_sgpr 43
		.amdhsa_accum_offset 28
		.amdhsa_reserve_vcc 1
		.amdhsa_float_round_mode_32 0
		.amdhsa_float_round_mode_16_64 0
		.amdhsa_float_denorm_mode_32 3
		.amdhsa_float_denorm_mode_16_64 3
		.amdhsa_dx10_clamp 1
		.amdhsa_ieee_mode 1
		.amdhsa_fp16_overflow 0
		.amdhsa_tg_split 0
		.amdhsa_exception_fp_ieee_invalid_op 0
		.amdhsa_exception_fp_denorm_src 0
		.amdhsa_exception_fp_ieee_div_zero 0
		.amdhsa_exception_fp_ieee_overflow 0
		.amdhsa_exception_fp_ieee_underflow 0
		.amdhsa_exception_fp_ieee_inexact 0
		.amdhsa_exception_int_div_zero 0
	.end_amdhsa_kernel
	.section	.text._ZN4vllm3moe22topkGatingSoftplusSqrtILi8ELi256ELi4ELi16ELi32ELb0Ei14__hip_bfloat16EEvPKT6_PKbPfiPT5_PiiiibdPKfPKS9_SF_,"axG",@progbits,_ZN4vllm3moe22topkGatingSoftplusSqrtILi8ELi256ELi4ELi16ELi32ELb0Ei14__hip_bfloat16EEvPKT6_PKbPfiPT5_PiiiibdPKfPKS9_SF_,comdat
.Lfunc_end395:
	.size	_ZN4vllm3moe22topkGatingSoftplusSqrtILi8ELi256ELi4ELi16ELi32ELb0Ei14__hip_bfloat16EEvPKT6_PKbPfiPT5_PiiiibdPKfPKS9_SF_, .Lfunc_end395-_ZN4vllm3moe22topkGatingSoftplusSqrtILi8ELi256ELi4ELi16ELi32ELb0Ei14__hip_bfloat16EEvPKT6_PKbPfiPT5_PiiiibdPKfPKS9_SF_
                                        ; -- End function
	.section	.AMDGPU.csdata,"",@progbits
; Kernel info:
; codeLenInByte = 4128
; NumSgprs: 49
; NumVgprs: 28
; NumAgprs: 0
; TotalNumVgprs: 28
; ScratchSize: 0
; MemoryBound: 0
; FloatMode: 240
; IeeeMode: 1
; LDSByteSize: 0 bytes/workgroup (compile time only)
; SGPRBlocks: 6
; VGPRBlocks: 3
; NumSGPRsForWavesPerEU: 49
; NumVGPRsForWavesPerEU: 28
; AccumOffset: 28
; Occupancy: 8
; WaveLimiterHint : 0
; COMPUTE_PGM_RSRC2:SCRATCH_EN: 0
; COMPUTE_PGM_RSRC2:USER_SGPR: 2
; COMPUTE_PGM_RSRC2:TRAP_HANDLER: 0
; COMPUTE_PGM_RSRC2:TGID_X_EN: 1
; COMPUTE_PGM_RSRC2:TGID_Y_EN: 0
; COMPUTE_PGM_RSRC2:TGID_Z_EN: 0
; COMPUTE_PGM_RSRC2:TIDIG_COMP_CNT: 1
; COMPUTE_PGM_RSRC3_GFX90A:ACCUM_OFFSET: 6
; COMPUTE_PGM_RSRC3_GFX90A:TG_SPLIT: 0
	.section	.text._ZN4vllm3moe22topkGatingSoftplusSqrtILi8ELi512ELi4ELi16ELi64ELb1Ei14__hip_bfloat16EEvPKT6_PKbPfiPT5_PiiiibdPKfPKS9_SF_,"axG",@progbits,_ZN4vllm3moe22topkGatingSoftplusSqrtILi8ELi512ELi4ELi16ELi64ELb1Ei14__hip_bfloat16EEvPKT6_PKbPfiPT5_PiiiibdPKfPKS9_SF_,comdat
	.protected	_ZN4vllm3moe22topkGatingSoftplusSqrtILi8ELi512ELi4ELi16ELi64ELb1Ei14__hip_bfloat16EEvPKT6_PKbPfiPT5_PiiiibdPKfPKS9_SF_ ; -- Begin function _ZN4vllm3moe22topkGatingSoftplusSqrtILi8ELi512ELi4ELi16ELi64ELb1Ei14__hip_bfloat16EEvPKT6_PKbPfiPT5_PiiiibdPKfPKS9_SF_
	.globl	_ZN4vllm3moe22topkGatingSoftplusSqrtILi8ELi512ELi4ELi16ELi64ELb1Ei14__hip_bfloat16EEvPKT6_PKbPfiPT5_PiiiibdPKfPKS9_SF_
	.p2align	8
	.type	_ZN4vllm3moe22topkGatingSoftplusSqrtILi8ELi512ELi4ELi16ELi64ELb1Ei14__hip_bfloat16EEvPKT6_PKbPfiPT5_PiiiibdPKfPKS9_SF_,@function
_ZN4vllm3moe22topkGatingSoftplusSqrtILi8ELi512ELi4ELi16ELi64ELb1Ei14__hip_bfloat16EEvPKT6_PKbPfiPT5_PiiiibdPKfPKS9_SF_: ; @_ZN4vllm3moe22topkGatingSoftplusSqrtILi8ELi512ELi4ELi16ELi64ELb1Ei14__hip_bfloat16EEvPKT6_PKbPfiPT5_PiiiibdPKfPKS9_SF_
; %bb.0:
	s_load_dword s3, s[0:1], 0x18
	v_and_b32_e32 v8, 0x3ff, v0
	s_lshl_b32 s2, s2, 2
	v_lshrrev_b32_e32 v1, 6, v8
	v_bfe_u32 v0, v0, 10, 10
	v_add3_u32 v6, s2, v0, v1
	s_waitcnt lgkmcnt(0)
	v_cmp_gt_i32_e32 vcc, s3, v6
	s_and_saveexec_b64 s[2:3], vcc
	s_cbranch_execz .LBB396_31
; %bb.1:
	s_load_dwordx2 s[2:3], s[0:1], 0x0
	s_load_dword s33, s[0:1], 0x30
	v_lshlrev_b32_e32 v0, 9, v6
	v_lshlrev_b32_e32 v2, 3, v8
	v_ashrrev_i32_e32 v1, 31, v0
	v_and_b32_e32 v10, 0x1f8, v2
	s_waitcnt lgkmcnt(0)
	v_lshl_add_u64 v[0:1], v[0:1], 1, s[2:3]
	v_lshlrev_b32_e32 v4, 1, v10
	v_mov_b32_e32 v5, 0
	v_lshl_add_u64 v[0:1], v[0:1], 0, v[4:5]
	global_load_dwordx4 v[0:3], v[0:1], off
	s_load_dwordx4 s[8:11], s[0:1], 0x50
	v_ashrrev_i32_e32 v7, 31, v6
	s_mov_b32 s15, 0x800000
	s_mov_b32 s13, 0x3f317217
	;; [unrolled: 1-line block ×3, first 2 shown]
	s_waitcnt lgkmcnt(0)
	v_mov_b32_e32 v12, s8
	v_mov_b32_e32 v13, s9
	v_lshl_add_u64 v[12:13], v[6:7], 2, v[12:13]
	global_load_dword v4, v[12:13], off
	v_mov_b32_e32 v7, 0x4f800000
	v_mov_b32_e32 v9, 0x41b17218
	s_mov_b32 s9, 0x41a00000
	s_mov_b32 s12, 0xf800000
	v_mov_b32_e32 v11, 0x260
	s_cmp_gt_i32 s33, 0
	s_mov_b32 s8, 0
	s_waitcnt vmcnt(1)
	v_and_b32_e32 v16, 0xffff0000, v0
	v_lshlrev_b32_e32 v17, 16, v0
	v_and_b32_e32 v18, 0xffff0000, v1
	v_lshlrev_b32_e32 v19, 16, v1
	v_mul_f32_e32 v0, 0x3fb8aa3b, v17
	v_mul_f32_e32 v1, 0x3fb8aa3b, v16
	v_exp_f32_e32 v12, v0
	v_exp_f32_e32 v13, v1
	v_mul_f32_e32 v14, 0x3fb8aa3b, v19
	v_mul_f32_e32 v15, 0x3fb8aa3b, v18
	v_exp_f32_e32 v14, v14
	v_exp_f32_e32 v15, v15
	v_pk_add_f32 v[12:13], v[12:13], 1.0 op_sel_hi:[1,0]
	s_waitcnt vmcnt(0)
	v_mul_lo_u32 v0, v4, s33
	v_cmp_gt_f32_e32 vcc, s15, v13
	v_pk_add_f32 v[14:15], v[14:15], 1.0 op_sel_hi:[1,0]
	v_cmp_gt_f32_e64 s[2:3], s15, v12
	v_cndmask_b32_e32 v4, 1.0, v7, vcc
	v_cmp_gt_f32_e64 s[4:5], s15, v15
	v_cndmask_b32_e64 v20, 1.0, v7, s[2:3]
	v_mul_f32_e32 v4, v13, v4
	v_cndmask_b32_e64 v21, 1.0, v7, s[4:5]
	v_mul_f32_e32 v12, v12, v20
	v_log_f32_e32 v4, v4
	v_mul_f32_e32 v15, v15, v21
	v_log_f32_e32 v12, v12
	v_cmp_gt_f32_e64 s[6:7], s15, v14
	v_log_f32_e32 v15, v15
	v_cndmask_b32_e32 v13, 0, v9, vcc
	v_cndmask_b32_e64 v22, 1.0, v7, s[6:7]
	v_mul_f32_e32 v14, v14, v22
	v_mul_f32_e32 v22, 0x3f317217, v4
	;; [unrolled: 1-line block ×3, first 2 shown]
	v_fma_f32 v22, v4, s13, -v22
	v_mul_f32_e32 v24, 0x3f317217, v15
	v_fma_f32 v23, v12, s13, -v23
	v_fmac_f32_e32 v22, 0x3377d1cf, v4
	v_fma_f32 v24, v15, s13, -v24
	v_fmac_f32_e32 v23, 0x3377d1cf, v12
	v_fmac_f32_e32 v22, 0x3f317217, v4
	v_cmp_lt_f32_e64 vcc, |v4|, s14
	v_fmac_f32_e32 v24, 0x3377d1cf, v15
	v_fmac_f32_e32 v23, 0x3f317217, v12
	v_cndmask_b32_e32 v4, v4, v22, vcc
	v_cmp_lt_f32_e64 vcc, |v12|, s14
	v_cndmask_b32_e64 v20, 0, v9, s[2:3]
	v_fmac_f32_e32 v24, 0x3f317217, v15
	v_cndmask_b32_e32 v12, v12, v23, vcc
	v_cmp_lt_f32_e64 vcc, |v15|, s14
	v_sub_f32_e32 v12, v12, v20
	v_sub_f32_e32 v4, v4, v13
	v_cndmask_b32_e32 v15, v15, v24, vcc
	v_cmp_lt_f32_e32 vcc, s9, v17
	v_cndmask_b32_e64 v21, 0, v9, s[4:5]
	v_sub_f32_e32 v15, v15, v21
	v_cndmask_b32_e32 v12, v12, v17, vcc
	v_cmp_lt_f32_e32 vcc, s9, v16
	v_cmp_gt_f32_e64 s[2:3], s12, v12
	v_log_f32_e32 v14, v14
	v_cndmask_b32_e32 v4, v4, v16, vcc
	v_mul_f32_e32 v13, 0x4f800000, v4
	v_cmp_gt_f32_e32 vcc, s12, v4
	v_mul_f32_e32 v16, 0x4f800000, v12
	v_cndmask_b32_e64 v12, v12, v16, s[2:3]
	v_cndmask_b32_e32 v4, v4, v13, vcc
	v_sqrt_f32_e32 v13, v4
	v_sqrt_f32_e32 v16, v12
	v_mul_f32_e32 v25, 0x3f317217, v14
	v_fma_f32 v25, v14, s13, -v25
	v_add_u32_e32 v17, -1, v13
	v_add_u32_e32 v21, -1, v16
	v_fma_f32 v23, -v17, v13, v4
	v_add_u32_e32 v20, 1, v13
	v_fma_f32 v26, -v21, v16, v12
	v_cmp_ge_f32_e64 s[4:5], 0, v23
	v_add_u32_e32 v22, 1, v16
	v_fma_f32 v24, -v20, v13, v4
	v_cndmask_b32_e64 v13, v13, v17, s[4:5]
	v_cmp_ge_f32_e64 s[4:5], 0, v26
	v_fma_f32 v27, -v22, v16, v12
	v_fmac_f32_e32 v25, 0x3377d1cf, v14
	v_cndmask_b32_e64 v16, v16, v21, s[4:5]
	v_cmp_lt_f32_e64 s[4:5], 0, v24
	v_fmac_f32_e32 v25, 0x3f317217, v14
	v_ashrrev_i32_e32 v1, 31, v0
	v_cndmask_b32_e64 v13, v13, v20, s[4:5]
	v_cmp_lt_f32_e64 s[4:5], 0, v27
	v_mul_f32_e32 v17, 0x37800000, v13
	v_cndmask_b32_e32 v13, v13, v17, vcc
	v_cndmask_b32_e64 v16, v16, v22, s[4:5]
	v_mul_f32_e32 v20, 0x37800000, v16
	v_cmp_class_f32_e32 vcc, v4, v11
	v_cndmask_b32_e64 v16, v16, v20, s[2:3]
	v_cmp_lt_f32_e64 s[2:3], s9, v19
	v_cndmask_b32_e32 v13, v13, v4, vcc
	v_cmp_class_f32_e32 vcc, v12, v11
	v_and_b32_e32 v20, 0xffff0000, v2
	v_lshlrev_b32_e32 v2, 16, v2
	v_cndmask_b32_e32 v12, v16, v12, vcc
	v_cmp_lt_f32_e64 vcc, |v14|, s14
	s_nop 1
	v_cndmask_b32_e32 v4, v14, v25, vcc
	v_cmp_lt_f32_e32 vcc, s9, v18
	v_cndmask_b32_e64 v14, 0, v9, s[6:7]
	v_sub_f32_e32 v4, v4, v14
	v_cndmask_b32_e32 v15, v15, v18, vcc
	v_mul_f32_e32 v16, 0x4f800000, v15
	v_cmp_gt_f32_e32 vcc, s12, v15
	v_cndmask_b32_e64 v4, v4, v19, s[2:3]
	s_nop 0
	v_cndmask_b32_e32 v15, v15, v16, vcc
	v_sqrt_f32_e32 v16, v15
	s_nop 0
	v_add_u32_e32 v14, -1, v16
	v_fma_f32 v17, -v14, v16, v15
	v_cmp_ge_f32_e64 s[2:3], 0, v17
	v_add_u32_e32 v17, 1, v16
	s_nop 0
	v_cndmask_b32_e64 v14, v16, v14, s[2:3]
	v_fma_f32 v16, -v17, v16, v15
	v_cmp_lt_f32_e64 s[2:3], 0, v16
	s_nop 1
	v_cndmask_b32_e64 v14, v14, v17, s[2:3]
	v_mul_f32_e32 v17, 0x4f800000, v4
	v_cmp_gt_f32_e64 s[2:3], s12, v4
	v_mul_f32_e32 v16, 0x37800000, v14
	v_cndmask_b32_e32 v14, v14, v16, vcc
	v_cndmask_b32_e64 v4, v4, v17, s[2:3]
	v_sqrt_f32_e32 v17, v4
	v_cmp_class_f32_e32 vcc, v15, v11
	v_add_u32_e32 v18, 1, v17
	s_nop 0
	v_cndmask_b32_e32 v15, v14, v15, vcc
	v_add_u32_e32 v14, -1, v17
	v_fma_f32 v16, -v14, v17, v4
	v_cmp_ge_f32_e32 vcc, 0, v16
	v_fma_f32 v19, -v18, v17, v4
	v_mul_f32_e32 v16, 0x3fb8aa3b, v2
	v_cndmask_b32_e32 v14, v17, v14, vcc
	v_mul_f32_e32 v17, 0x3fb8aa3b, v20
	v_exp_f32_e32 v16, v16
	v_exp_f32_e32 v17, v17
	v_cmp_lt_f32_e32 vcc, 0, v19
	v_pk_add_f32 v[16:17], v[16:17], 1.0 op_sel_hi:[1,0]
	s_nop 0
	v_cndmask_b32_e32 v14, v14, v18, vcc
	v_mul_f32_e32 v18, 0x37800000, v14
	v_cmp_gt_f32_e32 vcc, s15, v17
	v_cndmask_b32_e64 v14, v14, v18, s[2:3]
	v_cmp_class_f32_e64 s[2:3], v4, v11
	v_cndmask_b32_e32 v18, 1.0, v7, vcc
	v_mul_f32_e32 v17, v17, v18
	v_log_f32_e32 v17, v17
	v_cndmask_b32_e64 v14, v14, v4, s[2:3]
	v_cmp_gt_f32_e64 s[2:3], s15, v16
	scratch_store_dwordx4 off, v[12:15], off
	v_mul_f32_e32 v4, 0x3f317217, v17
	v_fma_f32 v4, v17, s13, -v4
	v_cndmask_b32_e64 v12, 1.0, v7, s[2:3]
	v_mul_f32_e32 v12, v16, v12
	v_log_f32_e32 v12, v12
	v_fmac_f32_e32 v4, 0x3377d1cf, v17
	v_fmac_f32_e32 v4, 0x3f317217, v17
	v_cmp_lt_f32_e64 s[4:5], |v17|, s14
	v_cndmask_b32_e32 v13, 0, v9, vcc
	v_cmp_lt_f32_e64 vcc, |v12|, s14
	v_cndmask_b32_e64 v4, v17, v4, s[4:5]
	v_sub_f32_e32 v4, v4, v13
	v_mul_f32_e32 v13, 0x3f317217, v12
	v_fma_f32 v13, v12, s13, -v13
	v_fmac_f32_e32 v13, 0x3377d1cf, v12
	v_fmac_f32_e32 v13, 0x3f317217, v12
	v_cndmask_b32_e32 v12, v12, v13, vcc
	v_cmp_lt_f32_e32 vcc, s9, v20
	v_cndmask_b32_e64 v13, 0, v9, s[2:3]
	v_sub_f32_e32 v12, v12, v13
	v_cndmask_b32_e32 v4, v4, v20, vcc
	v_mul_f32_e32 v14, 0x4f800000, v4
	v_cmp_gt_f32_e32 vcc, s12, v4
	v_cmp_lt_f32_e64 s[2:3], s9, v2
	v_and_b32_e32 v16, 0xffff0000, v3
	v_cndmask_b32_e32 v4, v4, v14, vcc
	v_sqrt_f32_e32 v14, v4
	v_cndmask_b32_e64 v2, v12, v2, s[2:3]
	v_lshlrev_b32_e32 v17, 16, v3
	v_mul_f32_e32 v3, 0x3fb8aa3b, v16
	v_add_u32_e32 v12, -1, v14
	v_fma_f32 v13, -v12, v14, v4
	v_cmp_ge_f32_e64 s[2:3], 0, v13
	v_add_u32_e32 v13, 1, v14
	v_exp_f32_e32 v3, v3
	v_cndmask_b32_e64 v12, v14, v12, s[2:3]
	v_fma_f32 v14, -v13, v14, v4
	v_cmp_lt_f32_e64 s[2:3], 0, v14
	v_mul_f32_e32 v14, 0x4f800000, v2
	s_nop 0
	v_cndmask_b32_e64 v12, v12, v13, s[2:3]
	v_cmp_gt_f32_e64 s[2:3], s12, v2
	v_mul_f32_e32 v13, 0x37800000, v12
	v_cndmask_b32_e32 v12, v12, v13, vcc
	v_cndmask_b32_e64 v14, v2, v14, s[2:3]
	v_sqrt_f32_e32 v2, v14
	v_cmp_class_f32_e32 vcc, v4, v11
	s_nop 1
	v_cndmask_b32_e32 v13, v12, v4, vcc
	v_add_u32_e32 v4, -1, v2
	v_fma_f32 v12, -v4, v2, v14
	v_cmp_ge_f32_e32 vcc, 0, v12
	v_add_u32_e32 v12, 1, v2
	v_fma_f32 v15, -v12, v2, v14
	v_cndmask_b32_e32 v4, v2, v4, vcc
	v_mul_f32_e32 v2, 0x3fb8aa3b, v17
	v_exp_f32_e32 v2, v2
	v_cmp_lt_f32_e32 vcc, 0, v15
	v_pk_add_f32 v[2:3], v[2:3], 1.0 op_sel_hi:[1,0]
	s_nop 0
	v_cndmask_b32_e32 v4, v4, v12, vcc
	v_cmp_gt_f32_e32 vcc, s15, v3
	v_mul_f32_e32 v12, 0x37800000, v4
	v_cndmask_b32_e64 v4, v4, v12, s[2:3]
	v_cndmask_b32_e32 v15, 1.0, v7, vcc
	v_mul_f32_e32 v3, v3, v15
	v_log_f32_e32 v3, v3
	v_cmp_class_f32_e64 s[2:3], v14, v11
	v_cmp_lt_f32_e64 s[4:5], |v3|, s14
	s_nop 0
	v_cndmask_b32_e64 v12, v4, v14, s[2:3]
	v_cmp_gt_f32_e64 s[2:3], s15, v2
	v_mul_f32_e32 v4, 0x3f317217, v3
	v_fma_f32 v4, v3, s13, -v4
	v_cndmask_b32_e64 v7, 1.0, v7, s[2:3]
	v_mul_f32_e32 v2, v2, v7
	v_log_f32_e32 v2, v2
	v_fmac_f32_e32 v4, 0x3377d1cf, v3
	v_fmac_f32_e32 v4, 0x3f317217, v3
	v_cndmask_b32_e64 v3, v3, v4, s[4:5]
	v_cndmask_b32_e32 v4, 0, v9, vcc
	v_sub_f32_e32 v3, v3, v4
	v_mul_f32_e32 v4, 0x3f317217, v2
	v_fma_f32 v4, v2, s13, -v4
	v_fmac_f32_e32 v4, 0x3377d1cf, v2
	v_fmac_f32_e32 v4, 0x3f317217, v2
	v_cmp_lt_f32_e64 vcc, |v2|, s14
	s_cselect_b64 s[4:5], -1, 0
	s_cmp_lt_i32 s33, 1
	v_cndmask_b32_e32 v2, v2, v4, vcc
	v_cmp_lt_f32_e32 vcc, s9, v16
	v_cndmask_b32_e64 v4, 0, v9, s[2:3]
	v_sub_f32_e32 v2, v2, v4
	v_cndmask_b32_e32 v3, v3, v16, vcc
	v_mul_f32_e32 v7, 0x4f800000, v3
	v_cmp_gt_f32_e32 vcc, s12, v3
	v_cmp_lt_f32_e64 s[2:3], s9, v17
	s_nop 0
	v_cndmask_b32_e32 v3, v3, v7, vcc
	v_sqrt_f32_e32 v7, v3
	v_cndmask_b32_e64 v2, v2, v17, s[2:3]
	v_add_u32_e32 v4, -1, v7
	v_fma_f32 v9, -v4, v7, v3
	v_cmp_ge_f32_e64 s[2:3], 0, v9
	v_add_u32_e32 v9, 1, v7
	s_nop 0
	v_cndmask_b32_e64 v4, v7, v4, s[2:3]
	v_fma_f32 v7, -v9, v7, v3
	v_cmp_lt_f32_e64 s[2:3], 0, v7
	s_nop 1
	v_cndmask_b32_e64 v4, v4, v9, s[2:3]
	v_mul_f32_e32 v9, 0x4f800000, v2
	v_cmp_gt_f32_e64 s[2:3], s12, v2
	v_mul_f32_e32 v7, 0x37800000, v4
	v_cndmask_b32_e32 v4, v4, v7, vcc
	v_cndmask_b32_e64 v2, v2, v9, s[2:3]
	v_sqrt_f32_e32 v9, v2
	v_cmp_class_f32_e32 vcc, v3, v11
	s_nop 1
	v_cndmask_b32_e32 v15, v4, v3, vcc
	v_add_u32_e32 v3, -1, v9
	v_fma_f32 v4, -v3, v9, v2
	v_cmp_ge_f32_e32 vcc, 0, v4
	v_add_u32_e32 v4, 1, v9
	v_fma_f32 v7, -v4, v9, v2
	v_cndmask_b32_e32 v3, v9, v3, vcc
	v_cmp_lt_f32_e32 vcc, 0, v7
	s_nop 1
	v_cndmask_b32_e32 v3, v3, v4, vcc
	v_mul_f32_e32 v4, 0x37800000, v3
	v_cndmask_b32_e64 v3, v3, v4, s[2:3]
	v_cmp_class_f32_e32 vcc, v2, v11
	s_nop 1
	v_cndmask_b32_e32 v14, v3, v2, vcc
	v_lshl_add_u64 v[2:3], v[0:1], 2, s[10:11]
	v_mul_lo_u32 v0, v6, s33
	scratch_store_dwordx4 off, v[12:15], off offset:16
	s_cbranch_scc1 .LBB396_28
; %bb.2:
	s_load_dwordx2 s[6:7], s[0:1], 0x20
	s_cmp_lt_u32 s33, 4
	v_and_b32_e32 v4, 63, v8
	s_cbranch_scc1 .LBB396_21
; %bb.3:
	v_lshlrev_b32_e32 v5, 3, v4
	s_mov_b32 s11, 0
	s_and_b32 s8, s33, 0x7ffffffc
	v_ashrrev_i32_e32 v1, 31, v0
	v_sub_u32_e32 v11, 0, v5
	v_mov_b32_e32 v5, 0
	s_mov_b32 s10, s11
	s_branch .LBB396_5
.LBB396_4:                              ;   in Loop: Header=BB396_5 Depth=1
	s_or_b64 exec, exec, s[12:13]
	s_add_i32 s10, s10, 4
	s_cmp_eq_u32 s10, s8
	s_cbranch_scc1 .LBB396_21
.LBB396_5:                              ; =>This Loop Header: Depth=1
                                        ;     Child Loop BB396_7 Depth 2
                                        ;     Child Loop BB396_11 Depth 2
	;; [unrolled: 1-line block ×4, first 2 shown]
	v_lshl_add_u64 v[6:7], s[10:11], 2, v[2:3]
	global_load_dword v12, v[6:7], off
	v_add_u32_e32 v8, s10, v0
	v_ashrrev_i32_e32 v9, 31, v8
	v_mov_b32_e32 v13, 0
	s_mov_b64 s[12:13], 0
	s_waitcnt lgkmcnt(0)
	v_lshl_add_u64 v[8:9], v[8:9], 2, s[6:7]
	s_mov_b32 s9, 0
	s_waitcnt vmcnt(0)
	v_add_u32_e32 v14, v11, v12
	s_branch .LBB396_7
.LBB396_6:                              ;   in Loop: Header=BB396_7 Depth=2
	s_or_b64 exec, exec, s[14:15]
	s_add_i32 s16, s9, 1
	s_cmp_gt_u32 s9, 6
	s_cselect_b64 s[2:3], -1, 0
	s_xor_b64 s[14:15], vcc, -1
	s_or_b64 s[2:3], s[14:15], s[2:3]
	s_and_b64 s[2:3], exec, s[2:3]
	v_add_u32_e32 v13, 4, v13
	s_or_b64 s[12:13], s[2:3], s[12:13]
	s_mov_b32 s9, s16
	s_andn2_b64 exec, exec, s[12:13]
	s_cbranch_execz .LBB396_9
.LBB396_7:                              ;   Parent Loop BB396_5 Depth=1
                                        ; =>  This Inner Loop Header: Depth=2
	v_cmp_ne_u32_e32 vcc, s9, v14
	v_cmp_eq_u32_e64 s[2:3], s9, v14
	s_and_saveexec_b64 s[14:15], s[2:3]
	s_cbranch_execz .LBB396_6
; %bb.8:                                ;   in Loop: Header=BB396_7 Depth=2
	scratch_load_dword v15, v13, off
	s_waitcnt vmcnt(0)
	v_add_f32_e32 v5, v5, v15
	global_store_dword v[8:9], v12, off
	s_branch .LBB396_6
.LBB396_9:                              ;   in Loop: Header=BB396_5 Depth=1
	s_or_b64 exec, exec, s[12:13]
	global_load_dword v12, v[6:7], off offset:4
	s_ashr_i32 s3, s10, 31
	s_mov_b32 s2, s10
	v_lshl_add_u64 v[8:9], s[2:3], 0, v[0:1]
	v_mov_b32_e32 v13, 0
	s_mov_b32 s9, 0
	v_lshl_add_u64 v[8:9], v[8:9], 2, s[6:7]
	s_mov_b64 s[12:13], 0
	s_waitcnt vmcnt(0)
	v_add_u32_e32 v14, v11, v12
	s_branch .LBB396_11
.LBB396_10:                             ;   in Loop: Header=BB396_11 Depth=2
	s_or_b64 exec, exec, s[14:15]
	s_add_i32 s16, s9, 1
	s_cmp_gt_u32 s9, 6
	s_cselect_b64 s[2:3], -1, 0
	s_xor_b64 s[14:15], vcc, -1
	s_or_b64 s[2:3], s[14:15], s[2:3]
	s_and_b64 s[2:3], exec, s[2:3]
	v_add_u32_e32 v13, 4, v13
	s_or_b64 s[12:13], s[2:3], s[12:13]
	s_mov_b32 s9, s16
	s_andn2_b64 exec, exec, s[12:13]
	s_cbranch_execz .LBB396_13
.LBB396_11:                             ;   Parent Loop BB396_5 Depth=1
                                        ; =>  This Inner Loop Header: Depth=2
	v_cmp_ne_u32_e32 vcc, s9, v14
	v_cmp_eq_u32_e64 s[2:3], s9, v14
	s_and_saveexec_b64 s[14:15], s[2:3]
	s_cbranch_execz .LBB396_10
; %bb.12:                               ;   in Loop: Header=BB396_11 Depth=2
	scratch_load_dword v15, v13, off
	s_waitcnt vmcnt(0)
	v_add_f32_e32 v5, v5, v15
	global_store_dword v[8:9], v12, off offset:4
	s_branch .LBB396_10
.LBB396_13:                             ;   in Loop: Header=BB396_5 Depth=1
	s_or_b64 exec, exec, s[12:13]
	global_load_dword v12, v[6:7], off offset:8
	v_mov_b32_e32 v13, 0
	s_mov_b32 s9, 0
	s_mov_b64 s[12:13], 0
	s_waitcnt vmcnt(0)
	v_add_u32_e32 v14, v11, v12
	s_branch .LBB396_15
.LBB396_14:                             ;   in Loop: Header=BB396_15 Depth=2
	s_or_b64 exec, exec, s[14:15]
	s_add_i32 s16, s9, 1
	s_cmp_gt_u32 s9, 6
	s_cselect_b64 s[2:3], -1, 0
	s_xor_b64 s[14:15], vcc, -1
	s_or_b64 s[2:3], s[14:15], s[2:3]
	s_and_b64 s[2:3], exec, s[2:3]
	v_add_u32_e32 v13, 4, v13
	s_or_b64 s[12:13], s[2:3], s[12:13]
	s_mov_b32 s9, s16
	s_andn2_b64 exec, exec, s[12:13]
	s_cbranch_execz .LBB396_17
.LBB396_15:                             ;   Parent Loop BB396_5 Depth=1
                                        ; =>  This Inner Loop Header: Depth=2
	v_cmp_ne_u32_e32 vcc, s9, v14
	v_cmp_eq_u32_e64 s[2:3], s9, v14
	s_and_saveexec_b64 s[14:15], s[2:3]
	s_cbranch_execz .LBB396_14
; %bb.16:                               ;   in Loop: Header=BB396_15 Depth=2
	scratch_load_dword v15, v13, off
	s_waitcnt vmcnt(0)
	v_add_f32_e32 v5, v5, v15
	global_store_dword v[8:9], v12, off offset:8
	s_branch .LBB396_14
.LBB396_17:                             ;   in Loop: Header=BB396_5 Depth=1
	s_or_b64 exec, exec, s[12:13]
	global_load_dword v6, v[6:7], off offset:12
	v_mov_b32_e32 v7, 0
	s_mov_b32 s9, 0
	s_mov_b64 s[12:13], 0
	s_waitcnt vmcnt(0)
	v_add_u32_e32 v12, v11, v6
	s_branch .LBB396_19
.LBB396_18:                             ;   in Loop: Header=BB396_19 Depth=2
	s_or_b64 exec, exec, s[14:15]
	s_add_i32 s16, s9, 1
	s_cmp_gt_u32 s9, 6
	s_cselect_b64 s[2:3], -1, 0
	s_xor_b64 s[14:15], vcc, -1
	s_or_b64 s[2:3], s[14:15], s[2:3]
	s_and_b64 s[2:3], exec, s[2:3]
	v_add_u32_e32 v7, 4, v7
	s_or_b64 s[12:13], s[2:3], s[12:13]
	s_mov_b32 s9, s16
	s_andn2_b64 exec, exec, s[12:13]
	s_cbranch_execz .LBB396_4
.LBB396_19:                             ;   Parent Loop BB396_5 Depth=1
                                        ; =>  This Inner Loop Header: Depth=2
	v_cmp_ne_u32_e32 vcc, s9, v12
	v_cmp_eq_u32_e64 s[2:3], s9, v12
	s_and_saveexec_b64 s[14:15], s[2:3]
	s_cbranch_execz .LBB396_18
; %bb.20:                               ;   in Loop: Header=BB396_19 Depth=2
	scratch_load_dword v13, v7, off
	s_waitcnt vmcnt(0)
	v_add_f32_e32 v5, v5, v13
	global_store_dword v[8:9], v6, off offset:12
	s_branch .LBB396_18
.LBB396_21:
	s_and_b32 s14, s33, 3
	s_cmp_eq_u32 s14, 0
	s_mov_b32 s9, 0
	s_cbranch_scc1 .LBB396_28
; %bb.22:
	v_lshlrev_b32_e32 v1, 3, v4
	v_sub_u32_e32 v1, 0, v1
	s_mov_b32 s15, s9
	s_branch .LBB396_24
.LBB396_23:                             ;   in Loop: Header=BB396_24 Depth=1
	s_or_b64 exec, exec, s[10:11]
	s_add_i32 s8, s8, 1
	s_add_i32 s15, s15, 1
	s_cmp_lg_u32 s15, s14
	s_cbranch_scc0 .LBB396_28
.LBB396_24:                             ; =>This Loop Header: Depth=1
                                        ;     Child Loop BB396_26 Depth 2
	v_lshl_add_u64 v[6:7], s[8:9], 2, v[2:3]
	global_load_dword v4, v[6:7], off
	v_add_u32_e32 v6, s8, v0
	v_ashrrev_i32_e32 v7, 31, v6
	v_mov_b32_e32 v8, 0
	s_mov_b32 s16, 0
	s_waitcnt lgkmcnt(0)
	v_lshl_add_u64 v[6:7], v[6:7], 2, s[6:7]
	s_mov_b64 s[10:11], 0
	s_waitcnt vmcnt(0)
	v_add_u32_e32 v9, v1, v4
	s_branch .LBB396_26
.LBB396_25:                             ;   in Loop: Header=BB396_26 Depth=2
	s_or_b64 exec, exec, s[12:13]
	s_add_i32 s17, s16, 1
	s_cmp_gt_u32 s16, 6
	s_cselect_b64 s[2:3], -1, 0
	s_xor_b64 s[12:13], vcc, -1
	s_or_b64 s[2:3], s[12:13], s[2:3]
	s_and_b64 s[2:3], exec, s[2:3]
	v_add_u32_e32 v8, 4, v8
	s_or_b64 s[10:11], s[2:3], s[10:11]
	s_mov_b32 s16, s17
	s_andn2_b64 exec, exec, s[10:11]
	s_cbranch_execz .LBB396_23
.LBB396_26:                             ;   Parent Loop BB396_24 Depth=1
                                        ; =>  This Inner Loop Header: Depth=2
	v_cmp_ne_u32_e32 vcc, s16, v9
	v_cmp_eq_u32_e64 s[2:3], s16, v9
	s_and_saveexec_b64 s[12:13], s[2:3]
	s_cbranch_execz .LBB396_25
; %bb.27:                               ;   in Loop: Header=BB396_26 Depth=2
	scratch_load_dword v11, v8, off
	s_waitcnt vmcnt(0)
	v_add_f32_e32 v5, v5, v11
	global_store_dword v[6:7], v4, off
	s_branch .LBB396_25
.LBB396_28:
	s_waitcnt lgkmcnt(0)
	s_load_dword s6, s[0:1], 0x3c
	s_waitcnt lgkmcnt(0)
	s_bitcmp1_b32 s6, 0
	s_cselect_b64 s[2:3], -1, 0
	s_bitcmp0_b32 s6, 0
	s_cbranch_scc0 .LBB396_32
; %bb.29:
	s_load_dwordx2 s[6:7], s[0:1], 0x40
	s_andn2_b64 vcc, exec, s[2:3]
	s_waitcnt lgkmcnt(0)
	v_cvt_f32_f64_e32 v8, s[6:7]
	s_cbranch_vccz .LBB396_33
.LBB396_30:
	s_andn2_b64 vcc, exec, s[4:5]
	s_cbranch_vccz .LBB396_34
.LBB396_31:
	s_endpgm
.LBB396_32:
	v_mbcnt_lo_u32_b32 v1, -1, 0
	v_mbcnt_hi_u32_b32 v1, -1, v1
	v_and_b32_e32 v4, 64, v1
	v_add_u32_e32 v4, 64, v4
	v_xor_b32_e32 v6, 32, v1
	v_cmp_lt_i32_e32 vcc, v6, v4
	v_xor_b32_e32 v7, 16, v1
	s_nop 0
	v_cndmask_b32_e32 v6, v1, v6, vcc
	v_lshlrev_b32_e32 v6, 2, v6
	ds_bpermute_b32 v6, v6, v5
	v_cmp_lt_i32_e32 vcc, v7, v4
	s_waitcnt lgkmcnt(0)
	v_add_f32_e32 v5, v5, v6
	v_cndmask_b32_e32 v6, v1, v7, vcc
	v_lshlrev_b32_e32 v6, 2, v6
	ds_bpermute_b32 v6, v6, v5
	v_xor_b32_e32 v7, 8, v1
	v_cmp_lt_i32_e32 vcc, v7, v4
	s_waitcnt lgkmcnt(0)
	v_add_f32_e32 v5, v5, v6
	v_cndmask_b32_e32 v6, v1, v7, vcc
	v_lshlrev_b32_e32 v6, 2, v6
	ds_bpermute_b32 v6, v6, v5
	v_xor_b32_e32 v7, 4, v1
	v_cmp_lt_i32_e32 vcc, v7, v4
	s_waitcnt lgkmcnt(0)
	v_add_f32_e32 v5, v5, v6
	v_cndmask_b32_e32 v6, v1, v7, vcc
	v_lshlrev_b32_e32 v6, 2, v6
	ds_bpermute_b32 v6, v6, v5
	v_xor_b32_e32 v7, 2, v1
	v_cmp_lt_i32_e32 vcc, v7, v4
	s_waitcnt lgkmcnt(0)
	v_add_f32_e32 v5, v5, v6
	v_cndmask_b32_e32 v6, v1, v7, vcc
	v_lshlrev_b32_e32 v6, 2, v6
	ds_bpermute_b32 v6, v6, v5
	v_xor_b32_e32 v7, 1, v1
	v_cmp_lt_i32_e32 vcc, v7, v4
	s_waitcnt lgkmcnt(0)
	v_add_f32_e32 v5, v5, v6
	v_cndmask_b32_e32 v1, v1, v7, vcc
	v_lshlrev_b32_e32 v1, 2, v1
	ds_bpermute_b32 v1, v1, v5
	s_waitcnt lgkmcnt(0)
	v_add_f32_e32 v5, v5, v1
	s_load_dwordx2 s[6:7], s[0:1], 0x40
	s_andn2_b64 vcc, exec, s[2:3]
	s_waitcnt lgkmcnt(0)
	v_cvt_f32_f64_e32 v8, s[6:7]
	s_cbranch_vccnz .LBB396_30
.LBB396_33:
	v_cmp_lt_f32_e32 vcc, 0, v5
	s_nop 1
	v_cndmask_b32_e32 v1, 1.0, v5, vcc
	v_div_scale_f32 v4, s[2:3], v1, v1, v8
	v_rcp_f32_e32 v5, v4
	s_nop 0
	v_fma_f32 v6, -v4, v5, 1.0
	v_fmac_f32_e32 v5, v6, v5
	v_div_scale_f32 v6, vcc, v8, v1, v8
	v_mul_f32_e32 v7, v6, v5
	v_fma_f32 v9, -v4, v7, v6
	v_fmac_f32_e32 v7, v9, v5
	v_fma_f32 v4, -v4, v7, v6
	v_div_fmas_f32 v4, v4, v5, v7
	v_div_fixup_f32 v8, v4, v1, v8
	s_andn2_b64 vcc, exec, s[4:5]
	s_cbranch_vccnz .LBB396_31
.LBB396_34:
	s_load_dwordx2 s[12:13], s[0:1], 0x10
	v_mov_b32_e32 v1, 0
	v_or_b32_e32 v20, 4, v1
	v_or_b32_e32 v18, 8, v1
	;; [unrolled: 1-line block ×3, first 2 shown]
	v_add_u32_e32 v14, 16, v1
	v_add_u32_e32 v12, 20, v1
	;; [unrolled: 1-line block ×4, first 2 shown]
	v_or_b32_e32 v23, 1, v10
	v_or_b32_e32 v22, 2, v10
	;; [unrolled: 1-line block ×7, first 2 shown]
	s_cmp_eq_u32 s33, 1
	s_mov_b32 s14, 0
	s_cbranch_scc1 .LBB396_69
; %bb.35:
	v_ashrrev_i32_e32 v1, 31, v0
	s_waitcnt lgkmcnt(0)
	v_lshl_add_u64 v[4:5], v[0:1], 2, s[12:13]
	s_and_b32 s14, s33, 0x7ffffffe
	v_lshl_add_u64 v[4:5], v[4:5], 0, 4
	v_lshl_add_u64 v[6:7], v[2:3], 0, 4
	s_mov_b32 s15, 0
	s_branch .LBB396_37
.LBB396_36:                             ;   in Loop: Header=BB396_37 Depth=1
	s_or_b64 exec, exec, s[0:1]
	s_add_i32 s15, s15, 2
	v_lshl_add_u64 v[4:5], v[4:5], 0, 8
	s_cmp_eq_u32 s14, s15
	v_lshl_add_u64 v[6:7], v[6:7], 0, 8
	s_cbranch_scc1 .LBB396_69
.LBB396_37:                             ; =>This Inner Loop Header: Depth=1
	global_load_dword v24, v[6:7], off offset:-4
	v_mov_b32_e32 v1, 0
	s_waitcnt vmcnt(0)
	v_cmp_eq_u32_e32 vcc, v24, v10
	v_cmp_ne_u32_e64 s[0:1], v24, v10
	s_and_saveexec_b64 s[16:17], s[0:1]
	s_cbranch_execz .LBB396_51
; %bb.38:                               ;   in Loop: Header=BB396_37 Depth=1
	v_cmp_eq_u32_e64 s[0:1], v24, v23
	v_cmp_ne_u32_e64 s[2:3], v24, v23
	v_mov_b32_e32 v1, v20
	s_and_saveexec_b64 s[18:19], s[2:3]
	s_cbranch_execz .LBB396_50
; %bb.39:                               ;   in Loop: Header=BB396_37 Depth=1
	v_cmp_eq_u32_e64 s[2:3], v24, v22
	v_cmp_ne_u32_e64 s[4:5], v24, v22
	v_mov_b32_e32 v1, v18
	;; [unrolled: 6-line block ×6, first 2 shown]
	s_and_saveexec_b64 s[30:31], s[10:11]
	s_xor_b64 s[30:31], exec, s[30:31]
; %bb.44:                               ;   in Loop: Header=BB396_37 Depth=1
	v_cmp_eq_u32_e64 s[10:11], v24, v13
	s_andn2_b64 s[28:29], s[28:29], exec
	s_and_b64 s[10:11], s[10:11], exec
	s_or_b64 s[28:29], s[28:29], s[10:11]
	v_mov_b32_e32 v1, v11
; %bb.45:                               ;   in Loop: Header=BB396_37 Depth=1
	s_or_b64 exec, exec, s[30:31]
	s_andn2_b64 s[8:9], s[8:9], exec
	s_and_b64 s[10:11], s[28:29], exec
	s_or_b64 s[8:9], s[8:9], s[10:11]
.LBB396_46:                             ;   in Loop: Header=BB396_37 Depth=1
	s_or_b64 exec, exec, s[26:27]
	s_andn2_b64 s[6:7], s[6:7], exec
	s_and_b64 s[8:9], s[8:9], exec
	s_or_b64 s[6:7], s[6:7], s[8:9]
.LBB396_47:                             ;   in Loop: Header=BB396_37 Depth=1
	s_or_b64 exec, exec, s[24:25]
	s_andn2_b64 s[4:5], s[4:5], exec
	s_and_b64 s[6:7], s[6:7], exec
	s_or_b64 s[4:5], s[4:5], s[6:7]
.LBB396_48:                             ;   in Loop: Header=BB396_37 Depth=1
	s_or_b64 exec, exec, s[22:23]
	s_andn2_b64 s[2:3], s[2:3], exec
	s_and_b64 s[4:5], s[4:5], exec
	s_or_b64 s[2:3], s[2:3], s[4:5]
.LBB396_49:                             ;   in Loop: Header=BB396_37 Depth=1
	s_or_b64 exec, exec, s[20:21]
	s_andn2_b64 s[0:1], s[0:1], exec
	s_and_b64 s[2:3], s[2:3], exec
	s_or_b64 s[0:1], s[0:1], s[2:3]
.LBB396_50:                             ;   in Loop: Header=BB396_37 Depth=1
	s_or_b64 exec, exec, s[18:19]
	s_andn2_b64 s[2:3], vcc, exec
	s_and_b64 s[0:1], s[0:1], exec
	s_or_b64 vcc, s[2:3], s[0:1]
.LBB396_51:                             ;   in Loop: Header=BB396_37 Depth=1
	s_or_b64 exec, exec, s[16:17]
	s_and_saveexec_b64 s[0:1], vcc
	s_cbranch_execz .LBB396_53
; %bb.52:                               ;   in Loop: Header=BB396_37 Depth=1
	scratch_load_dword v1, v1, off
	v_add_u32_e32 v24, s15, v0
	v_ashrrev_i32_e32 v25, 31, v24
	v_lshl_add_u64 v[24:25], v[24:25], 2, s[12:13]
	s_waitcnt vmcnt(0)
	v_mul_f32_e32 v1, v8, v1
	global_store_dword v[24:25], v1, off
.LBB396_53:                             ;   in Loop: Header=BB396_37 Depth=1
	s_or_b64 exec, exec, s[0:1]
	global_load_dword v24, v[6:7], off
	v_mov_b32_e32 v1, 0
	s_waitcnt vmcnt(0)
	v_cmp_eq_u32_e64 s[8:9], v24, v10
	v_cmp_ne_u32_e32 vcc, v24, v10
	s_and_saveexec_b64 s[10:11], vcc
	s_cbranch_execz .LBB396_67
; %bb.54:                               ;   in Loop: Header=BB396_37 Depth=1
	v_cmp_eq_u32_e32 vcc, v24, v23
	v_cmp_ne_u32_e64 s[0:1], v24, v23
	v_mov_b32_e32 v1, v20
	s_and_saveexec_b64 s[16:17], s[0:1]
	s_cbranch_execz .LBB396_66
; %bb.55:                               ;   in Loop: Header=BB396_37 Depth=1
	v_cmp_eq_u32_e64 s[0:1], v24, v22
	v_cmp_ne_u32_e64 s[2:3], v24, v22
	v_mov_b32_e32 v1, v18
	s_and_saveexec_b64 s[18:19], s[2:3]
	s_cbranch_execz .LBB396_65
; %bb.56:                               ;   in Loop: Header=BB396_37 Depth=1
	v_cmp_eq_u32_e64 s[2:3], v24, v21
	;; [unrolled: 6-line block ×5, first 2 shown]
	v_cmp_ne_u32_e64 s[6:7], v24, v15
	v_mov_b32_e32 v1, v9
	s_and_saveexec_b64 s[30:31], s[6:7]
; %bb.60:                               ;   in Loop: Header=BB396_37 Depth=1
	v_cmp_eq_u32_e64 s[6:7], v24, v13
	s_andn2_b64 s[28:29], s[28:29], exec
	s_and_b64 s[6:7], s[6:7], exec
	s_or_b64 s[28:29], s[28:29], s[6:7]
	v_mov_b32_e32 v1, v11
; %bb.61:                               ;   in Loop: Header=BB396_37 Depth=1
	s_or_b64 exec, exec, s[30:31]
	s_andn2_b64 s[6:7], s[24:25], exec
	s_and_b64 s[24:25], s[28:29], exec
	s_or_b64 s[24:25], s[6:7], s[24:25]
.LBB396_62:                             ;   in Loop: Header=BB396_37 Depth=1
	s_or_b64 exec, exec, s[26:27]
	s_andn2_b64 s[4:5], s[4:5], exec
	s_and_b64 s[6:7], s[24:25], exec
	s_or_b64 s[4:5], s[4:5], s[6:7]
.LBB396_63:                             ;   in Loop: Header=BB396_37 Depth=1
	s_or_b64 exec, exec, s[22:23]
	s_andn2_b64 s[2:3], s[2:3], exec
	s_and_b64 s[4:5], s[4:5], exec
	s_or_b64 s[2:3], s[2:3], s[4:5]
.LBB396_64:                             ;   in Loop: Header=BB396_37 Depth=1
	s_or_b64 exec, exec, s[20:21]
	s_andn2_b64 s[0:1], s[0:1], exec
	s_and_b64 s[2:3], s[2:3], exec
	s_or_b64 s[0:1], s[0:1], s[2:3]
.LBB396_65:                             ;   in Loop: Header=BB396_37 Depth=1
	s_or_b64 exec, exec, s[18:19]
	s_andn2_b64 s[2:3], vcc, exec
	s_and_b64 s[0:1], s[0:1], exec
	s_or_b64 vcc, s[2:3], s[0:1]
.LBB396_66:                             ;   in Loop: Header=BB396_37 Depth=1
	s_or_b64 exec, exec, s[16:17]
	s_andn2_b64 s[0:1], s[8:9], exec
	s_and_b64 s[2:3], vcc, exec
	s_or_b64 s[8:9], s[0:1], s[2:3]
.LBB396_67:                             ;   in Loop: Header=BB396_37 Depth=1
	s_or_b64 exec, exec, s[10:11]
	s_and_saveexec_b64 s[0:1], s[8:9]
	s_cbranch_execz .LBB396_36
; %bb.68:                               ;   in Loop: Header=BB396_37 Depth=1
	scratch_load_dword v1, v1, off
	s_waitcnt vmcnt(0)
	v_mul_f32_e32 v1, v8, v1
	global_store_dword v[4:5], v1, off
	s_branch .LBB396_36
.LBB396_69:
	s_bitcmp0_b32 s33, 0
	s_mov_b32 s15, 0
	s_cbranch_scc1 .LBB396_31
; %bb.70:
	v_lshl_add_u64 v[2:3], s[14:15], 2, v[2:3]
	global_load_dword v1, v[2:3], off
	v_mov_b32_e32 v2, 0
	s_waitcnt vmcnt(0)
	v_cmp_eq_u32_e64 s[8:9], v1, v10
	v_cmp_ne_u32_e32 vcc, v1, v10
	s_and_saveexec_b64 s[10:11], vcc
	s_cbranch_execz .LBB396_84
; %bb.71:
	v_cmp_eq_u32_e32 vcc, v1, v23
	v_cmp_ne_u32_e64 s[0:1], v1, v23
	s_and_saveexec_b64 s[16:17], s[0:1]
	s_cbranch_execz .LBB396_83
; %bb.72:
	v_cmp_eq_u32_e64 s[0:1], v1, v22
	v_cmp_ne_u32_e64 s[2:3], v1, v22
	s_and_saveexec_b64 s[18:19], s[2:3]
	s_cbranch_execz .LBB396_82
; %bb.73:
	v_cmp_eq_u32_e64 s[2:3], v1, v21
	;; [unrolled: 5-line block ×5, first 2 shown]
	v_cmp_ne_u32_e64 s[6:7], v1, v15
	s_and_saveexec_b64 s[30:31], s[6:7]
; %bb.77:
	v_cmp_eq_u32_e64 s[6:7], v1, v13
	s_andn2_b64 s[28:29], s[28:29], exec
	s_and_b64 s[6:7], s[6:7], exec
	s_or_b64 s[28:29], s[28:29], s[6:7]
	v_mov_b32_e32 v9, v11
; %bb.78:
	s_or_b64 exec, exec, s[30:31]
	s_andn2_b64 s[6:7], s[24:25], exec
	s_and_b64 s[24:25], s[28:29], exec
	s_or_b64 s[24:25], s[6:7], s[24:25]
	v_mov_b32_e32 v12, v9
.LBB396_79:
	s_or_b64 exec, exec, s[26:27]
	s_andn2_b64 s[4:5], s[4:5], exec
	s_and_b64 s[6:7], s[24:25], exec
	s_or_b64 s[4:5], s[4:5], s[6:7]
	v_mov_b32_e32 v14, v12
.LBB396_80:
	s_or_b64 exec, exec, s[22:23]
	s_andn2_b64 s[2:3], s[2:3], exec
	s_and_b64 s[4:5], s[4:5], exec
	s_or_b64 s[2:3], s[2:3], s[4:5]
	v_mov_b32_e32 v16, v14
.LBB396_81:
	s_or_b64 exec, exec, s[20:21]
	s_andn2_b64 s[0:1], s[0:1], exec
	s_and_b64 s[2:3], s[2:3], exec
	s_or_b64 s[0:1], s[0:1], s[2:3]
	v_mov_b32_e32 v18, v16
.LBB396_82:
	s_or_b64 exec, exec, s[18:19]
	s_andn2_b64 s[2:3], vcc, exec
	s_and_b64 s[0:1], s[0:1], exec
	s_or_b64 vcc, s[2:3], s[0:1]
	v_mov_b32_e32 v20, v18
.LBB396_83:
	s_or_b64 exec, exec, s[16:17]
	s_andn2_b64 s[0:1], s[8:9], exec
	s_and_b64 s[2:3], vcc, exec
	s_or_b64 s[8:9], s[0:1], s[2:3]
	v_mov_b32_e32 v2, v20
.LBB396_84:
	s_or_b64 exec, exec, s[10:11]
	s_and_b64 exec, exec, s[8:9]
	s_cbranch_execz .LBB396_31
; %bb.85:
	scratch_load_dword v2, v2, off
	v_add_u32_e32 v0, s14, v0
	v_ashrrev_i32_e32 v1, 31, v0
	s_waitcnt lgkmcnt(0)
	v_lshl_add_u64 v[0:1], v[0:1], 2, s[12:13]
	s_waitcnt vmcnt(0)
	v_mul_f32_e32 v2, v8, v2
	global_store_dword v[0:1], v2, off
	s_endpgm
	.section	.rodata,"a",@progbits
	.p2align	6, 0x0
	.amdhsa_kernel _ZN4vllm3moe22topkGatingSoftplusSqrtILi8ELi512ELi4ELi16ELi64ELb1Ei14__hip_bfloat16EEvPKT6_PKbPfiPT5_PiiiibdPKfPKS9_SF_
		.amdhsa_group_segment_fixed_size 0
		.amdhsa_private_segment_fixed_size 48
		.amdhsa_kernarg_size 96
		.amdhsa_user_sgpr_count 2
		.amdhsa_user_sgpr_dispatch_ptr 0
		.amdhsa_user_sgpr_queue_ptr 0
		.amdhsa_user_sgpr_kernarg_segment_ptr 1
		.amdhsa_user_sgpr_dispatch_id 0
		.amdhsa_user_sgpr_kernarg_preload_length 0
		.amdhsa_user_sgpr_kernarg_preload_offset 0
		.amdhsa_user_sgpr_private_segment_size 0
		.amdhsa_uses_dynamic_stack 0
		.amdhsa_enable_private_segment 1
		.amdhsa_system_sgpr_workgroup_id_x 1
		.amdhsa_system_sgpr_workgroup_id_y 0
		.amdhsa_system_sgpr_workgroup_id_z 0
		.amdhsa_system_sgpr_workgroup_info 0
		.amdhsa_system_vgpr_workitem_id 1
		.amdhsa_next_free_vgpr 28
		.amdhsa_next_free_sgpr 34
		.amdhsa_accum_offset 28
		.amdhsa_reserve_vcc 1
		.amdhsa_float_round_mode_32 0
		.amdhsa_float_round_mode_16_64 0
		.amdhsa_float_denorm_mode_32 3
		.amdhsa_float_denorm_mode_16_64 3
		.amdhsa_dx10_clamp 1
		.amdhsa_ieee_mode 1
		.amdhsa_fp16_overflow 0
		.amdhsa_tg_split 0
		.amdhsa_exception_fp_ieee_invalid_op 0
		.amdhsa_exception_fp_denorm_src 0
		.amdhsa_exception_fp_ieee_div_zero 0
		.amdhsa_exception_fp_ieee_overflow 0
		.amdhsa_exception_fp_ieee_underflow 0
		.amdhsa_exception_fp_ieee_inexact 0
		.amdhsa_exception_int_div_zero 0
	.end_amdhsa_kernel
	.section	.text._ZN4vllm3moe22topkGatingSoftplusSqrtILi8ELi512ELi4ELi16ELi64ELb1Ei14__hip_bfloat16EEvPKT6_PKbPfiPT5_PiiiibdPKfPKS9_SF_,"axG",@progbits,_ZN4vllm3moe22topkGatingSoftplusSqrtILi8ELi512ELi4ELi16ELi64ELb1Ei14__hip_bfloat16EEvPKT6_PKbPfiPT5_PiiiibdPKfPKS9_SF_,comdat
.Lfunc_end396:
	.size	_ZN4vllm3moe22topkGatingSoftplusSqrtILi8ELi512ELi4ELi16ELi64ELb1Ei14__hip_bfloat16EEvPKT6_PKbPfiPT5_PiiiibdPKfPKS9_SF_, .Lfunc_end396-_ZN4vllm3moe22topkGatingSoftplusSqrtILi8ELi512ELi4ELi16ELi64ELb1Ei14__hip_bfloat16EEvPKT6_PKbPfiPT5_PiiiibdPKfPKS9_SF_
                                        ; -- End function
	.section	.AMDGPU.csdata,"",@progbits
; Kernel info:
; codeLenInByte = 4588
; NumSgprs: 40
; NumVgprs: 28
; NumAgprs: 0
; TotalNumVgprs: 28
; ScratchSize: 48
; MemoryBound: 0
; FloatMode: 240
; IeeeMode: 1
; LDSByteSize: 0 bytes/workgroup (compile time only)
; SGPRBlocks: 4
; VGPRBlocks: 3
; NumSGPRsForWavesPerEU: 40
; NumVGPRsForWavesPerEU: 28
; AccumOffset: 28
; Occupancy: 8
; WaveLimiterHint : 1
; COMPUTE_PGM_RSRC2:SCRATCH_EN: 1
; COMPUTE_PGM_RSRC2:USER_SGPR: 2
; COMPUTE_PGM_RSRC2:TRAP_HANDLER: 0
; COMPUTE_PGM_RSRC2:TGID_X_EN: 1
; COMPUTE_PGM_RSRC2:TGID_Y_EN: 0
; COMPUTE_PGM_RSRC2:TGID_Z_EN: 0
; COMPUTE_PGM_RSRC2:TIDIG_COMP_CNT: 1
; COMPUTE_PGM_RSRC3_GFX90A:ACCUM_OFFSET: 6
; COMPUTE_PGM_RSRC3_GFX90A:TG_SPLIT: 0
	.section	.text._ZN4vllm3moe22topkGatingSoftplusSqrtILi8ELi512ELi4ELi16ELi64ELb0Ei14__hip_bfloat16EEvPKT6_PKbPfiPT5_PiiiibdPKfPKS9_SF_,"axG",@progbits,_ZN4vllm3moe22topkGatingSoftplusSqrtILi8ELi512ELi4ELi16ELi64ELb0Ei14__hip_bfloat16EEvPKT6_PKbPfiPT5_PiiiibdPKfPKS9_SF_,comdat
	.protected	_ZN4vllm3moe22topkGatingSoftplusSqrtILi8ELi512ELi4ELi16ELi64ELb0Ei14__hip_bfloat16EEvPKT6_PKbPfiPT5_PiiiibdPKfPKS9_SF_ ; -- Begin function _ZN4vllm3moe22topkGatingSoftplusSqrtILi8ELi512ELi4ELi16ELi64ELb0Ei14__hip_bfloat16EEvPKT6_PKbPfiPT5_PiiiibdPKfPKS9_SF_
	.globl	_ZN4vllm3moe22topkGatingSoftplusSqrtILi8ELi512ELi4ELi16ELi64ELb0Ei14__hip_bfloat16EEvPKT6_PKbPfiPT5_PiiiibdPKfPKS9_SF_
	.p2align	8
	.type	_ZN4vllm3moe22topkGatingSoftplusSqrtILi8ELi512ELi4ELi16ELi64ELb0Ei14__hip_bfloat16EEvPKT6_PKbPfiPT5_PiiiibdPKfPKS9_SF_,@function
_ZN4vllm3moe22topkGatingSoftplusSqrtILi8ELi512ELi4ELi16ELi64ELb0Ei14__hip_bfloat16EEvPKT6_PKbPfiPT5_PiiiibdPKfPKS9_SF_: ; @_ZN4vllm3moe22topkGatingSoftplusSqrtILi8ELi512ELi4ELi16ELi64ELb0Ei14__hip_bfloat16EEvPKT6_PKbPfiPT5_PiiiibdPKfPKS9_SF_
; %bb.0:
	s_load_dword s33, s[0:1], 0x18
	v_and_b32_e32 v1, 0x3ff, v0
	s_lshl_b32 s2, s2, 2
	v_lshrrev_b32_e32 v2, 6, v1
	v_bfe_u32 v0, v0, 10, 10
	v_add3_u32 v8, s2, v0, v2
	s_waitcnt lgkmcnt(0)
	v_cmp_gt_i32_e32 vcc, s33, v8
	s_and_saveexec_b64 s[2:3], vcc
	s_cbranch_execz .LBB397_69
; %bb.1:
	s_load_dwordx4 s[4:7], s[0:1], 0x0
	s_load_dwordx2 s[34:35], s[0:1], 0x10
	s_waitcnt lgkmcnt(0)
	s_cmp_eq_u64 s[6:7], 0
	s_cbranch_scc1 .LBB397_3
; %bb.2:
	v_ashrrev_i32_e32 v9, 31, v8
	v_lshl_add_u64 v[2:3], s[6:7], 0, v[8:9]
	global_load_ubyte v0, v[2:3], off
	s_waitcnt vmcnt(0)
	v_and_b32_e32 v0, 1, v0
	v_cmp_eq_u32_e32 vcc, 1, v0
	s_xor_b64 s[2:3], vcc, -1
	s_orn2_b64 s[36:37], s[2:3], exec
	s_branch .LBB397_4
.LBB397_3:
	s_mov_b64 s[36:37], -1
.LBB397_4:
	v_lshlrev_b32_e32 v4, 9, v8
	v_mov_b32_e32 v2, s4
	v_mov_b32_e32 v3, s5
	v_ashrrev_i32_e32 v5, 31, v4
	v_and_b32_e32 v9, 63, v1
	v_lshl_add_u64 v[2:3], v[4:5], 1, v[2:3]
	v_mov_b32_e32 v1, 0
	v_lshlrev_b32_e32 v0, 4, v9
	v_lshl_add_u64 v[0:1], v[2:3], 0, v[0:1]
	global_load_dwordx4 v[4:7], v[0:1], off
	s_mov_b32 s12, 0x800000
	v_mov_b32_e32 v2, 0x4f800000
	s_mov_b32 s9, 0x3f317217
	s_mov_b32 s10, 0x7f800000
	v_mov_b32_e32 v3, 0x41b17218
	s_mov_b32 s8, 0x41a00000
	s_mov_b32 s11, 0xf800000
	s_load_dwordx4 s[20:23], s[0:1], 0x40
	v_lshlrev_b32_e32 v12, 3, v9
	s_waitcnt lgkmcnt(0)
	s_cmp_lg_u64 s[22:23], 0
	s_cselect_b64 s[6:7], -1, 0
	s_and_b64 s[2:3], exec, s[6:7]
	s_waitcnt vmcnt(0)
	v_lshlrev_b32_e32 v0, 16, v4
	v_mul_f32_e32 v1, 0x3fb8aa3b, v0
	v_exp_f32_e32 v10, v1
	v_mov_b32_e32 v1, 0x260
	v_add_f32_e32 v10, 1.0, v10
	v_cmp_gt_f32_e32 vcc, s12, v10
	s_nop 1
	v_cndmask_b32_e32 v11, 1.0, v2, vcc
	v_mul_f32_e32 v10, v10, v11
	v_log_f32_e32 v11, v10
	v_cndmask_b32_e32 v13, 0, v3, vcc
	v_lshlrev_b32_e32 v10, 2, v12
	v_mul_f32_e32 v14, 0x3f317217, v11
	v_fma_f32 v14, v11, s9, -v14
	v_fmac_f32_e32 v14, 0x3377d1cf, v11
	v_fmac_f32_e32 v14, 0x3f317217, v11
	v_cmp_lt_f32_e64 vcc, |v11|, s10
	s_nop 1
	v_cndmask_b32_e32 v11, v11, v14, vcc
	v_sub_f32_e32 v11, v11, v13
	v_cmp_lt_f32_e32 vcc, s8, v0
	s_nop 1
	v_cndmask_b32_e32 v0, v11, v0, vcc
	v_mul_f32_e32 v11, 0x4f800000, v0
	v_cmp_gt_f32_e32 vcc, s11, v0
	s_nop 1
	v_cndmask_b32_e32 v0, v0, v11, vcc
	v_sqrt_f32_e32 v11, v0
	s_nop 0
	v_add_u32_e32 v13, -1, v11
	v_add_u32_e32 v14, 1, v11
	v_fma_f32 v15, -v13, v11, v0
	v_fma_f32 v16, -v14, v11, v0
	v_cmp_ge_f32_e64 s[4:5], 0, v15
	s_nop 1
	v_cndmask_b32_e64 v11, v11, v13, s[4:5]
	v_cmp_lt_f32_e64 s[4:5], 0, v16
	s_nop 1
	v_cndmask_b32_e64 v11, v11, v14, s[4:5]
	v_mul_f32_e32 v13, 0x37800000, v11
	v_cndmask_b32_e32 v11, v11, v13, vcc
	v_cmp_class_f32_e32 vcc, v0, v1
	s_nop 1
	v_cndmask_b32_e32 v0, v11, v0, vcc
	s_mov_b64 vcc, s[2:3]
	s_cbranch_vccz .LBB397_6
; %bb.5:
	global_load_dword v11, v10, s[22:23]
	s_waitcnt vmcnt(0)
	v_add_f32_e32 v0, v0, v11
.LBB397_6:
	v_and_b32_e32 v4, 0xffff0000, v4
	v_mul_f32_e32 v11, 0x3fb8aa3b, v4
	v_exp_f32_e32 v11, v11
	s_nop 0
	v_add_f32_e32 v11, 1.0, v11
	v_cmp_gt_f32_e32 vcc, s12, v11
	s_nop 1
	v_cndmask_b32_e32 v2, 1.0, v2, vcc
	v_mul_f32_e32 v2, v11, v2
	v_log_f32_e32 v2, v2
	v_cndmask_b32_e32 v3, 0, v3, vcc
	v_mul_f32_e32 v11, 0x3f317217, v2
	v_fma_f32 v11, v2, s9, -v11
	v_fmac_f32_e32 v11, 0x3377d1cf, v2
	v_fmac_f32_e32 v11, 0x3f317217, v2
	v_cmp_lt_f32_e64 vcc, |v2|, s10
	s_nop 1
	v_cndmask_b32_e32 v2, v2, v11, vcc
	v_sub_f32_e32 v2, v2, v3
	v_cmp_lt_f32_e32 vcc, s8, v4
	s_nop 1
	v_cndmask_b32_e32 v2, v2, v4, vcc
	v_mul_f32_e32 v3, 0x4f800000, v2
	v_cmp_gt_f32_e32 vcc, s11, v2
	s_nop 1
	v_cndmask_b32_e32 v2, v2, v3, vcc
	v_sqrt_f32_e32 v3, v2
	v_cmp_class_f32_e64 s[4:5], v2, v1
	v_add_u32_e32 v4, -1, v3
	v_add_u32_e32 v11, 1, v3
	v_fma_f32 v13, -v4, v3, v2
	v_fma_f32 v14, -v11, v3, v2
	v_cmp_ge_f32_e64 s[2:3], 0, v13
	s_nop 1
	v_cndmask_b32_e64 v3, v3, v4, s[2:3]
	v_cmp_lt_f32_e64 s[2:3], 0, v14
	s_nop 1
	v_cndmask_b32_e64 v3, v3, v11, s[2:3]
	v_mul_f32_e32 v4, 0x37800000, v3
	v_cndmask_b32_e32 v3, v3, v4, vcc
	v_cndmask_b32_e64 v4, 0, 1, s[6:7]
	v_cmp_ne_u32_e64 s[2:3], 1, v4
	s_andn2_b64 vcc, exec, s[6:7]
	v_cndmask_b32_e64 v1, v3, v2, s[4:5]
	s_cbranch_vccnz .LBB397_8
; %bb.7:
	global_load_dword v2, v10, s[22:23] offset:4
	s_waitcnt vmcnt(0)
	v_add_f32_e32 v1, v1, v2
.LBB397_8:
	v_lshlrev_b32_e32 v2, 16, v5
	v_mul_f32_e32 v3, 0x3fb8aa3b, v2
	v_exp_f32_e32 v3, v3
	s_mov_b32 s10, 0x800000
	v_mov_b32_e32 v4, 0x4f800000
	s_mov_b32 s7, 0x3f317217
	v_add_f32_e32 v3, 1.0, v3
	v_cmp_gt_f32_e32 vcc, s10, v3
	s_mov_b32 s8, 0x7f800000
	s_mov_b32 s6, 0x41a00000
	v_cndmask_b32_e32 v11, 1.0, v4, vcc
	v_mul_f32_e32 v3, v3, v11
	v_log_f32_e32 v3, v3
	s_mov_b32 s9, 0xf800000
	v_mul_f32_e32 v11, 0x3f317217, v3
	v_fma_f32 v11, v3, s7, -v11
	v_fmac_f32_e32 v11, 0x3377d1cf, v3
	v_fmac_f32_e32 v11, 0x3f317217, v3
	v_cmp_lt_f32_e64 s[4:5], |v3|, s8
	s_nop 1
	v_cndmask_b32_e64 v3, v3, v11, s[4:5]
	v_mov_b32_e32 v11, 0x41b17218
	v_cndmask_b32_e32 v13, 0, v11, vcc
	v_sub_f32_e32 v3, v3, v13
	v_cmp_lt_f32_e32 vcc, s6, v2
	s_nop 1
	v_cndmask_b32_e32 v2, v3, v2, vcc
	v_mul_f32_e32 v3, 0x4f800000, v2
	v_cmp_gt_f32_e32 vcc, s9, v2
	s_nop 1
	v_cndmask_b32_e32 v2, v2, v3, vcc
	v_sqrt_f32_e32 v3, v2
	s_nop 0
	v_add_u32_e32 v13, -1, v3
	v_fma_f32 v14, -v13, v3, v2
	v_cmp_ge_f32_e64 s[4:5], 0, v14
	v_add_u32_e32 v14, 1, v3
	s_nop 0
	v_cndmask_b32_e64 v13, v3, v13, s[4:5]
	v_fma_f32 v3, -v14, v3, v2
	v_cmp_lt_f32_e64 s[4:5], 0, v3
	s_nop 1
	v_cndmask_b32_e64 v3, v13, v14, s[4:5]
	v_mul_f32_e32 v13, 0x37800000, v3
	v_cndmask_b32_e32 v13, v3, v13, vcc
	v_mov_b32_e32 v3, 0x260
	v_cmp_class_f32_e64 s[4:5], v2, v3
	s_and_b64 vcc, exec, s[2:3]
	s_nop 0
	v_cndmask_b32_e64 v2, v13, v2, s[4:5]
	s_cbranch_vccnz .LBB397_10
; %bb.9:
	global_load_dword v13, v10, s[22:23] offset:8
	s_waitcnt vmcnt(0)
	v_add_f32_e32 v2, v2, v13
.LBB397_10:
	v_and_b32_e32 v5, 0xffff0000, v5
	v_mul_f32_e32 v13, 0x3fb8aa3b, v5
	v_exp_f32_e32 v13, v13
	s_nop 0
	v_add_f32_e32 v13, 1.0, v13
	v_cmp_gt_f32_e32 vcc, s10, v13
	s_nop 1
	v_cndmask_b32_e32 v4, 1.0, v4, vcc
	v_mul_f32_e32 v4, v13, v4
	v_log_f32_e32 v4, v4
	v_cndmask_b32_e32 v11, 0, v11, vcc
	v_mul_f32_e32 v13, 0x3f317217, v4
	v_fma_f32 v13, v4, s7, -v13
	v_fmac_f32_e32 v13, 0x3377d1cf, v4
	v_fmac_f32_e32 v13, 0x3f317217, v4
	v_cmp_lt_f32_e64 vcc, |v4|, s8
	s_nop 1
	v_cndmask_b32_e32 v4, v4, v13, vcc
	v_sub_f32_e32 v4, v4, v11
	v_cmp_lt_f32_e32 vcc, s6, v5
	s_nop 1
	v_cndmask_b32_e32 v4, v4, v5, vcc
	v_mul_f32_e32 v5, 0x4f800000, v4
	v_cmp_gt_f32_e32 vcc, s9, v4
	s_nop 1
	v_cndmask_b32_e32 v4, v4, v5, vcc
	v_sqrt_f32_e32 v5, v4
	s_nop 0
	v_add_u32_e32 v11, -1, v5
	v_add_u32_e32 v13, 1, v5
	v_fma_f32 v14, -v11, v5, v4
	v_fma_f32 v15, -v13, v5, v4
	v_cmp_ge_f32_e64 s[4:5], 0, v14
	s_nop 1
	v_cndmask_b32_e64 v5, v5, v11, s[4:5]
	v_cmp_lt_f32_e64 s[4:5], 0, v15
	s_nop 1
	v_cndmask_b32_e64 v5, v5, v13, s[4:5]
	v_mul_f32_e32 v11, 0x37800000, v5
	v_cndmask_b32_e32 v5, v5, v11, vcc
	v_cmp_class_f32_e64 s[4:5], v4, v3
	s_and_b64 vcc, exec, s[2:3]
	s_nop 0
	v_cndmask_b32_e64 v3, v5, v4, s[4:5]
	s_cbranch_vccnz .LBB397_12
; %bb.11:
	global_load_dword v4, v10, s[22:23] offset:12
	s_waitcnt vmcnt(0)
	v_add_f32_e32 v3, v3, v4
.LBB397_12:
	v_lshlrev_b32_e32 v4, 16, v6
	v_mul_f32_e32 v5, 0x3fb8aa3b, v4
	v_exp_f32_e32 v5, v5
	v_mov_b32_e32 v11, 0x4f800000
	v_add_f32_e32 v5, 1.0, v5
	v_cmp_gt_f32_e32 vcc, s10, v5
	s_nop 1
	v_cndmask_b32_e32 v13, 1.0, v11, vcc
	v_mul_f32_e32 v5, v5, v13
	v_log_f32_e32 v5, v5
	s_nop 0
	v_mul_f32_e32 v13, 0x3f317217, v5
	v_fma_f32 v13, v5, s7, -v13
	v_fmac_f32_e32 v13, 0x3377d1cf, v5
	v_fmac_f32_e32 v13, 0x3f317217, v5
	v_cmp_lt_f32_e64 s[4:5], |v5|, s8
	s_nop 1
	v_cndmask_b32_e64 v5, v5, v13, s[4:5]
	v_mov_b32_e32 v13, 0x41b17218
	v_cndmask_b32_e32 v14, 0, v13, vcc
	v_sub_f32_e32 v5, v5, v14
	v_cmp_lt_f32_e32 vcc, s6, v4
	s_nop 1
	v_cndmask_b32_e32 v4, v5, v4, vcc
	v_mul_f32_e32 v5, 0x4f800000, v4
	v_cmp_gt_f32_e32 vcc, s9, v4
	s_nop 1
	v_cndmask_b32_e32 v4, v4, v5, vcc
	v_sqrt_f32_e32 v5, v4
	s_nop 0
	v_add_u32_e32 v14, -1, v5
	v_fma_f32 v15, -v14, v5, v4
	v_cmp_ge_f32_e64 s[4:5], 0, v15
	v_add_u32_e32 v15, 1, v5
	s_nop 0
	v_cndmask_b32_e64 v14, v5, v14, s[4:5]
	v_fma_f32 v5, -v15, v5, v4
	v_cmp_lt_f32_e64 s[4:5], 0, v5
	s_nop 1
	v_cndmask_b32_e64 v5, v14, v15, s[4:5]
	v_mul_f32_e32 v14, 0x37800000, v5
	v_cndmask_b32_e32 v14, v5, v14, vcc
	v_mov_b32_e32 v5, 0x260
	v_cmp_class_f32_e64 s[4:5], v4, v5
	s_and_b64 vcc, exec, s[2:3]
	s_nop 0
	v_cndmask_b32_e64 v4, v14, v4, s[4:5]
	s_cbranch_vccnz .LBB397_14
; %bb.13:
	global_load_dword v14, v10, s[22:23] offset:16
	s_waitcnt vmcnt(0)
	v_add_f32_e32 v4, v4, v14
.LBB397_14:
	v_and_b32_e32 v6, 0xffff0000, v6
	v_mul_f32_e32 v14, 0x3fb8aa3b, v6
	v_exp_f32_e32 v14, v14
	s_nop 0
	v_add_f32_e32 v14, 1.0, v14
	v_cmp_gt_f32_e32 vcc, s10, v14
	s_nop 1
	v_cndmask_b32_e32 v11, 1.0, v11, vcc
	v_mul_f32_e32 v11, v14, v11
	v_log_f32_e32 v11, v11
	v_cndmask_b32_e32 v13, 0, v13, vcc
	v_mul_f32_e32 v14, 0x3f317217, v11
	v_fma_f32 v14, v11, s7, -v14
	v_fmac_f32_e32 v14, 0x3377d1cf, v11
	v_fmac_f32_e32 v14, 0x3f317217, v11
	v_cmp_lt_f32_e64 vcc, |v11|, s8
	s_nop 1
	v_cndmask_b32_e32 v11, v11, v14, vcc
	v_sub_f32_e32 v11, v11, v13
	v_cmp_lt_f32_e32 vcc, s6, v6
	s_nop 1
	v_cndmask_b32_e32 v6, v11, v6, vcc
	v_mul_f32_e32 v11, 0x4f800000, v6
	v_cmp_gt_f32_e32 vcc, s9, v6
	s_nop 1
	v_cndmask_b32_e32 v6, v6, v11, vcc
	v_sqrt_f32_e32 v11, v6
	s_nop 0
	v_add_u32_e32 v13, -1, v11
	v_add_u32_e32 v14, 1, v11
	v_fma_f32 v15, -v13, v11, v6
	v_fma_f32 v16, -v14, v11, v6
	v_cmp_ge_f32_e64 s[4:5], 0, v15
	s_nop 1
	v_cndmask_b32_e64 v11, v11, v13, s[4:5]
	v_cmp_lt_f32_e64 s[4:5], 0, v16
	s_nop 1
	v_cndmask_b32_e64 v11, v11, v14, s[4:5]
	v_mul_f32_e32 v13, 0x37800000, v11
	v_cndmask_b32_e32 v11, v11, v13, vcc
	v_cmp_class_f32_e64 s[4:5], v6, v5
	s_and_b64 vcc, exec, s[2:3]
	s_nop 0
	v_cndmask_b32_e64 v5, v11, v6, s[4:5]
	s_cbranch_vccnz .LBB397_16
; %bb.15:
	global_load_dword v6, v10, s[22:23] offset:20
	s_waitcnt vmcnt(0)
	v_add_f32_e32 v5, v5, v6
.LBB397_16:
	v_lshlrev_b32_e32 v6, 16, v7
	v_mul_f32_e32 v11, 0x3fb8aa3b, v6
	v_exp_f32_e32 v11, v11
	v_mov_b32_e32 v13, 0x4f800000
	v_add_f32_e32 v11, 1.0, v11
	v_cmp_gt_f32_e32 vcc, s10, v11
	s_nop 1
	v_cndmask_b32_e32 v14, 1.0, v13, vcc
	v_mul_f32_e32 v11, v11, v14
	v_log_f32_e32 v11, v11
	s_nop 0
	v_mul_f32_e32 v14, 0x3f317217, v11
	v_fma_f32 v14, v11, s7, -v14
	v_fmac_f32_e32 v14, 0x3377d1cf, v11
	v_fmac_f32_e32 v14, 0x3f317217, v11
	v_cmp_lt_f32_e64 s[4:5], |v11|, s8
	s_nop 1
	v_cndmask_b32_e64 v11, v11, v14, s[4:5]
	v_mov_b32_e32 v14, 0x41b17218
	v_cndmask_b32_e32 v15, 0, v14, vcc
	v_sub_f32_e32 v11, v11, v15
	v_cmp_lt_f32_e32 vcc, s6, v6
	s_nop 1
	v_cndmask_b32_e32 v6, v11, v6, vcc
	v_mul_f32_e32 v11, 0x4f800000, v6
	v_cmp_gt_f32_e32 vcc, s9, v6
	s_nop 1
	v_cndmask_b32_e32 v6, v6, v11, vcc
	v_sqrt_f32_e32 v11, v6
	s_nop 0
	v_add_u32_e32 v15, -1, v11
	v_fma_f32 v16, -v15, v11, v6
	v_cmp_ge_f32_e64 s[4:5], 0, v16
	v_add_u32_e32 v16, 1, v11
	s_nop 0
	v_cndmask_b32_e64 v15, v11, v15, s[4:5]
	v_fma_f32 v11, -v16, v11, v6
	v_cmp_lt_f32_e64 s[4:5], 0, v11
	s_nop 1
	v_cndmask_b32_e64 v11, v15, v16, s[4:5]
	v_mul_f32_e32 v15, 0x37800000, v11
	v_cndmask_b32_e32 v15, v11, v15, vcc
	v_mov_b32_e32 v11, 0x260
	v_cmp_class_f32_e64 s[4:5], v6, v11
	s_and_b64 vcc, exec, s[2:3]
	s_nop 0
	v_cndmask_b32_e64 v6, v15, v6, s[4:5]
	s_cbranch_vccnz .LBB397_18
; %bb.17:
	global_load_dword v15, v10, s[22:23] offset:24
	s_waitcnt vmcnt(0)
	v_add_f32_e32 v6, v6, v15
.LBB397_18:
	v_and_b32_e32 v7, 0xffff0000, v7
	v_mul_f32_e32 v15, 0x3fb8aa3b, v7
	v_exp_f32_e32 v15, v15
	s_nop 0
	v_add_f32_e32 v15, 1.0, v15
	v_cmp_gt_f32_e32 vcc, s10, v15
	s_nop 1
	v_cndmask_b32_e32 v13, 1.0, v13, vcc
	v_mul_f32_e32 v13, v15, v13
	v_log_f32_e32 v13, v13
	v_cndmask_b32_e32 v14, 0, v14, vcc
	v_mul_f32_e32 v15, 0x3f317217, v13
	v_fma_f32 v15, v13, s7, -v15
	v_fmac_f32_e32 v15, 0x3377d1cf, v13
	v_fmac_f32_e32 v15, 0x3f317217, v13
	v_cmp_lt_f32_e64 vcc, |v13|, s8
	s_nop 1
	v_cndmask_b32_e32 v13, v13, v15, vcc
	v_sub_f32_e32 v13, v13, v14
	v_cmp_lt_f32_e32 vcc, s6, v7
	s_nop 1
	v_cndmask_b32_e32 v7, v13, v7, vcc
	v_mul_f32_e32 v13, 0x4f800000, v7
	v_cmp_gt_f32_e32 vcc, s9, v7
	s_nop 1
	v_cndmask_b32_e32 v7, v7, v13, vcc
	v_sqrt_f32_e32 v13, v7
	s_nop 0
	v_add_u32_e32 v14, -1, v13
	v_add_u32_e32 v15, 1, v13
	v_fma_f32 v16, -v14, v13, v7
	v_fma_f32 v17, -v15, v13, v7
	v_cmp_ge_f32_e64 s[4:5], 0, v16
	s_nop 1
	v_cndmask_b32_e64 v13, v13, v14, s[4:5]
	v_cmp_lt_f32_e64 s[4:5], 0, v17
	s_nop 1
	v_cndmask_b32_e64 v13, v13, v15, s[4:5]
	v_mul_f32_e32 v14, 0x37800000, v13
	v_cndmask_b32_e32 v13, v13, v14, vcc
	v_cmp_class_f32_e64 s[4:5], v7, v11
	s_and_b64 vcc, exec, s[2:3]
	s_nop 0
	v_cndmask_b32_e64 v7, v13, v7, s[4:5]
	s_cbranch_vccnz .LBB397_20
; %bb.19:
	global_load_dword v10, v10, s[22:23] offset:28
	s_waitcnt vmcnt(0)
	v_add_f32_e32 v7, v7, v10
.LBB397_20:
	s_load_dwordx4 s[24:27], s[0:1], 0x30
	s_mov_b32 s42, 0
	v_cmp_eq_u32_e64 s[6:7], 0, v9
	s_waitcnt lgkmcnt(0)
	s_bitcmp1_b32 s27, 0
	s_cselect_b64 s[4:5], -1, 0
	s_cmp_gt_i32 s24, 0
	s_cselect_b64 s[38:39], -1, 0
	s_and_b64 vcc, exec, s[38:39]
	s_cbranch_vccz .LBB397_55
; %bb.21:
	v_mbcnt_lo_u32_b32 v10, -1, 0
	v_mbcnt_hi_u32_b32 v10, -1, v10
	v_and_b32_e32 v11, 64, v10
	v_add_u32_e32 v11, 64, v11
	v_xor_b32_e32 v13, 32, v10
	v_cmp_lt_i32_e32 vcc, v13, v11
	s_load_dwordx4 s[28:31], s[0:1], 0x20
	v_mul_lo_u32 v14, v8, s24
	v_cndmask_b32_e32 v13, v10, v13, vcc
	v_lshlrev_b32_e32 v15, 2, v13
	v_xor_b32_e32 v13, 16, v10
	v_cmp_lt_i32_e32 vcc, v13, v11
	v_mov_b32_e32 v21, 0x200
	v_mov_b32_e32 v22, 0xc61c4000
	v_cndmask_b32_e32 v13, v10, v13, vcc
	v_lshlrev_b32_e32 v16, 2, v13
	v_xor_b32_e32 v13, 8, v10
	v_cmp_lt_i32_e32 vcc, v13, v11
	v_mov_b32_e32 v23, v8
	s_nop 0
	v_cndmask_b32_e32 v13, v10, v13, vcc
	v_lshlrev_b32_e32 v17, 2, v13
	v_xor_b32_e32 v13, 4, v10
	v_cmp_lt_i32_e32 vcc, v13, v11
	s_nop 1
	v_cndmask_b32_e32 v13, v10, v13, vcc
	v_lshlrev_b32_e32 v18, 2, v13
	v_xor_b32_e32 v13, 2, v10
	v_cmp_lt_i32_e32 vcc, v13, v11
	;; [unrolled: 5-line block ×3, first 2 shown]
	s_nop 1
	v_cndmask_b32_e32 v10, v10, v13, vcc
	v_lshlrev_b32_e32 v20, 2, v10
	v_mov_b32_e32 v13, 0
	s_branch .LBB397_24
.LBB397_22:                             ;   in Loop: Header=BB397_24 Depth=1
	s_or_b64 exec, exec, s[40:41]
.LBB397_23:                             ;   in Loop: Header=BB397_24 Depth=1
	s_cmp_eq_u32 s24, s42
	v_add_u32_e32 v23, s33, v23
	s_cbranch_scc1 .LBB397_56
.LBB397_24:                             ; =>This Inner Loop Header: Depth=1
	v_cmp_gt_f32_e32 vcc, v1, v0
	s_nop 1
	v_cndmask_b32_e32 v11, v0, v1, vcc
	v_cndmask_b32_e64 v10, 0, 1, vcc
	v_cmp_gt_f32_e32 vcc, v2, v11
	s_nop 1
	v_cndmask_b32_e32 v11, v11, v2, vcc
	v_cndmask_b32_e64 v10, v10, 2, vcc
	;; [unrolled: 4-line block ×6, first 2 shown]
	v_cmp_gt_f32_e32 vcc, v7, v11
	s_nop 1
	v_cndmask_b32_e64 v10, v10, 7, vcc
	v_cndmask_b32_e32 v24, v11, v7, vcc
	ds_bpermute_b32 v11, v15, v24
	v_or_b32_e32 v10, v12, v10
	s_waitcnt lgkmcnt(0)
	ds_bpermute_b32 v25, v15, v10
	s_waitcnt lgkmcnt(0)
	v_cmp_lt_f32_e64 s[8:9], v24, v11
	v_cmp_nlt_f32_e32 vcc, v24, v11
	s_and_saveexec_b64 s[10:11], vcc
; %bb.25:                               ;   in Loop: Header=BB397_24 Depth=1
	v_cmp_eq_f32_e32 vcc, v24, v11
	v_cmp_lt_i32_e64 s[0:1], v25, v10
	s_and_b64 s[0:1], vcc, s[0:1]
	s_andn2_b64 s[8:9], s[8:9], exec
	s_and_b64 s[0:1], s[0:1], exec
	s_or_b64 s[8:9], s[8:9], s[0:1]
; %bb.26:                               ;   in Loop: Header=BB397_24 Depth=1
	s_or_b64 exec, exec, s[10:11]
	s_and_saveexec_b64 s[0:1], s[8:9]
; %bb.27:                               ;   in Loop: Header=BB397_24 Depth=1
	v_mov_b32_e32 v24, v11
	v_mov_b32_e32 v10, v25
; %bb.28:                               ;   in Loop: Header=BB397_24 Depth=1
	s_or_b64 exec, exec, s[0:1]
	ds_bpermute_b32 v11, v16, v24
	ds_bpermute_b32 v25, v16, v10
	s_waitcnt lgkmcnt(1)
	v_cmp_lt_f32_e64 s[8:9], v24, v11
	v_cmp_nlt_f32_e32 vcc, v24, v11
	s_and_saveexec_b64 s[10:11], vcc
	s_cbranch_execz .LBB397_30
; %bb.29:                               ;   in Loop: Header=BB397_24 Depth=1
	v_cmp_eq_f32_e32 vcc, v24, v11
	s_waitcnt lgkmcnt(0)
	v_cmp_lt_i32_e64 s[0:1], v25, v10
	s_and_b64 s[0:1], vcc, s[0:1]
	s_andn2_b64 s[8:9], s[8:9], exec
	s_and_b64 s[0:1], s[0:1], exec
	s_or_b64 s[8:9], s[8:9], s[0:1]
.LBB397_30:                             ;   in Loop: Header=BB397_24 Depth=1
	s_or_b64 exec, exec, s[10:11]
	s_and_saveexec_b64 s[0:1], s[8:9]
	s_cbranch_execz .LBB397_32
; %bb.31:                               ;   in Loop: Header=BB397_24 Depth=1
	v_mov_b32_e32 v24, v11
	s_waitcnt lgkmcnt(0)
	v_mov_b32_e32 v10, v25
.LBB397_32:                             ;   in Loop: Header=BB397_24 Depth=1
	s_or_b64 exec, exec, s[0:1]
	ds_bpermute_b32 v11, v17, v24
	s_waitcnt lgkmcnt(1)
	ds_bpermute_b32 v25, v17, v10
	s_waitcnt lgkmcnt(1)
	v_cmp_lt_f32_e64 s[8:9], v24, v11
	v_cmp_nlt_f32_e32 vcc, v24, v11
	s_and_saveexec_b64 s[10:11], vcc
	s_cbranch_execz .LBB397_34
; %bb.33:                               ;   in Loop: Header=BB397_24 Depth=1
	v_cmp_eq_f32_e32 vcc, v24, v11
	s_waitcnt lgkmcnt(0)
	v_cmp_lt_i32_e64 s[0:1], v25, v10
	s_and_b64 s[0:1], vcc, s[0:1]
	s_andn2_b64 s[8:9], s[8:9], exec
	s_and_b64 s[0:1], s[0:1], exec
	s_or_b64 s[8:9], s[8:9], s[0:1]
.LBB397_34:                             ;   in Loop: Header=BB397_24 Depth=1
	s_or_b64 exec, exec, s[10:11]
	s_and_saveexec_b64 s[0:1], s[8:9]
	s_cbranch_execz .LBB397_36
; %bb.35:                               ;   in Loop: Header=BB397_24 Depth=1
	v_mov_b32_e32 v24, v11
	s_waitcnt lgkmcnt(0)
	v_mov_b32_e32 v10, v25
.LBB397_36:                             ;   in Loop: Header=BB397_24 Depth=1
	s_or_b64 exec, exec, s[0:1]
	ds_bpermute_b32 v11, v18, v24
	s_waitcnt lgkmcnt(1)
	;; [unrolled: 26-line block ×4, first 2 shown]
	ds_bpermute_b32 v25, v20, v10
	s_waitcnt lgkmcnt(1)
	v_cmp_lt_f32_e64 s[8:9], v24, v11
	v_cmp_nlt_f32_e32 vcc, v24, v11
	s_and_saveexec_b64 s[10:11], vcc
	s_cbranch_execnz .LBB397_48
; %bb.45:                               ;   in Loop: Header=BB397_24 Depth=1
	s_or_b64 exec, exec, s[10:11]
	s_and_saveexec_b64 s[0:1], s[8:9]
	s_cbranch_execnz .LBB397_49
.LBB397_46:                             ;   in Loop: Header=BB397_24 Depth=1
	s_or_b64 exec, exec, s[0:1]
	s_and_saveexec_b64 s[8:9], s[6:7]
	s_cbranch_execnz .LBB397_50
.LBB397_47:                             ;   in Loop: Header=BB397_24 Depth=1
	s_or_b64 exec, exec, s[8:9]
	s_add_i32 s42, s42, 1
	s_cmp_ge_i32 s42, s24
	s_cbranch_scc1 .LBB397_23
	s_branch .LBB397_53
.LBB397_48:                             ;   in Loop: Header=BB397_24 Depth=1
	v_cmp_eq_f32_e32 vcc, v24, v11
	s_waitcnt lgkmcnt(0)
	v_cmp_lt_i32_e64 s[0:1], v25, v10
	s_and_b64 s[0:1], vcc, s[0:1]
	s_andn2_b64 s[8:9], s[8:9], exec
	s_and_b64 s[0:1], s[0:1], exec
	s_or_b64 s[8:9], s[8:9], s[0:1]
	s_or_b64 exec, exec, s[10:11]
	s_and_saveexec_b64 s[0:1], s[8:9]
	s_cbranch_execz .LBB397_46
.LBB397_49:                             ;   in Loop: Header=BB397_24 Depth=1
	s_waitcnt lgkmcnt(0)
	v_mov_b32_e32 v10, v25
	v_mov_b32_e32 v24, v11
	s_or_b64 exec, exec, s[0:1]
	s_and_saveexec_b64 s[8:9], s[6:7]
	s_cbranch_execz .LBB397_47
.LBB397_50:                             ;   in Loop: Header=BB397_24 Depth=1
	s_and_b64 vcc, exec, s[2:3]
	s_cbranch_vccnz .LBB397_52
; %bb.51:                               ;   in Loop: Header=BB397_24 Depth=1
	v_ashrrev_i32_e32 v11, 31, v10
	v_lshl_add_u64 v[26:27], v[10:11], 2, s[22:23]
	global_load_dword v11, v[26:27], off
	s_waitcnt vmcnt(0)
	v_sub_f32_e32 v24, v24, v11
.LBB397_52:                             ;   in Loop: Header=BB397_24 Depth=1
	v_add_u32_e32 v26, s42, v14
	v_cmp_le_i32_e32 vcc, s25, v10
	v_cmp_gt_i32_e64 s[0:1], s26, v10
	v_ashrrev_i32_e32 v27, 31, v26
	s_and_b64 s[0:1], vcc, s[0:1]
	v_lshlrev_b64 v[26:27], 2, v[26:27]
	v_lshl_add_u64 v[28:29], s[34:35], 0, v[26:27]
	v_subrev_u32_e32 v11, s25, v10
	s_and_b64 vcc, s[36:37], s[0:1]
	global_store_dword v[28:29], v24, off
	v_cndmask_b32_e32 v11, v21, v11, vcc
	v_lshl_add_u64 v[28:29], s[28:29], 0, v[26:27]
	global_store_dword v[28:29], v11, off
	v_add_f32_e32 v11, v13, v24
	v_lshl_add_u64 v[26:27], s[30:31], 0, v[26:27]
	v_cndmask_b32_e64 v13, v13, v11, s[4:5]
	global_store_dword v[26:27], v23, off
	s_or_b64 exec, exec, s[8:9]
	s_add_i32 s42, s42, 1
	s_cmp_ge_i32 s42, s24
	s_cbranch_scc1 .LBB397_23
.LBB397_53:                             ;   in Loop: Header=BB397_24 Depth=1
	v_ashrrev_i32_e32 v24, 31, v10
	v_lshrrev_b32_e32 v11, 29, v24
	s_waitcnt lgkmcnt(0)
	v_add_u32_e32 v25, v10, v11
	v_ashrrev_i32_e32 v11, 3, v25
	v_ashrrev_i32_e32 v25, 31, v25
	v_lshrrev_b32_e32 v25, 26, v25
	v_add_u32_e32 v25, v11, v25
	v_and_b32_e32 v25, 0xffffffc0, v25
	v_sub_u32_e32 v25, v11, v25
	v_cmp_eq_u32_e32 vcc, v9, v25
	s_and_saveexec_b64 s[40:41], vcc
	s_cbranch_execz .LBB397_22
; %bb.54:                               ;   in Loop: Header=BB397_24 Depth=1
	v_lshrrev_b32_e32 v24, 23, v24
	v_add_u32_e32 v24, v10, v24
	v_lshlrev_b32_e32 v11, 3, v11
	v_sub_u32_e32 v10, v10, v11
	v_ashrrev_i32_e32 v11, 9, v24
	v_lshl_add_u32 v10, v11, 3, v10
	v_cmp_ne_u32_e32 vcc, 6, v10
	v_cmp_ne_u32_e64 s[0:1], 5, v10
	v_cmp_ne_u32_e64 s[8:9], 4, v10
	;; [unrolled: 1-line block ×7, first 2 shown]
	v_cndmask_b32_e32 v6, v22, v6, vcc
	v_cndmask_b32_e64 v5, v22, v5, s[0:1]
	v_cndmask_b32_e64 v7, v22, v7, s[18:19]
	;; [unrolled: 1-line block ×7, first 2 shown]
	s_branch .LBB397_22
.LBB397_55:
	v_mov_b32_e32 v13, 0
.LBB397_56:
	v_cmp_eq_u32_e32 vcc, 0, v9
	s_and_b64 exec, exec, vcc
	s_cbranch_execz .LBB397_69
; %bb.57:
	s_andn2_b64 vcc, exec, s[4:5]
	v_cvt_f32_f64_e32 v0, s[20:21]
	s_cbranch_vccnz .LBB397_59
; %bb.58:
	v_cmp_lt_f32_e32 vcc, 0, v13
	s_nop 1
	v_cndmask_b32_e32 v1, 1.0, v13, vcc
	v_div_scale_f32 v2, s[0:1], v1, v1, v0
	v_rcp_f32_e32 v3, v2
	s_nop 0
	v_fma_f32 v4, -v2, v3, 1.0
	v_fmac_f32_e32 v3, v4, v3
	v_div_scale_f32 v4, vcc, v0, v1, v0
	v_mul_f32_e32 v5, v4, v3
	v_fma_f32 v6, -v2, v5, v4
	v_fmac_f32_e32 v5, v6, v3
	v_fma_f32 v2, -v2, v5, v4
	v_div_fmas_f32 v2, v2, v3, v5
	v_div_fixup_f32 v0, v2, v1, v0
.LBB397_59:
	s_andn2_b64 vcc, exec, s[38:39]
	s_cbranch_vccnz .LBB397_69
; %bb.60:
	v_mul_lo_u32 v2, v8, s24
	s_cmp_gt_u32 s24, 3
	v_ashrrev_i32_e32 v3, 31, v2
	s_cbranch_scc0 .LBB397_64
; %bb.61:
	s_and_b32 s0, s24, 0x7ffffffc
	v_lshl_add_u64 v[4:5], v[2:3], 2, s[34:35]
	v_mov_b32_e32 v1, v0
	v_lshl_add_u64 v[4:5], v[4:5], 0, 8
	s_mov_b32 s1, s0
.LBB397_62:                             ; =>This Inner Loop Header: Depth=1
	global_load_dwordx4 v[6:9], v[4:5], off offset:-8
	s_add_i32 s1, s1, -4
	s_cmp_lg_u32 s1, 0
	s_waitcnt vmcnt(0)
	v_pk_mul_f32 v[6:7], v[0:1], v[6:7]
	v_pk_mul_f32 v[8:9], v[0:1], v[8:9]
	global_store_dwordx4 v[4:5], v[6:9], off offset:-8
	v_lshl_add_u64 v[4:5], v[4:5], 0, 16
	s_cbranch_scc1 .LBB397_62
; %bb.63:
	s_cmp_lg_u32 s0, s24
	s_cselect_b64 s[2:3], -1, 0
	s_branch .LBB397_66
.LBB397_64:
	s_mov_b64 s[2:3], 0
                                        ; implicit-def: $sgpr0
	s_cbranch_execz .LBB397_66
; %bb.65:
	s_mov_b64 s[2:3], -1
	s_mov_b32 s0, 0
.LBB397_66:
	s_andn2_b64 vcc, exec, s[2:3]
	s_cbranch_vccnz .LBB397_69
; %bb.67:
	s_mov_b32 s1, 0
	v_lshl_add_u64 v[2:3], v[2:3], 0, s[0:1]
	s_sub_i32 s2, s24, s0
	v_lshl_add_u64 v[2:3], v[2:3], 2, s[34:35]
.LBB397_68:                             ; =>This Inner Loop Header: Depth=1
	global_load_dword v1, v[2:3], off
	s_add_i32 s2, s2, -1
	s_cmp_lg_u32 s2, 0
	s_waitcnt vmcnt(0)
	v_mul_f32_e32 v1, v0, v1
	global_store_dword v[2:3], v1, off
	v_lshl_add_u64 v[2:3], v[2:3], 0, 4
	s_cbranch_scc1 .LBB397_68
.LBB397_69:
	s_endpgm
	.section	.rodata,"a",@progbits
	.p2align	6, 0x0
	.amdhsa_kernel _ZN4vllm3moe22topkGatingSoftplusSqrtILi8ELi512ELi4ELi16ELi64ELb0Ei14__hip_bfloat16EEvPKT6_PKbPfiPT5_PiiiibdPKfPKS9_SF_
		.amdhsa_group_segment_fixed_size 0
		.amdhsa_private_segment_fixed_size 0
		.amdhsa_kernarg_size 96
		.amdhsa_user_sgpr_count 2
		.amdhsa_user_sgpr_dispatch_ptr 0
		.amdhsa_user_sgpr_queue_ptr 0
		.amdhsa_user_sgpr_kernarg_segment_ptr 1
		.amdhsa_user_sgpr_dispatch_id 0
		.amdhsa_user_sgpr_kernarg_preload_length 0
		.amdhsa_user_sgpr_kernarg_preload_offset 0
		.amdhsa_user_sgpr_private_segment_size 0
		.amdhsa_uses_dynamic_stack 0
		.amdhsa_enable_private_segment 0
		.amdhsa_system_sgpr_workgroup_id_x 1
		.amdhsa_system_sgpr_workgroup_id_y 0
		.amdhsa_system_sgpr_workgroup_id_z 0
		.amdhsa_system_sgpr_workgroup_info 0
		.amdhsa_system_vgpr_workitem_id 1
		.amdhsa_next_free_vgpr 30
		.amdhsa_next_free_sgpr 43
		.amdhsa_accum_offset 32
		.amdhsa_reserve_vcc 1
		.amdhsa_float_round_mode_32 0
		.amdhsa_float_round_mode_16_64 0
		.amdhsa_float_denorm_mode_32 3
		.amdhsa_float_denorm_mode_16_64 3
		.amdhsa_dx10_clamp 1
		.amdhsa_ieee_mode 1
		.amdhsa_fp16_overflow 0
		.amdhsa_tg_split 0
		.amdhsa_exception_fp_ieee_invalid_op 0
		.amdhsa_exception_fp_denorm_src 0
		.amdhsa_exception_fp_ieee_div_zero 0
		.amdhsa_exception_fp_ieee_overflow 0
		.amdhsa_exception_fp_ieee_underflow 0
		.amdhsa_exception_fp_ieee_inexact 0
		.amdhsa_exception_int_div_zero 0
	.end_amdhsa_kernel
	.section	.text._ZN4vllm3moe22topkGatingSoftplusSqrtILi8ELi512ELi4ELi16ELi64ELb0Ei14__hip_bfloat16EEvPKT6_PKbPfiPT5_PiiiibdPKfPKS9_SF_,"axG",@progbits,_ZN4vllm3moe22topkGatingSoftplusSqrtILi8ELi512ELi4ELi16ELi64ELb0Ei14__hip_bfloat16EEvPKT6_PKbPfiPT5_PiiiibdPKfPKS9_SF_,comdat
.Lfunc_end397:
	.size	_ZN4vllm3moe22topkGatingSoftplusSqrtILi8ELi512ELi4ELi16ELi64ELb0Ei14__hip_bfloat16EEvPKT6_PKbPfiPT5_PiiiibdPKfPKS9_SF_, .Lfunc_end397-_ZN4vllm3moe22topkGatingSoftplusSqrtILi8ELi512ELi4ELi16ELi64ELb0Ei14__hip_bfloat16EEvPKT6_PKbPfiPT5_PiiiibdPKfPKS9_SF_
                                        ; -- End function
	.section	.AMDGPU.csdata,"",@progbits
; Kernel info:
; codeLenInByte = 4240
; NumSgprs: 49
; NumVgprs: 30
; NumAgprs: 0
; TotalNumVgprs: 30
; ScratchSize: 0
; MemoryBound: 0
; FloatMode: 240
; IeeeMode: 1
; LDSByteSize: 0 bytes/workgroup (compile time only)
; SGPRBlocks: 6
; VGPRBlocks: 3
; NumSGPRsForWavesPerEU: 49
; NumVGPRsForWavesPerEU: 30
; AccumOffset: 32
; Occupancy: 8
; WaveLimiterHint : 0
; COMPUTE_PGM_RSRC2:SCRATCH_EN: 0
; COMPUTE_PGM_RSRC2:USER_SGPR: 2
; COMPUTE_PGM_RSRC2:TRAP_HANDLER: 0
; COMPUTE_PGM_RSRC2:TGID_X_EN: 1
; COMPUTE_PGM_RSRC2:TGID_Y_EN: 0
; COMPUTE_PGM_RSRC2:TGID_Z_EN: 0
; COMPUTE_PGM_RSRC2:TIDIG_COMP_CNT: 1
; COMPUTE_PGM_RSRC3_GFX90A:ACCUM_OFFSET: 7
; COMPUTE_PGM_RSRC3_GFX90A:TG_SPLIT: 0
	.section	.text._ZN4vllm3moe22topkGatingSoftplusSqrtILi16ELi512ELi4ELi16ELi32ELb1Ei14__hip_bfloat16EEvPKT6_PKbPfiPT5_PiiiibdPKfPKS9_SF_,"axG",@progbits,_ZN4vllm3moe22topkGatingSoftplusSqrtILi16ELi512ELi4ELi16ELi32ELb1Ei14__hip_bfloat16EEvPKT6_PKbPfiPT5_PiiiibdPKfPKS9_SF_,comdat
	.protected	_ZN4vllm3moe22topkGatingSoftplusSqrtILi16ELi512ELi4ELi16ELi32ELb1Ei14__hip_bfloat16EEvPKT6_PKbPfiPT5_PiiiibdPKfPKS9_SF_ ; -- Begin function _ZN4vllm3moe22topkGatingSoftplusSqrtILi16ELi512ELi4ELi16ELi32ELb1Ei14__hip_bfloat16EEvPKT6_PKbPfiPT5_PiiiibdPKfPKS9_SF_
	.globl	_ZN4vllm3moe22topkGatingSoftplusSqrtILi16ELi512ELi4ELi16ELi32ELb1Ei14__hip_bfloat16EEvPKT6_PKbPfiPT5_PiiiibdPKfPKS9_SF_
	.p2align	8
	.type	_ZN4vllm3moe22topkGatingSoftplusSqrtILi16ELi512ELi4ELi16ELi32ELb1Ei14__hip_bfloat16EEvPKT6_PKbPfiPT5_PiiiibdPKfPKS9_SF_,@function
_ZN4vllm3moe22topkGatingSoftplusSqrtILi16ELi512ELi4ELi16ELi32ELb1Ei14__hip_bfloat16EEvPKT6_PKbPfiPT5_PiiiibdPKfPKS9_SF_: ; @_ZN4vllm3moe22topkGatingSoftplusSqrtILi16ELi512ELi4ELi16ELi32ELb1Ei14__hip_bfloat16EEvPKT6_PKbPfiPT5_PiiiibdPKfPKS9_SF_
; %bb.0:
	s_load_dword s3, s[0:1], 0x18
	v_and_b32_e32 v1, 0x3ff, v0
	s_lshl_b32 s2, s2, 2
	v_lshrrev_b32_e32 v2, 5, v1
	v_bfe_u32 v0, v0, 10, 10
	v_add3_u32 v4, s2, v0, v2
	s_waitcnt lgkmcnt(0)
	v_cmp_gt_i32_e32 vcc, s3, v4
	s_and_saveexec_b64 s[2:3], vcc
	s_cbranch_execz .LBB398_67
; %bb.1:
	s_load_dwordx2 s[2:3], s[0:1], 0x0
	s_load_dword s33, s[0:1], 0x30
	v_lshlrev_b32_e32 v0, 9, v4
	v_lshlrev_b32_e32 v2, 3, v1
	v_ashrrev_i32_e32 v1, 31, v0
	v_and_b32_e32 v10, 0xf8, v2
	s_waitcnt lgkmcnt(0)
	v_lshl_add_u64 v[0:1], v[0:1], 1, s[2:3]
	v_lshlrev_b32_e32 v2, 1, v10
	v_mov_b32_e32 v3, 0
	v_lshl_add_u64 v[0:1], v[0:1], 0, v[2:3]
	global_load_dwordx4 v[20:23], v[0:1], off
	global_load_dwordx4 v[24:27], v[0:1], off offset:512
	s_load_dwordx4 s[4:7], s[0:1], 0x50
	v_ashrrev_i32_e32 v5, 31, v4
	s_mov_b32 s13, 0x800000
	v_mov_b32_e32 v11, 0x4f800000
	s_mov_b32 s11, 0x3f317217
	s_waitcnt lgkmcnt(0)
	v_mov_b32_e32 v0, s4
	v_mov_b32_e32 v1, s5
	v_lshl_add_u64 v[0:1], v[4:5], 2, v[0:1]
	global_load_dword v8, v[0:1], off
	s_mov_b32 s12, 0x7f800000
	v_mov_b32_e32 v12, 0x41b17218
	s_mov_b32 s9, 0x41a00000
	s_mov_b32 s10, 0xf800000
	v_mov_b32_e32 v6, s6
	v_mov_b32_e32 v7, s7
	;; [unrolled: 1-line block ×3, first 2 shown]
	s_cmp_gt_i32 s33, 0
	s_mov_b32 s8, 0
	s_waitcnt vmcnt(2)
	v_lshlrev_b32_e32 v19, 16, v22
	s_waitcnt vmcnt(1)
	v_and_b32_e32 v28, 0xffff0000, v24
	v_lshlrev_b32_e32 v29, 16, v24
	v_and_b32_e32 v18, 0xffff0000, v25
	v_lshlrev_b32_e32 v17, 16, v25
	;; [unrolled: 2-line block ×6, first 2 shown]
	v_mul_f32_e32 v9, 0x3fb8aa3b, v25
	v_mul_f32_e32 v21, 0x3fb8aa3b, v24
	v_exp_f32_e32 v20, v9
	v_exp_f32_e32 v21, v21
	v_and_b32_e32 v2, 0xffff0000, v23
	v_lshlrev_b32_e32 v1, 16, v23
	v_and_b32_e32 v0, 0xffff0000, v22
	v_mul_f32_e32 v22, 0x3fb8aa3b, v27
	v_mul_f32_e32 v23, 0x3fb8aa3b, v26
	v_pk_add_f32 v[20:21], v[20:21], 1.0 op_sel_hi:[1,0]
	v_exp_f32_e32 v22, v22
	v_exp_f32_e32 v23, v23
	v_cmp_gt_f32_e32 vcc, s13, v21
	scratch_store_dwordx3 off, v[0:2], off offset:20
	v_cmp_gt_f32_e64 s[2:3], s13, v20
	v_pk_add_f32 v[22:23], v[22:23], 1.0 op_sel_hi:[1,0]
	v_cndmask_b32_e32 v1, 1.0, v11, vcc
	v_cndmask_b32_e64 v2, 1.0, v11, s[2:3]
	v_mul_f32_e32 v1, v21, v1
	v_mul_f32_e32 v2, v20, v2
	v_log_f32_e32 v1, v1
	v_log_f32_e32 v2, v2
	v_cmp_gt_f32_e64 s[4:5], s13, v23
	v_cndmask_b32_e32 v21, 0, v12, vcc
	v_cmp_lt_f32_e64 vcc, |v1|, s12
	v_cndmask_b32_e64 v30, 1.0, v11, s[4:5]
	v_mul_f32_e32 v23, v23, v30
	v_mul_f32_e32 v30, 0x3f317217, v1
	;; [unrolled: 1-line block ×3, first 2 shown]
	v_fma_f32 v30, v1, s11, -v30
	v_fma_f32 v31, v2, s11, -v31
	v_fmac_f32_e32 v30, 0x3377d1cf, v1
	v_fmac_f32_e32 v31, 0x3377d1cf, v2
	;; [unrolled: 1-line block ×4, first 2 shown]
	v_cndmask_b32_e32 v1, v1, v30, vcc
	v_cmp_lt_f32_e64 vcc, |v2|, s12
	v_cndmask_b32_e64 v20, 0, v12, s[2:3]
	v_sub_f32_e32 v1, v1, v21
	v_cndmask_b32_e32 v2, v2, v31, vcc
	v_sub_f32_e32 v2, v2, v20
	v_cmp_lt_f32_e32 vcc, s9, v25
	v_log_f32_e32 v23, v23
	s_waitcnt vmcnt(1)
	v_mul_lo_u32 v8, v8, s33
	v_cndmask_b32_e32 v2, v2, v25, vcc
	v_cmp_lt_f32_e32 vcc, s9, v24
	v_mul_f32_e32 v21, 0x4f800000, v2
	v_cmp_gt_f32_e64 s[2:3], s10, v2
	v_cndmask_b32_e32 v1, v1, v24, vcc
	v_mul_f32_e32 v20, 0x4f800000, v1
	v_cmp_gt_f32_e32 vcc, s10, v1
	v_cndmask_b32_e64 v2, v2, v21, s[2:3]
	v_sqrt_f32_e32 v21, v2
	v_cndmask_b32_e32 v1, v1, v20, vcc
	v_sqrt_f32_e32 v20, v1
	v_ashrrev_i32_e32 v9, 31, v8
	v_add_u32_e32 v30, -1, v21
	v_fma_f32 v34, -v30, v21, v2
	v_add_u32_e32 v24, -1, v20
	v_fma_f32 v32, -v24, v20, v1
	v_add_u32_e32 v25, 1, v20
	v_cmp_ge_f32_e64 s[6:7], 0, v32
	v_add_u32_e32 v31, 1, v21
	v_fma_f32 v33, -v25, v20, v1
	v_cndmask_b32_e64 v20, v20, v24, s[6:7]
	v_cmp_ge_f32_e64 s[6:7], 0, v34
	v_fma_f32 v35, -v31, v21, v2
	s_nop 0
	v_cndmask_b32_e64 v21, v21, v30, s[6:7]
	v_cmp_lt_f32_e64 s[6:7], 0, v33
	s_nop 1
	v_cndmask_b32_e64 v20, v20, v25, s[6:7]
	v_cmp_lt_f32_e64 s[6:7], 0, v35
	v_mul_f32_e32 v24, 0x37800000, v20
	v_cndmask_b32_e32 v20, v20, v24, vcc
	v_cndmask_b32_e64 v21, v21, v31, s[6:7]
	v_mul_f32_e32 v25, 0x37800000, v21
	v_cmp_class_f32_e32 vcc, v1, v5
	v_cndmask_b32_e64 v24, v21, v25, s[2:3]
	v_cmp_lt_f32_e64 s[2:3], |v23|, s12
	v_cndmask_b32_e32 v21, v20, v1, vcc
	v_cmp_class_f32_e32 vcc, v2, v5
	v_mul_f32_e32 v1, 0x3f317217, v23
	v_fma_f32 v1, v23, s11, -v1
	v_cndmask_b32_e32 v20, v24, v2, vcc
	v_cmp_gt_f32_e32 vcc, s13, v22
	v_fmac_f32_e32 v1, 0x3377d1cf, v23
	v_fmac_f32_e32 v1, 0x3f317217, v23
	v_cndmask_b32_e32 v2, 1.0, v11, vcc
	v_mul_f32_e32 v2, v22, v2
	v_log_f32_e32 v2, v2
	v_cndmask_b32_e64 v1, v23, v1, s[2:3]
	v_cndmask_b32_e64 v22, 0, v12, s[4:5]
	v_sub_f32_e32 v1, v1, v22
	v_mul_f32_e32 v22, 0x3f317217, v2
	v_fma_f32 v22, v2, s11, -v22
	v_fmac_f32_e32 v22, 0x3377d1cf, v2
	v_fmac_f32_e32 v22, 0x3f317217, v2
	v_cmp_lt_f32_e64 s[2:3], |v2|, s12
	s_nop 1
	v_cndmask_b32_e64 v2, v2, v22, s[2:3]
	v_cndmask_b32_e32 v22, 0, v12, vcc
	v_cmp_lt_f32_e32 vcc, s9, v26
	v_sub_f32_e32 v2, v2, v22
	v_cmp_lt_f32_e64 s[2:3], s9, v27
	v_cndmask_b32_e32 v1, v1, v26, vcc
	v_mul_f32_e32 v23, 0x4f800000, v1
	v_cmp_gt_f32_e32 vcc, s10, v1
	v_cndmask_b32_e64 v2, v2, v27, s[2:3]
	v_mul_f32_e32 v26, 0x4f800000, v2
	v_cndmask_b32_e32 v1, v1, v23, vcc
	v_sqrt_f32_e32 v23, v1
	v_mul_f32_e32 v27, 0x3fb8aa3b, v0
	v_exp_f32_e32 v27, v27
	v_add_u32_e32 v22, -1, v23
	v_fma_f32 v24, -v22, v23, v1
	v_cmp_ge_f32_e64 s[2:3], 0, v24
	v_add_u32_e32 v24, 1, v23
	s_nop 0
	v_cndmask_b32_e64 v22, v23, v22, s[2:3]
	v_fma_f32 v23, -v24, v23, v1
	v_cmp_lt_f32_e64 s[2:3], 0, v23
	s_nop 1
	v_cndmask_b32_e64 v22, v22, v24, s[2:3]
	scratch_load_dwordx2 v[24:25], off, off offset:24
	v_cmp_gt_f32_e64 s[2:3], s10, v2
	v_mul_f32_e32 v23, 0x37800000, v22
	v_cndmask_b32_e32 v22, v22, v23, vcc
	v_cndmask_b32_e64 v2, v2, v26, s[2:3]
	v_sqrt_f32_e32 v26, v2
	v_cmp_class_f32_e32 vcc, v1, v5
	s_nop 1
	v_cndmask_b32_e32 v23, v22, v1, vcc
	v_add_u32_e32 v1, -1, v26
	v_fma_f32 v22, -v1, v26, v2
	v_cmp_ge_f32_e32 vcc, 0, v22
	v_add_u32_e32 v22, 1, v26
	v_fma_f32 v30, -v22, v26, v2
	v_cndmask_b32_e32 v1, v26, v1, vcc
	v_mul_f32_e32 v26, 0x3fb8aa3b, v19
	v_exp_f32_e32 v26, v26
	v_cmp_lt_f32_e32 vcc, 0, v30
	v_pk_add_f32 v[26:27], v[26:27], 1.0 op_sel_hi:[1,0]
	s_nop 0
	v_cndmask_b32_e32 v1, v1, v22, vcc
	v_mul_f32_e32 v22, 0x37800000, v1
	v_cmp_gt_f32_e32 vcc, s13, v27
	v_cndmask_b32_e64 v1, v1, v22, s[2:3]
	v_cmp_class_f32_e64 s[2:3], v2, v5
	v_cndmask_b32_e32 v22, 1.0, v11, vcc
	v_mul_f32_e32 v22, v27, v22
	v_log_f32_e32 v27, v22
	v_cndmask_b32_e64 v22, v1, v2, s[2:3]
	v_cmp_gt_f32_e64 s[2:3], s13, v26
	scratch_store_dwordx4 off, v[20:23], off
	v_mul_f32_e32 v1, 0x3f317217, v27
	v_cndmask_b32_e64 v2, 1.0, v11, s[2:3]
	v_mul_f32_e32 v2, v26, v2
	v_fma_f32 v1, v27, s11, -v1
	v_log_f32_e32 v2, v2
	v_fmac_f32_e32 v1, 0x3377d1cf, v27
	v_fmac_f32_e32 v1, 0x3f317217, v27
	v_cmp_lt_f32_e64 s[4:5], |v27|, s12
	v_cndmask_b32_e32 v20, 0, v12, vcc
	v_cmp_lt_f32_e64 vcc, |v2|, s12
	v_cndmask_b32_e64 v1, v27, v1, s[4:5]
	v_sub_f32_e32 v1, v1, v20
	v_mul_f32_e32 v20, 0x3f317217, v2
	v_fma_f32 v20, v2, s11, -v20
	v_fmac_f32_e32 v20, 0x3377d1cf, v2
	v_fmac_f32_e32 v20, 0x3f317217, v2
	v_cndmask_b32_e32 v2, v2, v20, vcc
	v_cmp_lt_f32_e32 vcc, s9, v0
	v_cndmask_b32_e64 v20, 0, v12, s[2:3]
	v_sub_f32_e32 v2, v2, v20
	v_cndmask_b32_e32 v0, v1, v0, vcc
	v_mul_f32_e32 v1, 0x4f800000, v0
	v_cmp_gt_f32_e32 vcc, s10, v0
	v_cmp_lt_f32_e64 s[2:3], s9, v19
	s_nop 0
	v_cndmask_b32_e32 v0, v0, v1, vcc
	v_sqrt_f32_e32 v1, v0
	v_cndmask_b32_e64 v2, v2, v19, s[2:3]
	v_add_u32_e32 v19, -1, v1
	v_fma_f32 v20, -v19, v1, v0
	v_cmp_ge_f32_e64 s[2:3], 0, v20
	v_add_u32_e32 v20, 1, v1
	s_nop 0
	v_cndmask_b32_e64 v19, v1, v19, s[2:3]
	v_fma_f32 v1, -v20, v1, v0
	v_cmp_lt_f32_e64 s[2:3], 0, v1
	s_nop 1
	v_cndmask_b32_e64 v1, v19, v20, s[2:3]
	v_mul_f32_e32 v20, 0x4f800000, v2
	v_cmp_gt_f32_e64 s[2:3], s10, v2
	v_mul_f32_e32 v19, 0x37800000, v1
	v_cndmask_b32_e32 v1, v1, v19, vcc
	v_cndmask_b32_e64 v2, v2, v20, s[2:3]
	v_sqrt_f32_e32 v20, v2
	v_cmp_class_f32_e32 vcc, v0, v5
	v_add_u32_e32 v22, 1, v20
	s_nop 0
	v_cndmask_b32_e32 v21, v1, v0, vcc
	v_add_u32_e32 v0, -1, v20
	v_fma_f32 v1, -v0, v20, v2
	v_cmp_ge_f32_e32 vcc, 0, v1
	s_waitcnt vmcnt(1)
	v_mul_f32_e32 v1, 0x3fb8aa3b, v25
	v_exp_f32_e32 v1, v1
	v_cndmask_b32_e32 v19, v20, v0, vcc
	v_mul_f32_e32 v0, 0x3fb8aa3b, v24
	v_exp_f32_e32 v0, v0
	v_fma_f32 v20, -v22, v20, v2
	v_cmp_lt_f32_e32 vcc, 0, v20
	v_pk_add_f32 v[0:1], v[0:1], 1.0 op_sel_hi:[1,0]
	s_nop 0
	v_cndmask_b32_e32 v19, v19, v22, vcc
	v_cmp_gt_f32_e32 vcc, s13, v1
	v_mul_f32_e32 v20, 0x37800000, v19
	v_cndmask_b32_e64 v19, v19, v20, s[2:3]
	v_cndmask_b32_e32 v22, 1.0, v11, vcc
	v_mul_f32_e32 v1, v1, v22
	v_log_f32_e32 v1, v1
	v_cmp_class_f32_e64 s[2:3], v2, v5
	v_cmp_lt_f32_e64 s[4:5], |v1|, s12
	s_nop 0
	v_cndmask_b32_e64 v20, v19, v2, s[2:3]
	v_cmp_gt_f32_e64 s[2:3], s13, v0
	v_mul_f32_e32 v2, 0x3f317217, v1
	v_fma_f32 v2, v1, s11, -v2
	v_cndmask_b32_e64 v19, 1.0, v11, s[2:3]
	v_mul_f32_e32 v0, v0, v19
	v_log_f32_e32 v0, v0
	v_fmac_f32_e32 v2, 0x3377d1cf, v1
	v_fmac_f32_e32 v2, 0x3f317217, v1
	v_cndmask_b32_e64 v1, v1, v2, s[4:5]
	v_cndmask_b32_e32 v2, 0, v12, vcc
	v_sub_f32_e32 v1, v1, v2
	v_mul_f32_e32 v2, 0x3f317217, v0
	v_fma_f32 v2, v0, s11, -v2
	v_fmac_f32_e32 v2, 0x3377d1cf, v0
	v_fmac_f32_e32 v2, 0x3f317217, v0
	v_cmp_lt_f32_e64 vcc, |v0|, s12
	s_nop 1
	v_cndmask_b32_e32 v0, v0, v2, vcc
	v_cmp_lt_f32_e32 vcc, s9, v25
	v_cndmask_b32_e64 v2, 0, v12, s[2:3]
	v_sub_f32_e32 v0, v0, v2
	v_cndmask_b32_e32 v1, v1, v25, vcc
	v_mul_f32_e32 v19, 0x4f800000, v1
	v_cmp_gt_f32_e32 vcc, s10, v1
	v_cmp_lt_f32_e64 s[2:3], s9, v24
	s_nop 0
	v_cndmask_b32_e32 v1, v1, v19, vcc
	v_sqrt_f32_e32 v19, v1
	v_cndmask_b32_e64 v0, v0, v24, s[2:3]
	v_add_u32_e32 v2, -1, v19
	v_fma_f32 v22, -v2, v19, v1
	v_cmp_ge_f32_e64 s[2:3], 0, v22
	v_add_u32_e32 v22, 1, v19
	s_nop 0
	v_cndmask_b32_e64 v2, v19, v2, s[2:3]
	v_fma_f32 v19, -v22, v19, v1
	v_cmp_lt_f32_e64 s[2:3], 0, v19
	s_nop 1
	v_cndmask_b32_e64 v2, v2, v22, s[2:3]
	v_mul_f32_e32 v22, 0x4f800000, v0
	v_cmp_gt_f32_e64 s[2:3], s10, v0
	v_mul_f32_e32 v19, 0x37800000, v2
	v_cndmask_b32_e32 v2, v2, v19, vcc
	v_cndmask_b32_e64 v22, v0, v22, s[2:3]
	v_sqrt_f32_e32 v0, v22
	v_cmp_class_f32_e32 vcc, v1, v5
	v_add_u32_e32 v19, 1, v0
	s_nop 0
	v_cndmask_b32_e32 v23, v2, v1, vcc
	v_add_u32_e32 v1, -1, v0
	v_fma_f32 v2, -v1, v0, v22
	v_cmp_ge_f32_e32 vcc, 0, v2
	v_fma_f32 v24, -v19, v0, v22
	s_nop 0
	v_cndmask_b32_e32 v2, v0, v1, vcc
	v_mul_f32_e32 v0, 0x3fb8aa3b, v29
	v_mul_f32_e32 v1, 0x3fb8aa3b, v28
	v_exp_f32_e32 v0, v0
	v_exp_f32_e32 v1, v1
	v_cmp_lt_f32_e32 vcc, 0, v24
	v_pk_add_f32 v[0:1], v[0:1], 1.0 op_sel_hi:[1,0]
	s_nop 0
	v_cndmask_b32_e32 v2, v2, v19, vcc
	v_mul_f32_e32 v19, 0x37800000, v2
	v_cmp_gt_f32_e32 vcc, s13, v1
	v_cndmask_b32_e64 v2, v2, v19, s[2:3]
	v_cmp_class_f32_e64 s[2:3], v22, v5
	v_cndmask_b32_e32 v19, 1.0, v11, vcc
	v_mul_f32_e32 v1, v1, v19
	v_log_f32_e32 v1, v1
	v_cndmask_b32_e64 v22, v2, v22, s[2:3]
	v_cmp_gt_f32_e64 s[2:3], s13, v0
	scratch_store_dwordx4 off, v[20:23], off offset:16
	v_mul_f32_e32 v2, 0x3f317217, v1
	v_cndmask_b32_e64 v19, 1.0, v11, s[2:3]
	v_mul_f32_e32 v0, v0, v19
	v_fma_f32 v2, v1, s11, -v2
	v_log_f32_e32 v0, v0
	v_fmac_f32_e32 v2, 0x3377d1cf, v1
	v_fmac_f32_e32 v2, 0x3f317217, v1
	v_cmp_lt_f32_e64 s[4:5], |v1|, s12
	s_nop 1
	v_cndmask_b32_e64 v1, v1, v2, s[4:5]
	v_cndmask_b32_e32 v2, 0, v12, vcc
	v_sub_f32_e32 v1, v1, v2
	v_mul_f32_e32 v2, 0x3f317217, v0
	v_fma_f32 v2, v0, s11, -v2
	v_fmac_f32_e32 v2, 0x3377d1cf, v0
	v_fmac_f32_e32 v2, 0x3f317217, v0
	v_cmp_lt_f32_e64 vcc, |v0|, s12
	s_nop 1
	v_cndmask_b32_e32 v0, v0, v2, vcc
	v_cmp_lt_f32_e32 vcc, s9, v28
	v_cndmask_b32_e64 v2, 0, v12, s[2:3]
	v_sub_f32_e32 v0, v0, v2
	v_cndmask_b32_e32 v1, v1, v28, vcc
	v_mul_f32_e32 v19, 0x4f800000, v1
	v_cmp_gt_f32_e32 vcc, s10, v1
	v_cmp_lt_f32_e64 s[2:3], s9, v29
	s_nop 0
	v_cndmask_b32_e32 v1, v1, v19, vcc
	v_sqrt_f32_e32 v19, v1
	v_cndmask_b32_e64 v0, v0, v29, s[2:3]
	v_add_u32_e32 v2, -1, v19
	v_fma_f32 v20, -v2, v19, v1
	v_cmp_ge_f32_e64 s[2:3], 0, v20
	v_add_u32_e32 v20, 1, v19
	s_nop 0
	v_cndmask_b32_e64 v2, v19, v2, s[2:3]
	v_fma_f32 v19, -v20, v19, v1
	v_cmp_lt_f32_e64 s[2:3], 0, v19
	s_nop 1
	v_cndmask_b32_e64 v2, v2, v20, s[2:3]
	v_mul_f32_e32 v20, 0x4f800000, v0
	v_cmp_gt_f32_e64 s[2:3], s10, v0
	v_mul_f32_e32 v19, 0x37800000, v2
	v_cndmask_b32_e32 v2, v2, v19, vcc
	v_cndmask_b32_e64 v20, v0, v20, s[2:3]
	v_sqrt_f32_e32 v0, v20
	v_cmp_class_f32_e32 vcc, v1, v5
	v_add_u32_e32 v19, 1, v0
	s_nop 0
	v_cndmask_b32_e32 v21, v2, v1, vcc
	v_add_u32_e32 v1, -1, v0
	v_fma_f32 v2, -v1, v0, v20
	v_cmp_ge_f32_e32 vcc, 0, v2
	v_fma_f32 v22, -v19, v0, v20
	s_nop 0
	v_cndmask_b32_e32 v2, v0, v1, vcc
	v_mul_f32_e32 v0, 0x3fb8aa3b, v17
	v_mul_f32_e32 v1, 0x3fb8aa3b, v18
	v_exp_f32_e32 v0, v0
	v_exp_f32_e32 v1, v1
	v_cmp_lt_f32_e32 vcc, 0, v22
	v_pk_add_f32 v[0:1], v[0:1], 1.0 op_sel_hi:[1,0]
	s_nop 0
	v_cndmask_b32_e32 v2, v2, v19, vcc
	v_cmp_gt_f32_e32 vcc, s13, v1
	v_mul_f32_e32 v19, 0x37800000, v2
	v_cndmask_b32_e64 v2, v2, v19, s[2:3]
	v_cndmask_b32_e32 v22, 1.0, v11, vcc
	v_mul_f32_e32 v1, v1, v22
	v_log_f32_e32 v1, v1
	v_cmp_class_f32_e64 s[2:3], v20, v5
	v_cmp_lt_f32_e64 s[4:5], |v1|, s12
	s_nop 0
	v_cndmask_b32_e64 v20, v2, v20, s[2:3]
	v_cmp_gt_f32_e64 s[2:3], s13, v0
	v_mul_f32_e32 v2, 0x3f317217, v1
	v_fma_f32 v2, v1, s11, -v2
	v_cndmask_b32_e64 v19, 1.0, v11, s[2:3]
	v_mul_f32_e32 v0, v0, v19
	v_log_f32_e32 v0, v0
	v_fmac_f32_e32 v2, 0x3377d1cf, v1
	v_fmac_f32_e32 v2, 0x3f317217, v1
	v_cndmask_b32_e64 v1, v1, v2, s[4:5]
	v_cndmask_b32_e32 v2, 0, v12, vcc
	v_sub_f32_e32 v1, v1, v2
	v_mul_f32_e32 v2, 0x3f317217, v0
	v_fma_f32 v2, v0, s11, -v2
	v_fmac_f32_e32 v2, 0x3377d1cf, v0
	v_fmac_f32_e32 v2, 0x3f317217, v0
	v_cmp_lt_f32_e64 vcc, |v0|, s12
	s_nop 1
	v_cndmask_b32_e32 v0, v0, v2, vcc
	v_cmp_lt_f32_e32 vcc, s9, v18
	v_cndmask_b32_e64 v2, 0, v12, s[2:3]
	v_sub_f32_e32 v0, v0, v2
	v_cndmask_b32_e32 v1, v1, v18, vcc
	v_mul_f32_e32 v18, 0x4f800000, v1
	v_cmp_gt_f32_e32 vcc, s10, v1
	v_cmp_lt_f32_e64 s[2:3], s9, v17
	s_nop 0
	v_cndmask_b32_e32 v1, v1, v18, vcc
	v_sqrt_f32_e32 v18, v1
	v_cndmask_b32_e64 v0, v0, v17, s[2:3]
	v_add_u32_e32 v2, -1, v18
	v_fma_f32 v17, -v2, v18, v1
	v_cmp_ge_f32_e64 s[2:3], 0, v17
	v_add_u32_e32 v17, 1, v18
	s_nop 0
	v_cndmask_b32_e64 v2, v18, v2, s[2:3]
	v_fma_f32 v18, -v17, v18, v1
	v_cmp_lt_f32_e64 s[2:3], 0, v18
	v_mul_f32_e32 v18, 0x4f800000, v0
	s_nop 0
	v_cndmask_b32_e64 v2, v2, v17, s[2:3]
	v_cmp_gt_f32_e64 s[2:3], s10, v0
	v_mul_f32_e32 v17, 0x37800000, v2
	v_cndmask_b32_e32 v2, v2, v17, vcc
	v_cndmask_b32_e64 v18, v0, v18, s[2:3]
	v_sqrt_f32_e32 v0, v18
	v_cmp_class_f32_e32 vcc, v1, v5
	v_add_u32_e32 v17, 1, v0
	s_nop 0
	v_cndmask_b32_e32 v23, v2, v1, vcc
	v_add_u32_e32 v1, -1, v0
	v_fma_f32 v2, -v1, v0, v18
	v_cmp_ge_f32_e32 vcc, 0, v2
	v_fma_f32 v19, -v17, v0, v18
	s_nop 0
	v_cndmask_b32_e32 v2, v0, v1, vcc
	v_mul_f32_e32 v0, 0x3fb8aa3b, v15
	v_mul_f32_e32 v1, 0x3fb8aa3b, v16
	v_exp_f32_e32 v0, v0
	v_exp_f32_e32 v1, v1
	v_cmp_lt_f32_e32 vcc, 0, v19
	v_pk_add_f32 v[0:1], v[0:1], 1.0 op_sel_hi:[1,0]
	s_nop 0
	v_cndmask_b32_e32 v2, v2, v17, vcc
	v_mul_f32_e32 v17, 0x37800000, v2
	v_cmp_gt_f32_e32 vcc, s13, v1
	v_cndmask_b32_e64 v2, v2, v17, s[2:3]
	v_cmp_class_f32_e64 s[2:3], v18, v5
	v_cndmask_b32_e32 v17, 1.0, v11, vcc
	v_mul_f32_e32 v1, v1, v17
	v_log_f32_e32 v1, v1
	v_cndmask_b32_e64 v22, v2, v18, s[2:3]
	v_cmp_gt_f32_e64 s[2:3], s13, v0
	scratch_store_dwordx4 off, v[20:23], off offset:32
	v_mul_f32_e32 v2, 0x3f317217, v1
	v_cndmask_b32_e64 v17, 1.0, v11, s[2:3]
	v_mul_f32_e32 v0, v0, v17
	v_fma_f32 v2, v1, s11, -v2
	v_log_f32_e32 v0, v0
	v_fmac_f32_e32 v2, 0x3377d1cf, v1
	v_fmac_f32_e32 v2, 0x3f317217, v1
	v_cmp_lt_f32_e64 s[4:5], |v1|, s12
	s_nop 1
	v_cndmask_b32_e64 v1, v1, v2, s[4:5]
	v_cndmask_b32_e32 v2, 0, v12, vcc
	v_sub_f32_e32 v1, v1, v2
	v_mul_f32_e32 v2, 0x3f317217, v0
	v_fma_f32 v2, v0, s11, -v2
	v_fmac_f32_e32 v2, 0x3377d1cf, v0
	v_fmac_f32_e32 v2, 0x3f317217, v0
	v_cmp_lt_f32_e64 vcc, |v0|, s12
	s_nop 1
	v_cndmask_b32_e32 v0, v0, v2, vcc
	v_cmp_lt_f32_e32 vcc, s9, v16
	v_cndmask_b32_e64 v2, 0, v12, s[2:3]
	v_sub_f32_e32 v0, v0, v2
	v_cndmask_b32_e32 v1, v1, v16, vcc
	v_mul_f32_e32 v16, 0x4f800000, v1
	v_cmp_gt_f32_e32 vcc, s10, v1
	v_cmp_lt_f32_e64 s[2:3], s9, v15
	s_nop 0
	v_cndmask_b32_e32 v1, v1, v16, vcc
	v_sqrt_f32_e32 v16, v1
	v_cndmask_b32_e64 v0, v0, v15, s[2:3]
	v_add_u32_e32 v2, -1, v16
	v_fma_f32 v15, -v2, v16, v1
	v_cmp_ge_f32_e64 s[2:3], 0, v15
	v_add_u32_e32 v15, 1, v16
	s_nop 0
	v_cndmask_b32_e64 v2, v16, v2, s[2:3]
	v_fma_f32 v16, -v15, v16, v1
	v_cmp_lt_f32_e64 s[2:3], 0, v16
	v_mul_f32_e32 v16, 0x4f800000, v0
	s_nop 0
	v_cndmask_b32_e64 v2, v2, v15, s[2:3]
	v_cmp_gt_f32_e64 s[2:3], s10, v0
	v_mul_f32_e32 v15, 0x37800000, v2
	v_cndmask_b32_e32 v2, v2, v15, vcc
	v_cndmask_b32_e64 v16, v0, v16, s[2:3]
	v_sqrt_f32_e32 v0, v16
	v_cmp_class_f32_e32 vcc, v1, v5
	v_add_u32_e32 v15, 1, v0
	s_nop 0
	v_cndmask_b32_e32 v17, v2, v1, vcc
	v_add_u32_e32 v1, -1, v0
	v_fma_f32 v2, -v1, v0, v16
	v_cmp_ge_f32_e32 vcc, 0, v2
	v_fma_f32 v18, -v15, v0, v16
	s_nop 0
	v_cndmask_b32_e32 v2, v0, v1, vcc
	v_mul_f32_e32 v0, 0x3fb8aa3b, v13
	v_mul_f32_e32 v1, 0x3fb8aa3b, v14
	v_exp_f32_e32 v0, v0
	v_exp_f32_e32 v1, v1
	v_cmp_lt_f32_e32 vcc, 0, v18
	v_pk_add_f32 v[0:1], v[0:1], 1.0 op_sel_hi:[1,0]
	s_nop 0
	v_cndmask_b32_e32 v2, v2, v15, vcc
	v_cmp_gt_f32_e32 vcc, s13, v1
	v_mul_f32_e32 v15, 0x37800000, v2
	v_cndmask_b32_e64 v2, v2, v15, s[2:3]
	v_cndmask_b32_e32 v18, 1.0, v11, vcc
	v_mul_f32_e32 v1, v1, v18
	v_log_f32_e32 v1, v1
	v_cmp_class_f32_e64 s[2:3], v16, v5
	v_cmp_lt_f32_e64 s[4:5], |v1|, s12
	s_nop 0
	v_cndmask_b32_e64 v16, v2, v16, s[2:3]
	v_cmp_gt_f32_e64 s[2:3], s13, v0
	v_mul_f32_e32 v2, 0x3f317217, v1
	v_fma_f32 v2, v1, s11, -v2
	v_cndmask_b32_e64 v11, 1.0, v11, s[2:3]
	v_mul_f32_e32 v0, v0, v11
	v_log_f32_e32 v0, v0
	v_fmac_f32_e32 v2, 0x3377d1cf, v1
	v_fmac_f32_e32 v2, 0x3f317217, v1
	v_cndmask_b32_e64 v1, v1, v2, s[4:5]
	v_cndmask_b32_e32 v2, 0, v12, vcc
	v_sub_f32_e32 v1, v1, v2
	v_mul_f32_e32 v2, 0x3f317217, v0
	v_fma_f32 v2, v0, s11, -v2
	v_fmac_f32_e32 v2, 0x3377d1cf, v0
	v_fmac_f32_e32 v2, 0x3f317217, v0
	v_cmp_lt_f32_e64 vcc, |v0|, s12
	s_cselect_b64 s[4:5], -1, 0
	s_cmp_lt_i32 s33, 1
	v_cndmask_b32_e32 v0, v0, v2, vcc
	v_cmp_lt_f32_e32 vcc, s9, v14
	v_cndmask_b32_e64 v2, 0, v12, s[2:3]
	v_sub_f32_e32 v0, v0, v2
	v_cndmask_b32_e32 v1, v1, v14, vcc
	v_mul_f32_e32 v11, 0x4f800000, v1
	v_cmp_gt_f32_e32 vcc, s10, v1
	v_cmp_lt_f32_e64 s[2:3], s9, v13
	s_nop 0
	v_cndmask_b32_e32 v1, v1, v11, vcc
	v_sqrt_f32_e32 v11, v1
	v_cndmask_b32_e64 v0, v0, v13, s[2:3]
	v_add_u32_e32 v2, -1, v11
	v_fma_f32 v12, -v2, v11, v1
	v_cmp_ge_f32_e64 s[2:3], 0, v12
	v_add_u32_e32 v12, 1, v11
	s_nop 0
	v_cndmask_b32_e64 v2, v11, v2, s[2:3]
	v_fma_f32 v11, -v12, v11, v1
	v_cmp_lt_f32_e64 s[2:3], 0, v11
	s_nop 1
	v_cndmask_b32_e64 v2, v2, v12, s[2:3]
	v_mul_f32_e32 v12, 0x4f800000, v0
	v_cmp_gt_f32_e64 s[2:3], s10, v0
	v_mul_f32_e32 v11, 0x37800000, v2
	v_cndmask_b32_e32 v2, v2, v11, vcc
	v_cndmask_b32_e64 v0, v0, v12, s[2:3]
	v_sqrt_f32_e32 v12, v0
	v_cmp_class_f32_e32 vcc, v1, v5
	s_nop 1
	v_cndmask_b32_e32 v19, v2, v1, vcc
	v_add_u32_e32 v1, -1, v12
	v_fma_f32 v2, -v1, v12, v0
	v_cmp_ge_f32_e32 vcc, 0, v2
	v_add_u32_e32 v2, 1, v12
	v_fma_f32 v11, -v2, v12, v0
	v_cndmask_b32_e32 v1, v12, v1, vcc
	v_cmp_lt_f32_e32 vcc, 0, v11
	s_nop 1
	v_cndmask_b32_e32 v1, v1, v2, vcc
	v_mul_f32_e32 v2, 0x37800000, v1
	v_cndmask_b32_e64 v1, v1, v2, s[2:3]
	v_cmp_class_f32_e32 vcc, v0, v5
	v_mul_lo_u32 v2, v4, s33
	s_nop 0
	v_cndmask_b32_e32 v18, v1, v0, vcc
	v_lshl_add_u64 v[0:1], v[8:9], 2, v[6:7]
	scratch_store_dwordx4 off, v[16:19], off offset:48
	s_cbranch_scc1 .LBB398_28
; %bb.2:
	s_load_dwordx2 s[6:7], s[0:1], 0x20
	s_cmp_lt_u32 s33, 4
	v_mul_lo_u32 v4, v4, s33
	s_cbranch_scc1 .LBB398_21
; %bb.3:
	s_mov_b32 s11, 0
	s_and_b32 s8, s33, 0x7ffffffc
	v_ashrrev_i32_e32 v5, 31, v4
	v_mov_b32_e32 v3, 0
	s_mov_b32 s10, s11
	s_branch .LBB398_5
.LBB398_4:                              ;   in Loop: Header=BB398_5 Depth=1
	s_or_b64 exec, exec, s[12:13]
	s_add_i32 s10, s10, 4
	s_cmp_eq_u32 s10, s8
	s_cbranch_scc1 .LBB398_21
.LBB398_5:                              ; =>This Loop Header: Depth=1
                                        ;     Child Loop BB398_7 Depth 2
                                        ;     Child Loop BB398_11 Depth 2
	;; [unrolled: 1-line block ×4, first 2 shown]
	v_lshl_add_u64 v[6:7], s[10:11], 2, v[0:1]
	global_load_dword v11, v[6:7], off
	v_add_u32_e32 v8, s10, v4
	v_ashrrev_i32_e32 v9, 31, v8
	s_waitcnt lgkmcnt(0)
	v_lshl_add_u64 v[8:9], v[8:9], 2, s[6:7]
	v_mov_b32_e32 v12, 0
	s_mov_b64 s[12:13], 0
	s_mov_b32 s9, 0
	s_mov_b32 s16, 0
	s_branch .LBB398_7
.LBB398_6:                              ;   in Loop: Header=BB398_7 Depth=2
	s_or_b64 exec, exec, s[14:15]
	s_add_i32 s17, s16, 1
	s_cmp_gt_u32 s16, 14
	s_cselect_b64 s[2:3], -1, 0
	s_xor_b64 s[14:15], vcc, -1
	s_or_b64 s[2:3], s[14:15], s[2:3]
	s_add_i32 s9, s9, 32
	s_and_b64 s[2:3], exec, s[2:3]
	v_add_u32_e32 v12, 4, v12
	s_or_b64 s[12:13], s[2:3], s[12:13]
	s_mov_b32 s16, s17
	s_andn2_b64 exec, exec, s[12:13]
	s_cbranch_execz .LBB398_9
.LBB398_7:                              ;   Parent Loop BB398_5 Depth=1
                                        ; =>  This Inner Loop Header: Depth=2
	s_and_b32 s2, s16, 7
	s_and_b32 s3, s9, 0x100
	s_or_b32 s2, s2, s3
	v_or_b32_e32 v13, s2, v10
	s_waitcnt vmcnt(0)
	v_cmp_ne_u32_e32 vcc, v11, v13
	v_cmp_eq_u32_e64 s[2:3], v11, v13
	s_and_saveexec_b64 s[14:15], s[2:3]
	s_cbranch_execz .LBB398_6
; %bb.8:                                ;   in Loop: Header=BB398_7 Depth=2
	scratch_load_dword v13, v12, off
	s_waitcnt vmcnt(0)
	v_add_f32_e32 v3, v3, v13
	global_store_dword v[8:9], v11, off
	s_branch .LBB398_6
.LBB398_9:                              ;   in Loop: Header=BB398_5 Depth=1
	s_or_b64 exec, exec, s[12:13]
	global_load_dword v11, v[6:7], off offset:4
	s_ashr_i32 s3, s10, 31
	s_mov_b32 s2, s10
	v_lshl_add_u64 v[8:9], s[2:3], 0, v[4:5]
	v_lshl_add_u64 v[8:9], v[8:9], 2, s[6:7]
	v_mov_b32_e32 v12, 0
	s_mov_b32 s9, 0
	s_mov_b64 s[12:13], 0
	s_mov_b32 s16, 0
	s_branch .LBB398_11
.LBB398_10:                             ;   in Loop: Header=BB398_11 Depth=2
	s_or_b64 exec, exec, s[14:15]
	s_add_i32 s17, s16, 1
	s_cmp_gt_u32 s16, 14
	s_cselect_b64 s[2:3], -1, 0
	s_xor_b64 s[14:15], vcc, -1
	s_or_b64 s[2:3], s[14:15], s[2:3]
	s_add_i32 s9, s9, 32
	s_and_b64 s[2:3], exec, s[2:3]
	v_add_u32_e32 v12, 4, v12
	s_or_b64 s[12:13], s[2:3], s[12:13]
	s_mov_b32 s16, s17
	s_andn2_b64 exec, exec, s[12:13]
	s_cbranch_execz .LBB398_13
.LBB398_11:                             ;   Parent Loop BB398_5 Depth=1
                                        ; =>  This Inner Loop Header: Depth=2
	s_and_b32 s2, s16, 7
	s_and_b32 s3, s9, 0x100
	s_or_b32 s2, s2, s3
	v_or_b32_e32 v13, s2, v10
	s_waitcnt vmcnt(0)
	v_cmp_ne_u32_e32 vcc, v11, v13
	v_cmp_eq_u32_e64 s[2:3], v11, v13
	s_and_saveexec_b64 s[14:15], s[2:3]
	s_cbranch_execz .LBB398_10
; %bb.12:                               ;   in Loop: Header=BB398_11 Depth=2
	scratch_load_dword v13, v12, off
	s_waitcnt vmcnt(0)
	v_add_f32_e32 v3, v3, v13
	global_store_dword v[8:9], v11, off offset:4
	s_branch .LBB398_10
.LBB398_13:                             ;   in Loop: Header=BB398_5 Depth=1
	s_or_b64 exec, exec, s[12:13]
	global_load_dword v11, v[6:7], off offset:8
	v_mov_b32_e32 v12, 0
	s_mov_b32 s9, 0
	s_mov_b64 s[12:13], 0
	s_mov_b32 s16, 0
	s_branch .LBB398_15
.LBB398_14:                             ;   in Loop: Header=BB398_15 Depth=2
	s_or_b64 exec, exec, s[14:15]
	s_add_i32 s17, s16, 1
	s_cmp_gt_u32 s16, 14
	s_cselect_b64 s[2:3], -1, 0
	s_xor_b64 s[14:15], vcc, -1
	s_or_b64 s[2:3], s[14:15], s[2:3]
	s_add_i32 s9, s9, 32
	s_and_b64 s[2:3], exec, s[2:3]
	v_add_u32_e32 v12, 4, v12
	s_or_b64 s[12:13], s[2:3], s[12:13]
	s_mov_b32 s16, s17
	s_andn2_b64 exec, exec, s[12:13]
	s_cbranch_execz .LBB398_17
.LBB398_15:                             ;   Parent Loop BB398_5 Depth=1
                                        ; =>  This Inner Loop Header: Depth=2
	s_and_b32 s2, s16, 7
	s_and_b32 s3, s9, 0x100
	s_or_b32 s2, s2, s3
	v_or_b32_e32 v13, s2, v10
	s_waitcnt vmcnt(0)
	v_cmp_ne_u32_e32 vcc, v11, v13
	v_cmp_eq_u32_e64 s[2:3], v11, v13
	s_and_saveexec_b64 s[14:15], s[2:3]
	s_cbranch_execz .LBB398_14
; %bb.16:                               ;   in Loop: Header=BB398_15 Depth=2
	scratch_load_dword v13, v12, off
	s_waitcnt vmcnt(0)
	v_add_f32_e32 v3, v3, v13
	global_store_dword v[8:9], v11, off offset:8
	s_branch .LBB398_14
.LBB398_17:                             ;   in Loop: Header=BB398_5 Depth=1
	s_or_b64 exec, exec, s[12:13]
	global_load_dword v6, v[6:7], off offset:12
	v_mov_b32_e32 v7, 0
	s_mov_b32 s9, 0
	s_mov_b64 s[12:13], 0
	s_mov_b32 s16, 0
	s_branch .LBB398_19
.LBB398_18:                             ;   in Loop: Header=BB398_19 Depth=2
	s_or_b64 exec, exec, s[14:15]
	s_add_i32 s17, s16, 1
	s_cmp_gt_u32 s16, 14
	s_cselect_b64 s[2:3], -1, 0
	s_xor_b64 s[14:15], vcc, -1
	s_or_b64 s[2:3], s[14:15], s[2:3]
	s_add_i32 s9, s9, 32
	s_and_b64 s[2:3], exec, s[2:3]
	v_add_u32_e32 v7, 4, v7
	s_or_b64 s[12:13], s[2:3], s[12:13]
	s_mov_b32 s16, s17
	s_andn2_b64 exec, exec, s[12:13]
	s_cbranch_execz .LBB398_4
.LBB398_19:                             ;   Parent Loop BB398_5 Depth=1
                                        ; =>  This Inner Loop Header: Depth=2
	s_and_b32 s2, s16, 7
	s_and_b32 s3, s9, 0x100
	s_or_b32 s2, s2, s3
	v_or_b32_e32 v11, s2, v10
	s_waitcnt vmcnt(0)
	v_cmp_ne_u32_e32 vcc, v6, v11
	v_cmp_eq_u32_e64 s[2:3], v6, v11
	s_and_saveexec_b64 s[14:15], s[2:3]
	s_cbranch_execz .LBB398_18
; %bb.20:                               ;   in Loop: Header=BB398_19 Depth=2
	scratch_load_dword v11, v7, off
	s_waitcnt vmcnt(0)
	v_add_f32_e32 v3, v3, v11
	global_store_dword v[8:9], v6, off offset:12
	s_branch .LBB398_18
.LBB398_21:
	s_and_b32 s14, s33, 3
	s_cmp_eq_u32 s14, 0
	s_mov_b32 s9, 0
	s_cbranch_scc1 .LBB398_28
; %bb.22:
	s_mov_b32 s15, s9
	s_branch .LBB398_24
.LBB398_23:                             ;   in Loop: Header=BB398_24 Depth=1
	s_or_b64 exec, exec, s[10:11]
	s_add_i32 s8, s8, 1
	s_add_i32 s15, s15, 1
	s_cmp_lg_u32 s15, s14
	s_cbranch_scc0 .LBB398_28
.LBB398_24:                             ; =>This Loop Header: Depth=1
                                        ;     Child Loop BB398_26 Depth 2
	v_lshl_add_u64 v[6:7], s[8:9], 2, v[0:1]
	global_load_dword v5, v[6:7], off
	v_add_u32_e32 v6, s8, v4
	v_ashrrev_i32_e32 v7, 31, v6
	s_waitcnt lgkmcnt(0)
	v_lshl_add_u64 v[6:7], v[6:7], 2, s[6:7]
	v_mov_b32_e32 v8, 0
	s_mov_b32 s16, 0
	s_mov_b64 s[10:11], 0
	s_mov_b32 s17, 0
	s_branch .LBB398_26
.LBB398_25:                             ;   in Loop: Header=BB398_26 Depth=2
	s_or_b64 exec, exec, s[12:13]
	s_add_i32 s18, s17, 1
	s_cmp_gt_u32 s17, 14
	s_cselect_b64 s[2:3], -1, 0
	s_xor_b64 s[12:13], vcc, -1
	s_or_b64 s[2:3], s[12:13], s[2:3]
	s_add_i32 s16, s16, 32
	s_and_b64 s[2:3], exec, s[2:3]
	v_add_u32_e32 v8, 4, v8
	s_or_b64 s[10:11], s[2:3], s[10:11]
	s_mov_b32 s17, s18
	s_andn2_b64 exec, exec, s[10:11]
	s_cbranch_execz .LBB398_23
.LBB398_26:                             ;   Parent Loop BB398_24 Depth=1
                                        ; =>  This Inner Loop Header: Depth=2
	s_and_b32 s2, s17, 7
	s_and_b32 s3, s16, 0x100
	s_or_b32 s2, s2, s3
	v_or_b32_e32 v9, s2, v10
	s_waitcnt vmcnt(0)
	v_cmp_ne_u32_e32 vcc, v5, v9
	v_cmp_eq_u32_e64 s[2:3], v5, v9
	s_and_saveexec_b64 s[12:13], s[2:3]
	s_cbranch_execz .LBB398_25
; %bb.27:                               ;   in Loop: Header=BB398_26 Depth=2
	scratch_load_dword v9, v8, off
	s_waitcnt vmcnt(0)
	v_add_f32_e32 v3, v3, v9
	global_store_dword v[6:7], v5, off
	s_branch .LBB398_25
.LBB398_28:
	s_waitcnt lgkmcnt(0)
	s_load_dword s6, s[0:1], 0x3c
	s_waitcnt lgkmcnt(0)
	s_bitcmp1_b32 s6, 0
	s_cselect_b64 s[2:3], -1, 0
	s_bitcmp0_b32 s6, 0
	s_cbranch_scc0 .LBB398_31
; %bb.29:
	s_load_dwordx2 s[6:7], s[0:1], 0x40
	s_andn2_b64 vcc, exec, s[2:3]
	s_waitcnt lgkmcnt(0)
	v_cvt_f32_f64_e32 v4, s[6:7]
	s_cbranch_vccz .LBB398_32
.LBB398_30:
	s_andn2_b64 vcc, exec, s[4:5]
	s_cbranch_vccz .LBB398_33
	s_branch .LBB398_67
.LBB398_31:
	v_mbcnt_lo_u32_b32 v4, -1, 0
	v_mbcnt_hi_u32_b32 v4, -1, v4
	v_and_b32_e32 v5, 0x60, v4
	v_add_u32_e32 v5, 32, v5
	v_xor_b32_e32 v6, 16, v4
	v_cmp_lt_i32_e32 vcc, v6, v5
	v_xor_b32_e32 v7, 8, v4
	s_nop 0
	v_cndmask_b32_e32 v6, v4, v6, vcc
	v_lshlrev_b32_e32 v6, 2, v6
	ds_bpermute_b32 v6, v6, v3
	v_cmp_lt_i32_e32 vcc, v7, v5
	s_waitcnt lgkmcnt(0)
	v_add_f32_e32 v3, v3, v6
	v_cndmask_b32_e32 v6, v4, v7, vcc
	v_lshlrev_b32_e32 v6, 2, v6
	ds_bpermute_b32 v6, v6, v3
	v_xor_b32_e32 v7, 4, v4
	v_cmp_lt_i32_e32 vcc, v7, v5
	s_waitcnt lgkmcnt(0)
	v_add_f32_e32 v3, v3, v6
	v_cndmask_b32_e32 v6, v4, v7, vcc
	v_lshlrev_b32_e32 v6, 2, v6
	ds_bpermute_b32 v6, v6, v3
	v_xor_b32_e32 v7, 2, v4
	;; [unrolled: 7-line block ×3, first 2 shown]
	v_cmp_lt_i32_e32 vcc, v7, v5
	s_waitcnt lgkmcnt(0)
	v_add_f32_e32 v3, v3, v6
	v_cndmask_b32_e32 v4, v4, v7, vcc
	v_lshlrev_b32_e32 v4, 2, v4
	ds_bpermute_b32 v4, v4, v3
	s_waitcnt lgkmcnt(0)
	v_add_f32_e32 v3, v3, v4
	s_load_dwordx2 s[6:7], s[0:1], 0x40
	s_andn2_b64 vcc, exec, s[2:3]
	s_waitcnt lgkmcnt(0)
	v_cvt_f32_f64_e32 v4, s[6:7]
	s_cbranch_vccnz .LBB398_30
.LBB398_32:
	v_cmp_lt_f32_e32 vcc, 0, v3
	s_nop 1
	v_cndmask_b32_e32 v3, 1.0, v3, vcc
	v_div_scale_f32 v5, s[2:3], v3, v3, v4
	v_rcp_f32_e32 v6, v5
	s_nop 0
	v_fma_f32 v7, -v5, v6, 1.0
	v_fmac_f32_e32 v6, v7, v6
	v_div_scale_f32 v7, vcc, v4, v3, v4
	v_mul_f32_e32 v8, v7, v6
	v_fma_f32 v9, -v5, v8, v7
	v_fmac_f32_e32 v8, v9, v6
	v_fma_f32 v5, -v5, v8, v7
	v_div_fmas_f32 v5, v5, v6, v8
	v_div_fixup_f32 v4, v5, v3, v4
	s_andn2_b64 vcc, exec, s[4:5]
	s_cbranch_vccnz .LBB398_67
.LBB398_33:
	s_load_dwordx2 s[28:29], s[0:1], 0x10
	v_mov_b32_e32 v3, 0
	v_or_b32_e32 v5, 4, v3
	v_or_b32_e32 v6, 8, v3
	;; [unrolled: 1-line block ×3, first 2 shown]
	v_add_u32_e32 v8, 16, v3
	v_add_u32_e32 v9, 20, v3
	;; [unrolled: 1-line block ×12, first 2 shown]
	v_or_b32_e32 v21, 1, v10
	v_or_b32_e32 v22, 2, v10
	v_or_b32_e32 v23, 3, v10
	v_or_b32_e32 v24, 4, v10
	v_or_b32_e32 v25, 5, v10
	v_or_b32_e32 v26, 6, v10
	v_or_b32_e32 v27, 7, v10
	v_or_b32_e32 v28, 0x100, v10
	v_or_b32_e32 v29, 0x101, v10
	v_or_b32_e32 v30, 0x102, v10
	v_or_b32_e32 v31, 0x103, v10
	v_or_b32_e32 v32, 0x104, v10
	v_or_b32_e32 v33, 0x105, v10
	v_or_b32_e32 v34, 0x106, v10
	v_or_b32_e32 v35, 0x107, v10
	s_branch .LBB398_35
.LBB398_34:                             ;   in Loop: Header=BB398_35 Depth=1
	s_or_b64 exec, exec, s[0:1]
	s_add_i32 s33, s33, -1
	v_add_u32_e32 v2, 1, v2
	s_cmp_eq_u32 s33, 0
	v_lshl_add_u64 v[0:1], v[0:1], 0, 4
	s_cbranch_scc1 .LBB398_67
.LBB398_35:                             ; =>This Inner Loop Header: Depth=1
	global_load_dword v36, v[0:1], off
	v_mov_b32_e32 v3, 0
	s_waitcnt vmcnt(0)
	v_cmp_eq_u32_e32 vcc, v36, v10
	v_cmp_ne_u32_e64 s[0:1], v36, v10
	s_and_saveexec_b64 s[30:31], s[0:1]
	s_cbranch_execz .LBB398_65
; %bb.36:                               ;   in Loop: Header=BB398_35 Depth=1
	v_cmp_eq_u32_e64 s[0:1], v36, v21
	v_cmp_ne_u32_e64 s[2:3], v36, v21
	v_mov_b32_e32 v3, v5
	s_and_saveexec_b64 s[34:35], s[2:3]
	s_cbranch_execz .LBB398_64
; %bb.37:                               ;   in Loop: Header=BB398_35 Depth=1
	v_cmp_eq_u32_e64 s[2:3], v36, v22
	v_cmp_ne_u32_e64 s[4:5], v36, v22
	v_mov_b32_e32 v3, v6
	;; [unrolled: 6-line block ×14, first 2 shown]
	s_and_saveexec_b64 s[62:63], s[26:27]
	s_xor_b64 s[62:63], exec, s[62:63]
; %bb.50:                               ;   in Loop: Header=BB398_35 Depth=1
	v_cmp_eq_u32_e64 s[26:27], v36, v35
	s_andn2_b64 s[60:61], s[60:61], exec
	s_and_b64 s[26:27], s[26:27], exec
	s_or_b64 s[60:61], s[60:61], s[26:27]
	v_mov_b32_e32 v3, v20
; %bb.51:                               ;   in Loop: Header=BB398_35 Depth=1
	s_or_b64 exec, exec, s[62:63]
	s_andn2_b64 s[24:25], s[24:25], exec
	s_and_b64 s[26:27], s[60:61], exec
	s_or_b64 s[24:25], s[24:25], s[26:27]
.LBB398_52:                             ;   in Loop: Header=BB398_35 Depth=1
	s_or_b64 exec, exec, s[58:59]
	s_andn2_b64 s[22:23], s[22:23], exec
	s_and_b64 s[24:25], s[24:25], exec
	s_or_b64 s[22:23], s[22:23], s[24:25]
.LBB398_53:                             ;   in Loop: Header=BB398_35 Depth=1
	s_or_b64 exec, exec, s[56:57]
	s_andn2_b64 s[20:21], s[20:21], exec
	s_and_b64 s[22:23], s[22:23], exec
	s_or_b64 s[20:21], s[20:21], s[22:23]
.LBB398_54:                             ;   in Loop: Header=BB398_35 Depth=1
	s_or_b64 exec, exec, s[54:55]
	s_andn2_b64 s[18:19], s[18:19], exec
	s_and_b64 s[20:21], s[20:21], exec
	s_or_b64 s[18:19], s[18:19], s[20:21]
.LBB398_55:                             ;   in Loop: Header=BB398_35 Depth=1
	s_or_b64 exec, exec, s[52:53]
	s_andn2_b64 s[16:17], s[16:17], exec
	s_and_b64 s[18:19], s[18:19], exec
	s_or_b64 s[16:17], s[16:17], s[18:19]
.LBB398_56:                             ;   in Loop: Header=BB398_35 Depth=1
	s_or_b64 exec, exec, s[50:51]
	s_andn2_b64 s[14:15], s[14:15], exec
	s_and_b64 s[16:17], s[16:17], exec
	s_or_b64 s[14:15], s[14:15], s[16:17]
.LBB398_57:                             ;   in Loop: Header=BB398_35 Depth=1
	s_or_b64 exec, exec, s[48:49]
	s_andn2_b64 s[12:13], s[12:13], exec
	s_and_b64 s[14:15], s[14:15], exec
	s_or_b64 s[12:13], s[12:13], s[14:15]
.LBB398_58:                             ;   in Loop: Header=BB398_35 Depth=1
	s_or_b64 exec, exec, s[46:47]
	s_andn2_b64 s[10:11], s[10:11], exec
	s_and_b64 s[12:13], s[12:13], exec
	s_or_b64 s[10:11], s[10:11], s[12:13]
.LBB398_59:                             ;   in Loop: Header=BB398_35 Depth=1
	s_or_b64 exec, exec, s[44:45]
	s_andn2_b64 s[8:9], s[8:9], exec
	s_and_b64 s[10:11], s[10:11], exec
	s_or_b64 s[8:9], s[8:9], s[10:11]
.LBB398_60:                             ;   in Loop: Header=BB398_35 Depth=1
	s_or_b64 exec, exec, s[42:43]
	s_andn2_b64 s[6:7], s[6:7], exec
	s_and_b64 s[8:9], s[8:9], exec
	s_or_b64 s[6:7], s[6:7], s[8:9]
.LBB398_61:                             ;   in Loop: Header=BB398_35 Depth=1
	s_or_b64 exec, exec, s[40:41]
	s_andn2_b64 s[4:5], s[4:5], exec
	s_and_b64 s[6:7], s[6:7], exec
	s_or_b64 s[4:5], s[4:5], s[6:7]
.LBB398_62:                             ;   in Loop: Header=BB398_35 Depth=1
	s_or_b64 exec, exec, s[38:39]
	s_andn2_b64 s[2:3], s[2:3], exec
	s_and_b64 s[4:5], s[4:5], exec
	s_or_b64 s[2:3], s[2:3], s[4:5]
.LBB398_63:                             ;   in Loop: Header=BB398_35 Depth=1
	s_or_b64 exec, exec, s[36:37]
	s_andn2_b64 s[0:1], s[0:1], exec
	s_and_b64 s[2:3], s[2:3], exec
	s_or_b64 s[0:1], s[0:1], s[2:3]
.LBB398_64:                             ;   in Loop: Header=BB398_35 Depth=1
	s_or_b64 exec, exec, s[34:35]
	s_andn2_b64 s[2:3], vcc, exec
	s_and_b64 s[0:1], s[0:1], exec
	s_or_b64 vcc, s[2:3], s[0:1]
.LBB398_65:                             ;   in Loop: Header=BB398_35 Depth=1
	s_or_b64 exec, exec, s[30:31]
	s_and_saveexec_b64 s[0:1], vcc
	s_cbranch_execz .LBB398_34
; %bb.66:                               ;   in Loop: Header=BB398_35 Depth=1
	scratch_load_dword v36, v3, off
	v_ashrrev_i32_e32 v3, 31, v2
	s_waitcnt vmcnt(0)
	v_mul_f32_e32 v38, v4, v36
	s_waitcnt lgkmcnt(0)
	v_lshl_add_u64 v[36:37], v[2:3], 2, s[28:29]
	global_store_dword v[36:37], v38, off
	s_branch .LBB398_34
.LBB398_67:
	s_endpgm
	.section	.rodata,"a",@progbits
	.p2align	6, 0x0
	.amdhsa_kernel _ZN4vllm3moe22topkGatingSoftplusSqrtILi16ELi512ELi4ELi16ELi32ELb1Ei14__hip_bfloat16EEvPKT6_PKbPfiPT5_PiiiibdPKfPKS9_SF_
		.amdhsa_group_segment_fixed_size 0
		.amdhsa_private_segment_fixed_size 80
		.amdhsa_kernarg_size 96
		.amdhsa_user_sgpr_count 2
		.amdhsa_user_sgpr_dispatch_ptr 0
		.amdhsa_user_sgpr_queue_ptr 0
		.amdhsa_user_sgpr_kernarg_segment_ptr 1
		.amdhsa_user_sgpr_dispatch_id 0
		.amdhsa_user_sgpr_kernarg_preload_length 0
		.amdhsa_user_sgpr_kernarg_preload_offset 0
		.amdhsa_user_sgpr_private_segment_size 0
		.amdhsa_uses_dynamic_stack 0
		.amdhsa_enable_private_segment 1
		.amdhsa_system_sgpr_workgroup_id_x 1
		.amdhsa_system_sgpr_workgroup_id_y 0
		.amdhsa_system_sgpr_workgroup_id_z 0
		.amdhsa_system_sgpr_workgroup_info 0
		.amdhsa_system_vgpr_workitem_id 1
		.amdhsa_next_free_vgpr 39
		.amdhsa_next_free_sgpr 64
		.amdhsa_accum_offset 40
		.amdhsa_reserve_vcc 1
		.amdhsa_float_round_mode_32 0
		.amdhsa_float_round_mode_16_64 0
		.amdhsa_float_denorm_mode_32 3
		.amdhsa_float_denorm_mode_16_64 3
		.amdhsa_dx10_clamp 1
		.amdhsa_ieee_mode 1
		.amdhsa_fp16_overflow 0
		.amdhsa_tg_split 0
		.amdhsa_exception_fp_ieee_invalid_op 0
		.amdhsa_exception_fp_denorm_src 0
		.amdhsa_exception_fp_ieee_div_zero 0
		.amdhsa_exception_fp_ieee_overflow 0
		.amdhsa_exception_fp_ieee_underflow 0
		.amdhsa_exception_fp_ieee_inexact 0
		.amdhsa_exception_int_div_zero 0
	.end_amdhsa_kernel
	.section	.text._ZN4vllm3moe22topkGatingSoftplusSqrtILi16ELi512ELi4ELi16ELi32ELb1Ei14__hip_bfloat16EEvPKT6_PKbPfiPT5_PiiiibdPKfPKS9_SF_,"axG",@progbits,_ZN4vllm3moe22topkGatingSoftplusSqrtILi16ELi512ELi4ELi16ELi32ELb1Ei14__hip_bfloat16EEvPKT6_PKbPfiPT5_PiiiibdPKfPKS9_SF_,comdat
.Lfunc_end398:
	.size	_ZN4vllm3moe22topkGatingSoftplusSqrtILi16ELi512ELi4ELi16ELi32ELb1Ei14__hip_bfloat16EEvPKT6_PKbPfiPT5_PiiiibdPKfPKS9_SF_, .Lfunc_end398-_ZN4vllm3moe22topkGatingSoftplusSqrtILi16ELi512ELi4ELi16ELi32ELb1Ei14__hip_bfloat16EEvPKT6_PKbPfiPT5_PiiiibdPKfPKS9_SF_
                                        ; -- End function
	.section	.AMDGPU.csdata,"",@progbits
; Kernel info:
; codeLenInByte = 6160
; NumSgprs: 70
; NumVgprs: 39
; NumAgprs: 0
; TotalNumVgprs: 39
; ScratchSize: 80
; MemoryBound: 0
; FloatMode: 240
; IeeeMode: 1
; LDSByteSize: 0 bytes/workgroup (compile time only)
; SGPRBlocks: 8
; VGPRBlocks: 4
; NumSGPRsForWavesPerEU: 70
; NumVGPRsForWavesPerEU: 39
; AccumOffset: 40
; Occupancy: 8
; WaveLimiterHint : 1
; COMPUTE_PGM_RSRC2:SCRATCH_EN: 1
; COMPUTE_PGM_RSRC2:USER_SGPR: 2
; COMPUTE_PGM_RSRC2:TRAP_HANDLER: 0
; COMPUTE_PGM_RSRC2:TGID_X_EN: 1
; COMPUTE_PGM_RSRC2:TGID_Y_EN: 0
; COMPUTE_PGM_RSRC2:TGID_Z_EN: 0
; COMPUTE_PGM_RSRC2:TIDIG_COMP_CNT: 1
; COMPUTE_PGM_RSRC3_GFX90A:ACCUM_OFFSET: 9
; COMPUTE_PGM_RSRC3_GFX90A:TG_SPLIT: 0
	.section	.text._ZN4vllm3moe22topkGatingSoftplusSqrtILi16ELi512ELi4ELi16ELi32ELb0Ei14__hip_bfloat16EEvPKT6_PKbPfiPT5_PiiiibdPKfPKS9_SF_,"axG",@progbits,_ZN4vllm3moe22topkGatingSoftplusSqrtILi16ELi512ELi4ELi16ELi32ELb0Ei14__hip_bfloat16EEvPKT6_PKbPfiPT5_PiiiibdPKfPKS9_SF_,comdat
	.protected	_ZN4vllm3moe22topkGatingSoftplusSqrtILi16ELi512ELi4ELi16ELi32ELb0Ei14__hip_bfloat16EEvPKT6_PKbPfiPT5_PiiiibdPKfPKS9_SF_ ; -- Begin function _ZN4vllm3moe22topkGatingSoftplusSqrtILi16ELi512ELi4ELi16ELi32ELb0Ei14__hip_bfloat16EEvPKT6_PKbPfiPT5_PiiiibdPKfPKS9_SF_
	.globl	_ZN4vllm3moe22topkGatingSoftplusSqrtILi16ELi512ELi4ELi16ELi32ELb0Ei14__hip_bfloat16EEvPKT6_PKbPfiPT5_PiiiibdPKfPKS9_SF_
	.p2align	8
	.type	_ZN4vllm3moe22topkGatingSoftplusSqrtILi16ELi512ELi4ELi16ELi32ELb0Ei14__hip_bfloat16EEvPKT6_PKbPfiPT5_PiiiibdPKfPKS9_SF_,@function
_ZN4vllm3moe22topkGatingSoftplusSqrtILi16ELi512ELi4ELi16ELi32ELb0Ei14__hip_bfloat16EEvPKT6_PKbPfiPT5_PiiiibdPKfPKS9_SF_: ; @_ZN4vllm3moe22topkGatingSoftplusSqrtILi16ELi512ELi4ELi16ELi32ELb0Ei14__hip_bfloat16EEvPKT6_PKbPfiPT5_PiiiibdPKfPKS9_SF_
; %bb.0:
	s_load_dword s33, s[0:1], 0x18
	v_and_b32_e32 v1, 0x3ff, v0
	s_lshl_b32 s2, s2, 2
	v_lshrrev_b32_e32 v2, 5, v1
	v_bfe_u32 v0, v0, 10, 10
	v_add3_u32 v16, s2, v0, v2
	s_waitcnt lgkmcnt(0)
	v_cmp_gt_i32_e32 vcc, s33, v16
	s_and_saveexec_b64 s[2:3], vcc
	s_cbranch_execz .LBB399_81
; %bb.1:
	s_load_dwordx4 s[4:7], s[0:1], 0x0
	s_load_dwordx2 s[38:39], s[0:1], 0x10
	s_waitcnt lgkmcnt(0)
	s_cmp_eq_u64 s[6:7], 0
	s_cbranch_scc1 .LBB399_3
; %bb.2:
	v_ashrrev_i32_e32 v17, 31, v16
	v_lshl_add_u64 v[2:3], s[6:7], 0, v[16:17]
	global_load_ubyte v0, v[2:3], off
	s_waitcnt vmcnt(0)
	v_and_b32_e32 v0, 1, v0
	v_cmp_eq_u32_e32 vcc, 1, v0
	s_xor_b64 s[2:3], vcc, -1
	s_orn2_b64 s[52:53], s[2:3], exec
	s_branch .LBB399_4
.LBB399_3:
	s_mov_b64 s[52:53], -1
.LBB399_4:
	v_lshlrev_b32_e32 v4, 9, v16
	v_mov_b32_e32 v2, s4
	v_mov_b32_e32 v3, s5
	v_ashrrev_i32_e32 v5, 31, v4
	v_and_b32_e32 v17, 31, v1
	v_lshl_add_u64 v[2:3], v[4:5], 1, v[2:3]
	v_mov_b32_e32 v1, 0
	v_lshlrev_b32_e32 v0, 4, v17
	v_lshl_add_u64 v[0:1], v[2:3], 0, v[0:1]
	global_load_dwordx4 v[4:7], v[0:1], off
	global_load_dwordx4 v[12:15], v[0:1], off offset:512
	s_mov_b32 s12, 0x800000
	v_mov_b32_e32 v2, 0x4f800000
	s_mov_b32 s9, 0x3f317217
	s_mov_b32 s10, 0x7f800000
	v_mov_b32_e32 v3, 0x41b17218
	s_mov_b32 s8, 0x41a00000
	s_mov_b32 s11, 0xf800000
	s_load_dwordx4 s[40:43], s[0:1], 0x40
	v_lshlrev_b32_e32 v20, 3, v17
	v_lshlrev_b32_e32 v18, 2, v20
	s_waitcnt lgkmcnt(0)
	s_cmp_lg_u64 s[42:43], 0
	s_cselect_b64 s[6:7], -1, 0
	s_and_b64 s[2:3], exec, s[6:7]
	s_waitcnt vmcnt(1)
	v_lshlrev_b32_e32 v0, 16, v4
	v_mul_f32_e32 v1, 0x3fb8aa3b, v0
	v_exp_f32_e32 v8, v1
	v_mov_b32_e32 v1, 0x260
	v_add_f32_e32 v8, 1.0, v8
	v_cmp_gt_f32_e32 vcc, s12, v8
	s_nop 1
	v_cndmask_b32_e32 v9, 1.0, v2, vcc
	v_mul_f32_e32 v8, v8, v9
	v_log_f32_e32 v8, v8
	v_cndmask_b32_e32 v9, 0, v3, vcc
	v_mul_f32_e32 v10, 0x3f317217, v8
	v_fma_f32 v10, v8, s9, -v10
	v_fmac_f32_e32 v10, 0x3377d1cf, v8
	v_fmac_f32_e32 v10, 0x3f317217, v8
	v_cmp_lt_f32_e64 vcc, |v8|, s10
	s_nop 1
	v_cndmask_b32_e32 v8, v8, v10, vcc
	v_sub_f32_e32 v8, v8, v9
	v_cmp_lt_f32_e32 vcc, s8, v0
	s_nop 1
	v_cndmask_b32_e32 v0, v8, v0, vcc
	v_mul_f32_e32 v8, 0x4f800000, v0
	v_cmp_gt_f32_e32 vcc, s11, v0
	s_nop 1
	v_cndmask_b32_e32 v0, v0, v8, vcc
	v_sqrt_f32_e32 v8, v0
	s_nop 0
	v_add_u32_e32 v9, -1, v8
	v_add_u32_e32 v10, 1, v8
	v_fma_f32 v11, -v9, v8, v0
	v_fma_f32 v19, -v10, v8, v0
	v_cmp_ge_f32_e64 s[4:5], 0, v11
	s_nop 1
	v_cndmask_b32_e64 v8, v8, v9, s[4:5]
	v_cmp_lt_f32_e64 s[4:5], 0, v19
	s_nop 1
	v_cndmask_b32_e64 v8, v8, v10, s[4:5]
	v_mul_f32_e32 v9, 0x37800000, v8
	v_cndmask_b32_e32 v8, v8, v9, vcc
	v_cmp_class_f32_e32 vcc, v0, v1
	s_nop 1
	v_cndmask_b32_e32 v0, v8, v0, vcc
	s_mov_b64 vcc, s[2:3]
	s_cbranch_vccz .LBB399_6
; %bb.5:
	global_load_dword v8, v18, s[42:43]
	s_waitcnt vmcnt(0)
	v_add_f32_e32 v0, v0, v8
.LBB399_6:
	v_and_b32_e32 v4, 0xffff0000, v4
	v_mul_f32_e32 v8, 0x3fb8aa3b, v4
	v_exp_f32_e32 v8, v8
	s_nop 0
	v_add_f32_e32 v8, 1.0, v8
	v_cmp_gt_f32_e32 vcc, s12, v8
	s_nop 1
	v_cndmask_b32_e32 v2, 1.0, v2, vcc
	v_mul_f32_e32 v2, v8, v2
	v_log_f32_e32 v2, v2
	v_cndmask_b32_e32 v3, 0, v3, vcc
	v_mul_f32_e32 v8, 0x3f317217, v2
	v_fma_f32 v8, v2, s9, -v8
	v_fmac_f32_e32 v8, 0x3377d1cf, v2
	v_fmac_f32_e32 v8, 0x3f317217, v2
	v_cmp_lt_f32_e64 vcc, |v2|, s10
	s_nop 1
	v_cndmask_b32_e32 v2, v2, v8, vcc
	v_sub_f32_e32 v2, v2, v3
	v_cmp_lt_f32_e32 vcc, s8, v4
	s_nop 1
	v_cndmask_b32_e32 v2, v2, v4, vcc
	v_mul_f32_e32 v3, 0x4f800000, v2
	v_cmp_gt_f32_e32 vcc, s11, v2
	s_nop 1
	v_cndmask_b32_e32 v2, v2, v3, vcc
	v_sqrt_f32_e32 v3, v2
	v_cmp_class_f32_e64 s[4:5], v2, v1
	v_add_u32_e32 v4, -1, v3
	v_add_u32_e32 v8, 1, v3
	v_fma_f32 v9, -v4, v3, v2
	v_fma_f32 v10, -v8, v3, v2
	v_cmp_ge_f32_e64 s[2:3], 0, v9
	s_nop 1
	v_cndmask_b32_e64 v3, v3, v4, s[2:3]
	v_cmp_lt_f32_e64 s[2:3], 0, v10
	s_nop 1
	v_cndmask_b32_e64 v3, v3, v8, s[2:3]
	v_mul_f32_e32 v4, 0x37800000, v3
	v_cndmask_b32_e32 v3, v3, v4, vcc
	v_cndmask_b32_e64 v4, 0, 1, s[6:7]
	v_cmp_ne_u32_e64 s[2:3], 1, v4
	s_andn2_b64 vcc, exec, s[6:7]
	v_cndmask_b32_e64 v1, v3, v2, s[4:5]
	s_cbranch_vccnz .LBB399_8
; %bb.7:
	global_load_dword v2, v18, s[42:43] offset:4
	s_waitcnt vmcnt(0)
	v_add_f32_e32 v1, v1, v2
.LBB399_8:
	v_lshlrev_b32_e32 v2, 16, v5
	v_mul_f32_e32 v3, 0x3fb8aa3b, v2
	v_exp_f32_e32 v3, v3
	s_mov_b32 s10, 0x800000
	v_mov_b32_e32 v4, 0x4f800000
	s_mov_b32 s7, 0x3f317217
	v_add_f32_e32 v3, 1.0, v3
	v_cmp_gt_f32_e32 vcc, s10, v3
	s_mov_b32 s8, 0x7f800000
	s_mov_b32 s6, 0x41a00000
	v_cndmask_b32_e32 v8, 1.0, v4, vcc
	v_mul_f32_e32 v3, v3, v8
	v_log_f32_e32 v3, v3
	s_mov_b32 s9, 0xf800000
	v_mul_f32_e32 v8, 0x3f317217, v3
	v_fma_f32 v8, v3, s7, -v8
	v_fmac_f32_e32 v8, 0x3377d1cf, v3
	v_fmac_f32_e32 v8, 0x3f317217, v3
	v_cmp_lt_f32_e64 s[4:5], |v3|, s8
	s_nop 1
	v_cndmask_b32_e64 v3, v3, v8, s[4:5]
	v_mov_b32_e32 v8, 0x41b17218
	v_cndmask_b32_e32 v9, 0, v8, vcc
	v_sub_f32_e32 v3, v3, v9
	v_cmp_lt_f32_e32 vcc, s6, v2
	s_nop 1
	v_cndmask_b32_e32 v2, v3, v2, vcc
	v_mul_f32_e32 v3, 0x4f800000, v2
	v_cmp_gt_f32_e32 vcc, s9, v2
	s_nop 1
	v_cndmask_b32_e32 v2, v2, v3, vcc
	v_sqrt_f32_e32 v3, v2
	s_nop 0
	v_add_u32_e32 v9, -1, v3
	v_fma_f32 v10, -v9, v3, v2
	v_cmp_ge_f32_e64 s[4:5], 0, v10
	v_add_u32_e32 v10, 1, v3
	s_nop 0
	v_cndmask_b32_e64 v9, v3, v9, s[4:5]
	v_fma_f32 v3, -v10, v3, v2
	v_cmp_lt_f32_e64 s[4:5], 0, v3
	s_nop 1
	v_cndmask_b32_e64 v3, v9, v10, s[4:5]
	v_mul_f32_e32 v9, 0x37800000, v3
	v_cndmask_b32_e32 v9, v3, v9, vcc
	v_mov_b32_e32 v3, 0x260
	v_cmp_class_f32_e64 s[4:5], v2, v3
	s_and_b64 vcc, exec, s[2:3]
	s_nop 0
	v_cndmask_b32_e64 v2, v9, v2, s[4:5]
	s_cbranch_vccnz .LBB399_10
; %bb.9:
	global_load_dword v9, v18, s[42:43] offset:8
	s_waitcnt vmcnt(0)
	v_add_f32_e32 v2, v2, v9
.LBB399_10:
	v_and_b32_e32 v5, 0xffff0000, v5
	v_mul_f32_e32 v9, 0x3fb8aa3b, v5
	v_exp_f32_e32 v9, v9
	s_nop 0
	v_add_f32_e32 v9, 1.0, v9
	v_cmp_gt_f32_e32 vcc, s10, v9
	s_nop 1
	v_cndmask_b32_e32 v4, 1.0, v4, vcc
	v_mul_f32_e32 v4, v9, v4
	v_log_f32_e32 v4, v4
	v_cndmask_b32_e32 v8, 0, v8, vcc
	v_mul_f32_e32 v9, 0x3f317217, v4
	v_fma_f32 v9, v4, s7, -v9
	v_fmac_f32_e32 v9, 0x3377d1cf, v4
	v_fmac_f32_e32 v9, 0x3f317217, v4
	v_cmp_lt_f32_e64 vcc, |v4|, s8
	s_nop 1
	v_cndmask_b32_e32 v4, v4, v9, vcc
	v_sub_f32_e32 v4, v4, v8
	v_cmp_lt_f32_e32 vcc, s6, v5
	s_nop 1
	v_cndmask_b32_e32 v4, v4, v5, vcc
	v_mul_f32_e32 v5, 0x4f800000, v4
	v_cmp_gt_f32_e32 vcc, s9, v4
	s_nop 1
	v_cndmask_b32_e32 v4, v4, v5, vcc
	v_sqrt_f32_e32 v5, v4
	s_nop 0
	v_add_u32_e32 v8, -1, v5
	v_add_u32_e32 v9, 1, v5
	v_fma_f32 v10, -v8, v5, v4
	v_fma_f32 v11, -v9, v5, v4
	v_cmp_ge_f32_e64 s[4:5], 0, v10
	s_nop 1
	v_cndmask_b32_e64 v5, v5, v8, s[4:5]
	v_cmp_lt_f32_e64 s[4:5], 0, v11
	s_nop 1
	v_cndmask_b32_e64 v5, v5, v9, s[4:5]
	v_mul_f32_e32 v8, 0x37800000, v5
	v_cndmask_b32_e32 v5, v5, v8, vcc
	v_cmp_class_f32_e64 s[4:5], v4, v3
	s_and_b64 vcc, exec, s[2:3]
	s_nop 0
	v_cndmask_b32_e64 v3, v5, v4, s[4:5]
	s_cbranch_vccnz .LBB399_12
; %bb.11:
	global_load_dword v4, v18, s[42:43] offset:12
	s_waitcnt vmcnt(0)
	v_add_f32_e32 v3, v3, v4
.LBB399_12:
	v_lshlrev_b32_e32 v4, 16, v6
	v_mul_f32_e32 v5, 0x3fb8aa3b, v4
	v_exp_f32_e32 v5, v5
	v_mov_b32_e32 v8, 0x4f800000
	v_add_f32_e32 v5, 1.0, v5
	v_cmp_gt_f32_e32 vcc, s10, v5
	s_nop 1
	v_cndmask_b32_e32 v9, 1.0, v8, vcc
	v_mul_f32_e32 v5, v5, v9
	v_log_f32_e32 v5, v5
	s_nop 0
	v_mul_f32_e32 v9, 0x3f317217, v5
	v_fma_f32 v9, v5, s7, -v9
	v_fmac_f32_e32 v9, 0x3377d1cf, v5
	v_fmac_f32_e32 v9, 0x3f317217, v5
	v_cmp_lt_f32_e64 s[4:5], |v5|, s8
	s_nop 1
	v_cndmask_b32_e64 v5, v5, v9, s[4:5]
	v_mov_b32_e32 v9, 0x41b17218
	v_cndmask_b32_e32 v10, 0, v9, vcc
	v_sub_f32_e32 v5, v5, v10
	v_cmp_lt_f32_e32 vcc, s6, v4
	s_nop 1
	v_cndmask_b32_e32 v4, v5, v4, vcc
	v_mul_f32_e32 v5, 0x4f800000, v4
	v_cmp_gt_f32_e32 vcc, s9, v4
	s_nop 1
	v_cndmask_b32_e32 v4, v4, v5, vcc
	v_sqrt_f32_e32 v5, v4
	s_nop 0
	v_add_u32_e32 v10, -1, v5
	v_fma_f32 v11, -v10, v5, v4
	v_cmp_ge_f32_e64 s[4:5], 0, v11
	v_add_u32_e32 v11, 1, v5
	s_nop 0
	v_cndmask_b32_e64 v10, v5, v10, s[4:5]
	v_fma_f32 v5, -v11, v5, v4
	v_cmp_lt_f32_e64 s[4:5], 0, v5
	s_nop 1
	v_cndmask_b32_e64 v5, v10, v11, s[4:5]
	v_mul_f32_e32 v10, 0x37800000, v5
	v_cndmask_b32_e32 v10, v5, v10, vcc
	v_mov_b32_e32 v5, 0x260
	v_cmp_class_f32_e64 s[4:5], v4, v5
	s_and_b64 vcc, exec, s[2:3]
	s_nop 0
	v_cndmask_b32_e64 v4, v10, v4, s[4:5]
	s_cbranch_vccnz .LBB399_14
; %bb.13:
	global_load_dword v10, v18, s[42:43] offset:16
	s_waitcnt vmcnt(0)
	v_add_f32_e32 v4, v4, v10
.LBB399_14:
	v_and_b32_e32 v6, 0xffff0000, v6
	v_mul_f32_e32 v10, 0x3fb8aa3b, v6
	v_exp_f32_e32 v10, v10
	s_nop 0
	v_add_f32_e32 v10, 1.0, v10
	v_cmp_gt_f32_e32 vcc, s10, v10
	s_nop 1
	v_cndmask_b32_e32 v8, 1.0, v8, vcc
	v_mul_f32_e32 v8, v10, v8
	v_log_f32_e32 v8, v8
	v_cndmask_b32_e32 v9, 0, v9, vcc
	v_mul_f32_e32 v10, 0x3f317217, v8
	v_fma_f32 v10, v8, s7, -v10
	v_fmac_f32_e32 v10, 0x3377d1cf, v8
	v_fmac_f32_e32 v10, 0x3f317217, v8
	v_cmp_lt_f32_e64 vcc, |v8|, s8
	s_nop 1
	v_cndmask_b32_e32 v8, v8, v10, vcc
	v_sub_f32_e32 v8, v8, v9
	v_cmp_lt_f32_e32 vcc, s6, v6
	s_nop 1
	v_cndmask_b32_e32 v6, v8, v6, vcc
	v_mul_f32_e32 v8, 0x4f800000, v6
	v_cmp_gt_f32_e32 vcc, s9, v6
	s_nop 1
	v_cndmask_b32_e32 v6, v6, v8, vcc
	v_sqrt_f32_e32 v8, v6
	s_nop 0
	v_add_u32_e32 v9, -1, v8
	v_add_u32_e32 v10, 1, v8
	v_fma_f32 v11, -v9, v8, v6
	v_fma_f32 v19, -v10, v8, v6
	v_cmp_ge_f32_e64 s[4:5], 0, v11
	s_nop 1
	v_cndmask_b32_e64 v8, v8, v9, s[4:5]
	v_cmp_lt_f32_e64 s[4:5], 0, v19
	s_nop 1
	v_cndmask_b32_e64 v8, v8, v10, s[4:5]
	v_mul_f32_e32 v9, 0x37800000, v8
	v_cndmask_b32_e32 v8, v8, v9, vcc
	v_cmp_class_f32_e64 s[4:5], v6, v5
	s_and_b64 vcc, exec, s[2:3]
	s_nop 0
	v_cndmask_b32_e64 v5, v8, v6, s[4:5]
	s_cbranch_vccnz .LBB399_16
; %bb.15:
	global_load_dword v6, v18, s[42:43] offset:20
	s_waitcnt vmcnt(0)
	v_add_f32_e32 v5, v5, v6
.LBB399_16:
	v_lshlrev_b32_e32 v6, 16, v7
	v_mul_f32_e32 v8, 0x3fb8aa3b, v6
	v_exp_f32_e32 v8, v8
	v_mov_b32_e32 v9, 0x4f800000
	v_add_f32_e32 v8, 1.0, v8
	v_cmp_gt_f32_e32 vcc, s10, v8
	s_nop 1
	v_cndmask_b32_e32 v10, 1.0, v9, vcc
	v_mul_f32_e32 v8, v8, v10
	v_log_f32_e32 v8, v8
	s_nop 0
	v_mul_f32_e32 v10, 0x3f317217, v8
	v_fma_f32 v10, v8, s7, -v10
	v_fmac_f32_e32 v10, 0x3377d1cf, v8
	v_fmac_f32_e32 v10, 0x3f317217, v8
	v_cmp_lt_f32_e64 s[4:5], |v8|, s8
	s_nop 1
	v_cndmask_b32_e64 v8, v8, v10, s[4:5]
	v_mov_b32_e32 v10, 0x41b17218
	v_cndmask_b32_e32 v11, 0, v10, vcc
	v_sub_f32_e32 v8, v8, v11
	v_cmp_lt_f32_e32 vcc, s6, v6
	s_nop 1
	v_cndmask_b32_e32 v6, v8, v6, vcc
	v_mul_f32_e32 v8, 0x4f800000, v6
	v_cmp_gt_f32_e32 vcc, s9, v6
	s_nop 1
	v_cndmask_b32_e32 v6, v6, v8, vcc
	v_sqrt_f32_e32 v8, v6
	s_nop 0
	v_add_u32_e32 v11, -1, v8
	v_fma_f32 v19, -v11, v8, v6
	v_cmp_ge_f32_e64 s[4:5], 0, v19
	v_add_u32_e32 v19, 1, v8
	s_nop 0
	v_cndmask_b32_e64 v11, v8, v11, s[4:5]
	v_fma_f32 v8, -v19, v8, v6
	v_cmp_lt_f32_e64 s[4:5], 0, v8
	s_nop 1
	v_cndmask_b32_e64 v8, v11, v19, s[4:5]
	v_mul_f32_e32 v11, 0x37800000, v8
	v_cndmask_b32_e32 v11, v8, v11, vcc
	v_mov_b32_e32 v8, 0x260
	v_cmp_class_f32_e64 s[4:5], v6, v8
	s_and_b64 vcc, exec, s[2:3]
	s_nop 0
	v_cndmask_b32_e64 v6, v11, v6, s[4:5]
	s_cbranch_vccnz .LBB399_18
; %bb.17:
	global_load_dword v11, v18, s[42:43] offset:24
	s_waitcnt vmcnt(0)
	v_add_f32_e32 v6, v6, v11
.LBB399_18:
	v_and_b32_e32 v7, 0xffff0000, v7
	v_mul_f32_e32 v11, 0x3fb8aa3b, v7
	v_exp_f32_e32 v11, v11
	s_nop 0
	v_add_f32_e32 v11, 1.0, v11
	v_cmp_gt_f32_e32 vcc, s10, v11
	s_nop 1
	v_cndmask_b32_e32 v9, 1.0, v9, vcc
	v_mul_f32_e32 v9, v11, v9
	v_log_f32_e32 v9, v9
	v_cndmask_b32_e32 v10, 0, v10, vcc
	v_mul_f32_e32 v11, 0x3f317217, v9
	v_fma_f32 v11, v9, s7, -v11
	v_fmac_f32_e32 v11, 0x3377d1cf, v9
	v_fmac_f32_e32 v11, 0x3f317217, v9
	v_cmp_lt_f32_e64 vcc, |v9|, s8
	s_nop 1
	v_cndmask_b32_e32 v9, v9, v11, vcc
	v_sub_f32_e32 v9, v9, v10
	v_cmp_lt_f32_e32 vcc, s6, v7
	s_nop 1
	v_cndmask_b32_e32 v7, v9, v7, vcc
	v_mul_f32_e32 v9, 0x4f800000, v7
	v_cmp_gt_f32_e32 vcc, s9, v7
	s_nop 1
	v_cndmask_b32_e32 v7, v7, v9, vcc
	v_sqrt_f32_e32 v9, v7
	s_nop 0
	v_add_u32_e32 v10, -1, v9
	v_add_u32_e32 v11, 1, v9
	v_fma_f32 v19, -v10, v9, v7
	v_fma_f32 v21, -v11, v9, v7
	v_cmp_ge_f32_e64 s[4:5], 0, v19
	s_nop 1
	v_cndmask_b32_e64 v9, v9, v10, s[4:5]
	v_cmp_lt_f32_e64 s[4:5], 0, v21
	s_nop 1
	v_cndmask_b32_e64 v9, v9, v11, s[4:5]
	v_mul_f32_e32 v10, 0x37800000, v9
	v_cndmask_b32_e32 v9, v9, v10, vcc
	v_cmp_class_f32_e64 s[4:5], v7, v8
	s_and_b64 vcc, exec, s[2:3]
	s_nop 0
	v_cndmask_b32_e64 v7, v9, v7, s[4:5]
	s_cbranch_vccnz .LBB399_20
; %bb.19:
	global_load_dword v8, v18, s[42:43] offset:28
	s_waitcnt vmcnt(0)
	v_add_f32_e32 v7, v7, v8
.LBB399_20:
	s_waitcnt vmcnt(0)
	v_lshlrev_b32_e32 v8, 16, v12
	v_mul_f32_e32 v9, 0x3fb8aa3b, v8
	v_exp_f32_e32 v9, v9
	v_mov_b32_e32 v10, 0x4f800000
	v_add_f32_e32 v9, 1.0, v9
	v_cmp_gt_f32_e32 vcc, s10, v9
	s_nop 1
	v_cndmask_b32_e32 v11, 1.0, v10, vcc
	v_mul_f32_e32 v9, v9, v11
	v_log_f32_e32 v9, v9
	s_nop 0
	v_mul_f32_e32 v11, 0x3f317217, v9
	v_fma_f32 v11, v9, s7, -v11
	v_fmac_f32_e32 v11, 0x3377d1cf, v9
	v_fmac_f32_e32 v11, 0x3f317217, v9
	v_cmp_lt_f32_e64 s[4:5], |v9|, s8
	s_nop 1
	v_cndmask_b32_e64 v9, v9, v11, s[4:5]
	v_mov_b32_e32 v11, 0x41b17218
	v_cndmask_b32_e32 v19, 0, v11, vcc
	v_sub_f32_e32 v9, v9, v19
	v_cmp_lt_f32_e32 vcc, s6, v8
	s_nop 1
	v_cndmask_b32_e32 v8, v9, v8, vcc
	v_mul_f32_e32 v9, 0x4f800000, v8
	v_cmp_gt_f32_e32 vcc, s9, v8
	s_nop 1
	v_cndmask_b32_e32 v8, v8, v9, vcc
	v_sqrt_f32_e32 v9, v8
	s_nop 0
	v_add_u32_e32 v19, -1, v9
	v_fma_f32 v21, -v19, v9, v8
	v_cmp_ge_f32_e64 s[4:5], 0, v21
	v_add_u32_e32 v21, 1, v9
	s_nop 0
	v_cndmask_b32_e64 v19, v9, v19, s[4:5]
	v_fma_f32 v9, -v21, v9, v8
	v_cmp_lt_f32_e64 s[4:5], 0, v9
	s_nop 1
	v_cndmask_b32_e64 v9, v19, v21, s[4:5]
	v_mul_f32_e32 v19, 0x37800000, v9
	v_cndmask_b32_e32 v19, v9, v19, vcc
	v_mov_b32_e32 v9, 0x260
	v_cmp_class_f32_e64 s[4:5], v8, v9
	s_and_b64 vcc, exec, s[2:3]
	s_nop 0
	v_cndmask_b32_e64 v8, v19, v8, s[4:5]
	s_cbranch_vccnz .LBB399_22
; %bb.21:
	global_load_dword v19, v18, s[42:43] offset:1024
	s_waitcnt vmcnt(0)
	v_add_f32_e32 v8, v8, v19
.LBB399_22:
	v_and_b32_e32 v12, 0xffff0000, v12
	v_mul_f32_e32 v19, 0x3fb8aa3b, v12
	v_exp_f32_e32 v19, v19
	s_nop 0
	v_add_f32_e32 v19, 1.0, v19
	v_cmp_gt_f32_e32 vcc, s10, v19
	s_nop 1
	v_cndmask_b32_e32 v10, 1.0, v10, vcc
	v_mul_f32_e32 v10, v19, v10
	v_log_f32_e32 v10, v10
	v_cndmask_b32_e32 v11, 0, v11, vcc
	v_mul_f32_e32 v19, 0x3f317217, v10
	v_fma_f32 v19, v10, s7, -v19
	v_fmac_f32_e32 v19, 0x3377d1cf, v10
	v_fmac_f32_e32 v19, 0x3f317217, v10
	v_cmp_lt_f32_e64 vcc, |v10|, s8
	s_nop 1
	v_cndmask_b32_e32 v10, v10, v19, vcc
	v_sub_f32_e32 v10, v10, v11
	v_cmp_lt_f32_e32 vcc, s6, v12
	s_nop 1
	v_cndmask_b32_e32 v10, v10, v12, vcc
	v_mul_f32_e32 v11, 0x4f800000, v10
	v_cmp_gt_f32_e32 vcc, s9, v10
	s_nop 1
	v_cndmask_b32_e32 v10, v10, v11, vcc
	v_sqrt_f32_e32 v11, v10
	s_nop 0
	v_add_u32_e32 v12, -1, v11
	v_add_u32_e32 v19, 1, v11
	v_fma_f32 v21, -v12, v11, v10
	v_fma_f32 v22, -v19, v11, v10
	v_cmp_ge_f32_e64 s[4:5], 0, v21
	s_nop 1
	v_cndmask_b32_e64 v11, v11, v12, s[4:5]
	v_cmp_lt_f32_e64 s[4:5], 0, v22
	s_nop 1
	v_cndmask_b32_e64 v11, v11, v19, s[4:5]
	v_mul_f32_e32 v12, 0x37800000, v11
	v_cndmask_b32_e32 v11, v11, v12, vcc
	v_cmp_class_f32_e64 s[4:5], v10, v9
	s_and_b64 vcc, exec, s[2:3]
	s_nop 0
	v_cndmask_b32_e64 v9, v11, v10, s[4:5]
	s_cbranch_vccnz .LBB399_24
; %bb.23:
	global_load_dword v10, v18, s[42:43] offset:1028
	s_waitcnt vmcnt(0)
	v_add_f32_e32 v9, v9, v10
.LBB399_24:
	v_lshlrev_b32_e32 v10, 16, v13
	v_mul_f32_e32 v11, 0x3fb8aa3b, v10
	v_exp_f32_e32 v11, v11
	v_mov_b32_e32 v12, 0x4f800000
	v_add_f32_e32 v11, 1.0, v11
	v_cmp_gt_f32_e32 vcc, s10, v11
	s_nop 1
	v_cndmask_b32_e32 v19, 1.0, v12, vcc
	v_mul_f32_e32 v11, v11, v19
	v_log_f32_e32 v11, v11
	s_nop 0
	v_mul_f32_e32 v19, 0x3f317217, v11
	v_fma_f32 v19, v11, s7, -v19
	v_fmac_f32_e32 v19, 0x3377d1cf, v11
	v_fmac_f32_e32 v19, 0x3f317217, v11
	v_cmp_lt_f32_e64 s[4:5], |v11|, s8
	s_nop 1
	v_cndmask_b32_e64 v11, v11, v19, s[4:5]
	v_mov_b32_e32 v19, 0x41b17218
	v_cndmask_b32_e32 v21, 0, v19, vcc
	v_sub_f32_e32 v11, v11, v21
	v_cmp_lt_f32_e32 vcc, s6, v10
	s_nop 1
	v_cndmask_b32_e32 v10, v11, v10, vcc
	v_mul_f32_e32 v11, 0x4f800000, v10
	v_cmp_gt_f32_e32 vcc, s9, v10
	s_nop 1
	v_cndmask_b32_e32 v10, v10, v11, vcc
	v_sqrt_f32_e32 v11, v10
	s_nop 0
	v_add_u32_e32 v21, -1, v11
	v_fma_f32 v22, -v21, v11, v10
	v_cmp_ge_f32_e64 s[4:5], 0, v22
	v_add_u32_e32 v22, 1, v11
	s_nop 0
	v_cndmask_b32_e64 v21, v11, v21, s[4:5]
	v_fma_f32 v11, -v22, v11, v10
	v_cmp_lt_f32_e64 s[4:5], 0, v11
	s_nop 1
	v_cndmask_b32_e64 v11, v21, v22, s[4:5]
	v_mul_f32_e32 v21, 0x37800000, v11
	v_cndmask_b32_e32 v21, v11, v21, vcc
	v_mov_b32_e32 v11, 0x260
	v_cmp_class_f32_e64 s[4:5], v10, v11
	s_and_b64 vcc, exec, s[2:3]
	s_nop 0
	v_cndmask_b32_e64 v10, v21, v10, s[4:5]
	s_cbranch_vccnz .LBB399_26
; %bb.25:
	global_load_dword v21, v18, s[42:43] offset:1032
	s_waitcnt vmcnt(0)
	v_add_f32_e32 v10, v10, v21
.LBB399_26:
	v_and_b32_e32 v13, 0xffff0000, v13
	v_mul_f32_e32 v21, 0x3fb8aa3b, v13
	v_exp_f32_e32 v21, v21
	s_nop 0
	v_add_f32_e32 v21, 1.0, v21
	v_cmp_gt_f32_e32 vcc, s10, v21
	s_nop 1
	v_cndmask_b32_e32 v12, 1.0, v12, vcc
	v_mul_f32_e32 v12, v21, v12
	v_log_f32_e32 v12, v12
	v_cndmask_b32_e32 v19, 0, v19, vcc
	v_mul_f32_e32 v21, 0x3f317217, v12
	v_fma_f32 v21, v12, s7, -v21
	v_fmac_f32_e32 v21, 0x3377d1cf, v12
	v_fmac_f32_e32 v21, 0x3f317217, v12
	v_cmp_lt_f32_e64 vcc, |v12|, s8
	s_nop 1
	v_cndmask_b32_e32 v12, v12, v21, vcc
	v_sub_f32_e32 v12, v12, v19
	v_cmp_lt_f32_e32 vcc, s6, v13
	s_nop 1
	v_cndmask_b32_e32 v12, v12, v13, vcc
	v_mul_f32_e32 v13, 0x4f800000, v12
	v_cmp_gt_f32_e32 vcc, s9, v12
	s_nop 1
	v_cndmask_b32_e32 v12, v12, v13, vcc
	v_sqrt_f32_e32 v13, v12
	s_nop 0
	v_add_u32_e32 v19, -1, v13
	v_add_u32_e32 v21, 1, v13
	v_fma_f32 v22, -v19, v13, v12
	v_fma_f32 v23, -v21, v13, v12
	v_cmp_ge_f32_e64 s[4:5], 0, v22
	s_nop 1
	v_cndmask_b32_e64 v13, v13, v19, s[4:5]
	v_cmp_lt_f32_e64 s[4:5], 0, v23
	s_nop 1
	v_cndmask_b32_e64 v13, v13, v21, s[4:5]
	v_mul_f32_e32 v19, 0x37800000, v13
	v_cndmask_b32_e32 v13, v13, v19, vcc
	v_cmp_class_f32_e64 s[4:5], v12, v11
	s_and_b64 vcc, exec, s[2:3]
	s_nop 0
	v_cndmask_b32_e64 v11, v13, v12, s[4:5]
	s_cbranch_vccnz .LBB399_28
; %bb.27:
	global_load_dword v12, v18, s[42:43] offset:1036
	s_waitcnt vmcnt(0)
	v_add_f32_e32 v11, v11, v12
.LBB399_28:
	v_lshlrev_b32_e32 v12, 16, v14
	v_mul_f32_e32 v13, 0x3fb8aa3b, v12
	v_exp_f32_e32 v13, v13
	v_mov_b32_e32 v19, 0x4f800000
	v_add_f32_e32 v13, 1.0, v13
	v_cmp_gt_f32_e32 vcc, s10, v13
	s_nop 1
	v_cndmask_b32_e32 v21, 1.0, v19, vcc
	v_mul_f32_e32 v13, v13, v21
	v_log_f32_e32 v13, v13
	s_nop 0
	v_mul_f32_e32 v21, 0x3f317217, v13
	v_fma_f32 v21, v13, s7, -v21
	v_fmac_f32_e32 v21, 0x3377d1cf, v13
	v_fmac_f32_e32 v21, 0x3f317217, v13
	v_cmp_lt_f32_e64 s[4:5], |v13|, s8
	s_nop 1
	v_cndmask_b32_e64 v13, v13, v21, s[4:5]
	v_mov_b32_e32 v21, 0x41b17218
	v_cndmask_b32_e32 v22, 0, v21, vcc
	v_sub_f32_e32 v13, v13, v22
	v_cmp_lt_f32_e32 vcc, s6, v12
	s_nop 1
	v_cndmask_b32_e32 v12, v13, v12, vcc
	v_mul_f32_e32 v13, 0x4f800000, v12
	v_cmp_gt_f32_e32 vcc, s9, v12
	s_nop 1
	v_cndmask_b32_e32 v12, v12, v13, vcc
	v_sqrt_f32_e32 v13, v12
	s_nop 0
	v_add_u32_e32 v22, -1, v13
	v_fma_f32 v23, -v22, v13, v12
	v_cmp_ge_f32_e64 s[4:5], 0, v23
	v_add_u32_e32 v23, 1, v13
	s_nop 0
	v_cndmask_b32_e64 v22, v13, v22, s[4:5]
	v_fma_f32 v13, -v23, v13, v12
	v_cmp_lt_f32_e64 s[4:5], 0, v13
	s_nop 1
	v_cndmask_b32_e64 v13, v22, v23, s[4:5]
	v_mul_f32_e32 v22, 0x37800000, v13
	v_cndmask_b32_e32 v22, v13, v22, vcc
	v_mov_b32_e32 v13, 0x260
	v_cmp_class_f32_e64 s[4:5], v12, v13
	s_and_b64 vcc, exec, s[2:3]
	s_nop 0
	v_cndmask_b32_e64 v12, v22, v12, s[4:5]
	s_cbranch_vccnz .LBB399_30
; %bb.29:
	global_load_dword v22, v18, s[42:43] offset:1040
	s_waitcnt vmcnt(0)
	v_add_f32_e32 v12, v12, v22
.LBB399_30:
	v_and_b32_e32 v14, 0xffff0000, v14
	v_mul_f32_e32 v22, 0x3fb8aa3b, v14
	v_exp_f32_e32 v22, v22
	s_nop 0
	v_add_f32_e32 v22, 1.0, v22
	v_cmp_gt_f32_e32 vcc, s10, v22
	s_nop 1
	v_cndmask_b32_e32 v19, 1.0, v19, vcc
	v_mul_f32_e32 v19, v22, v19
	v_log_f32_e32 v19, v19
	v_cndmask_b32_e32 v21, 0, v21, vcc
	v_mul_f32_e32 v22, 0x3f317217, v19
	v_fma_f32 v22, v19, s7, -v22
	v_fmac_f32_e32 v22, 0x3377d1cf, v19
	v_fmac_f32_e32 v22, 0x3f317217, v19
	v_cmp_lt_f32_e64 vcc, |v19|, s8
	s_nop 1
	v_cndmask_b32_e32 v19, v19, v22, vcc
	v_sub_f32_e32 v19, v19, v21
	v_cmp_lt_f32_e32 vcc, s6, v14
	s_nop 1
	v_cndmask_b32_e32 v14, v19, v14, vcc
	v_mul_f32_e32 v19, 0x4f800000, v14
	v_cmp_gt_f32_e32 vcc, s9, v14
	s_nop 1
	v_cndmask_b32_e32 v14, v14, v19, vcc
	v_sqrt_f32_e32 v19, v14
	s_nop 0
	v_add_u32_e32 v21, -1, v19
	v_add_u32_e32 v22, 1, v19
	v_fma_f32 v23, -v21, v19, v14
	v_fma_f32 v24, -v22, v19, v14
	v_cmp_ge_f32_e64 s[4:5], 0, v23
	s_nop 1
	v_cndmask_b32_e64 v19, v19, v21, s[4:5]
	v_cmp_lt_f32_e64 s[4:5], 0, v24
	s_nop 1
	v_cndmask_b32_e64 v19, v19, v22, s[4:5]
	v_mul_f32_e32 v21, 0x37800000, v19
	v_cndmask_b32_e32 v19, v19, v21, vcc
	v_cmp_class_f32_e64 s[4:5], v14, v13
	s_and_b64 vcc, exec, s[2:3]
	s_nop 0
	v_cndmask_b32_e64 v13, v19, v14, s[4:5]
	s_cbranch_vccnz .LBB399_32
; %bb.31:
	global_load_dword v14, v18, s[42:43] offset:1044
	s_waitcnt vmcnt(0)
	v_add_f32_e32 v13, v13, v14
.LBB399_32:
	v_lshlrev_b32_e32 v14, 16, v15
	v_mul_f32_e32 v19, 0x3fb8aa3b, v14
	v_exp_f32_e32 v19, v19
	v_mov_b32_e32 v21, 0x4f800000
	v_add_f32_e32 v19, 1.0, v19
	v_cmp_gt_f32_e32 vcc, s10, v19
	s_nop 1
	v_cndmask_b32_e32 v22, 1.0, v21, vcc
	v_mul_f32_e32 v19, v19, v22
	v_log_f32_e32 v19, v19
	s_nop 0
	v_mul_f32_e32 v22, 0x3f317217, v19
	v_fma_f32 v22, v19, s7, -v22
	v_fmac_f32_e32 v22, 0x3377d1cf, v19
	v_fmac_f32_e32 v22, 0x3f317217, v19
	v_cmp_lt_f32_e64 s[4:5], |v19|, s8
	s_nop 1
	v_cndmask_b32_e64 v19, v19, v22, s[4:5]
	v_mov_b32_e32 v22, 0x41b17218
	v_cndmask_b32_e32 v23, 0, v22, vcc
	v_sub_f32_e32 v19, v19, v23
	v_cmp_lt_f32_e32 vcc, s6, v14
	s_nop 1
	v_cndmask_b32_e32 v14, v19, v14, vcc
	v_mul_f32_e32 v19, 0x4f800000, v14
	v_cmp_gt_f32_e32 vcc, s9, v14
	s_nop 1
	v_cndmask_b32_e32 v14, v14, v19, vcc
	v_sqrt_f32_e32 v19, v14
	s_nop 0
	v_add_u32_e32 v23, -1, v19
	v_fma_f32 v24, -v23, v19, v14
	v_cmp_ge_f32_e64 s[4:5], 0, v24
	v_add_u32_e32 v24, 1, v19
	s_nop 0
	v_cndmask_b32_e64 v23, v19, v23, s[4:5]
	v_fma_f32 v19, -v24, v19, v14
	v_cmp_lt_f32_e64 s[4:5], 0, v19
	s_nop 1
	v_cndmask_b32_e64 v19, v23, v24, s[4:5]
	v_mul_f32_e32 v23, 0x37800000, v19
	v_cndmask_b32_e32 v23, v19, v23, vcc
	v_mov_b32_e32 v19, 0x260
	v_cmp_class_f32_e64 s[4:5], v14, v19
	s_and_b64 vcc, exec, s[2:3]
	s_nop 0
	v_cndmask_b32_e64 v14, v23, v14, s[4:5]
	s_cbranch_vccnz .LBB399_34
; %bb.33:
	global_load_dword v23, v18, s[42:43] offset:1048
	s_waitcnt vmcnt(0)
	v_add_f32_e32 v14, v14, v23
.LBB399_34:
	v_and_b32_e32 v15, 0xffff0000, v15
	v_mul_f32_e32 v23, 0x3fb8aa3b, v15
	v_exp_f32_e32 v23, v23
	s_nop 0
	v_add_f32_e32 v23, 1.0, v23
	v_cmp_gt_f32_e32 vcc, s10, v23
	s_nop 1
	v_cndmask_b32_e32 v21, 1.0, v21, vcc
	v_mul_f32_e32 v21, v23, v21
	v_log_f32_e32 v21, v21
	v_cndmask_b32_e32 v22, 0, v22, vcc
	v_mul_f32_e32 v23, 0x3f317217, v21
	v_fma_f32 v23, v21, s7, -v23
	v_fmac_f32_e32 v23, 0x3377d1cf, v21
	v_fmac_f32_e32 v23, 0x3f317217, v21
	v_cmp_lt_f32_e64 vcc, |v21|, s8
	s_nop 1
	v_cndmask_b32_e32 v21, v21, v23, vcc
	v_sub_f32_e32 v21, v21, v22
	v_cmp_lt_f32_e32 vcc, s6, v15
	s_nop 1
	v_cndmask_b32_e32 v15, v21, v15, vcc
	v_mul_f32_e32 v21, 0x4f800000, v15
	v_cmp_gt_f32_e32 vcc, s9, v15
	s_nop 1
	v_cndmask_b32_e32 v15, v15, v21, vcc
	v_sqrt_f32_e32 v21, v15
	s_nop 0
	v_add_u32_e32 v22, -1, v21
	v_add_u32_e32 v23, 1, v21
	v_fma_f32 v24, -v22, v21, v15
	v_fma_f32 v25, -v23, v21, v15
	v_cmp_ge_f32_e64 s[4:5], 0, v24
	s_nop 1
	v_cndmask_b32_e64 v21, v21, v22, s[4:5]
	v_cmp_lt_f32_e64 s[4:5], 0, v25
	s_nop 1
	v_cndmask_b32_e64 v21, v21, v23, s[4:5]
	v_mul_f32_e32 v22, 0x37800000, v21
	v_cndmask_b32_e32 v21, v21, v22, vcc
	v_cmp_class_f32_e64 s[4:5], v15, v19
	s_and_b64 vcc, exec, s[2:3]
	s_nop 0
	v_cndmask_b32_e64 v15, v21, v15, s[4:5]
	s_cbranch_vccnz .LBB399_36
; %bb.35:
	global_load_dword v18, v18, s[42:43] offset:1052
	s_waitcnt vmcnt(0)
	v_add_f32_e32 v15, v15, v18
.LBB399_36:
	s_load_dwordx4 s[44:47], s[0:1], 0x30
	s_mov_b32 s58, 0
	v_cmp_eq_u32_e64 s[6:7], 0, v17
	s_waitcnt lgkmcnt(0)
	s_bitcmp1_b32 s47, 0
	s_cselect_b64 s[4:5], -1, 0
	s_cmp_gt_i32 s44, 0
	s_cselect_b64 s[54:55], -1, 0
	s_and_b64 vcc, exec, s[54:55]
	s_cbranch_vccz .LBB399_67
; %bb.37:
	v_mbcnt_lo_u32_b32 v18, -1, 0
	v_mbcnt_hi_u32_b32 v18, -1, v18
	v_and_b32_e32 v19, 0x60, v18
	v_add_u32_e32 v19, 32, v19
	v_xor_b32_e32 v21, 16, v18
	v_cmp_lt_i32_e32 vcc, v21, v19
	s_load_dwordx4 s[48:51], s[0:1], 0x20
	v_mul_lo_u32 v22, v16, s44
	v_cndmask_b32_e32 v21, v18, v21, vcc
	v_lshlrev_b32_e32 v23, 2, v21
	v_xor_b32_e32 v21, 8, v18
	v_cmp_lt_i32_e32 vcc, v21, v19
	v_mov_b32_e32 v28, 0x100
	v_mov_b32_e32 v29, 0x101
	v_cndmask_b32_e32 v21, v18, v21, vcc
	v_lshlrev_b32_e32 v24, 2, v21
	v_xor_b32_e32 v21, 4, v18
	v_cmp_lt_i32_e32 vcc, v21, v19
	v_bfrev_b32_e32 v30, 4.0
	v_bfrev_b32_e32 v31, -4.0
	v_cndmask_b32_e32 v21, v18, v21, vcc
	v_lshlrev_b32_e32 v25, 2, v21
	v_xor_b32_e32 v21, 2, v18
	v_cmp_lt_i32_e32 vcc, v21, v19
	v_mov_b32_e32 v32, 0x104
	v_mov_b32_e32 v33, 0x105
	v_cndmask_b32_e32 v21, v18, v21, vcc
	v_lshlrev_b32_e32 v26, 2, v21
	v_xor_b32_e32 v21, 1, v18
	v_cmp_lt_i32_e32 vcc, v21, v19
	v_mov_b32_e32 v34, 0x106
	v_mov_b32_e32 v35, 0x107
	v_cndmask_b32_e32 v18, v18, v21, vcc
	v_lshlrev_b32_e32 v27, 2, v18
	v_mov_b32_e32 v21, 0
	v_mov_b32_e32 v36, 0x200
	;; [unrolled: 1-line block ×4, first 2 shown]
	s_branch .LBB399_40
.LBB399_38:                             ;   in Loop: Header=BB399_40 Depth=1
	s_or_b64 exec, exec, s[56:57]
.LBB399_39:                             ;   in Loop: Header=BB399_40 Depth=1
	s_cmp_eq_u32 s44, s58
	v_add_u32_e32 v38, s33, v38
	s_cbranch_scc1 .LBB399_68
.LBB399_40:                             ; =>This Inner Loop Header: Depth=1
	v_cmp_gt_f32_e32 vcc, v1, v0
	s_nop 1
	v_cndmask_b32_e32 v19, v0, v1, vcc
	v_cndmask_b32_e64 v18, 0, 1, vcc
	v_cmp_gt_f32_e32 vcc, v2, v19
	s_nop 1
	v_cndmask_b32_e32 v19, v19, v2, vcc
	v_cndmask_b32_e64 v18, v18, 2, vcc
	;; [unrolled: 4-line block ×7, first 2 shown]
	v_cmp_gt_f32_e32 vcc, v8, v19
	s_nop 1
	v_cndmask_b32_e32 v19, v19, v8, vcc
	v_cndmask_b32_e32 v18, v18, v28, vcc
	v_cmp_gt_f32_e32 vcc, v9, v19
	s_nop 1
	v_cndmask_b32_e32 v19, v19, v9, vcc
	v_cndmask_b32_e32 v18, v18, v29, vcc
	;; [unrolled: 4-line block ×8, first 2 shown]
	ds_bpermute_b32 v19, v23, v39
	v_or_b32_e32 v18, v20, v18
	s_waitcnt lgkmcnt(0)
	ds_bpermute_b32 v40, v23, v18
	s_waitcnt lgkmcnt(0)
	v_cmp_lt_f32_e64 s[8:9], v39, v19
	v_cmp_nlt_f32_e32 vcc, v39, v19
	s_and_saveexec_b64 s[10:11], vcc
; %bb.41:                               ;   in Loop: Header=BB399_40 Depth=1
	v_cmp_eq_f32_e32 vcc, v39, v19
	v_cmp_lt_i32_e64 s[0:1], v40, v18
	s_and_b64 s[0:1], vcc, s[0:1]
	s_andn2_b64 s[8:9], s[8:9], exec
	s_and_b64 s[0:1], s[0:1], exec
	s_or_b64 s[8:9], s[8:9], s[0:1]
; %bb.42:                               ;   in Loop: Header=BB399_40 Depth=1
	s_or_b64 exec, exec, s[10:11]
	s_and_saveexec_b64 s[0:1], s[8:9]
; %bb.43:                               ;   in Loop: Header=BB399_40 Depth=1
	v_mov_b32_e32 v39, v19
	v_mov_b32_e32 v18, v40
; %bb.44:                               ;   in Loop: Header=BB399_40 Depth=1
	s_or_b64 exec, exec, s[0:1]
	ds_bpermute_b32 v19, v24, v39
	ds_bpermute_b32 v40, v24, v18
	s_waitcnt lgkmcnt(1)
	v_cmp_lt_f32_e64 s[8:9], v39, v19
	v_cmp_nlt_f32_e32 vcc, v39, v19
	s_and_saveexec_b64 s[10:11], vcc
	s_cbranch_execz .LBB399_46
; %bb.45:                               ;   in Loop: Header=BB399_40 Depth=1
	v_cmp_eq_f32_e32 vcc, v39, v19
	s_waitcnt lgkmcnt(0)
	v_cmp_lt_i32_e64 s[0:1], v40, v18
	s_and_b64 s[0:1], vcc, s[0:1]
	s_andn2_b64 s[8:9], s[8:9], exec
	s_and_b64 s[0:1], s[0:1], exec
	s_or_b64 s[8:9], s[8:9], s[0:1]
.LBB399_46:                             ;   in Loop: Header=BB399_40 Depth=1
	s_or_b64 exec, exec, s[10:11]
	s_and_saveexec_b64 s[0:1], s[8:9]
	s_cbranch_execz .LBB399_48
; %bb.47:                               ;   in Loop: Header=BB399_40 Depth=1
	v_mov_b32_e32 v39, v19
	s_waitcnt lgkmcnt(0)
	v_mov_b32_e32 v18, v40
.LBB399_48:                             ;   in Loop: Header=BB399_40 Depth=1
	s_or_b64 exec, exec, s[0:1]
	ds_bpermute_b32 v19, v25, v39
	s_waitcnt lgkmcnt(1)
	ds_bpermute_b32 v40, v25, v18
	s_waitcnt lgkmcnt(1)
	v_cmp_lt_f32_e64 s[8:9], v39, v19
	v_cmp_nlt_f32_e32 vcc, v39, v19
	s_and_saveexec_b64 s[10:11], vcc
	s_cbranch_execz .LBB399_50
; %bb.49:                               ;   in Loop: Header=BB399_40 Depth=1
	v_cmp_eq_f32_e32 vcc, v39, v19
	s_waitcnt lgkmcnt(0)
	v_cmp_lt_i32_e64 s[0:1], v40, v18
	s_and_b64 s[0:1], vcc, s[0:1]
	s_andn2_b64 s[8:9], s[8:9], exec
	s_and_b64 s[0:1], s[0:1], exec
	s_or_b64 s[8:9], s[8:9], s[0:1]
.LBB399_50:                             ;   in Loop: Header=BB399_40 Depth=1
	s_or_b64 exec, exec, s[10:11]
	s_and_saveexec_b64 s[0:1], s[8:9]
	s_cbranch_execz .LBB399_52
; %bb.51:                               ;   in Loop: Header=BB399_40 Depth=1
	v_mov_b32_e32 v39, v19
	s_waitcnt lgkmcnt(0)
	v_mov_b32_e32 v18, v40
.LBB399_52:                             ;   in Loop: Header=BB399_40 Depth=1
	s_or_b64 exec, exec, s[0:1]
	ds_bpermute_b32 v19, v26, v39
	s_waitcnt lgkmcnt(1)
	;; [unrolled: 26-line block ×3, first 2 shown]
	ds_bpermute_b32 v40, v27, v18
	s_waitcnt lgkmcnt(1)
	v_cmp_lt_f32_e64 s[8:9], v39, v19
	v_cmp_nlt_f32_e32 vcc, v39, v19
	s_and_saveexec_b64 s[10:11], vcc
	s_cbranch_execnz .LBB399_60
; %bb.57:                               ;   in Loop: Header=BB399_40 Depth=1
	s_or_b64 exec, exec, s[10:11]
	s_and_saveexec_b64 s[0:1], s[8:9]
	s_cbranch_execnz .LBB399_61
.LBB399_58:                             ;   in Loop: Header=BB399_40 Depth=1
	s_or_b64 exec, exec, s[0:1]
	s_and_saveexec_b64 s[8:9], s[6:7]
	s_cbranch_execnz .LBB399_62
.LBB399_59:                             ;   in Loop: Header=BB399_40 Depth=1
	s_or_b64 exec, exec, s[8:9]
	s_add_i32 s58, s58, 1
	s_cmp_ge_i32 s58, s44
	s_cbranch_scc1 .LBB399_39
	s_branch .LBB399_65
.LBB399_60:                             ;   in Loop: Header=BB399_40 Depth=1
	v_cmp_eq_f32_e32 vcc, v39, v19
	s_waitcnt lgkmcnt(0)
	v_cmp_lt_i32_e64 s[0:1], v40, v18
	s_and_b64 s[0:1], vcc, s[0:1]
	s_andn2_b64 s[8:9], s[8:9], exec
	s_and_b64 s[0:1], s[0:1], exec
	s_or_b64 s[8:9], s[8:9], s[0:1]
	s_or_b64 exec, exec, s[10:11]
	s_and_saveexec_b64 s[0:1], s[8:9]
	s_cbranch_execz .LBB399_58
.LBB399_61:                             ;   in Loop: Header=BB399_40 Depth=1
	s_waitcnt lgkmcnt(0)
	v_mov_b32_e32 v18, v40
	v_mov_b32_e32 v39, v19
	s_or_b64 exec, exec, s[0:1]
	s_and_saveexec_b64 s[8:9], s[6:7]
	s_cbranch_execz .LBB399_59
.LBB399_62:                             ;   in Loop: Header=BB399_40 Depth=1
	s_and_b64 vcc, exec, s[2:3]
	s_cbranch_vccnz .LBB399_64
; %bb.63:                               ;   in Loop: Header=BB399_40 Depth=1
	v_ashrrev_i32_e32 v19, 31, v18
	s_waitcnt lgkmcnt(0)
	v_lshl_add_u64 v[40:41], v[18:19], 2, s[42:43]
	global_load_dword v19, v[40:41], off
	s_waitcnt vmcnt(0)
	v_sub_f32_e32 v39, v39, v19
.LBB399_64:                             ;   in Loop: Header=BB399_40 Depth=1
	s_waitcnt lgkmcnt(0)
	v_add_u32_e32 v40, s58, v22
	v_cmp_le_i32_e32 vcc, s45, v18
	v_cmp_gt_i32_e64 s[0:1], s46, v18
	v_ashrrev_i32_e32 v41, 31, v40
	s_and_b64 s[0:1], vcc, s[0:1]
	v_lshlrev_b64 v[40:41], 2, v[40:41]
	v_lshl_add_u64 v[42:43], s[38:39], 0, v[40:41]
	v_subrev_u32_e32 v19, s45, v18
	s_and_b64 vcc, s[52:53], s[0:1]
	global_store_dword v[42:43], v39, off
	v_cndmask_b32_e32 v19, v36, v19, vcc
	v_lshl_add_u64 v[42:43], s[48:49], 0, v[40:41]
	global_store_dword v[42:43], v19, off
	v_add_f32_e32 v19, v21, v39
	v_lshl_add_u64 v[40:41], s[50:51], 0, v[40:41]
	v_cndmask_b32_e64 v21, v21, v19, s[4:5]
	global_store_dword v[40:41], v38, off
	s_or_b64 exec, exec, s[8:9]
	s_add_i32 s58, s58, 1
	s_cmp_ge_i32 s58, s44
	s_cbranch_scc1 .LBB399_39
.LBB399_65:                             ;   in Loop: Header=BB399_40 Depth=1
	v_ashrrev_i32_e32 v19, 31, v18
	v_lshrrev_b32_e32 v39, 29, v19
	s_waitcnt lgkmcnt(0)
	v_add_u32_e32 v40, v18, v39
	v_ashrrev_i32_e32 v39, 3, v40
	v_ashrrev_i32_e32 v40, 31, v40
	v_lshrrev_b32_e32 v40, 27, v40
	v_add_u32_e32 v40, v39, v40
	v_and_b32_e32 v40, 0xffffffe0, v40
	v_sub_u32_e32 v40, v39, v40
	v_cmp_eq_u32_e32 vcc, v17, v40
	s_and_saveexec_b64 s[56:57], vcc
	s_cbranch_execz .LBB399_38
; %bb.66:                               ;   in Loop: Header=BB399_40 Depth=1
	v_add_u32_sdwa v19, v18, v19 dst_sel:DWORD dst_unused:UNUSED_PAD src0_sel:DWORD src1_sel:BYTE_3
	v_lshlrev_b32_e32 v39, 3, v39
	v_sub_u32_e32 v18, v18, v39
	v_ashrrev_i32_e32 v19, 8, v19
	v_lshl_add_u32 v18, v19, 3, v18
	v_cmp_ne_u32_e32 vcc, 14, v18
	v_cmp_ne_u32_e64 s[0:1], 13, v18
	v_cmp_ne_u32_e64 s[8:9], 12, v18
	;; [unrolled: 1-line block ×15, first 2 shown]
	v_cndmask_b32_e32 v14, v37, v14, vcc
	v_cndmask_b32_e64 v13, v37, v13, s[0:1]
	v_cndmask_b32_e64 v15, v37, v15, s[36:37]
	;; [unrolled: 1-line block ×15, first 2 shown]
	s_branch .LBB399_38
.LBB399_67:
	v_mov_b32_e32 v21, 0
.LBB399_68:
	v_cmp_eq_u32_e32 vcc, 0, v17
	s_and_b64 exec, exec, vcc
	s_cbranch_execz .LBB399_81
; %bb.69:
	s_andn2_b64 vcc, exec, s[4:5]
	v_cvt_f32_f64_e32 v0, s[40:41]
	s_cbranch_vccnz .LBB399_71
; %bb.70:
	v_cmp_lt_f32_e32 vcc, 0, v21
	s_nop 1
	v_cndmask_b32_e32 v1, 1.0, v21, vcc
	v_div_scale_f32 v2, s[0:1], v1, v1, v0
	v_rcp_f32_e32 v3, v2
	s_nop 0
	v_fma_f32 v4, -v2, v3, 1.0
	v_fmac_f32_e32 v3, v4, v3
	v_div_scale_f32 v4, vcc, v0, v1, v0
	v_mul_f32_e32 v5, v4, v3
	v_fma_f32 v6, -v2, v5, v4
	v_fmac_f32_e32 v5, v6, v3
	v_fma_f32 v2, -v2, v5, v4
	v_div_fmas_f32 v2, v2, v3, v5
	v_div_fixup_f32 v0, v2, v1, v0
.LBB399_71:
	s_andn2_b64 vcc, exec, s[54:55]
	s_cbranch_vccnz .LBB399_81
; %bb.72:
	v_mul_lo_u32 v2, v16, s44
	s_cmp_gt_u32 s44, 3
	v_ashrrev_i32_e32 v3, 31, v2
	s_cbranch_scc0 .LBB399_76
; %bb.73:
	s_and_b32 s0, s44, 0x7ffffffc
	v_lshl_add_u64 v[4:5], v[2:3], 2, s[38:39]
	v_mov_b32_e32 v1, v0
	v_lshl_add_u64 v[4:5], v[4:5], 0, 8
	s_mov_b32 s1, s0
.LBB399_74:                             ; =>This Inner Loop Header: Depth=1
	global_load_dwordx4 v[6:9], v[4:5], off offset:-8
	s_add_i32 s1, s1, -4
	s_cmp_lg_u32 s1, 0
	s_waitcnt vmcnt(0)
	v_pk_mul_f32 v[6:7], v[0:1], v[6:7]
	v_pk_mul_f32 v[8:9], v[0:1], v[8:9]
	global_store_dwordx4 v[4:5], v[6:9], off offset:-8
	v_lshl_add_u64 v[4:5], v[4:5], 0, 16
	s_cbranch_scc1 .LBB399_74
; %bb.75:
	s_cmp_lg_u32 s0, s44
	s_cselect_b64 s[2:3], -1, 0
	s_branch .LBB399_78
.LBB399_76:
	s_mov_b64 s[2:3], 0
                                        ; implicit-def: $sgpr0
	s_cbranch_execz .LBB399_78
; %bb.77:
	s_mov_b64 s[2:3], -1
	s_mov_b32 s0, 0
.LBB399_78:
	s_andn2_b64 vcc, exec, s[2:3]
	s_cbranch_vccnz .LBB399_81
; %bb.79:
	s_mov_b32 s1, 0
	v_lshl_add_u64 v[2:3], v[2:3], 0, s[0:1]
	s_sub_i32 s2, s44, s0
	v_lshl_add_u64 v[2:3], v[2:3], 2, s[38:39]
.LBB399_80:                             ; =>This Inner Loop Header: Depth=1
	global_load_dword v1, v[2:3], off
	s_add_i32 s2, s2, -1
	s_cmp_lg_u32 s2, 0
	s_waitcnt vmcnt(0)
	v_mul_f32_e32 v1, v0, v1
	global_store_dword v[2:3], v1, off
	v_lshl_add_u64 v[2:3], v[2:3], 0, 4
	s_cbranch_scc1 .LBB399_80
.LBB399_81:
	s_endpgm
	.section	.rodata,"a",@progbits
	.p2align	6, 0x0
	.amdhsa_kernel _ZN4vllm3moe22topkGatingSoftplusSqrtILi16ELi512ELi4ELi16ELi32ELb0Ei14__hip_bfloat16EEvPKT6_PKbPfiPT5_PiiiibdPKfPKS9_SF_
		.amdhsa_group_segment_fixed_size 0
		.amdhsa_private_segment_fixed_size 0
		.amdhsa_kernarg_size 96
		.amdhsa_user_sgpr_count 2
		.amdhsa_user_sgpr_dispatch_ptr 0
		.amdhsa_user_sgpr_queue_ptr 0
		.amdhsa_user_sgpr_kernarg_segment_ptr 1
		.amdhsa_user_sgpr_dispatch_id 0
		.amdhsa_user_sgpr_kernarg_preload_length 0
		.amdhsa_user_sgpr_kernarg_preload_offset 0
		.amdhsa_user_sgpr_private_segment_size 0
		.amdhsa_uses_dynamic_stack 0
		.amdhsa_enable_private_segment 0
		.amdhsa_system_sgpr_workgroup_id_x 1
		.amdhsa_system_sgpr_workgroup_id_y 0
		.amdhsa_system_sgpr_workgroup_id_z 0
		.amdhsa_system_sgpr_workgroup_info 0
		.amdhsa_system_vgpr_workitem_id 1
		.amdhsa_next_free_vgpr 44
		.amdhsa_next_free_sgpr 59
		.amdhsa_accum_offset 44
		.amdhsa_reserve_vcc 1
		.amdhsa_float_round_mode_32 0
		.amdhsa_float_round_mode_16_64 0
		.amdhsa_float_denorm_mode_32 3
		.amdhsa_float_denorm_mode_16_64 3
		.amdhsa_dx10_clamp 1
		.amdhsa_ieee_mode 1
		.amdhsa_fp16_overflow 0
		.amdhsa_tg_split 0
		.amdhsa_exception_fp_ieee_invalid_op 0
		.amdhsa_exception_fp_denorm_src 0
		.amdhsa_exception_fp_ieee_div_zero 0
		.amdhsa_exception_fp_ieee_overflow 0
		.amdhsa_exception_fp_ieee_underflow 0
		.amdhsa_exception_fp_ieee_inexact 0
		.amdhsa_exception_int_div_zero 0
	.end_amdhsa_kernel
	.section	.text._ZN4vllm3moe22topkGatingSoftplusSqrtILi16ELi512ELi4ELi16ELi32ELb0Ei14__hip_bfloat16EEvPKT6_PKbPfiPT5_PiiiibdPKfPKS9_SF_,"axG",@progbits,_ZN4vllm3moe22topkGatingSoftplusSqrtILi16ELi512ELi4ELi16ELi32ELb0Ei14__hip_bfloat16EEvPKT6_PKbPfiPT5_PiiiibdPKfPKS9_SF_,comdat
.Lfunc_end399:
	.size	_ZN4vllm3moe22topkGatingSoftplusSqrtILi16ELi512ELi4ELi16ELi32ELb0Ei14__hip_bfloat16EEvPKT6_PKbPfiPT5_PiiiibdPKfPKS9_SF_, .Lfunc_end399-_ZN4vllm3moe22topkGatingSoftplusSqrtILi16ELi512ELi4ELi16ELi32ELb0Ei14__hip_bfloat16EEvPKT6_PKbPfiPT5_PiiiibdPKfPKS9_SF_
                                        ; -- End function
	.section	.AMDGPU.csdata,"",@progbits
; Kernel info:
; codeLenInByte = 6648
; NumSgprs: 65
; NumVgprs: 44
; NumAgprs: 0
; TotalNumVgprs: 44
; ScratchSize: 0
; MemoryBound: 0
; FloatMode: 240
; IeeeMode: 1
; LDSByteSize: 0 bytes/workgroup (compile time only)
; SGPRBlocks: 8
; VGPRBlocks: 5
; NumSGPRsForWavesPerEU: 65
; NumVGPRsForWavesPerEU: 44
; AccumOffset: 44
; Occupancy: 8
; WaveLimiterHint : 1
; COMPUTE_PGM_RSRC2:SCRATCH_EN: 0
; COMPUTE_PGM_RSRC2:USER_SGPR: 2
; COMPUTE_PGM_RSRC2:TRAP_HANDLER: 0
; COMPUTE_PGM_RSRC2:TGID_X_EN: 1
; COMPUTE_PGM_RSRC2:TGID_Y_EN: 0
; COMPUTE_PGM_RSRC2:TGID_Z_EN: 0
; COMPUTE_PGM_RSRC2:TIDIG_COMP_CNT: 1
; COMPUTE_PGM_RSRC3_GFX90A:ACCUM_OFFSET: 10
; COMPUTE_PGM_RSRC3_GFX90A:TG_SPLIT: 0
	.section	.text._ZN4vllm3moe22topkGatingSoftplusSqrtILi3ELi192ELi4ELi2ELi64ELb1Ei14__hip_bfloat16EEvPKT6_PKbPfiPT5_PiiiibdPKfPKS9_SF_,"axG",@progbits,_ZN4vllm3moe22topkGatingSoftplusSqrtILi3ELi192ELi4ELi2ELi64ELb1Ei14__hip_bfloat16EEvPKT6_PKbPfiPT5_PiiiibdPKfPKS9_SF_,comdat
	.protected	_ZN4vllm3moe22topkGatingSoftplusSqrtILi3ELi192ELi4ELi2ELi64ELb1Ei14__hip_bfloat16EEvPKT6_PKbPfiPT5_PiiiibdPKfPKS9_SF_ ; -- Begin function _ZN4vllm3moe22topkGatingSoftplusSqrtILi3ELi192ELi4ELi2ELi64ELb1Ei14__hip_bfloat16EEvPKT6_PKbPfiPT5_PiiiibdPKfPKS9_SF_
	.globl	_ZN4vllm3moe22topkGatingSoftplusSqrtILi3ELi192ELi4ELi2ELi64ELb1Ei14__hip_bfloat16EEvPKT6_PKbPfiPT5_PiiiibdPKfPKS9_SF_
	.p2align	8
	.type	_ZN4vllm3moe22topkGatingSoftplusSqrtILi3ELi192ELi4ELi2ELi64ELb1Ei14__hip_bfloat16EEvPKT6_PKbPfiPT5_PiiiibdPKfPKS9_SF_,@function
_ZN4vllm3moe22topkGatingSoftplusSqrtILi3ELi192ELi4ELi2ELi64ELb1Ei14__hip_bfloat16EEvPKT6_PKbPfiPT5_PiiiibdPKfPKS9_SF_: ; @_ZN4vllm3moe22topkGatingSoftplusSqrtILi3ELi192ELi4ELi2ELi64ELb1Ei14__hip_bfloat16EEvPKT6_PKbPfiPT5_PiiiibdPKfPKS9_SF_
; %bb.0:
	s_load_dword s3, s[0:1], 0x18
	v_and_b32_e32 v1, 0x3ff, v0
	s_lshl_b32 s2, s2, 2
	v_lshrrev_b32_e32 v2, 6, v1
	v_bfe_u32 v0, v0, 10, 10
	v_add3_u32 v2, s2, v0, v2
	s_waitcnt lgkmcnt(0)
	v_cmp_gt_i32_e32 vcc, s3, v2
	s_and_saveexec_b64 s[2:3], vcc
	s_cbranch_execz .LBB400_69
; %bb.1:
	s_load_dwordx2 s[2:3], s[0:1], 0x0
	s_load_dword s20, s[0:1], 0x30
	s_load_dwordx4 s[8:11], s[0:1], 0x50
	s_movk_i32 s4, 0xc0
	v_mul_lo_u32 v4, v2, s4
	v_ashrrev_i32_e32 v5, 31, v4
	v_and_b32_e32 v12, 63, v1
	s_waitcnt lgkmcnt(0)
	v_lshl_add_u64 v[4:5], v[4:5], 1, s[2:3]
	v_lshlrev_b32_e32 v6, 1, v12
	v_mov_b32_e32 v7, 0
	v_lshl_add_u64 v[0:1], v[4:5], 0, v[6:7]
	global_load_ushort v4, v[0:1], off offset:256
	global_load_ushort v5, v[0:1], off offset:128
	global_load_ushort v6, v[0:1], off
	v_mov_b32_e32 v0, s8
	v_mov_b32_e32 v1, s9
	v_ashrrev_i32_e32 v3, 31, v2
	v_lshl_add_u64 v[0:1], v[2:3], 2, v[0:1]
	global_load_dword v0, v[0:1], off
	s_mov_b32 s4, 0x800000
	v_mov_b32_e32 v3, 0x4f800000
	s_mov_b32 s7, 0x3f317217
	s_mov_b32 s9, 0x7f800000
	v_mov_b32_e32 v8, 0x41b17218
	s_mov_b32 s6, 0x41a00000
	s_mov_b32 s12, 0xf800000
	v_mov_b32_e32 v9, 0x260
	s_cmp_gt_i32 s20, 0
	s_mov_b32 s8, 0
	v_mul_lo_u32 v2, v2, s20
	s_waitcnt vmcnt(3)
	v_lshlrev_b32_e32 v10, 16, v4
	s_waitcnt vmcnt(2)
	v_lshlrev_b32_e32 v11, 16, v5
	;; [unrolled: 2-line block ×3, first 2 shown]
	v_mul_f32_e32 v1, 0x3fb8aa3b, v6
	v_mul_f32_e32 v5, 0x3fb8aa3b, v11
	v_exp_f32_e32 v4, v1
	v_exp_f32_e32 v5, v5
	v_mul_f32_e32 v13, 0x3fb8aa3b, v10
	v_exp_f32_e32 v13, v13
	s_waitcnt vmcnt(0)
	v_mul_lo_u32 v0, v0, s20
	v_pk_add_f32 v[4:5], v[4:5], 1.0 op_sel_hi:[1,0]
	v_ashrrev_i32_e32 v1, 31, v0
	v_cmp_gt_f32_e32 vcc, s4, v5
	v_add_f32_e32 v13, 1.0, v13
	v_cmp_gt_f32_e64 s[2:3], s4, v4
	v_cndmask_b32_e32 v14, 1.0, v3, vcc
	v_cmp_gt_f32_e64 s[4:5], s4, v13
	v_cndmask_b32_e64 v15, 1.0, v3, s[2:3]
	v_mul_f32_e32 v5, v5, v14
	v_cndmask_b32_e64 v3, 1.0, v3, s[4:5]
	v_mul_f32_e32 v4, v4, v15
	v_log_f32_e32 v5, v5
	v_mul_f32_e32 v3, v13, v3
	v_log_f32_e32 v4, v4
	v_log_f32_e32 v3, v3
	v_mul_f32_e32 v13, 0x3f317217, v5
	v_fma_f32 v13, v5, s7, -v13
	v_mul_f32_e32 v16, 0x3f317217, v4
	v_mul_f32_e32 v17, 0x3f317217, v3
	v_fma_f32 v16, v4, s7, -v16
	v_fmac_f32_e32 v13, 0x3377d1cf, v5
	v_cndmask_b32_e32 v14, 0, v8, vcc
	v_fma_f32 v17, v3, s7, -v17
	v_fmac_f32_e32 v16, 0x3377d1cf, v4
	v_fmac_f32_e32 v13, 0x3f317217, v5
	v_cmp_lt_f32_e64 vcc, |v5|, s9
	v_fmac_f32_e32 v17, 0x3377d1cf, v3
	v_fmac_f32_e32 v16, 0x3f317217, v4
	v_cndmask_b32_e32 v5, v5, v13, vcc
	v_cmp_lt_f32_e64 vcc, |v4|, s9
	v_cndmask_b32_e64 v15, 0, v8, s[2:3]
	v_fmac_f32_e32 v17, 0x3f317217, v3
	v_cndmask_b32_e32 v4, v4, v16, vcc
	v_cmp_lt_f32_e64 vcc, |v3|, s9
	v_sub_f32_e32 v4, v4, v15
	v_cndmask_b32_e64 v8, 0, v8, s[4:5]
	v_cndmask_b32_e32 v3, v3, v17, vcc
	v_cmp_lt_f32_e32 vcc, s6, v6
	v_sub_f32_e32 v5, v5, v14
	v_sub_f32_e32 v3, v3, v8
	v_cndmask_b32_e32 v4, v4, v6, vcc
	v_cmp_lt_f32_e32 vcc, s6, v11
	v_mul_f32_e32 v8, 0x4f800000, v4
	v_cmp_gt_f32_e64 s[2:3], s12, v4
	v_cndmask_b32_e32 v5, v5, v11, vcc
	v_cmp_lt_f32_e32 vcc, s6, v10
	v_mul_f32_e32 v6, 0x4f800000, v5
	v_cndmask_b32_e64 v4, v4, v8, s[2:3]
	v_cndmask_b32_e32 v3, v3, v10, vcc
	v_cmp_gt_f32_e32 vcc, s12, v5
	v_sqrt_f32_e32 v8, v4
	v_mul_f32_e32 v10, 0x4f800000, v3
	v_cndmask_b32_e32 v5, v5, v6, vcc
	v_sqrt_f32_e32 v6, v5
	v_add_u32_e32 v14, -1, v8
	v_cmp_gt_f32_e64 s[4:5], s12, v3
	v_fma_f32 v19, -v14, v8, v4
	v_add_u32_e32 v11, -1, v6
	v_fma_f32 v17, -v11, v6, v5
	v_add_u32_e32 v13, 1, v6
	v_cmp_ge_f32_e64 s[6:7], 0, v17
	v_cndmask_b32_e64 v3, v3, v10, s[4:5]
	v_add_u32_e32 v15, 1, v8
	v_fma_f32 v18, -v13, v6, v5
	v_cndmask_b32_e64 v6, v6, v11, s[6:7]
	v_cmp_ge_f32_e64 s[6:7], 0, v19
	v_sqrt_f32_e32 v10, v3
	v_fma_f32 v20, -v15, v8, v4
	v_cndmask_b32_e64 v8, v8, v14, s[6:7]
	v_cmp_lt_f32_e64 s[6:7], 0, v18
	v_add_u32_e32 v16, -1, v10
	s_nop 0
	v_cndmask_b32_e64 v6, v6, v13, s[6:7]
	v_cmp_lt_f32_e64 s[6:7], 0, v20
	v_mul_f32_e32 v11, 0x37800000, v6
	v_cndmask_b32_e32 v6, v6, v11, vcc
	v_cndmask_b32_e64 v8, v8, v15, s[6:7]
	v_mul_f32_e32 v13, 0x37800000, v8
	v_cmp_class_f32_e32 vcc, v5, v9
	v_cndmask_b32_e64 v8, v8, v13, s[2:3]
	s_nop 0
	v_cndmask_b32_e32 v13, v6, v5, vcc
	v_cmp_class_f32_e32 vcc, v4, v9
	v_add_u32_e32 v5, 1, v10
	v_fma_f32 v6, -v5, v10, v3
	v_cndmask_b32_e32 v14, v8, v4, vcc
	v_fma_f32 v4, -v16, v10, v3
	v_cmp_ge_f32_e32 vcc, 0, v4
	s_nop 1
	v_cndmask_b32_e32 v4, v10, v16, vcc
	v_cmp_lt_f32_e32 vcc, 0, v6
	s_nop 1
	v_cndmask_b32_e32 v4, v4, v5, vcc
	v_mul_f32_e32 v5, 0x37800000, v4
	v_cndmask_b32_e64 v4, v4, v5, s[4:5]
	v_cmp_class_f32_e32 vcc, v3, v9
	s_cselect_b64 s[4:5], -1, 0
	s_cmp_lt_i32 s20, 1
	v_cndmask_b32_e32 v15, v4, v3, vcc
	v_lshl_add_u64 v[4:5], v[0:1], 2, s[10:11]
	s_cbranch_scc1 .LBB400_28
; %bb.2:
	s_load_dwordx2 s[6:7], s[0:1], 0x20
	s_cmp_lt_u32 s20, 4
	s_cbranch_scc1 .LBB400_21
; %bb.3:
	s_mov_b32 s13, 0
	s_and_b32 s8, s20, 0x7ffffffc
	v_ashrrev_i32_e32 v3, 31, v2
	v_mov_b32_e32 v7, 0
	s_mov_b32 s12, s13
	s_branch .LBB400_5
.LBB400_4:                              ;   in Loop: Header=BB400_5 Depth=1
	s_or_b64 exec, exec, s[14:15]
	s_add_i32 s12, s12, 4
	s_cmp_eq_u32 s12, s8
	s_cbranch_scc1 .LBB400_21
.LBB400_5:                              ; =>This Loop Header: Depth=1
                                        ;     Child Loop BB400_7 Depth 2
                                        ;     Child Loop BB400_11 Depth 2
                                        ;     Child Loop BB400_15 Depth 2
                                        ;     Child Loop BB400_19 Depth 2
	v_lshl_add_u64 v[8:9], s[12:13], 2, v[4:5]
	global_load_dword v6, v[8:9], off
	v_add_u32_e32 v10, s12, v2
	v_ashrrev_i32_e32 v11, 31, v10
	s_waitcnt lgkmcnt(0)
	v_lshl_add_u64 v[10:11], v[10:11], 2, s[6:7]
	s_mov_b64 s[14:15], 0
	v_mov_b32_e32 v16, v12
	s_mov_b64 s[16:17], 0
	s_waitcnt vmcnt(0)
	s_branch .LBB400_7
.LBB400_6:                              ;   in Loop: Header=BB400_7 Depth=2
	s_or_b64 exec, exec, s[18:19]
	s_cmp_gt_u32 s16, 1
	s_cselect_b64 s[2:3], -1, 0
	s_xor_b64 s[18:19], vcc, -1
	s_or_b64 s[2:3], s[18:19], s[2:3]
	s_add_u32 s16, s16, 1
	s_addc_u32 s17, s17, 0
	s_and_b64 s[2:3], exec, s[2:3]
	s_or_b64 s[14:15], s[2:3], s[14:15]
	v_add_u32_e32 v16, 64, v16
	s_andn2_b64 exec, exec, s[14:15]
	s_cbranch_execz .LBB400_9
.LBB400_7:                              ;   Parent Loop BB400_5 Depth=1
                                        ; =>  This Inner Loop Header: Depth=2
	v_cmp_ne_u32_e32 vcc, v6, v16
	v_cmp_eq_u32_e64 s[2:3], v6, v16
	s_and_saveexec_b64 s[18:19], s[2:3]
	s_cbranch_execz .LBB400_6
; %bb.8:                                ;   in Loop: Header=BB400_7 Depth=2
	s_cmp_eq_u32 s16, 1
	s_cselect_b64 s[2:3], -1, 0
	s_cmp_eq_u32 s16, 2
	v_cndmask_b32_e64 v17, v14, v13, s[2:3]
	s_cselect_b64 s[2:3], -1, 0
	v_cndmask_b32_e64 v17, v17, v15, s[2:3]
	v_add_f32_e32 v7, v7, v17
	global_store_dword v[10:11], v6, off
	s_branch .LBB400_6
.LBB400_9:                              ;   in Loop: Header=BB400_5 Depth=1
	s_or_b64 exec, exec, s[14:15]
	global_load_dword v6, v[8:9], off offset:4
	s_ashr_i32 s3, s12, 31
	s_mov_b32 s2, s12
	v_lshl_add_u64 v[10:11], s[2:3], 0, v[2:3]
	v_lshl_add_u64 v[10:11], v[10:11], 2, s[6:7]
	s_mov_b64 s[14:15], 0
	v_mov_b32_e32 v16, v12
	s_mov_b64 s[16:17], 0
	s_waitcnt vmcnt(0)
	s_branch .LBB400_11
.LBB400_10:                             ;   in Loop: Header=BB400_11 Depth=2
	s_or_b64 exec, exec, s[18:19]
	s_cmp_gt_u32 s16, 1
	s_cselect_b64 s[2:3], -1, 0
	s_xor_b64 s[18:19], vcc, -1
	s_or_b64 s[2:3], s[18:19], s[2:3]
	s_add_u32 s16, s16, 1
	s_addc_u32 s17, s17, 0
	s_and_b64 s[2:3], exec, s[2:3]
	s_or_b64 s[14:15], s[2:3], s[14:15]
	v_add_u32_e32 v16, 64, v16
	s_andn2_b64 exec, exec, s[14:15]
	s_cbranch_execz .LBB400_13
.LBB400_11:                             ;   Parent Loop BB400_5 Depth=1
                                        ; =>  This Inner Loop Header: Depth=2
	v_cmp_ne_u32_e32 vcc, v6, v16
	v_cmp_eq_u32_e64 s[2:3], v6, v16
	s_and_saveexec_b64 s[18:19], s[2:3]
	s_cbranch_execz .LBB400_10
; %bb.12:                               ;   in Loop: Header=BB400_11 Depth=2
	s_cmp_eq_u32 s16, 1
	s_cselect_b64 s[2:3], -1, 0
	s_cmp_eq_u32 s16, 2
	v_cndmask_b32_e64 v17, v14, v13, s[2:3]
	s_cselect_b64 s[2:3], -1, 0
	v_cndmask_b32_e64 v17, v17, v15, s[2:3]
	v_add_f32_e32 v7, v7, v17
	global_store_dword v[10:11], v6, off offset:4
	s_branch .LBB400_10
.LBB400_13:                             ;   in Loop: Header=BB400_5 Depth=1
	s_or_b64 exec, exec, s[14:15]
	global_load_dword v6, v[8:9], off offset:8
	s_mov_b64 s[14:15], 0
	v_mov_b32_e32 v16, v12
	s_mov_b64 s[16:17], 0
	s_waitcnt vmcnt(0)
	s_branch .LBB400_15
.LBB400_14:                             ;   in Loop: Header=BB400_15 Depth=2
	s_or_b64 exec, exec, s[18:19]
	s_cmp_gt_u32 s16, 1
	s_cselect_b64 s[2:3], -1, 0
	s_xor_b64 s[18:19], vcc, -1
	s_or_b64 s[2:3], s[18:19], s[2:3]
	s_add_u32 s16, s16, 1
	s_addc_u32 s17, s17, 0
	s_and_b64 s[2:3], exec, s[2:3]
	s_or_b64 s[14:15], s[2:3], s[14:15]
	v_add_u32_e32 v16, 64, v16
	s_andn2_b64 exec, exec, s[14:15]
	s_cbranch_execz .LBB400_17
.LBB400_15:                             ;   Parent Loop BB400_5 Depth=1
                                        ; =>  This Inner Loop Header: Depth=2
	v_cmp_ne_u32_e32 vcc, v6, v16
	v_cmp_eq_u32_e64 s[2:3], v6, v16
	s_and_saveexec_b64 s[18:19], s[2:3]
	s_cbranch_execz .LBB400_14
; %bb.16:                               ;   in Loop: Header=BB400_15 Depth=2
	s_cmp_eq_u32 s16, 1
	s_cselect_b64 s[2:3], -1, 0
	s_cmp_eq_u32 s16, 2
	v_cndmask_b32_e64 v17, v14, v13, s[2:3]
	s_cselect_b64 s[2:3], -1, 0
	v_cndmask_b32_e64 v17, v17, v15, s[2:3]
	v_add_f32_e32 v7, v7, v17
	global_store_dword v[10:11], v6, off offset:8
	s_branch .LBB400_14
.LBB400_17:                             ;   in Loop: Header=BB400_5 Depth=1
	s_or_b64 exec, exec, s[14:15]
	global_load_dword v6, v[8:9], off offset:12
	s_mov_b64 s[14:15], 0
	v_mov_b32_e32 v8, v12
	s_mov_b64 s[16:17], 0
	s_waitcnt vmcnt(0)
	s_branch .LBB400_19
.LBB400_18:                             ;   in Loop: Header=BB400_19 Depth=2
	s_or_b64 exec, exec, s[18:19]
	s_cmp_gt_u32 s16, 1
	s_cselect_b64 s[2:3], -1, 0
	s_xor_b64 s[18:19], vcc, -1
	s_or_b64 s[2:3], s[18:19], s[2:3]
	s_add_u32 s16, s16, 1
	s_addc_u32 s17, s17, 0
	s_and_b64 s[2:3], exec, s[2:3]
	s_or_b64 s[14:15], s[2:3], s[14:15]
	v_add_u32_e32 v8, 64, v8
	s_andn2_b64 exec, exec, s[14:15]
	s_cbranch_execz .LBB400_4
.LBB400_19:                             ;   Parent Loop BB400_5 Depth=1
                                        ; =>  This Inner Loop Header: Depth=2
	v_cmp_ne_u32_e32 vcc, v6, v8
	v_cmp_eq_u32_e64 s[2:3], v6, v8
	s_and_saveexec_b64 s[18:19], s[2:3]
	s_cbranch_execz .LBB400_18
; %bb.20:                               ;   in Loop: Header=BB400_19 Depth=2
	s_cmp_eq_u32 s16, 1
	s_cselect_b64 s[2:3], -1, 0
	s_cmp_eq_u32 s16, 2
	v_cndmask_b32_e64 v9, v14, v13, s[2:3]
	s_cselect_b64 s[2:3], -1, 0
	v_cndmask_b32_e64 v9, v9, v15, s[2:3]
	v_add_f32_e32 v7, v7, v9
	global_store_dword v[10:11], v6, off offset:12
	s_branch .LBB400_18
.LBB400_21:
	s_and_b32 s18, s20, 3
	s_cmp_eq_u32 s18, 0
	s_mov_b32 s9, 0
	s_cbranch_scc1 .LBB400_28
; %bb.22:
	s_mov_b32 s19, s9
	s_branch .LBB400_24
.LBB400_23:                             ;   in Loop: Header=BB400_24 Depth=1
	s_or_b64 exec, exec, s[12:13]
	s_add_i32 s8, s8, 1
	s_add_i32 s19, s19, 1
	s_cmp_lg_u32 s19, s18
	s_cbranch_scc0 .LBB400_28
.LBB400_24:                             ; =>This Loop Header: Depth=1
                                        ;     Child Loop BB400_26 Depth 2
	v_lshl_add_u64 v[8:9], s[8:9], 2, v[4:5]
	global_load_dword v3, v[8:9], off
	v_add_u32_e32 v8, s8, v2
	v_ashrrev_i32_e32 v9, 31, v8
	s_waitcnt lgkmcnt(0)
	v_lshl_add_u64 v[8:9], v[8:9], 2, s[6:7]
	s_mov_b64 s[12:13], 0
	v_mov_b32_e32 v6, v12
	s_mov_b64 s[14:15], 0
	s_waitcnt vmcnt(0)
	s_branch .LBB400_26
.LBB400_25:                             ;   in Loop: Header=BB400_26 Depth=2
	s_or_b64 exec, exec, s[16:17]
	s_cmp_gt_u32 s14, 1
	s_cselect_b64 s[2:3], -1, 0
	s_xor_b64 s[16:17], vcc, -1
	s_or_b64 s[2:3], s[16:17], s[2:3]
	s_add_u32 s14, s14, 1
	s_addc_u32 s15, s15, 0
	s_and_b64 s[2:3], exec, s[2:3]
	s_or_b64 s[12:13], s[2:3], s[12:13]
	v_add_u32_e32 v6, 64, v6
	s_andn2_b64 exec, exec, s[12:13]
	s_cbranch_execz .LBB400_23
.LBB400_26:                             ;   Parent Loop BB400_24 Depth=1
                                        ; =>  This Inner Loop Header: Depth=2
	v_cmp_ne_u32_e32 vcc, v3, v6
	v_cmp_eq_u32_e64 s[2:3], v3, v6
	s_and_saveexec_b64 s[16:17], s[2:3]
	s_cbranch_execz .LBB400_25
; %bb.27:                               ;   in Loop: Header=BB400_26 Depth=2
	s_cmp_eq_u32 s14, 1
	s_cselect_b64 s[2:3], -1, 0
	s_cmp_eq_u32 s14, 2
	v_cndmask_b32_e64 v10, v14, v13, s[2:3]
	s_cselect_b64 s[2:3], -1, 0
	v_cndmask_b32_e64 v10, v10, v15, s[2:3]
	v_add_f32_e32 v7, v7, v10
	global_store_dword v[8:9], v3, off
	s_branch .LBB400_25
.LBB400_28:
	s_waitcnt lgkmcnt(0)
	s_load_dword s6, s[0:1], 0x3c
	s_waitcnt lgkmcnt(0)
	s_bitcmp1_b32 s6, 0
	s_cselect_b64 s[2:3], -1, 0
	s_bitcmp0_b32 s6, 0
	s_cbranch_scc0 .LBB400_31
; %bb.29:
	s_load_dwordx2 s[6:7], s[0:1], 0x40
	s_andn2_b64 vcc, exec, s[2:3]
	s_waitcnt lgkmcnt(0)
	v_cvt_f32_f64_e32 v16, s[6:7]
	s_cbranch_vccz .LBB400_32
.LBB400_30:
	s_andn2_b64 vcc, exec, s[4:5]
	s_cbranch_vccz .LBB400_33
	s_branch .LBB400_69
.LBB400_31:
	v_mbcnt_lo_u32_b32 v3, -1, 0
	v_mbcnt_hi_u32_b32 v3, -1, v3
	v_and_b32_e32 v6, 64, v3
	v_add_u32_e32 v6, 64, v6
	v_xor_b32_e32 v8, 32, v3
	v_cmp_lt_i32_e32 vcc, v8, v6
	v_xor_b32_e32 v9, 16, v3
	s_nop 0
	v_cndmask_b32_e32 v8, v3, v8, vcc
	v_lshlrev_b32_e32 v8, 2, v8
	ds_bpermute_b32 v8, v8, v7
	v_cmp_lt_i32_e32 vcc, v9, v6
	s_waitcnt lgkmcnt(0)
	v_add_f32_e32 v7, v7, v8
	v_cndmask_b32_e32 v8, v3, v9, vcc
	v_lshlrev_b32_e32 v8, 2, v8
	ds_bpermute_b32 v8, v8, v7
	v_xor_b32_e32 v9, 8, v3
	v_cmp_lt_i32_e32 vcc, v9, v6
	s_waitcnt lgkmcnt(0)
	v_add_f32_e32 v7, v7, v8
	v_cndmask_b32_e32 v8, v3, v9, vcc
	v_lshlrev_b32_e32 v8, 2, v8
	ds_bpermute_b32 v8, v8, v7
	v_xor_b32_e32 v9, 4, v3
	;; [unrolled: 7-line block ×4, first 2 shown]
	v_cmp_lt_i32_e32 vcc, v9, v6
	s_waitcnt lgkmcnt(0)
	v_add_f32_e32 v7, v7, v8
	v_cndmask_b32_e32 v3, v3, v9, vcc
	v_lshlrev_b32_e32 v3, 2, v3
	ds_bpermute_b32 v3, v3, v7
	s_waitcnt lgkmcnt(0)
	v_add_f32_e32 v7, v7, v3
	s_load_dwordx2 s[6:7], s[0:1], 0x40
	s_andn2_b64 vcc, exec, s[2:3]
	s_waitcnt lgkmcnt(0)
	v_cvt_f32_f64_e32 v16, s[6:7]
	s_cbranch_vccnz .LBB400_30
.LBB400_32:
	v_cmp_lt_f32_e32 vcc, 0, v7
	s_nop 1
	v_cndmask_b32_e32 v3, 1.0, v7, vcc
	v_div_scale_f32 v6, s[2:3], v3, v3, v16
	v_rcp_f32_e32 v7, v6
	s_nop 0
	v_fma_f32 v8, -v6, v7, 1.0
	v_fmac_f32_e32 v7, v8, v7
	v_div_scale_f32 v8, vcc, v16, v3, v16
	v_mul_f32_e32 v9, v8, v7
	v_fma_f32 v10, -v6, v9, v8
	v_fmac_f32_e32 v9, v10, v7
	v_fma_f32 v6, -v6, v9, v8
	v_div_fmas_f32 v6, v6, v7, v9
	v_div_fixup_f32 v16, v6, v3, v16
	s_andn2_b64 vcc, exec, s[4:5]
	s_cbranch_vccnz .LBB400_69
.LBB400_33:
	s_load_dwordx2 s[0:1], s[0:1], 0x10
	v_or_b32_e32 v17, 64, v12
	v_or_b32_e32 v18, 0x80, v12
	s_cmp_lt_u32 s20, 4
	s_mov_b32 s2, 0
	s_cbranch_scc1 .LBB400_60
; %bb.34:
	v_ashrrev_i32_e32 v3, 31, v2
	s_and_b32 s2, s20, 0x7ffffffc
	s_waitcnt lgkmcnt(0)
	v_lshl_add_u64 v[6:7], v[2:3], 2, s[0:1]
	s_mov_b32 s3, 0
	s_mov_b64 s[4:5], 0
	s_branch .LBB400_36
.LBB400_35:                             ;   in Loop: Header=BB400_36 Depth=1
	s_or_b64 exec, exec, s[8:9]
	s_add_i32 s3, s3, 4
	s_add_u32 s4, s4, 16
	s_addc_u32 s5, s5, 0
	s_cmp_lg_u32 s2, s3
	s_cbranch_scc0 .LBB400_60
.LBB400_36:                             ; =>This Inner Loop Header: Depth=1
	v_lshl_add_u64 v[8:9], v[4:5], 0, s[4:5]
	global_load_dword v3, v[8:9], off
	v_mov_b64_e32 v[10:11], 0
	s_waitcnt vmcnt(0)
	v_cmp_eq_u32_e64 s[6:7], v3, v12
	v_cmp_ne_u32_e32 vcc, v3, v12
	s_and_saveexec_b64 s[8:9], vcc
	s_cbranch_execz .LBB400_40
; %bb.37:                               ;   in Loop: Header=BB400_36 Depth=1
	v_cmp_eq_u32_e64 s[12:13], v3, v17
	v_cmp_ne_u32_e32 vcc, v3, v17
	v_mov_b64_e32 v[10:11], 1
	s_and_saveexec_b64 s[14:15], vcc
	s_xor_b64 s[14:15], exec, s[14:15]
; %bb.38:                               ;   in Loop: Header=BB400_36 Depth=1
	v_cmp_eq_u32_e32 vcc, v3, v18
	s_andn2_b64 s[12:13], s[12:13], exec
	s_and_b64 s[16:17], vcc, exec
	v_mov_b64_e32 v[10:11], 2
	s_or_b64 s[12:13], s[12:13], s[16:17]
; %bb.39:                               ;   in Loop: Header=BB400_36 Depth=1
	s_or_b64 exec, exec, s[14:15]
	s_andn2_b64 s[6:7], s[6:7], exec
	s_and_b64 s[12:13], s[12:13], exec
	s_or_b64 s[6:7], s[6:7], s[12:13]
.LBB400_40:                             ;   in Loop: Header=BB400_36 Depth=1
	s_or_b64 exec, exec, s[8:9]
	s_and_saveexec_b64 s[8:9], s[6:7]
	s_cbranch_execz .LBB400_42
; %bb.41:                               ;   in Loop: Header=BB400_36 Depth=1
	v_cmp_eq_u32_e32 vcc, 1, v10
	v_add_u32_e32 v20, s3, v2
	v_ashrrev_i32_e32 v21, 31, v20
	v_cndmask_b32_e32 v3, v14, v13, vcc
	v_cmp_eq_u32_e32 vcc, 2, v10
	v_lshl_add_u64 v[10:11], v[20:21], 2, s[0:1]
	s_nop 0
	v_cndmask_b32_e32 v3, v3, v15, vcc
	v_mul_f32_e32 v3, v16, v3
	global_store_dword v[10:11], v3, off
.LBB400_42:                             ;   in Loop: Header=BB400_36 Depth=1
	s_or_b64 exec, exec, s[8:9]
	global_load_dword v3, v[8:9], off offset:4
	v_mov_b64_e32 v[10:11], 0
	s_waitcnt vmcnt(0)
	v_cmp_eq_u32_e64 s[6:7], v3, v12
	v_cmp_ne_u32_e32 vcc, v3, v12
	s_and_saveexec_b64 s[8:9], vcc
	s_cbranch_execz .LBB400_46
; %bb.43:                               ;   in Loop: Header=BB400_36 Depth=1
	v_cmp_eq_u32_e64 s[12:13], v3, v17
	v_cmp_ne_u32_e32 vcc, v3, v17
	v_mov_b64_e32 v[10:11], 1
	s_and_saveexec_b64 s[14:15], vcc
; %bb.44:                               ;   in Loop: Header=BB400_36 Depth=1
	v_cmp_eq_u32_e32 vcc, v3, v18
	s_andn2_b64 s[12:13], s[12:13], exec
	s_and_b64 s[16:17], vcc, exec
	v_mov_b64_e32 v[10:11], 2
	s_or_b64 s[12:13], s[12:13], s[16:17]
; %bb.45:                               ;   in Loop: Header=BB400_36 Depth=1
	s_or_b64 exec, exec, s[14:15]
	s_andn2_b64 s[6:7], s[6:7], exec
	s_and_b64 s[12:13], s[12:13], exec
	s_or_b64 s[6:7], s[6:7], s[12:13]
.LBB400_46:                             ;   in Loop: Header=BB400_36 Depth=1
	s_or_b64 exec, exec, s[8:9]
	s_and_saveexec_b64 s[8:9], s[6:7]
	s_cbranch_execz .LBB400_48
; %bb.47:                               ;   in Loop: Header=BB400_36 Depth=1
	v_cmp_eq_u32_e32 vcc, 1, v10
	s_nop 1
	v_cndmask_b32_e32 v3, v14, v13, vcc
	v_cmp_eq_u32_e32 vcc, 2, v10
	v_lshl_add_u64 v[10:11], v[6:7], 0, s[4:5]
	s_nop 0
	v_cndmask_b32_e32 v3, v3, v15, vcc
	v_mul_f32_e32 v3, v16, v3
	global_store_dword v[10:11], v3, off offset:4
.LBB400_48:                             ;   in Loop: Header=BB400_36 Depth=1
	s_or_b64 exec, exec, s[8:9]
	global_load_dword v3, v[8:9], off offset:8
	v_mov_b64_e32 v[10:11], 0
	s_waitcnt vmcnt(0)
	v_cmp_eq_u32_e64 s[6:7], v3, v12
	v_cmp_ne_u32_e32 vcc, v3, v12
	s_and_saveexec_b64 s[8:9], vcc
	s_cbranch_execz .LBB400_52
; %bb.49:                               ;   in Loop: Header=BB400_36 Depth=1
	v_cmp_eq_u32_e64 s[12:13], v3, v17
	v_cmp_ne_u32_e32 vcc, v3, v17
	v_mov_b64_e32 v[10:11], 1
	s_and_saveexec_b64 s[14:15], vcc
; %bb.50:                               ;   in Loop: Header=BB400_36 Depth=1
	v_cmp_eq_u32_e32 vcc, v3, v18
	s_andn2_b64 s[12:13], s[12:13], exec
	s_and_b64 s[16:17], vcc, exec
	v_mov_b64_e32 v[10:11], 2
	s_or_b64 s[12:13], s[12:13], s[16:17]
; %bb.51:                               ;   in Loop: Header=BB400_36 Depth=1
	s_or_b64 exec, exec, s[14:15]
	s_andn2_b64 s[6:7], s[6:7], exec
	s_and_b64 s[12:13], s[12:13], exec
	s_or_b64 s[6:7], s[6:7], s[12:13]
.LBB400_52:                             ;   in Loop: Header=BB400_36 Depth=1
	s_or_b64 exec, exec, s[8:9]
	s_and_saveexec_b64 s[8:9], s[6:7]
	s_cbranch_execz .LBB400_54
; %bb.53:                               ;   in Loop: Header=BB400_36 Depth=1
	v_cmp_eq_u32_e32 vcc, 1, v10
	s_nop 1
	v_cndmask_b32_e32 v3, v14, v13, vcc
	v_cmp_eq_u32_e32 vcc, 2, v10
	v_lshl_add_u64 v[10:11], v[6:7], 0, s[4:5]
	s_nop 0
	v_cndmask_b32_e32 v3, v3, v15, vcc
	v_mul_f32_e32 v3, v16, v3
	global_store_dword v[10:11], v3, off offset:8
.LBB400_54:                             ;   in Loop: Header=BB400_36 Depth=1
	s_or_b64 exec, exec, s[8:9]
	global_load_dword v3, v[8:9], off offset:12
	v_mov_b64_e32 v[8:9], 0
	s_waitcnt vmcnt(0)
	v_cmp_eq_u32_e64 s[6:7], v3, v12
	v_cmp_ne_u32_e32 vcc, v3, v12
	s_and_saveexec_b64 s[8:9], vcc
	s_cbranch_execz .LBB400_58
; %bb.55:                               ;   in Loop: Header=BB400_36 Depth=1
	v_cmp_eq_u32_e64 s[12:13], v3, v17
	v_cmp_ne_u32_e32 vcc, v3, v17
	v_mov_b64_e32 v[8:9], 1
	s_and_saveexec_b64 s[14:15], vcc
; %bb.56:                               ;   in Loop: Header=BB400_36 Depth=1
	v_cmp_eq_u32_e32 vcc, v3, v18
	s_andn2_b64 s[12:13], s[12:13], exec
	s_and_b64 s[16:17], vcc, exec
	v_mov_b64_e32 v[8:9], 2
	s_or_b64 s[12:13], s[12:13], s[16:17]
; %bb.57:                               ;   in Loop: Header=BB400_36 Depth=1
	s_or_b64 exec, exec, s[14:15]
	s_andn2_b64 s[6:7], s[6:7], exec
	s_and_b64 s[12:13], s[12:13], exec
	s_or_b64 s[6:7], s[6:7], s[12:13]
.LBB400_58:                             ;   in Loop: Header=BB400_36 Depth=1
	s_or_b64 exec, exec, s[8:9]
	s_and_saveexec_b64 s[8:9], s[6:7]
	s_cbranch_execz .LBB400_35
; %bb.59:                               ;   in Loop: Header=BB400_36 Depth=1
	v_cmp_eq_u32_e32 vcc, 1, v8
	s_nop 1
	v_cndmask_b32_e32 v3, v14, v13, vcc
	v_cmp_eq_u32_e32 vcc, 2, v8
	v_lshl_add_u64 v[8:9], v[6:7], 0, s[4:5]
	s_nop 0
	v_cndmask_b32_e32 v3, v3, v15, vcc
	v_mul_f32_e32 v3, v16, v3
	global_store_dword v[8:9], v3, off offset:12
	s_branch .LBB400_35
.LBB400_60:
	s_and_b32 s12, s20, 3
	s_cmp_eq_u32 s12, 0
	s_mov_b32 s3, 0
	s_cbranch_scc1 .LBB400_69
; %bb.61:
	v_add_u32_e32 v2, s2, v2
	s_lshl_b64 s[2:3], s[2:3], 2
	s_add_u32 s2, s10, s2
	s_addc_u32 s3, s11, s3
	v_lshl_add_u64 v[0:1], v[0:1], 2, s[2:3]
	s_branch .LBB400_63
.LBB400_62:                             ;   in Loop: Header=BB400_63 Depth=1
	s_or_b64 exec, exec, s[4:5]
	s_add_i32 s12, s12, -1
	v_add_u32_e32 v2, 1, v2
	s_cmp_lg_u32 s12, 0
	v_lshl_add_u64 v[0:1], v[0:1], 0, 4
	s_cbranch_scc0 .LBB400_69
.LBB400_63:                             ; =>This Inner Loop Header: Depth=1
	global_load_dword v3, v[0:1], off
	v_mov_b64_e32 v[4:5], 0
	s_waitcnt vmcnt(0)
	v_cmp_eq_u32_e64 s[2:3], v3, v12
	v_cmp_ne_u32_e32 vcc, v3, v12
	s_and_saveexec_b64 s[4:5], vcc
	s_cbranch_execz .LBB400_67
; %bb.64:                               ;   in Loop: Header=BB400_63 Depth=1
	v_cmp_eq_u32_e64 s[6:7], v3, v17
	v_cmp_ne_u32_e32 vcc, v3, v17
	v_mov_b64_e32 v[4:5], 1
	s_and_saveexec_b64 s[8:9], vcc
; %bb.65:                               ;   in Loop: Header=BB400_63 Depth=1
	v_cmp_eq_u32_e32 vcc, v3, v18
	s_andn2_b64 s[6:7], s[6:7], exec
	s_and_b64 s[10:11], vcc, exec
	v_mov_b64_e32 v[4:5], 2
	s_or_b64 s[6:7], s[6:7], s[10:11]
; %bb.66:                               ;   in Loop: Header=BB400_63 Depth=1
	s_or_b64 exec, exec, s[8:9]
	s_andn2_b64 s[2:3], s[2:3], exec
	s_and_b64 s[6:7], s[6:7], exec
	s_or_b64 s[2:3], s[2:3], s[6:7]
.LBB400_67:                             ;   in Loop: Header=BB400_63 Depth=1
	s_or_b64 exec, exec, s[4:5]
	s_and_saveexec_b64 s[4:5], s[2:3]
	s_cbranch_execz .LBB400_62
; %bb.68:                               ;   in Loop: Header=BB400_63 Depth=1
	v_cmp_eq_u32_e32 vcc, 1, v4
	s_nop 1
	v_cndmask_b32_e32 v3, v14, v13, vcc
	v_cmp_eq_u32_e32 vcc, 2, v4
	s_nop 1
	v_cndmask_b32_e32 v3, v3, v15, vcc
	v_mul_f32_e32 v6, v16, v3
	v_ashrrev_i32_e32 v3, 31, v2
	s_waitcnt lgkmcnt(0)
	v_lshl_add_u64 v[4:5], v[2:3], 2, s[0:1]
	global_store_dword v[4:5], v6, off
	s_branch .LBB400_62
.LBB400_69:
	s_endpgm
	.section	.rodata,"a",@progbits
	.p2align	6, 0x0
	.amdhsa_kernel _ZN4vllm3moe22topkGatingSoftplusSqrtILi3ELi192ELi4ELi2ELi64ELb1Ei14__hip_bfloat16EEvPKT6_PKbPfiPT5_PiiiibdPKfPKS9_SF_
		.amdhsa_group_segment_fixed_size 0
		.amdhsa_private_segment_fixed_size 0
		.amdhsa_kernarg_size 96
		.amdhsa_user_sgpr_count 2
		.amdhsa_user_sgpr_dispatch_ptr 0
		.amdhsa_user_sgpr_queue_ptr 0
		.amdhsa_user_sgpr_kernarg_segment_ptr 1
		.amdhsa_user_sgpr_dispatch_id 0
		.amdhsa_user_sgpr_kernarg_preload_length 0
		.amdhsa_user_sgpr_kernarg_preload_offset 0
		.amdhsa_user_sgpr_private_segment_size 0
		.amdhsa_uses_dynamic_stack 0
		.amdhsa_enable_private_segment 0
		.amdhsa_system_sgpr_workgroup_id_x 1
		.amdhsa_system_sgpr_workgroup_id_y 0
		.amdhsa_system_sgpr_workgroup_id_z 0
		.amdhsa_system_sgpr_workgroup_info 0
		.amdhsa_system_vgpr_workitem_id 1
		.amdhsa_next_free_vgpr 22
		.amdhsa_next_free_sgpr 21
		.amdhsa_accum_offset 24
		.amdhsa_reserve_vcc 1
		.amdhsa_float_round_mode_32 0
		.amdhsa_float_round_mode_16_64 0
		.amdhsa_float_denorm_mode_32 3
		.amdhsa_float_denorm_mode_16_64 3
		.amdhsa_dx10_clamp 1
		.amdhsa_ieee_mode 1
		.amdhsa_fp16_overflow 0
		.amdhsa_tg_split 0
		.amdhsa_exception_fp_ieee_invalid_op 0
		.amdhsa_exception_fp_denorm_src 0
		.amdhsa_exception_fp_ieee_div_zero 0
		.amdhsa_exception_fp_ieee_overflow 0
		.amdhsa_exception_fp_ieee_underflow 0
		.amdhsa_exception_fp_ieee_inexact 0
		.amdhsa_exception_int_div_zero 0
	.end_amdhsa_kernel
	.section	.text._ZN4vllm3moe22topkGatingSoftplusSqrtILi3ELi192ELi4ELi2ELi64ELb1Ei14__hip_bfloat16EEvPKT6_PKbPfiPT5_PiiiibdPKfPKS9_SF_,"axG",@progbits,_ZN4vllm3moe22topkGatingSoftplusSqrtILi3ELi192ELi4ELi2ELi64ELb1Ei14__hip_bfloat16EEvPKT6_PKbPfiPT5_PiiiibdPKfPKS9_SF_,comdat
.Lfunc_end400:
	.size	_ZN4vllm3moe22topkGatingSoftplusSqrtILi3ELi192ELi4ELi2ELi64ELb1Ei14__hip_bfloat16EEvPKT6_PKbPfiPT5_PiiiibdPKfPKS9_SF_, .Lfunc_end400-_ZN4vllm3moe22topkGatingSoftplusSqrtILi3ELi192ELi4ELi2ELi64ELb1Ei14__hip_bfloat16EEvPKT6_PKbPfiPT5_PiiiibdPKfPKS9_SF_
                                        ; -- End function
	.section	.AMDGPU.csdata,"",@progbits
; Kernel info:
; codeLenInByte = 3208
; NumSgprs: 27
; NumVgprs: 22
; NumAgprs: 0
; TotalNumVgprs: 22
; ScratchSize: 0
; MemoryBound: 0
; FloatMode: 240
; IeeeMode: 1
; LDSByteSize: 0 bytes/workgroup (compile time only)
; SGPRBlocks: 3
; VGPRBlocks: 2
; NumSGPRsForWavesPerEU: 27
; NumVGPRsForWavesPerEU: 22
; AccumOffset: 24
; Occupancy: 8
; WaveLimiterHint : 1
; COMPUTE_PGM_RSRC2:SCRATCH_EN: 0
; COMPUTE_PGM_RSRC2:USER_SGPR: 2
; COMPUTE_PGM_RSRC2:TRAP_HANDLER: 0
; COMPUTE_PGM_RSRC2:TGID_X_EN: 1
; COMPUTE_PGM_RSRC2:TGID_Y_EN: 0
; COMPUTE_PGM_RSRC2:TGID_Z_EN: 0
; COMPUTE_PGM_RSRC2:TIDIG_COMP_CNT: 1
; COMPUTE_PGM_RSRC3_GFX90A:ACCUM_OFFSET: 5
; COMPUTE_PGM_RSRC3_GFX90A:TG_SPLIT: 0
	.section	.text._ZN4vllm3moe22topkGatingSoftplusSqrtILi3ELi192ELi4ELi2ELi64ELb0Ei14__hip_bfloat16EEvPKT6_PKbPfiPT5_PiiiibdPKfPKS9_SF_,"axG",@progbits,_ZN4vllm3moe22topkGatingSoftplusSqrtILi3ELi192ELi4ELi2ELi64ELb0Ei14__hip_bfloat16EEvPKT6_PKbPfiPT5_PiiiibdPKfPKS9_SF_,comdat
	.protected	_ZN4vllm3moe22topkGatingSoftplusSqrtILi3ELi192ELi4ELi2ELi64ELb0Ei14__hip_bfloat16EEvPKT6_PKbPfiPT5_PiiiibdPKfPKS9_SF_ ; -- Begin function _ZN4vllm3moe22topkGatingSoftplusSqrtILi3ELi192ELi4ELi2ELi64ELb0Ei14__hip_bfloat16EEvPKT6_PKbPfiPT5_PiiiibdPKfPKS9_SF_
	.globl	_ZN4vllm3moe22topkGatingSoftplusSqrtILi3ELi192ELi4ELi2ELi64ELb0Ei14__hip_bfloat16EEvPKT6_PKbPfiPT5_PiiiibdPKfPKS9_SF_
	.p2align	8
	.type	_ZN4vllm3moe22topkGatingSoftplusSqrtILi3ELi192ELi4ELi2ELi64ELb0Ei14__hip_bfloat16EEvPKT6_PKbPfiPT5_PiiiibdPKfPKS9_SF_,@function
_ZN4vllm3moe22topkGatingSoftplusSqrtILi3ELi192ELi4ELi2ELi64ELb0Ei14__hip_bfloat16EEvPKT6_PKbPfiPT5_PiiiibdPKfPKS9_SF_: ; @_ZN4vllm3moe22topkGatingSoftplusSqrtILi3ELi192ELi4ELi2ELi64ELb0Ei14__hip_bfloat16EEvPKT6_PKbPfiPT5_PiiiibdPKfPKS9_SF_
; %bb.0:
	s_load_dword s30, s[0:1], 0x18
	v_and_b32_e32 v1, 0x3ff, v0
	s_lshl_b32 s2, s2, 2
	v_lshrrev_b32_e32 v2, 6, v1
	v_bfe_u32 v0, v0, 10, 10
	v_add3_u32 v4, s2, v0, v2
	s_waitcnt lgkmcnt(0)
	v_cmp_gt_i32_e32 vcc, s30, v4
	s_and_saveexec_b64 s[2:3], vcc
	s_cbranch_execz .LBB401_55
; %bb.1:
	s_load_dwordx4 s[4:7], s[0:1], 0x0
	s_load_dwordx2 s[20:21], s[0:1], 0x10
	s_waitcnt lgkmcnt(0)
	s_cmp_eq_u64 s[6:7], 0
	s_cbranch_scc1 .LBB401_3
; %bb.2:
	v_ashrrev_i32_e32 v5, 31, v4
	v_lshl_add_u64 v[2:3], s[6:7], 0, v[4:5]
	global_load_ubyte v0, v[2:3], off
	s_waitcnt vmcnt(0)
	v_and_b32_e32 v0, 1, v0
	v_cmp_eq_u32_e32 vcc, 1, v0
	s_xor_b64 s[2:3], vcc, -1
	s_orn2_b64 s[22:23], s[2:3], exec
	s_branch .LBB401_4
.LBB401_3:
	s_mov_b64 s[22:23], -1
.LBB401_4:
	s_movk_i32 s2, 0xc0
	v_mul_lo_u32 v6, v4, s2
	v_mov_b32_e32 v2, s4
	v_mov_b32_e32 v3, s5
	v_ashrrev_i32_e32 v7, 31, v6
	v_lshl_add_u64 v[2:3], v[6:7], 1, v[2:3]
	v_and_b32_e32 v6, 63, v1
	v_mov_b32_e32 v1, 0
	v_lshlrev_b32_e32 v0, 1, v6
	v_lshl_add_u64 v[0:1], v[2:3], 0, v[0:1]
	global_load_ushort v3, v[0:1], off
	global_load_ushort v5, v[0:1], off offset:128
	global_load_ushort v2, v[0:1], off offset:256
	s_mov_b32 s16, 0x800000
	v_mov_b32_e32 v7, 0x4f800000
	s_mov_b32 s7, 0x3f317217
	s_mov_b32 s14, 0x7f800000
	v_mov_b32_e32 v8, 0x41b17218
	s_mov_b32 s6, 0x41a00000
	s_mov_b32 s15, 0xf800000
	s_load_dwordx4 s[8:11], s[0:1], 0x40
	s_waitcnt lgkmcnt(0)
	s_cmp_lg_u64 s[10:11], 0
	s_cselect_b64 s[12:13], -1, 0
	s_and_b64 s[2:3], exec, s[12:13]
	s_waitcnt vmcnt(2)
	v_lshlrev_b32_e32 v0, 16, v3
	v_mul_f32_e32 v1, 0x3fb8aa3b, v0
	v_exp_f32_e32 v1, v1
	s_nop 0
	v_add_f32_e32 v1, 1.0, v1
	v_cmp_gt_f32_e32 vcc, s16, v1
	s_nop 1
	v_cndmask_b32_e32 v3, 1.0, v7, vcc
	v_mul_f32_e32 v1, v1, v3
	v_log_f32_e32 v9, v1
	v_cndmask_b32_e32 v10, 0, v8, vcc
	v_mov_b32_e32 v1, 0x260
	v_lshlrev_b32_e32 v3, 2, v6
	v_mul_f32_e32 v11, 0x3f317217, v9
	v_fma_f32 v11, v9, s7, -v11
	v_fmac_f32_e32 v11, 0x3377d1cf, v9
	v_fmac_f32_e32 v11, 0x3f317217, v9
	v_cmp_lt_f32_e64 vcc, |v9|, s14
	s_nop 1
	v_cndmask_b32_e32 v9, v9, v11, vcc
	v_sub_f32_e32 v9, v9, v10
	v_cmp_lt_f32_e32 vcc, s6, v0
	s_nop 1
	v_cndmask_b32_e32 v0, v9, v0, vcc
	v_mul_f32_e32 v9, 0x4f800000, v0
	v_cmp_gt_f32_e32 vcc, s15, v0
	s_nop 1
	v_cndmask_b32_e32 v0, v0, v9, vcc
	v_sqrt_f32_e32 v9, v0
	s_nop 0
	v_add_u32_e32 v10, -1, v9
	v_add_u32_e32 v11, 1, v9
	v_fma_f32 v12, -v10, v9, v0
	v_fma_f32 v13, -v11, v9, v0
	v_cmp_ge_f32_e64 s[4:5], 0, v12
	s_nop 1
	v_cndmask_b32_e64 v9, v9, v10, s[4:5]
	v_cmp_lt_f32_e64 s[4:5], 0, v13
	s_nop 1
	v_cndmask_b32_e64 v9, v9, v11, s[4:5]
	v_mul_f32_e32 v10, 0x37800000, v9
	v_cndmask_b32_e32 v9, v9, v10, vcc
	v_cmp_class_f32_e32 vcc, v0, v1
	s_nop 1
	v_cndmask_b32_e32 v0, v9, v0, vcc
	s_mov_b64 vcc, s[2:3]
	s_cbranch_vccz .LBB401_6
; %bb.5:
	global_load_dword v9, v3, s[10:11]
	s_waitcnt vmcnt(0)
	v_add_f32_e32 v0, v0, v9
.LBB401_6:
	s_waitcnt vmcnt(1)
	v_lshlrev_b32_e32 v5, 16, v5
	v_mul_f32_e32 v9, 0x3fb8aa3b, v5
	v_exp_f32_e32 v9, v9
	s_nop 0
	v_add_f32_e32 v9, 1.0, v9
	v_cmp_gt_f32_e32 vcc, s16, v9
	s_nop 1
	v_cndmask_b32_e32 v7, 1.0, v7, vcc
	v_mul_f32_e32 v7, v9, v7
	v_log_f32_e32 v7, v7
	v_cndmask_b32_e32 v8, 0, v8, vcc
	v_mul_f32_e32 v9, 0x3f317217, v7
	v_fma_f32 v9, v7, s7, -v9
	v_fmac_f32_e32 v9, 0x3377d1cf, v7
	v_fmac_f32_e32 v9, 0x3f317217, v7
	v_cmp_lt_f32_e64 vcc, |v7|, s14
	s_nop 1
	v_cndmask_b32_e32 v7, v7, v9, vcc
	v_sub_f32_e32 v7, v7, v8
	v_cmp_lt_f32_e32 vcc, s6, v5
	s_nop 1
	v_cndmask_b32_e32 v5, v7, v5, vcc
	v_mul_f32_e32 v7, 0x4f800000, v5
	v_cmp_gt_f32_e32 vcc, s15, v5
	s_nop 1
	v_cndmask_b32_e32 v5, v5, v7, vcc
	v_sqrt_f32_e32 v7, v5
	s_nop 0
	v_add_u32_e32 v8, -1, v7
	v_add_u32_e32 v9, 1, v7
	v_fma_f32 v10, -v8, v7, v5
	v_fma_f32 v11, -v9, v7, v5
	v_cmp_ge_f32_e64 s[2:3], 0, v10
	s_nop 1
	v_cndmask_b32_e64 v7, v7, v8, s[2:3]
	v_cmp_lt_f32_e64 s[2:3], 0, v11
	s_nop 1
	v_cndmask_b32_e64 v7, v7, v9, s[2:3]
	v_mul_f32_e32 v8, 0x37800000, v7
	v_cndmask_b32_e32 v7, v7, v8, vcc
	v_cndmask_b32_e64 v8, 0, 1, s[12:13]
	v_cmp_class_f32_e64 s[2:3], v5, v1
	v_cmp_ne_u32_e64 s[6:7], 1, v8
	s_andn2_b64 vcc, exec, s[12:13]
	v_cndmask_b32_e64 v1, v7, v5, s[2:3]
	s_cbranch_vccnz .LBB401_8
; %bb.7:
	global_load_dword v5, v3, s[10:11] offset:256
	s_waitcnt vmcnt(0)
	v_add_f32_e32 v1, v1, v5
.LBB401_8:
	s_waitcnt vmcnt(0)
	v_lshlrev_b32_e32 v2, 16, v2
	v_mul_f32_e32 v5, 0x3fb8aa3b, v2
	v_exp_f32_e32 v5, v5
	s_mov_b32 s2, 0x800000
	v_mov_b32_e32 v7, 0x4f800000
	s_mov_b32 s3, 0x7f800000
	v_add_f32_e32 v5, 1.0, v5
	v_cmp_gt_f32_e32 vcc, s2, v5
	s_mov_b32 s2, 0x3f317217
	s_mov_b32 s4, 0x41a00000
	v_cndmask_b32_e32 v7, 1.0, v7, vcc
	v_mul_f32_e32 v5, v5, v7
	v_log_f32_e32 v5, v5
	s_nop 0
	v_mul_f32_e32 v7, 0x3f317217, v5
	v_fma_f32 v7, v5, s2, -v7
	v_fmamk_f32 v7, v5, 0x3377d1cf, v7
	v_fmac_f32_e32 v7, 0x3f317217, v5
	v_cmp_lt_f32_e64 s[2:3], |v5|, s3
	s_nop 1
	v_cndmask_b32_e64 v5, v5, v7, s[2:3]
	v_mov_b32_e32 v7, 0x41b17218
	v_cndmask_b32_e32 v7, 0, v7, vcc
	v_sub_f32_e32 v5, v5, v7
	v_cmp_lt_f32_e32 vcc, s4, v2
	s_mov_b32 s2, 0xf800000
	s_nop 0
	v_cndmask_b32_e32 v2, v5, v2, vcc
	v_mul_f32_e32 v5, 0x4f800000, v2
	v_cmp_gt_f32_e32 vcc, s2, v2
	s_nop 1
	v_cndmask_b32_e32 v2, v2, v5, vcc
	v_sqrt_f32_e32 v5, v2
	s_nop 0
	v_add_u32_e32 v7, -1, v5
	v_fma_f32 v8, -v7, v5, v2
	v_cmp_ge_f32_e64 s[2:3], 0, v8
	v_add_u32_e32 v8, 1, v5
	s_nop 0
	v_cndmask_b32_e64 v7, v5, v7, s[2:3]
	v_fma_f32 v5, -v8, v5, v2
	v_cmp_lt_f32_e64 s[2:3], 0, v5
	s_nop 1
	v_cndmask_b32_e64 v5, v7, v8, s[2:3]
	v_mul_f32_e32 v7, 0x37800000, v5
	v_cndmask_b32_e32 v5, v5, v7, vcc
	v_mov_b32_e32 v7, 0x260
	v_cmp_class_f32_e64 s[2:3], v2, v7
	s_and_b64 vcc, exec, s[6:7]
	s_nop 0
	v_cndmask_b32_e64 v2, v5, v2, s[2:3]
	s_cbranch_vccnz .LBB401_10
; %bb.9:
	global_load_dword v3, v3, s[10:11] offset:512
	s_waitcnt vmcnt(0)
	v_add_f32_e32 v2, v2, v3
.LBB401_10:
	s_load_dwordx4 s[12:15], s[0:1], 0x30
	v_cmp_eq_u32_e64 s[4:5], 0, v6
	s_waitcnt lgkmcnt(0)
	s_bitcmp1_b32 s15, 0
	s_cselect_b64 s[2:3], -1, 0
	s_cmp_gt_i32 s12, 0
	s_cselect_b64 s[24:25], -1, 0
	s_and_b64 vcc, exec, s[24:25]
	s_cbranch_vccz .LBB401_41
; %bb.11:
	v_mbcnt_lo_u32_b32 v3, -1, 0
	v_mbcnt_hi_u32_b32 v3, -1, v3
	v_and_b32_e32 v5, 64, v3
	v_add_u32_e32 v8, 64, v5
	v_xor_b32_e32 v9, 32, v3
	v_cmp_lt_i32_e32 vcc, v9, v8
	s_load_dwordx4 s[16:19], s[0:1], 0x20
	s_mov_b32 s15, 0
	v_cndmask_b32_e32 v9, v3, v9, vcc
	v_lshlrev_b32_e32 v11, 2, v9
	v_xor_b32_e32 v9, 16, v3
	v_cmp_lt_i32_e32 vcc, v9, v8
	v_mul_lo_u32 v5, v4, s12
	v_or_b32_e32 v7, 64, v6
	v_cndmask_b32_e32 v9, v3, v9, vcc
	v_lshlrev_b32_e32 v12, 2, v9
	v_xor_b32_e32 v9, 8, v3
	v_cmp_lt_i32_e32 vcc, v9, v8
	v_or_b32_e32 v10, 0x80, v6
	v_mov_b32_e32 v17, 0xc0
	v_cndmask_b32_e32 v9, v3, v9, vcc
	v_lshlrev_b32_e32 v13, 2, v9
	v_xor_b32_e32 v9, 4, v3
	v_cmp_lt_i32_e32 vcc, v9, v8
	v_mov_b32_e32 v18, 0xc61c4000
	v_mov_b32_e32 v19, v4
	v_cndmask_b32_e32 v9, v3, v9, vcc
	v_lshlrev_b32_e32 v14, 2, v9
	v_xor_b32_e32 v9, 2, v3
	v_cmp_lt_i32_e32 vcc, v9, v8
	s_nop 1
	v_cndmask_b32_e32 v9, v3, v9, vcc
	v_lshlrev_b32_e32 v15, 2, v9
	v_xor_b32_e32 v9, 1, v3
	v_cmp_lt_i32_e32 vcc, v9, v8
	s_nop 1
	v_cndmask_b32_e32 v3, v3, v9, vcc
	v_lshlrev_b32_e32 v16, 2, v3
	v_mov_b32_e32 v3, 0
	s_branch .LBB401_14
.LBB401_12:                             ;   in Loop: Header=BB401_14 Depth=1
	v_add_u32_e32 v22, s15, v5
	v_cmp_le_i32_e32 vcc, s13, v8
	v_cmp_gt_i32_e64 s[0:1], s14, v8
	v_ashrrev_i32_e32 v23, 31, v22
	s_and_b64 s[0:1], vcc, s[0:1]
	v_lshlrev_b64 v[22:23], 2, v[22:23]
	v_lshl_add_u64 v[24:25], s[20:21], 0, v[22:23]
	v_subrev_u32_e32 v9, s13, v8
	s_and_b64 vcc, s[22:23], s[0:1]
	global_store_dword v[24:25], v20, off
	v_cndmask_b32_e32 v9, v17, v9, vcc
	v_lshl_add_u64 v[24:25], s[16:17], 0, v[22:23]
	global_store_dword v[24:25], v9, off
	v_add_f32_e32 v9, v3, v20
	v_lshl_add_u64 v[22:23], s[18:19], 0, v[22:23]
	v_cndmask_b32_e64 v3, v3, v9, s[2:3]
	global_store_dword v[22:23], v19, off
.LBB401_13:                             ;   in Loop: Header=BB401_14 Depth=1
	s_or_b64 exec, exec, s[26:27]
	v_ashrrev_i32_e32 v9, 31, v8
	v_lshrrev_b32_e32 v9, 26, v9
	v_add_u32_e32 v9, v8, v9
	v_ashrrev_i32_e32 v20, 6, v9
	v_and_b32_e32 v9, 0xffffffc0, v9
	s_add_i32 s15, s15, 1
	v_sub_u32_e32 v8, v8, v9
	v_cmp_ne_u32_e64 s[0:1], 0, v20
	s_cmp_lt_i32 s15, s12
	v_cmp_eq_u32_e32 vcc, v6, v8
	v_cndmask_b32_e64 v8, v18, v0, s[0:1]
	v_cmp_ne_u32_e64 s[0:1], 1, v20
	s_cselect_b64 s[26:27], -1, 0
	s_and_b64 vcc, s[26:27], vcc
	v_cndmask_b32_e64 v9, v18, v1, s[0:1]
	v_cmp_ne_u32_e64 s[0:1], 2, v20
	v_cndmask_b32_e32 v1, v1, v9, vcc
	v_cndmask_b32_e32 v0, v0, v8, vcc
	v_cndmask_b32_e64 v20, v18, v2, s[0:1]
	v_cndmask_b32_e32 v2, v2, v20, vcc
	s_cmp_eq_u32 s12, s15
	v_add_u32_e32 v19, s30, v19
	s_cbranch_scc1 .LBB401_42
.LBB401_14:                             ; =>This Inner Loop Header: Depth=1
	v_cmp_gt_f32_e32 vcc, v1, v0
	s_nop 1
	v_cndmask_b32_e32 v9, v0, v1, vcc
	v_cndmask_b32_e32 v8, v6, v7, vcc
	v_cmp_gt_f32_e32 vcc, v2, v9
	s_nop 1
	v_cndmask_b32_e32 v20, v9, v2, vcc
	v_cndmask_b32_e32 v8, v8, v10, vcc
	ds_bpermute_b32 v9, v11, v20
	s_waitcnt lgkmcnt(0)
	ds_bpermute_b32 v21, v11, v8
	s_waitcnt lgkmcnt(0)
	v_cmp_lt_f32_e64 s[26:27], v20, v9
	v_cmp_nlt_f32_e32 vcc, v20, v9
	s_and_saveexec_b64 s[28:29], vcc
; %bb.15:                               ;   in Loop: Header=BB401_14 Depth=1
	v_cmp_eq_f32_e32 vcc, v20, v9
	v_cmp_lt_i32_e64 s[0:1], v21, v8
	s_and_b64 s[0:1], vcc, s[0:1]
	s_andn2_b64 s[26:27], s[26:27], exec
	s_and_b64 s[0:1], s[0:1], exec
	s_or_b64 s[26:27], s[26:27], s[0:1]
; %bb.16:                               ;   in Loop: Header=BB401_14 Depth=1
	s_or_b64 exec, exec, s[28:29]
	s_and_saveexec_b64 s[0:1], s[26:27]
; %bb.17:                               ;   in Loop: Header=BB401_14 Depth=1
	v_mov_b32_e32 v20, v9
	v_mov_b32_e32 v8, v21
; %bb.18:                               ;   in Loop: Header=BB401_14 Depth=1
	s_or_b64 exec, exec, s[0:1]
	ds_bpermute_b32 v9, v12, v20
	ds_bpermute_b32 v21, v12, v8
	s_waitcnt lgkmcnt(1)
	v_cmp_lt_f32_e64 s[26:27], v20, v9
	v_cmp_nlt_f32_e32 vcc, v20, v9
	s_and_saveexec_b64 s[28:29], vcc
	s_cbranch_execz .LBB401_20
; %bb.19:                               ;   in Loop: Header=BB401_14 Depth=1
	v_cmp_eq_f32_e32 vcc, v20, v9
	s_waitcnt lgkmcnt(0)
	v_cmp_lt_i32_e64 s[0:1], v21, v8
	s_and_b64 s[0:1], vcc, s[0:1]
	s_andn2_b64 s[26:27], s[26:27], exec
	s_and_b64 s[0:1], s[0:1], exec
	s_or_b64 s[26:27], s[26:27], s[0:1]
.LBB401_20:                             ;   in Loop: Header=BB401_14 Depth=1
	s_or_b64 exec, exec, s[28:29]
	s_and_saveexec_b64 s[0:1], s[26:27]
	s_cbranch_execz .LBB401_22
; %bb.21:                               ;   in Loop: Header=BB401_14 Depth=1
	v_mov_b32_e32 v20, v9
	s_waitcnt lgkmcnt(0)
	v_mov_b32_e32 v8, v21
.LBB401_22:                             ;   in Loop: Header=BB401_14 Depth=1
	s_or_b64 exec, exec, s[0:1]
	ds_bpermute_b32 v9, v13, v20
	s_waitcnt lgkmcnt(1)
	ds_bpermute_b32 v21, v13, v8
	s_waitcnt lgkmcnt(1)
	v_cmp_lt_f32_e64 s[26:27], v20, v9
	v_cmp_nlt_f32_e32 vcc, v20, v9
	s_and_saveexec_b64 s[28:29], vcc
	s_cbranch_execz .LBB401_24
; %bb.23:                               ;   in Loop: Header=BB401_14 Depth=1
	v_cmp_eq_f32_e32 vcc, v20, v9
	s_waitcnt lgkmcnt(0)
	v_cmp_lt_i32_e64 s[0:1], v21, v8
	s_and_b64 s[0:1], vcc, s[0:1]
	s_andn2_b64 s[26:27], s[26:27], exec
	s_and_b64 s[0:1], s[0:1], exec
	s_or_b64 s[26:27], s[26:27], s[0:1]
.LBB401_24:                             ;   in Loop: Header=BB401_14 Depth=1
	s_or_b64 exec, exec, s[28:29]
	s_and_saveexec_b64 s[0:1], s[26:27]
	s_cbranch_execz .LBB401_26
; %bb.25:                               ;   in Loop: Header=BB401_14 Depth=1
	v_mov_b32_e32 v20, v9
	s_waitcnt lgkmcnt(0)
	v_mov_b32_e32 v8, v21
.LBB401_26:                             ;   in Loop: Header=BB401_14 Depth=1
	s_or_b64 exec, exec, s[0:1]
	ds_bpermute_b32 v9, v14, v20
	s_waitcnt lgkmcnt(1)
	;; [unrolled: 26-line block ×4, first 2 shown]
	ds_bpermute_b32 v21, v16, v8
	s_waitcnt lgkmcnt(1)
	v_cmp_lt_f32_e64 s[26:27], v20, v9
	v_cmp_nlt_f32_e32 vcc, v20, v9
	s_and_saveexec_b64 s[28:29], vcc
	s_cbranch_execnz .LBB401_37
; %bb.35:                               ;   in Loop: Header=BB401_14 Depth=1
	s_or_b64 exec, exec, s[28:29]
	s_and_saveexec_b64 s[0:1], s[26:27]
	s_cbranch_execnz .LBB401_38
.LBB401_36:                             ;   in Loop: Header=BB401_14 Depth=1
	s_or_b64 exec, exec, s[0:1]
	s_and_saveexec_b64 s[26:27], s[4:5]
	s_cbranch_execz .LBB401_13
	s_branch .LBB401_39
.LBB401_37:                             ;   in Loop: Header=BB401_14 Depth=1
	v_cmp_eq_f32_e32 vcc, v20, v9
	s_waitcnt lgkmcnt(0)
	v_cmp_lt_i32_e64 s[0:1], v21, v8
	s_and_b64 s[0:1], vcc, s[0:1]
	s_andn2_b64 s[26:27], s[26:27], exec
	s_and_b64 s[0:1], s[0:1], exec
	s_or_b64 s[26:27], s[26:27], s[0:1]
	s_or_b64 exec, exec, s[28:29]
	s_and_saveexec_b64 s[0:1], s[26:27]
	s_cbranch_execz .LBB401_36
.LBB401_38:                             ;   in Loop: Header=BB401_14 Depth=1
	s_waitcnt lgkmcnt(0)
	v_mov_b32_e32 v8, v21
	v_mov_b32_e32 v20, v9
	s_or_b64 exec, exec, s[0:1]
	s_and_saveexec_b64 s[26:27], s[4:5]
	s_cbranch_execz .LBB401_13
.LBB401_39:                             ;   in Loop: Header=BB401_14 Depth=1
	s_and_b64 vcc, exec, s[6:7]
	s_cbranch_vccnz .LBB401_12
; %bb.40:                               ;   in Loop: Header=BB401_14 Depth=1
	v_ashrrev_i32_e32 v9, 31, v8
	v_lshl_add_u64 v[22:23], v[8:9], 2, s[10:11]
	global_load_dword v9, v[22:23], off
	s_waitcnt vmcnt(0)
	v_sub_f32_e32 v20, v20, v9
	s_branch .LBB401_12
.LBB401_41:
	v_mov_b32_e32 v3, 0
.LBB401_42:
	v_cmp_eq_u32_e32 vcc, 0, v6
	s_and_b64 exec, exec, vcc
	s_cbranch_execz .LBB401_55
; %bb.43:
	s_andn2_b64 vcc, exec, s[2:3]
	v_cvt_f32_f64_e32 v0, s[8:9]
	s_cbranch_vccnz .LBB401_45
; %bb.44:
	v_cmp_lt_f32_e32 vcc, 0, v3
	s_nop 1
	v_cndmask_b32_e32 v1, 1.0, v3, vcc
	v_div_scale_f32 v2, s[0:1], v1, v1, v0
	v_rcp_f32_e32 v3, v2
	s_nop 0
	v_fma_f32 v5, -v2, v3, 1.0
	v_fmac_f32_e32 v3, v5, v3
	v_div_scale_f32 v5, vcc, v0, v1, v0
	v_mul_f32_e32 v6, v5, v3
	v_fma_f32 v7, -v2, v6, v5
	v_fmac_f32_e32 v6, v7, v3
	v_fma_f32 v2, -v2, v6, v5
	v_div_fmas_f32 v2, v2, v3, v6
	v_div_fixup_f32 v0, v2, v1, v0
.LBB401_45:
	s_andn2_b64 vcc, exec, s[24:25]
	s_cbranch_vccnz .LBB401_55
; %bb.46:
	v_mul_lo_u32 v2, v4, s12
	s_cmp_gt_u32 s12, 3
	v_ashrrev_i32_e32 v3, 31, v2
	s_cbranch_scc0 .LBB401_50
; %bb.47:
	s_and_b32 s0, s12, 0x7ffffffc
	v_lshl_add_u64 v[4:5], v[2:3], 2, s[20:21]
	v_mov_b32_e32 v1, v0
	v_lshl_add_u64 v[4:5], v[4:5], 0, 8
	s_mov_b32 s1, s0
.LBB401_48:                             ; =>This Inner Loop Header: Depth=1
	global_load_dwordx4 v[6:9], v[4:5], off offset:-8
	s_add_i32 s1, s1, -4
	s_cmp_lg_u32 s1, 0
	s_waitcnt vmcnt(0)
	v_pk_mul_f32 v[6:7], v[0:1], v[6:7]
	v_pk_mul_f32 v[8:9], v[0:1], v[8:9]
	global_store_dwordx4 v[4:5], v[6:9], off offset:-8
	v_lshl_add_u64 v[4:5], v[4:5], 0, 16
	s_cbranch_scc1 .LBB401_48
; %bb.49:
	s_cmp_lg_u32 s0, s12
	s_cselect_b64 s[2:3], -1, 0
	s_branch .LBB401_52
.LBB401_50:
	s_mov_b64 s[2:3], 0
                                        ; implicit-def: $sgpr0
	s_cbranch_execz .LBB401_52
; %bb.51:
	s_mov_b64 s[2:3], -1
	s_mov_b32 s0, 0
.LBB401_52:
	s_andn2_b64 vcc, exec, s[2:3]
	s_cbranch_vccnz .LBB401_55
; %bb.53:
	s_mov_b32 s1, 0
	v_lshl_add_u64 v[2:3], v[2:3], 0, s[0:1]
	s_sub_i32 s2, s12, s0
	v_lshl_add_u64 v[2:3], v[2:3], 2, s[20:21]
.LBB401_54:                             ; =>This Inner Loop Header: Depth=1
	global_load_dword v1, v[2:3], off
	s_add_i32 s2, s2, -1
	s_cmp_lg_u32 s2, 0
	s_waitcnt vmcnt(0)
	v_mul_f32_e32 v1, v0, v1
	global_store_dword v[2:3], v1, off
	v_lshl_add_u64 v[2:3], v[2:3], 0, 4
	s_cbranch_scc1 .LBB401_54
.LBB401_55:
	s_endpgm
	.section	.rodata,"a",@progbits
	.p2align	6, 0x0
	.amdhsa_kernel _ZN4vllm3moe22topkGatingSoftplusSqrtILi3ELi192ELi4ELi2ELi64ELb0Ei14__hip_bfloat16EEvPKT6_PKbPfiPT5_PiiiibdPKfPKS9_SF_
		.amdhsa_group_segment_fixed_size 0
		.amdhsa_private_segment_fixed_size 0
		.amdhsa_kernarg_size 96
		.amdhsa_user_sgpr_count 2
		.amdhsa_user_sgpr_dispatch_ptr 0
		.amdhsa_user_sgpr_queue_ptr 0
		.amdhsa_user_sgpr_kernarg_segment_ptr 1
		.amdhsa_user_sgpr_dispatch_id 0
		.amdhsa_user_sgpr_kernarg_preload_length 0
		.amdhsa_user_sgpr_kernarg_preload_offset 0
		.amdhsa_user_sgpr_private_segment_size 0
		.amdhsa_uses_dynamic_stack 0
		.amdhsa_enable_private_segment 0
		.amdhsa_system_sgpr_workgroup_id_x 1
		.amdhsa_system_sgpr_workgroup_id_y 0
		.amdhsa_system_sgpr_workgroup_id_z 0
		.amdhsa_system_sgpr_workgroup_info 0
		.amdhsa_system_vgpr_workitem_id 1
		.amdhsa_next_free_vgpr 26
		.amdhsa_next_free_sgpr 31
		.amdhsa_accum_offset 28
		.amdhsa_reserve_vcc 1
		.amdhsa_float_round_mode_32 0
		.amdhsa_float_round_mode_16_64 0
		.amdhsa_float_denorm_mode_32 3
		.amdhsa_float_denorm_mode_16_64 3
		.amdhsa_dx10_clamp 1
		.amdhsa_ieee_mode 1
		.amdhsa_fp16_overflow 0
		.amdhsa_tg_split 0
		.amdhsa_exception_fp_ieee_invalid_op 0
		.amdhsa_exception_fp_denorm_src 0
		.amdhsa_exception_fp_ieee_div_zero 0
		.amdhsa_exception_fp_ieee_overflow 0
		.amdhsa_exception_fp_ieee_underflow 0
		.amdhsa_exception_fp_ieee_inexact 0
		.amdhsa_exception_int_div_zero 0
	.end_amdhsa_kernel
	.section	.text._ZN4vllm3moe22topkGatingSoftplusSqrtILi3ELi192ELi4ELi2ELi64ELb0Ei14__hip_bfloat16EEvPKT6_PKbPfiPT5_PiiiibdPKfPKS9_SF_,"axG",@progbits,_ZN4vllm3moe22topkGatingSoftplusSqrtILi3ELi192ELi4ELi2ELi64ELb0Ei14__hip_bfloat16EEvPKT6_PKbPfiPT5_PiiiibdPKfPKS9_SF_,comdat
.Lfunc_end401:
	.size	_ZN4vllm3moe22topkGatingSoftplusSqrtILi3ELi192ELi4ELi2ELi64ELb0Ei14__hip_bfloat16EEvPKT6_PKbPfiPT5_PiiiibdPKfPKS9_SF_, .Lfunc_end401-_ZN4vllm3moe22topkGatingSoftplusSqrtILi3ELi192ELi4ELi2ELi64ELb0Ei14__hip_bfloat16EEvPKT6_PKbPfiPT5_PiiiibdPKfPKS9_SF_
                                        ; -- End function
	.section	.AMDGPU.csdata,"",@progbits
; Kernel info:
; codeLenInByte = 2672
; NumSgprs: 37
; NumVgprs: 26
; NumAgprs: 0
; TotalNumVgprs: 26
; ScratchSize: 0
; MemoryBound: 0
; FloatMode: 240
; IeeeMode: 1
; LDSByteSize: 0 bytes/workgroup (compile time only)
; SGPRBlocks: 4
; VGPRBlocks: 3
; NumSGPRsForWavesPerEU: 37
; NumVGPRsForWavesPerEU: 26
; AccumOffset: 28
; Occupancy: 8
; WaveLimiterHint : 1
; COMPUTE_PGM_RSRC2:SCRATCH_EN: 0
; COMPUTE_PGM_RSRC2:USER_SGPR: 2
; COMPUTE_PGM_RSRC2:TRAP_HANDLER: 0
; COMPUTE_PGM_RSRC2:TGID_X_EN: 1
; COMPUTE_PGM_RSRC2:TGID_Y_EN: 0
; COMPUTE_PGM_RSRC2:TGID_Z_EN: 0
; COMPUTE_PGM_RSRC2:TIDIG_COMP_CNT: 1
; COMPUTE_PGM_RSRC3_GFX90A:ACCUM_OFFSET: 6
; COMPUTE_PGM_RSRC3_GFX90A:TG_SPLIT: 0
	.section	.text._ZN4vllm3moe22topkGatingSoftplusSqrtILi6ELi192ELi4ELi2ELi32ELb1Ei14__hip_bfloat16EEvPKT6_PKbPfiPT5_PiiiibdPKfPKS9_SF_,"axG",@progbits,_ZN4vllm3moe22topkGatingSoftplusSqrtILi6ELi192ELi4ELi2ELi32ELb1Ei14__hip_bfloat16EEvPKT6_PKbPfiPT5_PiiiibdPKfPKS9_SF_,comdat
	.protected	_ZN4vllm3moe22topkGatingSoftplusSqrtILi6ELi192ELi4ELi2ELi32ELb1Ei14__hip_bfloat16EEvPKT6_PKbPfiPT5_PiiiibdPKfPKS9_SF_ ; -- Begin function _ZN4vllm3moe22topkGatingSoftplusSqrtILi6ELi192ELi4ELi2ELi32ELb1Ei14__hip_bfloat16EEvPKT6_PKbPfiPT5_PiiiibdPKfPKS9_SF_
	.globl	_ZN4vllm3moe22topkGatingSoftplusSqrtILi6ELi192ELi4ELi2ELi32ELb1Ei14__hip_bfloat16EEvPKT6_PKbPfiPT5_PiiiibdPKfPKS9_SF_
	.p2align	8
	.type	_ZN4vllm3moe22topkGatingSoftplusSqrtILi6ELi192ELi4ELi2ELi32ELb1Ei14__hip_bfloat16EEvPKT6_PKbPfiPT5_PiiiibdPKfPKS9_SF_,@function
_ZN4vllm3moe22topkGatingSoftplusSqrtILi6ELi192ELi4ELi2ELi32ELb1Ei14__hip_bfloat16EEvPKT6_PKbPfiPT5_PiiiibdPKfPKS9_SF_: ; @_ZN4vllm3moe22topkGatingSoftplusSqrtILi6ELi192ELi4ELi2ELi32ELb1Ei14__hip_bfloat16EEvPKT6_PKbPfiPT5_PiiiibdPKfPKS9_SF_
; %bb.0:
	s_load_dword s3, s[0:1], 0x18
	v_and_b32_e32 v1, 0x3ff, v0
	s_lshl_b32 s2, s2, 2
	v_lshrrev_b32_e32 v2, 5, v1
	v_bfe_u32 v0, v0, 10, 10
	v_add3_u32 v0, s2, v0, v2
	s_waitcnt lgkmcnt(0)
	v_cmp_gt_i32_e32 vcc, s3, v0
	s_and_saveexec_b64 s[2:3], vcc
	s_cbranch_execz .LBB402_31
; %bb.1:
	s_load_dwordx2 s[2:3], s[0:1], 0x0
	s_load_dword s24, s[0:1], 0x30
	s_movk_i32 s4, 0xc0
	v_mul_lo_u32 v2, v0, s4
	v_ashrrev_i32_e32 v3, 31, v2
	v_and_b32_e32 v10, 31, v1
	s_waitcnt lgkmcnt(0)
	v_lshl_add_u64 v[4:5], v[2:3], 1, s[2:3]
	v_lshlrev_b32_e32 v2, 1, v10
	v_mov_b32_e32 v3, 0
	v_lshl_add_u64 v[4:5], v[4:5], 0, v[2:3]
	s_load_dwordx4 s[8:11], s[0:1], 0x50
	global_load_ushort v2, v[4:5], off offset:64
	global_load_ushort v8, v[4:5], off
	global_load_ushort v9, v[4:5], off offset:192
	global_load_ushort v11, v[4:5], off offset:128
	v_ashrrev_i32_e32 v1, 31, v0
	s_mov_b32 s17, 0x800000
	v_mov_b32_e32 v15, 0x4f800000
	s_waitcnt lgkmcnt(0)
	v_mov_b32_e32 v6, s8
	v_mov_b32_e32 v7, s9
	v_lshl_add_u64 v[6:7], v[0:1], 2, v[6:7]
	global_load_dword v1, v[6:7], off
	global_load_ushort v14, v[4:5], off offset:256
	global_load_ushort v18, v[4:5], off offset:320
	s_mov_b32 s16, 0x3f317217
	s_mov_b32 s15, 0x7f800000
	v_mov_b32_e32 v16, 0x41b17218
	s_mov_b32 s14, 0x41a00000
	s_mov_b32 s13, 0xf800000
	v_mov_b32_e32 v17, 0x260
	s_cmp_gt_i32 s24, 0
	s_mov_b32 s12, 0
	v_mul_lo_u32 v0, v0, s24
	s_waitcnt vmcnt(6)
	v_lshlrev_b32_e32 v2, 16, v2
	s_waitcnt vmcnt(5)
	v_lshlrev_b32_e32 v12, 16, v8
	v_mul_f32_e32 v4, 0x3fb8aa3b, v12
	v_mul_f32_e32 v5, 0x3fb8aa3b, v2
	v_exp_f32_e32 v4, v4
	v_exp_f32_e32 v5, v5
	s_waitcnt vmcnt(4)
	v_lshlrev_b32_e32 v13, 16, v9
	s_waitcnt vmcnt(3)
	v_lshlrev_b32_e32 v19, 16, v11
	v_mul_f32_e32 v6, 0x3fb8aa3b, v19
	v_mul_f32_e32 v7, 0x3fb8aa3b, v13
	v_pk_add_f32 v[4:5], v[4:5], 1.0 op_sel_hi:[1,0]
	v_exp_f32_e32 v6, v6
	v_exp_f32_e32 v7, v7
	v_cmp_gt_f32_e32 vcc, s17, v5
	s_waitcnt vmcnt(2)
	v_mul_lo_u32 v8, v1, s24
	v_cmp_gt_f32_e64 s[2:3], s17, v4
	v_cndmask_b32_e32 v1, 1.0, v15, vcc
	v_mul_f32_e32 v1, v5, v1
	v_cndmask_b32_e64 v11, 1.0, v15, s[2:3]
	v_mul_f32_e32 v4, v4, v11
	v_log_f32_e32 v1, v1
	v_pk_add_f32 v[6:7], v[6:7], 1.0 op_sel_hi:[1,0]
	v_log_f32_e32 v4, v4
	v_cmp_gt_f32_e64 s[4:5], s17, v7
	v_cmp_gt_f32_e64 s[6:7], s17, v6
	v_cndmask_b32_e32 v5, 0, v16, vcc
	v_cndmask_b32_e64 v20, 1.0, v15, s[4:5]
	v_cndmask_b32_e64 v21, 1.0, v15, s[6:7]
	v_mul_f32_e32 v7, v7, v20
	v_mul_f32_e32 v20, 0x3f317217, v1
	;; [unrolled: 1-line block ×4, first 2 shown]
	v_fma_f32 v20, v1, s16, -v20
	v_fma_f32 v21, v4, s16, -v21
	v_fmac_f32_e32 v20, 0x3377d1cf, v1
	v_fmac_f32_e32 v21, 0x3377d1cf, v4
	;; [unrolled: 1-line block ×3, first 2 shown]
	v_cmp_lt_f32_e64 vcc, |v1|, s15
	v_fmac_f32_e32 v21, 0x3f317217, v4
	v_cndmask_b32_e64 v11, 0, v16, s[2:3]
	v_cndmask_b32_e32 v1, v1, v20, vcc
	v_cmp_lt_f32_e64 vcc, |v4|, s15
	v_sub_f32_e32 v1, v1, v5
	v_log_f32_e32 v7, v7
	v_cndmask_b32_e32 v4, v4, v21, vcc
	v_sub_f32_e32 v4, v4, v11
	v_cmp_lt_f32_e32 vcc, s14, v12
	v_mul_f32_e32 v22, 0x3f317217, v7
	v_log_f32_e32 v6, v6
	v_cndmask_b32_e32 v4, v4, v12, vcc
	v_cmp_lt_f32_e32 vcc, s14, v2
	v_mul_f32_e32 v5, 0x4f800000, v4
	v_cmp_gt_f32_e64 s[2:3], s13, v4
	v_cndmask_b32_e32 v1, v1, v2, vcc
	v_mul_f32_e32 v2, 0x4f800000, v1
	v_cmp_gt_f32_e32 vcc, s13, v1
	v_cndmask_b32_e64 v4, v4, v5, s[2:3]
	v_sqrt_f32_e32 v5, v4
	v_cndmask_b32_e32 v1, v1, v2, vcc
	v_sqrt_f32_e32 v2, v1
	v_fma_f32 v22, v7, s16, -v22
	v_add_u32_e32 v20, -1, v5
	v_fma_f32 v25, -v20, v5, v4
	v_add_u32_e32 v11, -1, v2
	v_fma_f32 v23, -v11, v2, v1
	v_add_u32_e32 v12, 1, v2
	v_cmp_ge_f32_e64 s[8:9], 0, v23
	v_add_u32_e32 v21, 1, v5
	v_fma_f32 v24, -v12, v2, v1
	v_cndmask_b32_e64 v2, v2, v11, s[8:9]
	v_cmp_ge_f32_e64 s[8:9], 0, v25
	v_fma_f32 v26, -v21, v5, v4
	v_fmac_f32_e32 v22, 0x3377d1cf, v7
	v_cndmask_b32_e64 v5, v5, v20, s[8:9]
	v_cmp_lt_f32_e64 s[8:9], 0, v24
	v_fmac_f32_e32 v22, 0x3f317217, v7
	s_waitcnt vmcnt(0)
	v_lshlrev_b32_e32 v18, 16, v18
	v_cndmask_b32_e64 v2, v2, v12, s[8:9]
	v_cmp_lt_f32_e64 s[8:9], 0, v26
	v_mul_f32_e32 v11, 0x37800000, v2
	v_cndmask_b32_e32 v2, v2, v11, vcc
	v_cndmask_b32_e64 v5, v5, v21, s[8:9]
	v_mul_f32_e32 v12, 0x37800000, v5
	v_cmp_class_f32_e32 vcc, v1, v17
	v_cndmask_b32_e64 v5, v5, v12, s[2:3]
	v_cmp_lt_f32_e64 s[2:3], s14, v19
	v_cndmask_b32_e32 v11, v2, v1, vcc
	v_cmp_class_f32_e32 vcc, v4, v17
	v_cndmask_b32_e64 v2, 0, v16, s[4:5]
	v_ashrrev_i32_e32 v9, 31, v8
	v_cndmask_b32_e32 v12, v5, v4, vcc
	v_cmp_lt_f32_e64 vcc, |v7|, s15
	v_cndmask_b32_e64 v4, 0, v16, s[6:7]
	s_nop 0
	v_cndmask_b32_e32 v1, v7, v22, vcc
	v_sub_f32_e32 v1, v1, v2
	v_mul_f32_e32 v2, 0x3f317217, v6
	v_fma_f32 v2, v6, s16, -v2
	v_fmac_f32_e32 v2, 0x3377d1cf, v6
	v_fmac_f32_e32 v2, 0x3f317217, v6
	v_cmp_lt_f32_e64 vcc, |v6|, s15
	s_nop 1
	v_cndmask_b32_e32 v2, v6, v2, vcc
	v_cmp_lt_f32_e32 vcc, s14, v13
	v_sub_f32_e32 v2, v2, v4
	v_cndmask_b32_e64 v2, v2, v19, s[2:3]
	v_cndmask_b32_e32 v1, v1, v13, vcc
	v_mul_f32_e32 v5, 0x4f800000, v1
	v_cmp_gt_f32_e32 vcc, s13, v1
	v_lshlrev_b32_e32 v19, 16, v14
	s_nop 0
	v_cndmask_b32_e32 v1, v1, v5, vcc
	v_sqrt_f32_e32 v5, v1
	s_nop 0
	v_add_u32_e32 v4, -1, v5
	v_fma_f32 v6, -v4, v5, v1
	v_cmp_ge_f32_e64 s[2:3], 0, v6
	v_add_u32_e32 v6, 1, v5
	s_nop 0
	v_cndmask_b32_e64 v4, v5, v4, s[2:3]
	v_fma_f32 v5, -v6, v5, v1
	v_cmp_lt_f32_e64 s[2:3], 0, v5
	s_nop 1
	v_cndmask_b32_e64 v4, v4, v6, s[2:3]
	v_mul_f32_e32 v6, 0x4f800000, v2
	v_cmp_gt_f32_e64 s[2:3], s13, v2
	v_mul_f32_e32 v5, 0x37800000, v4
	v_cndmask_b32_e32 v4, v4, v5, vcc
	v_cndmask_b32_e64 v2, v2, v6, s[2:3]
	v_sqrt_f32_e32 v6, v2
	v_cmp_class_f32_e32 vcc, v1, v17
	v_mul_f32_e32 v5, 0x3fb8aa3b, v18
	v_exp_f32_e32 v5, v5
	v_cndmask_b32_e32 v13, v4, v1, vcc
	v_add_u32_e32 v1, -1, v6
	v_fma_f32 v4, -v1, v6, v2
	v_cmp_ge_f32_e32 vcc, 0, v4
	v_mul_f32_e32 v4, 0x3fb8aa3b, v19
	v_exp_f32_e32 v4, v4
	v_add_u32_e32 v7, 1, v6
	v_cndmask_b32_e32 v1, v6, v1, vcc
	v_fma_f32 v6, -v7, v6, v2
	v_cmp_lt_f32_e32 vcc, 0, v6
	v_pk_add_f32 v[4:5], v[4:5], 1.0 op_sel_hi:[1,0]
	s_nop 0
	v_cndmask_b32_e32 v1, v1, v7, vcc
	v_cmp_gt_f32_e32 vcc, s17, v5
	v_mul_f32_e32 v6, 0x37800000, v1
	v_cndmask_b32_e64 v1, v1, v6, s[2:3]
	v_cndmask_b32_e32 v7, 1.0, v15, vcc
	v_mul_f32_e32 v5, v5, v7
	v_log_f32_e32 v5, v5
	v_cmp_class_f32_e64 s[2:3], v2, v17
	v_cmp_lt_f32_e64 s[4:5], |v5|, s15
	s_nop 0
	v_cndmask_b32_e64 v14, v1, v2, s[2:3]
	v_cmp_gt_f32_e64 s[2:3], s17, v4
	v_mul_f32_e32 v1, 0x3f317217, v5
	v_fma_f32 v1, v5, s16, -v1
	v_cndmask_b32_e64 v2, 1.0, v15, s[2:3]
	v_mul_f32_e32 v2, v4, v2
	v_log_f32_e32 v2, v2
	v_fmac_f32_e32 v1, 0x3377d1cf, v5
	v_fmac_f32_e32 v1, 0x3f317217, v5
	v_cndmask_b32_e64 v1, v5, v1, s[4:5]
	v_cndmask_b32_e32 v4, 0, v16, vcc
	v_sub_f32_e32 v1, v1, v4
	v_mul_f32_e32 v4, 0x3f317217, v2
	v_fma_f32 v4, v2, s16, -v4
	v_fmac_f32_e32 v4, 0x3377d1cf, v2
	v_fmac_f32_e32 v4, 0x3f317217, v2
	v_cmp_lt_f32_e64 vcc, |v2|, s15
	s_cselect_b64 s[4:5], -1, 0
	s_cmp_lt_i32 s24, 1
	v_cndmask_b32_e32 v2, v2, v4, vcc
	v_cmp_lt_f32_e32 vcc, s14, v18
	v_cndmask_b32_e64 v4, 0, v16, s[2:3]
	v_sub_f32_e32 v2, v2, v4
	v_cndmask_b32_e32 v1, v1, v18, vcc
	v_mul_f32_e32 v5, 0x4f800000, v1
	v_cmp_gt_f32_e32 vcc, s13, v1
	v_cmp_lt_f32_e64 s[2:3], s14, v19
	s_nop 0
	v_cndmask_b32_e32 v1, v1, v5, vcc
	v_sqrt_f32_e32 v5, v1
	v_cndmask_b32_e64 v2, v2, v19, s[2:3]
	v_add_u32_e32 v4, -1, v5
	v_fma_f32 v6, -v4, v5, v1
	v_cmp_ge_f32_e64 s[2:3], 0, v6
	v_add_u32_e32 v6, 1, v5
	s_nop 0
	v_cndmask_b32_e64 v4, v5, v4, s[2:3]
	v_fma_f32 v5, -v6, v5, v1
	v_cmp_lt_f32_e64 s[2:3], 0, v5
	s_nop 1
	v_cndmask_b32_e64 v4, v4, v6, s[2:3]
	v_mul_f32_e32 v6, 0x4f800000, v2
	v_cmp_gt_f32_e64 s[2:3], s13, v2
	v_mul_f32_e32 v5, 0x37800000, v4
	v_cndmask_b32_e32 v4, v4, v5, vcc
	v_cndmask_b32_e64 v2, v2, v6, s[2:3]
	v_sqrt_f32_e32 v6, v2
	v_cmp_class_f32_e32 vcc, v1, v17
	s_nop 1
	v_cndmask_b32_e32 v15, v4, v1, vcc
	v_add_u32_e32 v1, -1, v6
	v_fma_f32 v4, -v1, v6, v2
	v_cmp_ge_f32_e32 vcc, 0, v4
	v_add_u32_e32 v4, 1, v6
	v_fma_f32 v5, -v4, v6, v2
	v_cndmask_b32_e32 v1, v6, v1, vcc
	v_cmp_lt_f32_e32 vcc, 0, v5
	s_nop 1
	v_cndmask_b32_e32 v1, v1, v4, vcc
	v_mul_f32_e32 v4, 0x37800000, v1
	v_cndmask_b32_e64 v1, v1, v4, s[2:3]
	v_cmp_class_f32_e32 vcc, v2, v17
	v_lshl_add_u64 v[4:5], v[8:9], 2, s[10:11]
	s_nop 0
	v_cndmask_b32_e32 v16, v1, v2, vcc
	s_cbranch_scc1 .LBB402_28
; %bb.2:
	s_load_dwordx2 s[6:7], s[0:1], 0x20
	s_cmp_lt_u32 s24, 4
	s_cbranch_scc1 .LBB402_21
; %bb.3:
	s_mov_b32 s9, 0
	s_and_b32 s12, s24, 0x7ffffffc
	v_ashrrev_i32_e32 v1, 31, v0
	v_mov_b32_e32 v3, 0
	s_mov_b32 s8, s9
	s_branch .LBB402_5
.LBB402_4:                              ;   in Loop: Header=BB402_5 Depth=1
	s_or_b64 exec, exec, s[10:11]
	s_add_i32 s8, s8, 4
	s_cmp_eq_u32 s8, s12
	s_cbranch_scc1 .LBB402_21
.LBB402_5:                              ; =>This Loop Header: Depth=1
                                        ;     Child Loop BB402_7 Depth 2
                                        ;     Child Loop BB402_11 Depth 2
                                        ;     Child Loop BB402_15 Depth 2
                                        ;     Child Loop BB402_19 Depth 2
	v_lshl_add_u64 v[6:7], s[8:9], 2, v[4:5]
	global_load_dword v2, v[6:7], off
	v_add_u32_e32 v8, s8, v0
	v_ashrrev_i32_e32 v9, 31, v8
	s_waitcnt lgkmcnt(0)
	v_lshl_add_u64 v[8:9], v[8:9], 2, s[6:7]
	s_mov_b64 s[10:11], 0
	v_mov_b32_e32 v17, v10
	s_mov_b64 s[14:15], 0
	s_waitcnt vmcnt(0)
	s_branch .LBB402_7
.LBB402_6:                              ;   in Loop: Header=BB402_7 Depth=2
	s_or_b64 exec, exec, s[16:17]
	s_cmp_gt_u32 s14, 4
	s_cselect_b64 s[2:3], -1, 0
	s_xor_b64 s[16:17], vcc, -1
	s_or_b64 s[2:3], s[16:17], s[2:3]
	s_add_u32 s14, s14, 1
	s_addc_u32 s15, s15, 0
	s_and_b64 s[2:3], exec, s[2:3]
	s_or_b64 s[10:11], s[2:3], s[10:11]
	v_add_u32_e32 v17, 32, v17
	s_andn2_b64 exec, exec, s[10:11]
	s_cbranch_execz .LBB402_9
.LBB402_7:                              ;   Parent Loop BB402_5 Depth=1
                                        ; =>  This Inner Loop Header: Depth=2
	v_cmp_ne_u32_e32 vcc, v2, v17
	v_cmp_eq_u32_e64 s[2:3], v2, v17
	s_and_saveexec_b64 s[16:17], s[2:3]
	s_cbranch_execz .LBB402_6
; %bb.8:                                ;   in Loop: Header=BB402_7 Depth=2
	s_cmp_eq_u32 s14, 1
	s_cselect_b64 s[2:3], -1, 0
	s_cmp_eq_u32 s14, 2
	v_cndmask_b32_e64 v18, v12, v11, s[2:3]
	s_cselect_b64 s[2:3], -1, 0
	s_cmp_eq_u32 s14, 3
	v_cndmask_b32_e64 v18, v18, v14, s[2:3]
	;; [unrolled: 3-line block ×4, first 2 shown]
	s_cselect_b64 s[2:3], -1, 0
	v_cndmask_b32_e64 v18, v18, v15, s[2:3]
	v_add_f32_e32 v3, v3, v18
	global_store_dword v[8:9], v2, off
	s_branch .LBB402_6
.LBB402_9:                              ;   in Loop: Header=BB402_5 Depth=1
	s_or_b64 exec, exec, s[10:11]
	global_load_dword v2, v[6:7], off offset:4
	s_ashr_i32 s3, s8, 31
	s_mov_b32 s2, s8
	v_lshl_add_u64 v[8:9], s[2:3], 0, v[0:1]
	v_lshl_add_u64 v[8:9], v[8:9], 2, s[6:7]
	s_mov_b64 s[10:11], 0
	v_mov_b32_e32 v17, v10
	s_mov_b64 s[14:15], 0
	s_waitcnt vmcnt(0)
	s_branch .LBB402_11
.LBB402_10:                             ;   in Loop: Header=BB402_11 Depth=2
	s_or_b64 exec, exec, s[16:17]
	s_cmp_gt_u32 s14, 4
	s_cselect_b64 s[2:3], -1, 0
	s_xor_b64 s[16:17], vcc, -1
	s_or_b64 s[2:3], s[16:17], s[2:3]
	s_add_u32 s14, s14, 1
	s_addc_u32 s15, s15, 0
	s_and_b64 s[2:3], exec, s[2:3]
	s_or_b64 s[10:11], s[2:3], s[10:11]
	v_add_u32_e32 v17, 32, v17
	s_andn2_b64 exec, exec, s[10:11]
	s_cbranch_execz .LBB402_13
.LBB402_11:                             ;   Parent Loop BB402_5 Depth=1
                                        ; =>  This Inner Loop Header: Depth=2
	v_cmp_ne_u32_e32 vcc, v2, v17
	v_cmp_eq_u32_e64 s[2:3], v2, v17
	s_and_saveexec_b64 s[16:17], s[2:3]
	s_cbranch_execz .LBB402_10
; %bb.12:                               ;   in Loop: Header=BB402_11 Depth=2
	s_cmp_eq_u32 s14, 1
	s_cselect_b64 s[2:3], -1, 0
	s_cmp_eq_u32 s14, 2
	v_cndmask_b32_e64 v18, v12, v11, s[2:3]
	s_cselect_b64 s[2:3], -1, 0
	s_cmp_eq_u32 s14, 3
	v_cndmask_b32_e64 v18, v18, v14, s[2:3]
	;; [unrolled: 3-line block ×4, first 2 shown]
	s_cselect_b64 s[2:3], -1, 0
	v_cndmask_b32_e64 v18, v18, v15, s[2:3]
	v_add_f32_e32 v3, v3, v18
	global_store_dword v[8:9], v2, off offset:4
	s_branch .LBB402_10
.LBB402_13:                             ;   in Loop: Header=BB402_5 Depth=1
	s_or_b64 exec, exec, s[10:11]
	global_load_dword v2, v[6:7], off offset:8
	s_mov_b64 s[10:11], 0
	v_mov_b32_e32 v17, v10
	s_mov_b64 s[14:15], 0
	s_waitcnt vmcnt(0)
	s_branch .LBB402_15
.LBB402_14:                             ;   in Loop: Header=BB402_15 Depth=2
	s_or_b64 exec, exec, s[16:17]
	s_cmp_gt_u32 s14, 4
	s_cselect_b64 s[2:3], -1, 0
	s_xor_b64 s[16:17], vcc, -1
	s_or_b64 s[2:3], s[16:17], s[2:3]
	s_add_u32 s14, s14, 1
	s_addc_u32 s15, s15, 0
	s_and_b64 s[2:3], exec, s[2:3]
	s_or_b64 s[10:11], s[2:3], s[10:11]
	v_add_u32_e32 v17, 32, v17
	s_andn2_b64 exec, exec, s[10:11]
	s_cbranch_execz .LBB402_17
.LBB402_15:                             ;   Parent Loop BB402_5 Depth=1
                                        ; =>  This Inner Loop Header: Depth=2
	v_cmp_ne_u32_e32 vcc, v2, v17
	v_cmp_eq_u32_e64 s[2:3], v2, v17
	s_and_saveexec_b64 s[16:17], s[2:3]
	s_cbranch_execz .LBB402_14
; %bb.16:                               ;   in Loop: Header=BB402_15 Depth=2
	s_cmp_eq_u32 s14, 1
	s_cselect_b64 s[2:3], -1, 0
	s_cmp_eq_u32 s14, 2
	v_cndmask_b32_e64 v18, v12, v11, s[2:3]
	s_cselect_b64 s[2:3], -1, 0
	s_cmp_eq_u32 s14, 3
	v_cndmask_b32_e64 v18, v18, v14, s[2:3]
	;; [unrolled: 3-line block ×4, first 2 shown]
	s_cselect_b64 s[2:3], -1, 0
	v_cndmask_b32_e64 v18, v18, v15, s[2:3]
	v_add_f32_e32 v3, v3, v18
	global_store_dword v[8:9], v2, off offset:8
	s_branch .LBB402_14
.LBB402_17:                             ;   in Loop: Header=BB402_5 Depth=1
	s_or_b64 exec, exec, s[10:11]
	global_load_dword v2, v[6:7], off offset:12
	s_mov_b64 s[10:11], 0
	v_mov_b32_e32 v6, v10
	s_mov_b64 s[14:15], 0
	s_waitcnt vmcnt(0)
	s_branch .LBB402_19
.LBB402_18:                             ;   in Loop: Header=BB402_19 Depth=2
	s_or_b64 exec, exec, s[16:17]
	s_cmp_gt_u32 s14, 4
	s_cselect_b64 s[2:3], -1, 0
	s_xor_b64 s[16:17], vcc, -1
	s_or_b64 s[2:3], s[16:17], s[2:3]
	s_add_u32 s14, s14, 1
	s_addc_u32 s15, s15, 0
	s_and_b64 s[2:3], exec, s[2:3]
	s_or_b64 s[10:11], s[2:3], s[10:11]
	v_add_u32_e32 v6, 32, v6
	s_andn2_b64 exec, exec, s[10:11]
	s_cbranch_execz .LBB402_4
.LBB402_19:                             ;   Parent Loop BB402_5 Depth=1
                                        ; =>  This Inner Loop Header: Depth=2
	v_cmp_ne_u32_e32 vcc, v2, v6
	v_cmp_eq_u32_e64 s[2:3], v2, v6
	s_and_saveexec_b64 s[16:17], s[2:3]
	s_cbranch_execz .LBB402_18
; %bb.20:                               ;   in Loop: Header=BB402_19 Depth=2
	s_cmp_eq_u32 s14, 1
	s_cselect_b64 s[2:3], -1, 0
	s_cmp_eq_u32 s14, 2
	v_cndmask_b32_e64 v7, v12, v11, s[2:3]
	s_cselect_b64 s[2:3], -1, 0
	s_cmp_eq_u32 s14, 3
	v_cndmask_b32_e64 v7, v7, v14, s[2:3]
	s_cselect_b64 s[2:3], -1, 0
	s_cmp_eq_u32 s14, 4
	v_cndmask_b32_e64 v7, v7, v13, s[2:3]
	s_cselect_b64 s[2:3], -1, 0
	s_cmp_eq_u32 s14, 5
	v_cndmask_b32_e64 v7, v7, v16, s[2:3]
	s_cselect_b64 s[2:3], -1, 0
	v_cndmask_b32_e64 v7, v7, v15, s[2:3]
	v_add_f32_e32 v3, v3, v7
	global_store_dword v[8:9], v2, off offset:12
	s_branch .LBB402_18
.LBB402_21:
	s_and_b32 s16, s24, 3
	s_cmp_eq_u32 s16, 0
	s_mov_b32 s13, 0
	s_cbranch_scc1 .LBB402_28
; %bb.22:
	s_mov_b32 s17, s13
	s_branch .LBB402_24
.LBB402_23:                             ;   in Loop: Header=BB402_24 Depth=1
	s_or_b64 exec, exec, s[8:9]
	s_add_i32 s12, s12, 1
	s_add_i32 s17, s17, 1
	s_cmp_lg_u32 s17, s16
	s_cbranch_scc0 .LBB402_28
.LBB402_24:                             ; =>This Loop Header: Depth=1
                                        ;     Child Loop BB402_26 Depth 2
	v_lshl_add_u64 v[6:7], s[12:13], 2, v[4:5]
	global_load_dword v1, v[6:7], off
	v_add_u32_e32 v6, s12, v0
	v_ashrrev_i32_e32 v7, 31, v6
	s_waitcnt lgkmcnt(0)
	v_lshl_add_u64 v[6:7], v[6:7], 2, s[6:7]
	s_mov_b64 s[8:9], 0
	v_mov_b32_e32 v2, v10
	s_mov_b64 s[10:11], 0
	s_waitcnt vmcnt(0)
	s_branch .LBB402_26
.LBB402_25:                             ;   in Loop: Header=BB402_26 Depth=2
	s_or_b64 exec, exec, s[14:15]
	s_cmp_gt_u32 s10, 4
	s_cselect_b64 s[2:3], -1, 0
	s_xor_b64 s[14:15], vcc, -1
	s_or_b64 s[2:3], s[14:15], s[2:3]
	s_add_u32 s10, s10, 1
	s_addc_u32 s11, s11, 0
	s_and_b64 s[2:3], exec, s[2:3]
	s_or_b64 s[8:9], s[2:3], s[8:9]
	v_add_u32_e32 v2, 32, v2
	s_andn2_b64 exec, exec, s[8:9]
	s_cbranch_execz .LBB402_23
.LBB402_26:                             ;   Parent Loop BB402_24 Depth=1
                                        ; =>  This Inner Loop Header: Depth=2
	v_cmp_ne_u32_e32 vcc, v1, v2
	v_cmp_eq_u32_e64 s[2:3], v1, v2
	s_and_saveexec_b64 s[14:15], s[2:3]
	s_cbranch_execz .LBB402_25
; %bb.27:                               ;   in Loop: Header=BB402_26 Depth=2
	s_cmp_eq_u32 s10, 1
	s_cselect_b64 s[2:3], -1, 0
	s_cmp_eq_u32 s10, 2
	v_cndmask_b32_e64 v8, v12, v11, s[2:3]
	s_cselect_b64 s[2:3], -1, 0
	s_cmp_eq_u32 s10, 3
	v_cndmask_b32_e64 v8, v8, v14, s[2:3]
	;; [unrolled: 3-line block ×4, first 2 shown]
	s_cselect_b64 s[2:3], -1, 0
	v_cndmask_b32_e64 v8, v8, v15, s[2:3]
	v_add_f32_e32 v3, v3, v8
	global_store_dword v[6:7], v1, off
	s_branch .LBB402_25
.LBB402_28:
	s_waitcnt lgkmcnt(0)
	s_load_dword s6, s[0:1], 0x3c
	s_waitcnt lgkmcnt(0)
	s_bitcmp1_b32 s6, 0
	s_cselect_b64 s[2:3], -1, 0
	s_bitcmp0_b32 s6, 0
	s_cbranch_scc0 .LBB402_32
; %bb.29:
	s_load_dwordx2 s[6:7], s[0:1], 0x40
	s_andn2_b64 vcc, exec, s[2:3]
	s_waitcnt lgkmcnt(0)
	v_cvt_f32_f64_e32 v17, s[6:7]
	s_cbranch_vccz .LBB402_33
.LBB402_30:
	s_andn2_b64 vcc, exec, s[4:5]
	s_cbranch_vccz .LBB402_34
.LBB402_31:
	s_endpgm
.LBB402_32:
	v_mbcnt_lo_u32_b32 v1, -1, 0
	v_mbcnt_hi_u32_b32 v1, -1, v1
	v_and_b32_e32 v2, 0x60, v1
	v_add_u32_e32 v2, 32, v2
	v_xor_b32_e32 v6, 16, v1
	v_cmp_lt_i32_e32 vcc, v6, v2
	v_xor_b32_e32 v7, 8, v1
	s_nop 0
	v_cndmask_b32_e32 v6, v1, v6, vcc
	v_lshlrev_b32_e32 v6, 2, v6
	ds_bpermute_b32 v6, v6, v3
	v_cmp_lt_i32_e32 vcc, v7, v2
	s_waitcnt lgkmcnt(0)
	v_add_f32_e32 v3, v3, v6
	v_cndmask_b32_e32 v6, v1, v7, vcc
	v_lshlrev_b32_e32 v6, 2, v6
	ds_bpermute_b32 v6, v6, v3
	v_xor_b32_e32 v7, 4, v1
	v_cmp_lt_i32_e32 vcc, v7, v2
	s_waitcnt lgkmcnt(0)
	v_add_f32_e32 v3, v3, v6
	v_cndmask_b32_e32 v6, v1, v7, vcc
	v_lshlrev_b32_e32 v6, 2, v6
	ds_bpermute_b32 v6, v6, v3
	v_xor_b32_e32 v7, 2, v1
	;; [unrolled: 7-line block ×3, first 2 shown]
	v_cmp_lt_i32_e32 vcc, v7, v2
	s_waitcnt lgkmcnt(0)
	v_add_f32_e32 v3, v3, v6
	v_cndmask_b32_e32 v1, v1, v7, vcc
	v_lshlrev_b32_e32 v1, 2, v1
	ds_bpermute_b32 v1, v1, v3
	s_waitcnt lgkmcnt(0)
	v_add_f32_e32 v3, v3, v1
	s_load_dwordx2 s[6:7], s[0:1], 0x40
	s_andn2_b64 vcc, exec, s[2:3]
	s_waitcnt lgkmcnt(0)
	v_cvt_f32_f64_e32 v17, s[6:7]
	s_cbranch_vccnz .LBB402_30
.LBB402_33:
	v_cmp_lt_f32_e32 vcc, 0, v3
	s_nop 1
	v_cndmask_b32_e32 v1, 1.0, v3, vcc
	v_div_scale_f32 v2, s[2:3], v1, v1, v17
	v_rcp_f32_e32 v3, v2
	s_nop 0
	v_fma_f32 v6, -v2, v3, 1.0
	v_fmac_f32_e32 v3, v6, v3
	v_div_scale_f32 v6, vcc, v17, v1, v17
	v_mul_f32_e32 v7, v6, v3
	v_fma_f32 v8, -v2, v7, v6
	v_fmac_f32_e32 v7, v8, v3
	v_fma_f32 v2, -v2, v7, v6
	v_div_fmas_f32 v2, v2, v3, v7
	v_div_fixup_f32 v17, v2, v1, v17
	s_andn2_b64 vcc, exec, s[4:5]
	s_cbranch_vccnz .LBB402_31
.LBB402_34:
	s_load_dwordx2 s[8:9], s[0:1], 0x10
	v_or_b32_e32 v22, 32, v10
	v_or_b32_e32 v21, 64, v10
	;; [unrolled: 1-line block ×5, first 2 shown]
	s_cmp_eq_u32 s24, 1
	s_mov_b32 s10, 0
	s_cbranch_scc1 .LBB402_61
; %bb.35:
	v_ashrrev_i32_e32 v1, 31, v0
	s_waitcnt lgkmcnt(0)
	v_lshl_add_u64 v[2:3], v[0:1], 2, s[8:9]
	s_and_b32 s10, s24, 0x7ffffffe
	v_lshl_add_u64 v[2:3], v[2:3], 0, 4
	v_lshl_add_u64 v[6:7], v[4:5], 0, 4
	s_mov_b32 s11, 0
	s_branch .LBB402_37
.LBB402_36:                             ;   in Loop: Header=BB402_37 Depth=1
	s_or_b64 exec, exec, s[0:1]
	s_add_i32 s11, s11, 2
	v_lshl_add_u64 v[2:3], v[2:3], 0, 8
	s_cmp_lg_u32 s10, s11
	v_lshl_add_u64 v[6:7], v[6:7], 0, 8
	s_cbranch_scc0 .LBB402_61
.LBB402_37:                             ; =>This Inner Loop Header: Depth=1
	global_load_dword v1, v[6:7], off offset:-4
	v_mov_b64_e32 v[8:9], 0
	s_waitcnt vmcnt(0)
	v_cmp_eq_u32_e32 vcc, v1, v10
	v_cmp_ne_u32_e64 s[0:1], v1, v10
	s_and_saveexec_b64 s[12:13], s[0:1]
	s_cbranch_execz .LBB402_47
; %bb.38:                               ;   in Loop: Header=BB402_37 Depth=1
	v_cmp_eq_u32_e64 s[0:1], v1, v22
	v_cmp_ne_u32_e64 s[2:3], v1, v22
	v_mov_b64_e32 v[8:9], 1
	s_and_saveexec_b64 s[14:15], s[2:3]
	s_cbranch_execz .LBB402_46
; %bb.39:                               ;   in Loop: Header=BB402_37 Depth=1
	v_cmp_eq_u32_e64 s[2:3], v1, v21
	v_cmp_ne_u32_e64 s[4:5], v1, v21
	v_mov_b64_e32 v[8:9], 2
	;; [unrolled: 6-line block ×4, first 2 shown]
	s_and_saveexec_b64 s[22:23], s[6:7]
	s_xor_b64 s[22:23], exec, s[22:23]
; %bb.42:                               ;   in Loop: Header=BB402_37 Depth=1
	v_cmp_eq_u32_e64 s[6:7], v1, v18
	s_andn2_b64 s[20:21], s[20:21], exec
	s_and_b64 s[6:7], s[6:7], exec
	v_mov_b64_e32 v[8:9], 5
	s_or_b64 s[20:21], s[20:21], s[6:7]
; %bb.43:                               ;   in Loop: Header=BB402_37 Depth=1
	s_or_b64 exec, exec, s[22:23]
	s_andn2_b64 s[4:5], s[4:5], exec
	s_and_b64 s[6:7], s[20:21], exec
	s_or_b64 s[4:5], s[4:5], s[6:7]
.LBB402_44:                             ;   in Loop: Header=BB402_37 Depth=1
	s_or_b64 exec, exec, s[18:19]
	s_andn2_b64 s[2:3], s[2:3], exec
	s_and_b64 s[4:5], s[4:5], exec
	s_or_b64 s[2:3], s[2:3], s[4:5]
.LBB402_45:                             ;   in Loop: Header=BB402_37 Depth=1
	s_or_b64 exec, exec, s[16:17]
	s_andn2_b64 s[0:1], s[0:1], exec
	s_and_b64 s[2:3], s[2:3], exec
	s_or_b64 s[0:1], s[0:1], s[2:3]
.LBB402_46:                             ;   in Loop: Header=BB402_37 Depth=1
	s_or_b64 exec, exec, s[14:15]
	s_andn2_b64 s[2:3], vcc, exec
	s_and_b64 s[0:1], s[0:1], exec
	s_or_b64 vcc, s[2:3], s[0:1]
.LBB402_47:                             ;   in Loop: Header=BB402_37 Depth=1
	s_or_b64 exec, exec, s[12:13]
	s_and_saveexec_b64 s[0:1], vcc
	s_cbranch_execz .LBB402_49
; %bb.48:                               ;   in Loop: Header=BB402_37 Depth=1
	v_cmp_eq_u32_e32 vcc, 1, v8
	v_add_u32_e32 v24, s11, v0
	v_ashrrev_i32_e32 v25, 31, v24
	v_cndmask_b32_e32 v1, v12, v11, vcc
	v_cmp_eq_u32_e32 vcc, 2, v8
	s_nop 1
	v_cndmask_b32_e32 v1, v1, v14, vcc
	v_cmp_eq_u32_e32 vcc, 3, v8
	s_nop 1
	;; [unrolled: 3-line block ×3, first 2 shown]
	v_cndmask_b32_e32 v1, v1, v16, vcc
	v_cmp_eq_u32_e32 vcc, 5, v8
	v_lshl_add_u64 v[8:9], v[24:25], 2, s[8:9]
	s_nop 0
	v_cndmask_b32_e32 v1, v1, v15, vcc
	v_mul_f32_e32 v1, v17, v1
	global_store_dword v[8:9], v1, off
.LBB402_49:                             ;   in Loop: Header=BB402_37 Depth=1
	s_or_b64 exec, exec, s[0:1]
	global_load_dword v1, v[6:7], off
	v_mov_b64_e32 v[8:9], 0
	s_waitcnt vmcnt(0)
	v_cmp_eq_u32_e64 s[4:5], v1, v10
	v_cmp_ne_u32_e32 vcc, v1, v10
	s_and_saveexec_b64 s[6:7], vcc
	s_cbranch_execz .LBB402_59
; %bb.50:                               ;   in Loop: Header=BB402_37 Depth=1
	v_cmp_eq_u32_e32 vcc, v1, v22
	v_cmp_ne_u32_e64 s[0:1], v1, v22
	v_mov_b64_e32 v[8:9], 1
	s_and_saveexec_b64 s[12:13], s[0:1]
	s_cbranch_execz .LBB402_58
; %bb.51:                               ;   in Loop: Header=BB402_37 Depth=1
	v_cmp_eq_u32_e64 s[0:1], v1, v21
	v_cmp_ne_u32_e64 s[2:3], v1, v21
	v_mov_b64_e32 v[8:9], 2
	s_and_saveexec_b64 s[14:15], s[2:3]
	s_cbranch_execz .LBB402_57
; %bb.52:                               ;   in Loop: Header=BB402_37 Depth=1
	v_cmp_eq_u32_e64 s[16:17], v1, v20
	;; [unrolled: 6-line block ×3, first 2 shown]
	v_cmp_ne_u32_e64 s[2:3], v1, v19
	v_mov_b64_e32 v[8:9], 4
	s_and_saveexec_b64 s[22:23], s[2:3]
; %bb.54:                               ;   in Loop: Header=BB402_37 Depth=1
	v_cmp_eq_u32_e64 s[2:3], v1, v18
	s_andn2_b64 s[20:21], s[20:21], exec
	s_and_b64 s[2:3], s[2:3], exec
	v_mov_b64_e32 v[8:9], 5
	s_or_b64 s[20:21], s[20:21], s[2:3]
; %bb.55:                               ;   in Loop: Header=BB402_37 Depth=1
	s_or_b64 exec, exec, s[22:23]
	s_andn2_b64 s[2:3], s[16:17], exec
	s_and_b64 s[16:17], s[20:21], exec
	s_or_b64 s[16:17], s[2:3], s[16:17]
.LBB402_56:                             ;   in Loop: Header=BB402_37 Depth=1
	s_or_b64 exec, exec, s[18:19]
	s_andn2_b64 s[0:1], s[0:1], exec
	s_and_b64 s[2:3], s[16:17], exec
	s_or_b64 s[0:1], s[0:1], s[2:3]
.LBB402_57:                             ;   in Loop: Header=BB402_37 Depth=1
	s_or_b64 exec, exec, s[14:15]
	s_andn2_b64 s[2:3], vcc, exec
	s_and_b64 s[0:1], s[0:1], exec
	s_or_b64 vcc, s[2:3], s[0:1]
.LBB402_58:                             ;   in Loop: Header=BB402_37 Depth=1
	s_or_b64 exec, exec, s[12:13]
	s_andn2_b64 s[0:1], s[4:5], exec
	s_and_b64 s[2:3], vcc, exec
	s_or_b64 s[4:5], s[0:1], s[2:3]
.LBB402_59:                             ;   in Loop: Header=BB402_37 Depth=1
	s_or_b64 exec, exec, s[6:7]
	s_and_saveexec_b64 s[0:1], s[4:5]
	s_cbranch_execz .LBB402_36
; %bb.60:                               ;   in Loop: Header=BB402_37 Depth=1
	v_cmp_eq_u32_e32 vcc, 1, v8
	s_nop 1
	v_cndmask_b32_e32 v1, v12, v11, vcc
	v_cmp_eq_u32_e32 vcc, 2, v8
	s_nop 1
	v_cndmask_b32_e32 v1, v1, v14, vcc
	;; [unrolled: 3-line block ×5, first 2 shown]
	v_mul_f32_e32 v1, v17, v1
	global_store_dword v[2:3], v1, off
	s_branch .LBB402_36
.LBB402_61:
	s_bitcmp0_b32 s24, 0
	s_mov_b32 s11, 0
	s_cbranch_scc1 .LBB402_31
; %bb.62:
	v_lshl_add_u64 v[2:3], s[10:11], 2, v[4:5]
	global_load_dword v1, v[2:3], off
	v_mov_b64_e32 v[2:3], 0
	s_waitcnt vmcnt(0)
	v_cmp_eq_u32_e64 s[4:5], v1, v10
	v_cmp_ne_u32_e32 vcc, v1, v10
	s_and_saveexec_b64 s[6:7], vcc
	s_cbranch_execz .LBB402_72
; %bb.63:
	v_cmp_eq_u32_e32 vcc, v1, v22
	v_cmp_ne_u32_e64 s[0:1], v1, v22
	v_mov_b64_e32 v[2:3], 1
	s_and_saveexec_b64 s[12:13], s[0:1]
	s_cbranch_execz .LBB402_71
; %bb.64:
	v_cmp_eq_u32_e64 s[0:1], v1, v21
	v_cmp_ne_u32_e64 s[2:3], v1, v21
	v_mov_b64_e32 v[2:3], 2
	s_and_saveexec_b64 s[14:15], s[2:3]
	s_cbranch_execz .LBB402_70
; %bb.65:
	v_cmp_eq_u32_e64 s[16:17], v1, v20
	v_cmp_ne_u32_e64 s[2:3], v1, v20
	v_mov_b64_e32 v[2:3], 3
	s_and_saveexec_b64 s[18:19], s[2:3]
	s_cbranch_execz .LBB402_69
; %bb.66:
	v_cmp_eq_u32_e64 s[20:21], v1, v19
	v_cmp_ne_u32_e64 s[2:3], v1, v19
	v_mov_b64_e32 v[2:3], 4
	s_and_saveexec_b64 s[22:23], s[2:3]
; %bb.67:
	v_cmp_eq_u32_e64 s[2:3], v1, v18
	s_andn2_b64 s[20:21], s[20:21], exec
	s_and_b64 s[2:3], s[2:3], exec
	v_mov_b64_e32 v[2:3], 5
	s_or_b64 s[20:21], s[20:21], s[2:3]
; %bb.68:
	s_or_b64 exec, exec, s[22:23]
	s_andn2_b64 s[2:3], s[16:17], exec
	s_and_b64 s[16:17], s[20:21], exec
	s_or_b64 s[16:17], s[2:3], s[16:17]
.LBB402_69:
	s_or_b64 exec, exec, s[18:19]
	s_andn2_b64 s[0:1], s[0:1], exec
	s_and_b64 s[2:3], s[16:17], exec
	s_or_b64 s[0:1], s[0:1], s[2:3]
.LBB402_70:
	s_or_b64 exec, exec, s[14:15]
	s_andn2_b64 s[2:3], vcc, exec
	s_and_b64 s[0:1], s[0:1], exec
	s_or_b64 vcc, s[2:3], s[0:1]
.LBB402_71:
	s_or_b64 exec, exec, s[12:13]
	s_andn2_b64 s[0:1], s[4:5], exec
	s_and_b64 s[2:3], vcc, exec
	s_or_b64 s[4:5], s[0:1], s[2:3]
.LBB402_72:
	s_or_b64 exec, exec, s[6:7]
	s_and_b64 exec, exec, s[4:5]
	s_cbranch_execz .LBB402_31
; %bb.73:
	v_cmp_eq_u32_e32 vcc, 1, v2
	v_add_u32_e32 v0, s10, v0
	s_nop 0
	v_cndmask_b32_e32 v1, v12, v11, vcc
	v_cmp_eq_u32_e32 vcc, 2, v2
	s_nop 1
	v_cndmask_b32_e32 v1, v1, v14, vcc
	v_cmp_eq_u32_e32 vcc, 3, v2
	;; [unrolled: 3-line block ×4, first 2 shown]
	s_nop 1
	v_cndmask_b32_e32 v1, v1, v15, vcc
	v_mul_f32_e32 v2, v17, v1
	v_ashrrev_i32_e32 v1, 31, v0
	s_waitcnt lgkmcnt(0)
	v_lshl_add_u64 v[0:1], v[0:1], 2, s[8:9]
	global_store_dword v[0:1], v2, off
	s_endpgm
	.section	.rodata,"a",@progbits
	.p2align	6, 0x0
	.amdhsa_kernel _ZN4vllm3moe22topkGatingSoftplusSqrtILi6ELi192ELi4ELi2ELi32ELb1Ei14__hip_bfloat16EEvPKT6_PKbPfiPT5_PiiiibdPKfPKS9_SF_
		.amdhsa_group_segment_fixed_size 0
		.amdhsa_private_segment_fixed_size 0
		.amdhsa_kernarg_size 96
		.amdhsa_user_sgpr_count 2
		.amdhsa_user_sgpr_dispatch_ptr 0
		.amdhsa_user_sgpr_queue_ptr 0
		.amdhsa_user_sgpr_kernarg_segment_ptr 1
		.amdhsa_user_sgpr_dispatch_id 0
		.amdhsa_user_sgpr_kernarg_preload_length 0
		.amdhsa_user_sgpr_kernarg_preload_offset 0
		.amdhsa_user_sgpr_private_segment_size 0
		.amdhsa_uses_dynamic_stack 0
		.amdhsa_enable_private_segment 0
		.amdhsa_system_sgpr_workgroup_id_x 1
		.amdhsa_system_sgpr_workgroup_id_y 0
		.amdhsa_system_sgpr_workgroup_id_z 0
		.amdhsa_system_sgpr_workgroup_info 0
		.amdhsa_system_vgpr_workitem_id 1
		.amdhsa_next_free_vgpr 27
		.amdhsa_next_free_sgpr 25
		.amdhsa_accum_offset 28
		.amdhsa_reserve_vcc 1
		.amdhsa_float_round_mode_32 0
		.amdhsa_float_round_mode_16_64 0
		.amdhsa_float_denorm_mode_32 3
		.amdhsa_float_denorm_mode_16_64 3
		.amdhsa_dx10_clamp 1
		.amdhsa_ieee_mode 1
		.amdhsa_fp16_overflow 0
		.amdhsa_tg_split 0
		.amdhsa_exception_fp_ieee_invalid_op 0
		.amdhsa_exception_fp_denorm_src 0
		.amdhsa_exception_fp_ieee_div_zero 0
		.amdhsa_exception_fp_ieee_overflow 0
		.amdhsa_exception_fp_ieee_underflow 0
		.amdhsa_exception_fp_ieee_inexact 0
		.amdhsa_exception_int_div_zero 0
	.end_amdhsa_kernel
	.section	.text._ZN4vllm3moe22topkGatingSoftplusSqrtILi6ELi192ELi4ELi2ELi32ELb1Ei14__hip_bfloat16EEvPKT6_PKbPfiPT5_PiiiibdPKfPKS9_SF_,"axG",@progbits,_ZN4vllm3moe22topkGatingSoftplusSqrtILi6ELi192ELi4ELi2ELi32ELb1Ei14__hip_bfloat16EEvPKT6_PKbPfiPT5_PiiiibdPKfPKS9_SF_,comdat
.Lfunc_end402:
	.size	_ZN4vllm3moe22topkGatingSoftplusSqrtILi6ELi192ELi4ELi2ELi32ELb1Ei14__hip_bfloat16EEvPKT6_PKbPfiPT5_PiiiibdPKfPKS9_SF_, .Lfunc_end402-_ZN4vllm3moe22topkGatingSoftplusSqrtILi6ELi192ELi4ELi2ELi32ELb1Ei14__hip_bfloat16EEvPKT6_PKbPfiPT5_PiiiibdPKfPKS9_SF_
                                        ; -- End function
	.section	.AMDGPU.csdata,"",@progbits
; Kernel info:
; codeLenInByte = 4308
; NumSgprs: 31
; NumVgprs: 27
; NumAgprs: 0
; TotalNumVgprs: 27
; ScratchSize: 0
; MemoryBound: 0
; FloatMode: 240
; IeeeMode: 1
; LDSByteSize: 0 bytes/workgroup (compile time only)
; SGPRBlocks: 3
; VGPRBlocks: 3
; NumSGPRsForWavesPerEU: 31
; NumVGPRsForWavesPerEU: 27
; AccumOffset: 28
; Occupancy: 8
; WaveLimiterHint : 1
; COMPUTE_PGM_RSRC2:SCRATCH_EN: 0
; COMPUTE_PGM_RSRC2:USER_SGPR: 2
; COMPUTE_PGM_RSRC2:TRAP_HANDLER: 0
; COMPUTE_PGM_RSRC2:TGID_X_EN: 1
; COMPUTE_PGM_RSRC2:TGID_Y_EN: 0
; COMPUTE_PGM_RSRC2:TGID_Z_EN: 0
; COMPUTE_PGM_RSRC2:TIDIG_COMP_CNT: 1
; COMPUTE_PGM_RSRC3_GFX90A:ACCUM_OFFSET: 6
; COMPUTE_PGM_RSRC3_GFX90A:TG_SPLIT: 0
	.section	.text._ZN4vllm3moe22topkGatingSoftplusSqrtILi6ELi192ELi4ELi2ELi32ELb0Ei14__hip_bfloat16EEvPKT6_PKbPfiPT5_PiiiibdPKfPKS9_SF_,"axG",@progbits,_ZN4vllm3moe22topkGatingSoftplusSqrtILi6ELi192ELi4ELi2ELi32ELb0Ei14__hip_bfloat16EEvPKT6_PKbPfiPT5_PiiiibdPKfPKS9_SF_,comdat
	.protected	_ZN4vllm3moe22topkGatingSoftplusSqrtILi6ELi192ELi4ELi2ELi32ELb0Ei14__hip_bfloat16EEvPKT6_PKbPfiPT5_PiiiibdPKfPKS9_SF_ ; -- Begin function _ZN4vllm3moe22topkGatingSoftplusSqrtILi6ELi192ELi4ELi2ELi32ELb0Ei14__hip_bfloat16EEvPKT6_PKbPfiPT5_PiiiibdPKfPKS9_SF_
	.globl	_ZN4vllm3moe22topkGatingSoftplusSqrtILi6ELi192ELi4ELi2ELi32ELb0Ei14__hip_bfloat16EEvPKT6_PKbPfiPT5_PiiiibdPKfPKS9_SF_
	.p2align	8
	.type	_ZN4vllm3moe22topkGatingSoftplusSqrtILi6ELi192ELi4ELi2ELi32ELb0Ei14__hip_bfloat16EEvPKT6_PKbPfiPT5_PiiiibdPKfPKS9_SF_,@function
_ZN4vllm3moe22topkGatingSoftplusSqrtILi6ELi192ELi4ELi2ELi32ELb0Ei14__hip_bfloat16EEvPKT6_PKbPfiPT5_PiiiibdPKfPKS9_SF_: ; @_ZN4vllm3moe22topkGatingSoftplusSqrtILi6ELi192ELi4ELi2ELi32ELb0Ei14__hip_bfloat16EEvPKT6_PKbPfiPT5_PiiiibdPKfPKS9_SF_
; %bb.0:
	s_load_dword s30, s[0:1], 0x18
	v_and_b32_e32 v1, 0x3ff, v0
	s_lshl_b32 s2, s2, 2
	v_lshrrev_b32_e32 v2, 5, v1
	v_bfe_u32 v0, v0, 10, 10
	v_add3_u32 v6, s2, v0, v2
	s_waitcnt lgkmcnt(0)
	v_cmp_gt_i32_e32 vcc, s30, v6
	s_and_saveexec_b64 s[2:3], vcc
	s_cbranch_execz .LBB403_57
; %bb.1:
	s_load_dwordx4 s[4:7], s[0:1], 0x0
	s_load_dwordx2 s[20:21], s[0:1], 0x10
	s_waitcnt lgkmcnt(0)
	s_cmp_eq_u64 s[6:7], 0
	s_cbranch_scc1 .LBB403_3
; %bb.2:
	v_ashrrev_i32_e32 v7, 31, v6
	v_lshl_add_u64 v[2:3], s[6:7], 0, v[6:7]
	global_load_ubyte v0, v[2:3], off
	s_waitcnt vmcnt(0)
	v_and_b32_e32 v0, 1, v0
	v_cmp_eq_u32_e32 vcc, 1, v0
	s_xor_b64 s[2:3], vcc, -1
	s_orn2_b64 s[22:23], s[2:3], exec
	s_branch .LBB403_4
.LBB403_3:
	s_mov_b64 s[22:23], -1
.LBB403_4:
	s_movk_i32 s2, 0xc0
	v_mul_lo_u32 v4, v6, s2
	v_mov_b32_e32 v2, s4
	v_mov_b32_e32 v3, s5
	v_ashrrev_i32_e32 v5, 31, v4
	v_and_b32_e32 v8, 31, v1
	v_lshl_add_u64 v[2:3], v[4:5], 1, v[2:3]
	v_mov_b32_e32 v1, 0
	v_lshlrev_b32_e32 v0, 1, v8
	v_lshl_add_u64 v[10:11], v[2:3], 0, v[0:1]
	global_load_ushort v0, v[10:11], off
	global_load_ushort v1, v[10:11], off offset:64
	global_load_ushort v2, v[10:11], off offset:128
	;; [unrolled: 1-line block ×5, first 2 shown]
	s_mov_b32 s16, 0x800000
	v_mov_b32_e32 v10, 0x4f800000
	s_mov_b32 s13, 0x3f317217
	s_mov_b32 s14, 0x7f800000
	v_mov_b32_e32 v11, 0x41b17218
	s_mov_b32 s12, 0x41a00000
	s_mov_b32 s15, 0xf800000
	s_load_dwordx4 s[8:11], s[0:1], 0x40
	s_waitcnt lgkmcnt(0)
	s_cmp_lg_u64 s[10:11], 0
	s_cselect_b64 s[6:7], -1, 0
	s_and_b64 s[2:3], exec, s[6:7]
	s_waitcnt vmcnt(5)
	v_lshlrev_b32_e32 v0, 16, v0
	v_mul_f32_e32 v7, 0x3fb8aa3b, v0
	v_exp_f32_e32 v7, v7
	s_nop 0
	v_add_f32_e32 v7, 1.0, v7
	v_cmp_gt_f32_e32 vcc, s16, v7
	s_nop 1
	v_cndmask_b32_e32 v9, 1.0, v10, vcc
	v_mul_f32_e32 v7, v7, v9
	v_log_f32_e32 v12, v7
	v_cndmask_b32_e32 v13, 0, v11, vcc
	v_mov_b32_e32 v9, 0x260
	v_lshlrev_b32_e32 v7, 2, v8
	v_mul_f32_e32 v14, 0x3f317217, v12
	v_fma_f32 v14, v12, s13, -v14
	v_fmac_f32_e32 v14, 0x3377d1cf, v12
	v_fmac_f32_e32 v14, 0x3f317217, v12
	v_cmp_lt_f32_e64 vcc, |v12|, s14
	s_nop 1
	v_cndmask_b32_e32 v12, v12, v14, vcc
	v_sub_f32_e32 v12, v12, v13
	v_cmp_lt_f32_e32 vcc, s12, v0
	s_nop 1
	v_cndmask_b32_e32 v0, v12, v0, vcc
	v_mul_f32_e32 v12, 0x4f800000, v0
	v_cmp_gt_f32_e32 vcc, s15, v0
	s_nop 1
	v_cndmask_b32_e32 v0, v0, v12, vcc
	v_sqrt_f32_e32 v12, v0
	s_nop 0
	v_add_u32_e32 v13, -1, v12
	v_add_u32_e32 v14, 1, v12
	v_fma_f32 v15, -v13, v12, v0
	v_fma_f32 v16, -v14, v12, v0
	v_cmp_ge_f32_e64 s[4:5], 0, v15
	s_nop 1
	v_cndmask_b32_e64 v12, v12, v13, s[4:5]
	v_cmp_lt_f32_e64 s[4:5], 0, v16
	s_nop 1
	v_cndmask_b32_e64 v12, v12, v14, s[4:5]
	v_mul_f32_e32 v13, 0x37800000, v12
	v_cndmask_b32_e32 v12, v12, v13, vcc
	v_cmp_class_f32_e32 vcc, v0, v9
	s_nop 1
	v_cndmask_b32_e32 v0, v12, v0, vcc
	s_mov_b64 vcc, s[2:3]
	s_cbranch_vccz .LBB403_6
; %bb.5:
	global_load_dword v12, v7, s[10:11]
	s_waitcnt vmcnt(0)
	v_add_f32_e32 v0, v0, v12
.LBB403_6:
	s_waitcnt vmcnt(4)
	v_lshlrev_b32_e32 v1, 16, v1
	v_mul_f32_e32 v12, 0x3fb8aa3b, v1
	v_exp_f32_e32 v12, v12
	s_nop 0
	v_add_f32_e32 v12, 1.0, v12
	v_cmp_gt_f32_e32 vcc, s16, v12
	s_nop 1
	v_cndmask_b32_e32 v10, 1.0, v10, vcc
	v_mul_f32_e32 v10, v12, v10
	v_log_f32_e32 v10, v10
	v_cndmask_b32_e32 v11, 0, v11, vcc
	v_mul_f32_e32 v12, 0x3f317217, v10
	v_fma_f32 v12, v10, s13, -v12
	v_fmac_f32_e32 v12, 0x3377d1cf, v10
	v_fmac_f32_e32 v12, 0x3f317217, v10
	v_cmp_lt_f32_e64 vcc, |v10|, s14
	s_nop 1
	v_cndmask_b32_e32 v10, v10, v12, vcc
	v_sub_f32_e32 v10, v10, v11
	v_cmp_lt_f32_e32 vcc, s12, v1
	s_nop 1
	v_cndmask_b32_e32 v1, v10, v1, vcc
	v_mul_f32_e32 v10, 0x4f800000, v1
	v_cmp_gt_f32_e32 vcc, s15, v1
	s_nop 1
	v_cndmask_b32_e32 v1, v1, v10, vcc
	v_sqrt_f32_e32 v10, v1
	v_cmp_class_f32_e64 s[4:5], v1, v9
	v_add_u32_e32 v11, -1, v10
	v_add_u32_e32 v12, 1, v10
	v_fma_f32 v13, -v11, v10, v1
	v_fma_f32 v14, -v12, v10, v1
	v_cmp_ge_f32_e64 s[2:3], 0, v13
	s_nop 1
	v_cndmask_b32_e64 v10, v10, v11, s[2:3]
	v_cmp_lt_f32_e64 s[2:3], 0, v14
	s_nop 1
	v_cndmask_b32_e64 v10, v10, v12, s[2:3]
	v_mul_f32_e32 v11, 0x37800000, v10
	v_cndmask_b32_e32 v10, v10, v11, vcc
	v_cndmask_b32_e64 v11, 0, 1, s[6:7]
	v_cmp_ne_u32_e64 s[2:3], 1, v11
	s_andn2_b64 vcc, exec, s[6:7]
	v_cndmask_b32_e64 v1, v10, v1, s[4:5]
	s_cbranch_vccnz .LBB403_8
; %bb.7:
	global_load_dword v9, v7, s[10:11] offset:128
	s_waitcnt vmcnt(0)
	v_add_f32_e32 v1, v1, v9
.LBB403_8:
	s_waitcnt vmcnt(3)
	v_lshlrev_b32_e32 v2, 16, v2
	v_mul_f32_e32 v9, 0x3fb8aa3b, v2
	v_exp_f32_e32 v9, v9
	s_mov_b32 s14, 0x800000
	v_mov_b32_e32 v10, 0x4f800000
	s_mov_b32 s7, 0x3f317217
	v_add_f32_e32 v9, 1.0, v9
	v_cmp_gt_f32_e32 vcc, s14, v9
	s_mov_b32 s12, 0x7f800000
	s_mov_b32 s6, 0x41a00000
	v_cndmask_b32_e32 v11, 1.0, v10, vcc
	v_mul_f32_e32 v9, v9, v11
	v_log_f32_e32 v9, v9
	s_mov_b32 s13, 0xf800000
	v_mul_f32_e32 v11, 0x3f317217, v9
	v_fma_f32 v11, v9, s7, -v11
	v_fmac_f32_e32 v11, 0x3377d1cf, v9
	v_fmac_f32_e32 v11, 0x3f317217, v9
	v_cmp_lt_f32_e64 s[4:5], |v9|, s12
	s_nop 1
	v_cndmask_b32_e64 v9, v9, v11, s[4:5]
	v_mov_b32_e32 v11, 0x41b17218
	v_cndmask_b32_e32 v12, 0, v11, vcc
	v_sub_f32_e32 v9, v9, v12
	v_cmp_lt_f32_e32 vcc, s6, v2
	s_nop 1
	v_cndmask_b32_e32 v2, v9, v2, vcc
	v_mul_f32_e32 v9, 0x4f800000, v2
	v_cmp_gt_f32_e32 vcc, s13, v2
	s_nop 1
	v_cndmask_b32_e32 v2, v2, v9, vcc
	v_sqrt_f32_e32 v9, v2
	s_nop 0
	v_add_u32_e32 v12, -1, v9
	v_fma_f32 v13, -v12, v9, v2
	v_cmp_ge_f32_e64 s[4:5], 0, v13
	v_add_u32_e32 v13, 1, v9
	s_nop 0
	v_cndmask_b32_e64 v12, v9, v12, s[4:5]
	v_fma_f32 v9, -v13, v9, v2
	v_cmp_lt_f32_e64 s[4:5], 0, v9
	s_nop 1
	v_cndmask_b32_e64 v9, v12, v13, s[4:5]
	v_mul_f32_e32 v12, 0x37800000, v9
	v_cndmask_b32_e32 v12, v9, v12, vcc
	v_mov_b32_e32 v9, 0x260
	v_cmp_class_f32_e64 s[4:5], v2, v9
	s_and_b64 vcc, exec, s[2:3]
	s_nop 0
	v_cndmask_b32_e64 v2, v12, v2, s[4:5]
	s_cbranch_vccnz .LBB403_10
; %bb.9:
	global_load_dword v12, v7, s[10:11] offset:256
	s_waitcnt vmcnt(0)
	v_add_f32_e32 v2, v2, v12
.LBB403_10:
	s_waitcnt vmcnt(2)
	v_lshlrev_b32_e32 v3, 16, v3
	v_mul_f32_e32 v12, 0x3fb8aa3b, v3
	v_exp_f32_e32 v12, v12
	s_nop 0
	v_add_f32_e32 v12, 1.0, v12
	v_cmp_gt_f32_e32 vcc, s14, v12
	s_nop 1
	v_cndmask_b32_e32 v10, 1.0, v10, vcc
	v_mul_f32_e32 v10, v12, v10
	v_log_f32_e32 v10, v10
	v_cndmask_b32_e32 v11, 0, v11, vcc
	v_mul_f32_e32 v12, 0x3f317217, v10
	v_fma_f32 v12, v10, s7, -v12
	v_fmac_f32_e32 v12, 0x3377d1cf, v10
	v_fmac_f32_e32 v12, 0x3f317217, v10
	v_cmp_lt_f32_e64 vcc, |v10|, s12
	s_nop 1
	v_cndmask_b32_e32 v10, v10, v12, vcc
	v_sub_f32_e32 v10, v10, v11
	v_cmp_lt_f32_e32 vcc, s6, v3
	s_nop 1
	v_cndmask_b32_e32 v3, v10, v3, vcc
	v_mul_f32_e32 v10, 0x4f800000, v3
	v_cmp_gt_f32_e32 vcc, s13, v3
	s_nop 1
	v_cndmask_b32_e32 v3, v3, v10, vcc
	v_sqrt_f32_e32 v10, v3
	s_nop 0
	v_add_u32_e32 v11, -1, v10
	v_add_u32_e32 v12, 1, v10
	v_fma_f32 v13, -v11, v10, v3
	v_fma_f32 v14, -v12, v10, v3
	v_cmp_ge_f32_e64 s[4:5], 0, v13
	s_nop 1
	v_cndmask_b32_e64 v10, v10, v11, s[4:5]
	v_cmp_lt_f32_e64 s[4:5], 0, v14
	s_nop 1
	v_cndmask_b32_e64 v10, v10, v12, s[4:5]
	v_mul_f32_e32 v11, 0x37800000, v10
	v_cndmask_b32_e32 v10, v10, v11, vcc
	v_cmp_class_f32_e64 s[4:5], v3, v9
	s_and_b64 vcc, exec, s[2:3]
	s_nop 0
	v_cndmask_b32_e64 v3, v10, v3, s[4:5]
	s_cbranch_vccnz .LBB403_12
; %bb.11:
	global_load_dword v9, v7, s[10:11] offset:384
	s_waitcnt vmcnt(0)
	v_add_f32_e32 v3, v3, v9
.LBB403_12:
	s_waitcnt vmcnt(1)
	v_lshlrev_b32_e32 v4, 16, v4
	v_mul_f32_e32 v9, 0x3fb8aa3b, v4
	v_exp_f32_e32 v9, v9
	v_mov_b32_e32 v10, 0x4f800000
	v_add_f32_e32 v9, 1.0, v9
	v_cmp_gt_f32_e32 vcc, s14, v9
	s_nop 1
	v_cndmask_b32_e32 v11, 1.0, v10, vcc
	v_mul_f32_e32 v9, v9, v11
	v_log_f32_e32 v9, v9
	s_nop 0
	v_mul_f32_e32 v11, 0x3f317217, v9
	v_fma_f32 v11, v9, s7, -v11
	v_fmac_f32_e32 v11, 0x3377d1cf, v9
	v_fmac_f32_e32 v11, 0x3f317217, v9
	v_cmp_lt_f32_e64 s[4:5], |v9|, s12
	s_nop 1
	v_cndmask_b32_e64 v9, v9, v11, s[4:5]
	v_mov_b32_e32 v11, 0x41b17218
	v_cndmask_b32_e32 v12, 0, v11, vcc
	v_sub_f32_e32 v9, v9, v12
	v_cmp_lt_f32_e32 vcc, s6, v4
	s_nop 1
	v_cndmask_b32_e32 v4, v9, v4, vcc
	v_mul_f32_e32 v9, 0x4f800000, v4
	v_cmp_gt_f32_e32 vcc, s13, v4
	s_nop 1
	v_cndmask_b32_e32 v4, v4, v9, vcc
	v_sqrt_f32_e32 v9, v4
	s_nop 0
	v_add_u32_e32 v12, -1, v9
	v_fma_f32 v13, -v12, v9, v4
	v_cmp_ge_f32_e64 s[4:5], 0, v13
	v_add_u32_e32 v13, 1, v9
	s_nop 0
	v_cndmask_b32_e64 v12, v9, v12, s[4:5]
	v_fma_f32 v9, -v13, v9, v4
	v_cmp_lt_f32_e64 s[4:5], 0, v9
	s_nop 1
	v_cndmask_b32_e64 v9, v12, v13, s[4:5]
	v_mul_f32_e32 v12, 0x37800000, v9
	v_cndmask_b32_e32 v12, v9, v12, vcc
	v_mov_b32_e32 v9, 0x260
	v_cmp_class_f32_e64 s[4:5], v4, v9
	s_and_b64 vcc, exec, s[2:3]
	s_nop 0
	v_cndmask_b32_e64 v4, v12, v4, s[4:5]
	s_cbranch_vccnz .LBB403_14
; %bb.13:
	global_load_dword v12, v7, s[10:11] offset:512
	s_waitcnt vmcnt(0)
	v_add_f32_e32 v4, v4, v12
.LBB403_14:
	s_waitcnt vmcnt(0)
	v_lshlrev_b32_e32 v5, 16, v5
	v_mul_f32_e32 v12, 0x3fb8aa3b, v5
	v_exp_f32_e32 v12, v12
	s_nop 0
	v_add_f32_e32 v12, 1.0, v12
	v_cmp_gt_f32_e32 vcc, s14, v12
	s_nop 1
	v_cndmask_b32_e32 v10, 1.0, v10, vcc
	v_mul_f32_e32 v10, v12, v10
	v_log_f32_e32 v10, v10
	v_cndmask_b32_e32 v11, 0, v11, vcc
	v_mul_f32_e32 v12, 0x3f317217, v10
	v_fma_f32 v12, v10, s7, -v12
	v_fmac_f32_e32 v12, 0x3377d1cf, v10
	v_fmac_f32_e32 v12, 0x3f317217, v10
	v_cmp_lt_f32_e64 vcc, |v10|, s12
	s_nop 1
	v_cndmask_b32_e32 v10, v10, v12, vcc
	v_sub_f32_e32 v10, v10, v11
	v_cmp_lt_f32_e32 vcc, s6, v5
	s_nop 1
	v_cndmask_b32_e32 v5, v10, v5, vcc
	v_mul_f32_e32 v10, 0x4f800000, v5
	v_cmp_gt_f32_e32 vcc, s13, v5
	s_nop 1
	v_cndmask_b32_e32 v5, v5, v10, vcc
	v_sqrt_f32_e32 v10, v5
	s_nop 0
	v_add_u32_e32 v11, -1, v10
	v_add_u32_e32 v12, 1, v10
	v_fma_f32 v13, -v11, v10, v5
	v_fma_f32 v14, -v12, v10, v5
	v_cmp_ge_f32_e64 s[4:5], 0, v13
	s_nop 1
	v_cndmask_b32_e64 v10, v10, v11, s[4:5]
	v_cmp_lt_f32_e64 s[4:5], 0, v14
	s_nop 1
	v_cndmask_b32_e64 v10, v10, v12, s[4:5]
	v_mul_f32_e32 v11, 0x37800000, v10
	v_cndmask_b32_e32 v10, v10, v11, vcc
	v_cmp_class_f32_e64 s[4:5], v5, v9
	s_and_b64 vcc, exec, s[2:3]
	s_nop 0
	v_cndmask_b32_e64 v5, v10, v5, s[4:5]
	s_cbranch_vccnz .LBB403_16
; %bb.15:
	global_load_dword v7, v7, s[10:11] offset:640
	s_waitcnt vmcnt(0)
	v_add_f32_e32 v5, v5, v7
.LBB403_16:
	s_load_dwordx4 s[12:15], s[0:1], 0x30
	s_mov_b32 s31, 0
	v_cmp_eq_u32_e64 s[6:7], 0, v8
	s_waitcnt lgkmcnt(0)
	s_bitcmp1_b32 s15, 0
	s_cselect_b64 s[4:5], -1, 0
	s_cmp_gt_i32 s12, 0
	s_cselect_b64 s[24:25], -1, 0
	s_and_b64 vcc, exec, s[24:25]
	s_cbranch_vccz .LBB403_43
; %bb.17:
	v_mbcnt_lo_u32_b32 v7, -1, 0
	v_mbcnt_hi_u32_b32 v7, -1, v7
	v_and_b32_e32 v9, 0x60, v7
	v_add_u32_e32 v10, 32, v9
	v_xor_b32_e32 v11, 16, v7
	v_cmp_lt_i32_e32 vcc, v11, v10
	s_load_dwordx4 s[16:19], s[0:1], 0x20
	v_mul_lo_u32 v9, v6, s12
	v_cndmask_b32_e32 v11, v7, v11, vcc
	v_lshlrev_b32_e32 v17, 2, v11
	v_xor_b32_e32 v11, 8, v7
	v_cmp_lt_i32_e32 vcc, v11, v10
	v_or_b32_e32 v12, 32, v8
	v_or_b32_e32 v13, 64, v8
	v_cndmask_b32_e32 v11, v7, v11, vcc
	v_lshlrev_b32_e32 v18, 2, v11
	v_xor_b32_e32 v11, 4, v7
	v_cmp_lt_i32_e32 vcc, v11, v10
	v_or_b32_e32 v14, 0x60, v8
	v_or_b32_e32 v15, 0x80, v8
	v_cndmask_b32_e32 v11, v7, v11, vcc
	v_lshlrev_b32_e32 v19, 2, v11
	v_xor_b32_e32 v11, 2, v7
	v_cmp_lt_i32_e32 vcc, v11, v10
	v_or_b32_e32 v16, 0xa0, v8
	v_mov_b32_e32 v22, 0xc0
	v_cndmask_b32_e32 v11, v7, v11, vcc
	v_lshlrev_b32_e32 v20, 2, v11
	v_xor_b32_e32 v11, 1, v7
	v_cmp_lt_i32_e32 vcc, v11, v10
	v_mov_b32_e32 v23, 0xc61c4000
	v_mov_b32_e32 v24, v6
	v_cndmask_b32_e32 v7, v7, v11, vcc
	v_lshlrev_b32_e32 v21, 2, v7
	v_mov_b32_e32 v7, 0
	s_branch .LBB403_20
.LBB403_18:                             ;   in Loop: Header=BB403_20 Depth=1
	s_waitcnt lgkmcnt(0)
	v_add_u32_e32 v26, s31, v9
	v_cmp_le_i32_e32 vcc, s13, v10
	v_cmp_gt_i32_e64 s[0:1], s14, v10
	v_ashrrev_i32_e32 v27, 31, v26
	s_and_b64 s[0:1], vcc, s[0:1]
	v_lshlrev_b64 v[26:27], 2, v[26:27]
	v_lshl_add_u64 v[28:29], s[20:21], 0, v[26:27]
	v_subrev_u32_e32 v11, s13, v10
	s_and_b64 vcc, s[22:23], s[0:1]
	global_store_dword v[28:29], v25, off
	v_cndmask_b32_e32 v11, v22, v11, vcc
	v_lshl_add_u64 v[28:29], s[16:17], 0, v[26:27]
	global_store_dword v[28:29], v11, off
	v_add_f32_e32 v11, v7, v25
	v_lshl_add_u64 v[26:27], s[18:19], 0, v[26:27]
	v_cndmask_b32_e64 v7, v7, v11, s[4:5]
	global_store_dword v[26:27], v24, off
.LBB403_19:                             ;   in Loop: Header=BB403_20 Depth=1
	s_or_b64 exec, exec, s[26:27]
	v_ashrrev_i32_e32 v11, 31, v10
	v_lshrrev_b32_e32 v11, 27, v11
	v_add_u32_e32 v11, v10, v11
	v_ashrrev_i32_e32 v25, 5, v11
	v_and_b32_e32 v11, 0xffffffe0, v11
	v_sub_u32_e32 v10, v10, v11
	v_cmp_ne_u32_e64 s[0:1], 0, v25
	v_cmp_eq_u32_e32 vcc, v8, v10
	s_add_i32 s31, s31, 1
	v_cndmask_b32_e64 v10, v23, v0, s[0:1]
	v_cmp_ne_u32_e64 s[0:1], 1, v25
	s_cmp_lt_i32 s31, s12
	s_cselect_b64 s[26:27], -1, 0
	v_cndmask_b32_e64 v11, v23, v1, s[0:1]
	v_cmp_ne_u32_e64 s[0:1], 2, v25
	s_and_b64 vcc, s[26:27], vcc
	v_cndmask_b32_e32 v1, v1, v11, vcc
	s_waitcnt lgkmcnt(0)
	v_cndmask_b32_e64 v26, v23, v2, s[0:1]
	v_cmp_ne_u32_e64 s[0:1], 3, v25
	v_cndmask_b32_e32 v2, v2, v26, vcc
	v_cndmask_b32_e32 v0, v0, v10, vcc
	v_cndmask_b32_e64 v27, v23, v3, s[0:1]
	v_cmp_ne_u32_e64 s[0:1], 4, v25
	v_cndmask_b32_e32 v3, v3, v27, vcc
	s_cmp_eq_u32 s12, s31
	v_cndmask_b32_e64 v28, v23, v4, s[0:1]
	v_cmp_ne_u32_e64 s[0:1], 5, v25
	v_cndmask_b32_e32 v4, v4, v28, vcc
	v_add_u32_e32 v24, s30, v24
	v_cndmask_b32_e64 v25, v23, v5, s[0:1]
	v_cndmask_b32_e32 v5, v5, v25, vcc
	s_cbranch_scc1 .LBB403_44
.LBB403_20:                             ; =>This Inner Loop Header: Depth=1
	v_cmp_gt_f32_e32 vcc, v1, v0
	s_nop 1
	v_cndmask_b32_e32 v11, v0, v1, vcc
	v_cndmask_b32_e32 v10, v8, v12, vcc
	v_cmp_gt_f32_e32 vcc, v2, v11
	s_nop 1
	v_cndmask_b32_e32 v11, v11, v2, vcc
	v_cndmask_b32_e32 v10, v10, v13, vcc
	;; [unrolled: 4-line block ×5, first 2 shown]
	ds_bpermute_b32 v11, v17, v25
	ds_bpermute_b32 v26, v17, v10
	s_waitcnt lgkmcnt(0)
	v_cmp_lt_f32_e64 s[26:27], v25, v11
	v_cmp_nlt_f32_e32 vcc, v25, v11
	s_and_saveexec_b64 s[28:29], vcc
; %bb.21:                               ;   in Loop: Header=BB403_20 Depth=1
	v_cmp_eq_f32_e32 vcc, v25, v11
	v_cmp_lt_i32_e64 s[0:1], v26, v10
	s_and_b64 s[0:1], vcc, s[0:1]
	s_andn2_b64 s[26:27], s[26:27], exec
	s_and_b64 s[0:1], s[0:1], exec
	s_or_b64 s[26:27], s[26:27], s[0:1]
; %bb.22:                               ;   in Loop: Header=BB403_20 Depth=1
	s_or_b64 exec, exec, s[28:29]
	s_and_saveexec_b64 s[0:1], s[26:27]
; %bb.23:                               ;   in Loop: Header=BB403_20 Depth=1
	v_mov_b32_e32 v25, v11
	v_mov_b32_e32 v10, v26
; %bb.24:                               ;   in Loop: Header=BB403_20 Depth=1
	s_or_b64 exec, exec, s[0:1]
	ds_bpermute_b32 v11, v18, v25
	ds_bpermute_b32 v26, v18, v10
	s_waitcnt lgkmcnt(1)
	v_cmp_lt_f32_e64 s[26:27], v25, v11
	v_cmp_nlt_f32_e32 vcc, v25, v11
	s_and_saveexec_b64 s[28:29], vcc
	s_cbranch_execz .LBB403_26
; %bb.25:                               ;   in Loop: Header=BB403_20 Depth=1
	v_cmp_eq_f32_e32 vcc, v25, v11
	s_waitcnt lgkmcnt(0)
	v_cmp_lt_i32_e64 s[0:1], v26, v10
	s_and_b64 s[0:1], vcc, s[0:1]
	s_andn2_b64 s[26:27], s[26:27], exec
	s_and_b64 s[0:1], s[0:1], exec
	s_or_b64 s[26:27], s[26:27], s[0:1]
.LBB403_26:                             ;   in Loop: Header=BB403_20 Depth=1
	s_or_b64 exec, exec, s[28:29]
	s_and_saveexec_b64 s[0:1], s[26:27]
	s_cbranch_execz .LBB403_28
; %bb.27:                               ;   in Loop: Header=BB403_20 Depth=1
	v_mov_b32_e32 v25, v11
	s_waitcnt lgkmcnt(0)
	v_mov_b32_e32 v10, v26
.LBB403_28:                             ;   in Loop: Header=BB403_20 Depth=1
	s_or_b64 exec, exec, s[0:1]
	ds_bpermute_b32 v11, v19, v25
	s_waitcnt lgkmcnt(1)
	ds_bpermute_b32 v26, v19, v10
	s_waitcnt lgkmcnt(1)
	v_cmp_lt_f32_e64 s[26:27], v25, v11
	v_cmp_nlt_f32_e32 vcc, v25, v11
	s_and_saveexec_b64 s[28:29], vcc
	s_cbranch_execz .LBB403_30
; %bb.29:                               ;   in Loop: Header=BB403_20 Depth=1
	v_cmp_eq_f32_e32 vcc, v25, v11
	s_waitcnt lgkmcnt(0)
	v_cmp_lt_i32_e64 s[0:1], v26, v10
	s_and_b64 s[0:1], vcc, s[0:1]
	s_andn2_b64 s[26:27], s[26:27], exec
	s_and_b64 s[0:1], s[0:1], exec
	s_or_b64 s[26:27], s[26:27], s[0:1]
.LBB403_30:                             ;   in Loop: Header=BB403_20 Depth=1
	s_or_b64 exec, exec, s[28:29]
	s_and_saveexec_b64 s[0:1], s[26:27]
	s_cbranch_execz .LBB403_32
; %bb.31:                               ;   in Loop: Header=BB403_20 Depth=1
	v_mov_b32_e32 v25, v11
	s_waitcnt lgkmcnt(0)
	v_mov_b32_e32 v10, v26
.LBB403_32:                             ;   in Loop: Header=BB403_20 Depth=1
	s_or_b64 exec, exec, s[0:1]
	ds_bpermute_b32 v11, v20, v25
	s_waitcnt lgkmcnt(1)
	;; [unrolled: 26-line block ×3, first 2 shown]
	ds_bpermute_b32 v26, v21, v10
	s_waitcnt lgkmcnt(1)
	v_cmp_lt_f32_e64 s[26:27], v25, v11
	v_cmp_nlt_f32_e32 vcc, v25, v11
	s_and_saveexec_b64 s[28:29], vcc
	s_cbranch_execnz .LBB403_39
; %bb.37:                               ;   in Loop: Header=BB403_20 Depth=1
	s_or_b64 exec, exec, s[28:29]
	s_and_saveexec_b64 s[0:1], s[26:27]
	s_cbranch_execnz .LBB403_40
.LBB403_38:                             ;   in Loop: Header=BB403_20 Depth=1
	s_or_b64 exec, exec, s[0:1]
	s_and_saveexec_b64 s[26:27], s[6:7]
	s_cbranch_execz .LBB403_19
	s_branch .LBB403_41
.LBB403_39:                             ;   in Loop: Header=BB403_20 Depth=1
	v_cmp_eq_f32_e32 vcc, v25, v11
	s_waitcnt lgkmcnt(0)
	v_cmp_lt_i32_e64 s[0:1], v26, v10
	s_and_b64 s[0:1], vcc, s[0:1]
	s_andn2_b64 s[26:27], s[26:27], exec
	s_and_b64 s[0:1], s[0:1], exec
	s_or_b64 s[26:27], s[26:27], s[0:1]
	s_or_b64 exec, exec, s[28:29]
	s_and_saveexec_b64 s[0:1], s[26:27]
	s_cbranch_execz .LBB403_38
.LBB403_40:                             ;   in Loop: Header=BB403_20 Depth=1
	s_waitcnt lgkmcnt(0)
	v_mov_b32_e32 v10, v26
	v_mov_b32_e32 v25, v11
	s_or_b64 exec, exec, s[0:1]
	s_and_saveexec_b64 s[26:27], s[6:7]
	s_cbranch_execz .LBB403_19
.LBB403_41:                             ;   in Loop: Header=BB403_20 Depth=1
	s_and_b64 vcc, exec, s[2:3]
	s_cbranch_vccnz .LBB403_18
; %bb.42:                               ;   in Loop: Header=BB403_20 Depth=1
	v_ashrrev_i32_e32 v11, 31, v10
	s_waitcnt lgkmcnt(0)
	v_lshl_add_u64 v[26:27], v[10:11], 2, s[10:11]
	global_load_dword v11, v[26:27], off
	s_waitcnt vmcnt(0)
	v_sub_f32_e32 v25, v25, v11
	s_branch .LBB403_18
.LBB403_43:
	v_mov_b32_e32 v7, 0
.LBB403_44:
	v_cmp_eq_u32_e32 vcc, 0, v8
	s_and_b64 exec, exec, vcc
	s_cbranch_execz .LBB403_57
; %bb.45:
	s_andn2_b64 vcc, exec, s[4:5]
	v_cvt_f32_f64_e32 v0, s[8:9]
	s_cbranch_vccnz .LBB403_47
; %bb.46:
	v_cmp_lt_f32_e32 vcc, 0, v7
	s_nop 1
	v_cndmask_b32_e32 v1, 1.0, v7, vcc
	v_div_scale_f32 v2, s[0:1], v1, v1, v0
	v_rcp_f32_e32 v3, v2
	s_nop 0
	v_fma_f32 v4, -v2, v3, 1.0
	v_fmac_f32_e32 v3, v4, v3
	v_div_scale_f32 v4, vcc, v0, v1, v0
	v_mul_f32_e32 v5, v4, v3
	v_fma_f32 v7, -v2, v5, v4
	v_fmac_f32_e32 v5, v7, v3
	v_fma_f32 v2, -v2, v5, v4
	v_div_fmas_f32 v2, v2, v3, v5
	v_div_fixup_f32 v0, v2, v1, v0
.LBB403_47:
	s_andn2_b64 vcc, exec, s[24:25]
	s_cbranch_vccnz .LBB403_57
; %bb.48:
	v_mul_lo_u32 v2, v6, s12
	s_cmp_gt_u32 s12, 3
	v_ashrrev_i32_e32 v3, 31, v2
	s_cbranch_scc0 .LBB403_52
; %bb.49:
	s_and_b32 s0, s12, 0x7ffffffc
	v_lshl_add_u64 v[4:5], v[2:3], 2, s[20:21]
	v_mov_b32_e32 v1, v0
	v_lshl_add_u64 v[4:5], v[4:5], 0, 8
	s_mov_b32 s1, s0
.LBB403_50:                             ; =>This Inner Loop Header: Depth=1
	global_load_dwordx4 v[6:9], v[4:5], off offset:-8
	s_add_i32 s1, s1, -4
	s_cmp_lg_u32 s1, 0
	s_waitcnt vmcnt(0)
	v_pk_mul_f32 v[6:7], v[0:1], v[6:7]
	v_pk_mul_f32 v[8:9], v[0:1], v[8:9]
	global_store_dwordx4 v[4:5], v[6:9], off offset:-8
	v_lshl_add_u64 v[4:5], v[4:5], 0, 16
	s_cbranch_scc1 .LBB403_50
; %bb.51:
	s_cmp_lg_u32 s0, s12
	s_cselect_b64 s[2:3], -1, 0
	s_branch .LBB403_54
.LBB403_52:
	s_mov_b64 s[2:3], 0
                                        ; implicit-def: $sgpr0
	s_cbranch_execz .LBB403_54
; %bb.53:
	s_mov_b64 s[2:3], -1
	s_mov_b32 s0, 0
.LBB403_54:
	s_andn2_b64 vcc, exec, s[2:3]
	s_cbranch_vccnz .LBB403_57
; %bb.55:
	s_mov_b32 s1, 0
	v_lshl_add_u64 v[2:3], v[2:3], 0, s[0:1]
	s_sub_i32 s2, s12, s0
	v_lshl_add_u64 v[2:3], v[2:3], 2, s[20:21]
.LBB403_56:                             ; =>This Inner Loop Header: Depth=1
	global_load_dword v1, v[2:3], off
	s_add_i32 s2, s2, -1
	s_cmp_lg_u32 s2, 0
	s_waitcnt vmcnt(0)
	v_mul_f32_e32 v1, v0, v1
	global_store_dword v[2:3], v1, off
	v_lshl_add_u64 v[2:3], v[2:3], 0, 4
	s_cbranch_scc1 .LBB403_56
.LBB403_57:
	s_endpgm
	.section	.rodata,"a",@progbits
	.p2align	6, 0x0
	.amdhsa_kernel _ZN4vllm3moe22topkGatingSoftplusSqrtILi6ELi192ELi4ELi2ELi32ELb0Ei14__hip_bfloat16EEvPKT6_PKbPfiPT5_PiiiibdPKfPKS9_SF_
		.amdhsa_group_segment_fixed_size 0
		.amdhsa_private_segment_fixed_size 0
		.amdhsa_kernarg_size 96
		.amdhsa_user_sgpr_count 2
		.amdhsa_user_sgpr_dispatch_ptr 0
		.amdhsa_user_sgpr_queue_ptr 0
		.amdhsa_user_sgpr_kernarg_segment_ptr 1
		.amdhsa_user_sgpr_dispatch_id 0
		.amdhsa_user_sgpr_kernarg_preload_length 0
		.amdhsa_user_sgpr_kernarg_preload_offset 0
		.amdhsa_user_sgpr_private_segment_size 0
		.amdhsa_uses_dynamic_stack 0
		.amdhsa_enable_private_segment 0
		.amdhsa_system_sgpr_workgroup_id_x 1
		.amdhsa_system_sgpr_workgroup_id_y 0
		.amdhsa_system_sgpr_workgroup_id_z 0
		.amdhsa_system_sgpr_workgroup_info 0
		.amdhsa_system_vgpr_workitem_id 1
		.amdhsa_next_free_vgpr 30
		.amdhsa_next_free_sgpr 32
		.amdhsa_accum_offset 32
		.amdhsa_reserve_vcc 1
		.amdhsa_float_round_mode_32 0
		.amdhsa_float_round_mode_16_64 0
		.amdhsa_float_denorm_mode_32 3
		.amdhsa_float_denorm_mode_16_64 3
		.amdhsa_dx10_clamp 1
		.amdhsa_ieee_mode 1
		.amdhsa_fp16_overflow 0
		.amdhsa_tg_split 0
		.amdhsa_exception_fp_ieee_invalid_op 0
		.amdhsa_exception_fp_denorm_src 0
		.amdhsa_exception_fp_ieee_div_zero 0
		.amdhsa_exception_fp_ieee_overflow 0
		.amdhsa_exception_fp_ieee_underflow 0
		.amdhsa_exception_fp_ieee_inexact 0
		.amdhsa_exception_int_div_zero 0
	.end_amdhsa_kernel
	.section	.text._ZN4vllm3moe22topkGatingSoftplusSqrtILi6ELi192ELi4ELi2ELi32ELb0Ei14__hip_bfloat16EEvPKT6_PKbPfiPT5_PiiiibdPKfPKS9_SF_,"axG",@progbits,_ZN4vllm3moe22topkGatingSoftplusSqrtILi6ELi192ELi4ELi2ELi32ELb0Ei14__hip_bfloat16EEvPKT6_PKbPfiPT5_PiiiibdPKfPKS9_SF_,comdat
.Lfunc_end403:
	.size	_ZN4vllm3moe22topkGatingSoftplusSqrtILi6ELi192ELi4ELi2ELi32ELb0Ei14__hip_bfloat16EEvPKT6_PKbPfiPT5_PiiiibdPKfPKS9_SF_, .Lfunc_end403-_ZN4vllm3moe22topkGatingSoftplusSqrtILi6ELi192ELi4ELi2ELi32ELb0Ei14__hip_bfloat16EEvPKT6_PKbPfiPT5_PiiiibdPKfPKS9_SF_
                                        ; -- End function
	.section	.AMDGPU.csdata,"",@progbits
; Kernel info:
; codeLenInByte = 3520
; NumSgprs: 38
; NumVgprs: 30
; NumAgprs: 0
; TotalNumVgprs: 30
; ScratchSize: 0
; MemoryBound: 0
; FloatMode: 240
; IeeeMode: 1
; LDSByteSize: 0 bytes/workgroup (compile time only)
; SGPRBlocks: 4
; VGPRBlocks: 3
; NumSGPRsForWavesPerEU: 38
; NumVGPRsForWavesPerEU: 30
; AccumOffset: 32
; Occupancy: 8
; WaveLimiterHint : 0
; COMPUTE_PGM_RSRC2:SCRATCH_EN: 0
; COMPUTE_PGM_RSRC2:USER_SGPR: 2
; COMPUTE_PGM_RSRC2:TRAP_HANDLER: 0
; COMPUTE_PGM_RSRC2:TGID_X_EN: 1
; COMPUTE_PGM_RSRC2:TGID_Y_EN: 0
; COMPUTE_PGM_RSRC2:TGID_Z_EN: 0
; COMPUTE_PGM_RSRC2:TIDIG_COMP_CNT: 1
; COMPUTE_PGM_RSRC3_GFX90A:ACCUM_OFFSET: 7
; COMPUTE_PGM_RSRC3_GFX90A:TG_SPLIT: 0
	.section	.text._ZN4vllm3moe22topkGatingSoftplusSqrtILi5ELi320ELi4ELi2ELi64ELb1Ei14__hip_bfloat16EEvPKT6_PKbPfiPT5_PiiiibdPKfPKS9_SF_,"axG",@progbits,_ZN4vllm3moe22topkGatingSoftplusSqrtILi5ELi320ELi4ELi2ELi64ELb1Ei14__hip_bfloat16EEvPKT6_PKbPfiPT5_PiiiibdPKfPKS9_SF_,comdat
	.protected	_ZN4vllm3moe22topkGatingSoftplusSqrtILi5ELi320ELi4ELi2ELi64ELb1Ei14__hip_bfloat16EEvPKT6_PKbPfiPT5_PiiiibdPKfPKS9_SF_ ; -- Begin function _ZN4vllm3moe22topkGatingSoftplusSqrtILi5ELi320ELi4ELi2ELi64ELb1Ei14__hip_bfloat16EEvPKT6_PKbPfiPT5_PiiiibdPKfPKS9_SF_
	.globl	_ZN4vllm3moe22topkGatingSoftplusSqrtILi5ELi320ELi4ELi2ELi64ELb1Ei14__hip_bfloat16EEvPKT6_PKbPfiPT5_PiiiibdPKfPKS9_SF_
	.p2align	8
	.type	_ZN4vllm3moe22topkGatingSoftplusSqrtILi5ELi320ELi4ELi2ELi64ELb1Ei14__hip_bfloat16EEvPKT6_PKbPfiPT5_PiiiibdPKfPKS9_SF_,@function
_ZN4vllm3moe22topkGatingSoftplusSqrtILi5ELi320ELi4ELi2ELi64ELb1Ei14__hip_bfloat16EEvPKT6_PKbPfiPT5_PiiiibdPKfPKS9_SF_: ; @_ZN4vllm3moe22topkGatingSoftplusSqrtILi5ELi320ELi4ELi2ELi64ELb1Ei14__hip_bfloat16EEvPKT6_PKbPfiPT5_PiiiibdPKfPKS9_SF_
; %bb.0:
	s_load_dword s3, s[0:1], 0x18
	v_and_b32_e32 v1, 0x3ff, v0
	s_lshl_b32 s2, s2, 2
	v_lshrrev_b32_e32 v2, 6, v1
	v_bfe_u32 v0, v0, 10, 10
	v_add3_u32 v0, s2, v0, v2
	s_waitcnt lgkmcnt(0)
	v_cmp_gt_i32_e32 vcc, s3, v0
	s_and_saveexec_b64 s[2:3], vcc
	s_cbranch_execz .LBB404_31
; %bb.1:
	s_load_dwordx2 s[2:3], s[0:1], 0x0
	s_load_dword s20, s[0:1], 0x30
	s_movk_i32 s4, 0x140
	v_mul_lo_u32 v2, v0, s4
	v_ashrrev_i32_e32 v3, 31, v2
	v_and_b32_e32 v10, 63, v1
	s_waitcnt lgkmcnt(0)
	v_lshl_add_u64 v[2:3], v[2:3], 1, s[2:3]
	v_lshlrev_b32_e32 v4, 1, v10
	v_mov_b32_e32 v5, 0
	v_lshl_add_u64 v[2:3], v[2:3], 0, v[4:5]
	s_load_dwordx4 s[8:11], s[0:1], 0x50
	global_load_ushort v4, v[2:3], off offset:512
	global_load_ushort v6, v[2:3], off offset:128
	global_load_ushort v7, v[2:3], off
	global_load_ushort v8, v[2:3], off offset:384
	global_load_ushort v9, v[2:3], off offset:256
	v_ashrrev_i32_e32 v1, 31, v0
	s_mov_b32 s14, 0x800000
	v_mov_b32_e32 v14, 0x4f800000
	s_waitcnt lgkmcnt(0)
	v_mov_b32_e32 v2, s8
	v_mov_b32_e32 v3, s9
	v_lshl_add_u64 v[2:3], v[0:1], 2, v[2:3]
	global_load_dword v1, v[2:3], off
	s_mov_b32 s15, 0x3f317217
	s_mov_b32 s16, 0x7f800000
	v_mov_b32_e32 v15, 0x41b17218
	s_mov_b32 s13, 0x41a00000
	s_mov_b32 s17, 0xf800000
	v_mov_b32_e32 v16, 0x260
	s_cmp_gt_i32 s20, 0
	s_mov_b32 s12, 0
	v_mul_lo_u32 v0, v0, s20
	s_waitcnt vmcnt(5)
	v_lshlrev_b32_e32 v4, 16, v4
	s_waitcnt vmcnt(4)
	v_lshlrev_b32_e32 v11, 16, v6
	;; [unrolled: 2-line block ×3, first 2 shown]
	v_mul_f32_e32 v2, 0x3fb8aa3b, v12
	v_mul_f32_e32 v3, 0x3fb8aa3b, v11
	v_exp_f32_e32 v2, v2
	v_exp_f32_e32 v3, v3
	s_waitcnt vmcnt(2)
	v_lshlrev_b32_e32 v13, 16, v8
	s_waitcnt vmcnt(1)
	v_lshlrev_b32_e32 v17, 16, v9
	v_mul_f32_e32 v6, 0x3fb8aa3b, v17
	v_mul_f32_e32 v7, 0x3fb8aa3b, v13
	v_pk_add_f32 v[2:3], v[2:3], 1.0 op_sel_hi:[1,0]
	v_exp_f32_e32 v6, v6
	v_exp_f32_e32 v7, v7
	v_cmp_gt_f32_e32 vcc, s14, v3
	s_waitcnt vmcnt(0)
	v_mul_lo_u32 v8, v1, s20
	v_cmp_gt_f32_e64 s[2:3], s14, v2
	v_cndmask_b32_e32 v1, 1.0, v14, vcc
	v_mul_f32_e32 v1, v3, v1
	v_cndmask_b32_e64 v18, 1.0, v14, s[2:3]
	v_mul_f32_e32 v2, v2, v18
	v_log_f32_e32 v1, v1
	v_pk_add_f32 v[6:7], v[6:7], 1.0 op_sel_hi:[1,0]
	v_log_f32_e32 v2, v2
	v_cmp_gt_f32_e64 s[4:5], s14, v7
	v_cmp_gt_f32_e64 s[6:7], s14, v6
	v_cndmask_b32_e32 v3, 0, v15, vcc
	v_cndmask_b32_e64 v19, 1.0, v14, s[4:5]
	v_cndmask_b32_e64 v20, 1.0, v14, s[6:7]
	v_mul_f32_e32 v7, v7, v19
	v_mul_f32_e32 v19, 0x3f317217, v1
	;; [unrolled: 1-line block ×4, first 2 shown]
	v_fma_f32 v19, v1, s15, -v19
	v_fma_f32 v20, v2, s15, -v20
	v_fmac_f32_e32 v19, 0x3377d1cf, v1
	v_fmac_f32_e32 v20, 0x3377d1cf, v2
	;; [unrolled: 1-line block ×3, first 2 shown]
	v_cmp_lt_f32_e64 vcc, |v1|, s16
	v_fmac_f32_e32 v20, 0x3f317217, v2
	v_cndmask_b32_e64 v18, 0, v15, s[2:3]
	v_cndmask_b32_e32 v1, v1, v19, vcc
	v_cmp_lt_f32_e64 vcc, |v2|, s16
	v_sub_f32_e32 v1, v1, v3
	v_log_f32_e32 v7, v7
	v_cndmask_b32_e32 v2, v2, v20, vcc
	v_sub_f32_e32 v2, v2, v18
	v_cmp_lt_f32_e32 vcc, s13, v12
	v_mul_f32_e32 v21, 0x3f317217, v7
	v_log_f32_e32 v6, v6
	v_cndmask_b32_e32 v2, v2, v12, vcc
	v_cmp_lt_f32_e32 vcc, s13, v11
	v_cmp_gt_f32_e64 s[2:3], s17, v2
	v_fma_f32 v21, v7, s15, -v21
	v_cndmask_b32_e32 v1, v1, v11, vcc
	v_mul_f32_e32 v3, 0x4f800000, v1
	v_cmp_gt_f32_e32 vcc, s17, v1
	v_mul_f32_e32 v11, 0x4f800000, v2
	v_cndmask_b32_e64 v2, v2, v11, s[2:3]
	v_cndmask_b32_e32 v1, v1, v3, vcc
	v_sqrt_f32_e32 v3, v1
	v_sqrt_f32_e32 v11, v2
	v_fmac_f32_e32 v21, 0x3377d1cf, v7
	v_fmac_f32_e32 v21, 0x3f317217, v7
	v_add_u32_e32 v12, -1, v3
	v_add_u32_e32 v19, -1, v11
	v_fma_f32 v22, -v12, v3, v1
	v_add_u32_e32 v18, 1, v3
	v_fma_f32 v24, -v19, v11, v2
	v_cmp_ge_f32_e64 s[8:9], 0, v22
	v_add_u32_e32 v20, 1, v11
	v_fma_f32 v23, -v18, v3, v1
	v_cndmask_b32_e64 v3, v3, v12, s[8:9]
	v_cmp_ge_f32_e64 s[8:9], 0, v24
	v_fma_f32 v25, -v20, v11, v2
	v_ashrrev_i32_e32 v9, 31, v8
	v_cndmask_b32_e64 v11, v11, v19, s[8:9]
	v_cmp_lt_f32_e64 s[8:9], 0, v23
	s_nop 1
	v_cndmask_b32_e64 v3, v3, v18, s[8:9]
	v_cmp_lt_f32_e64 s[8:9], 0, v25
	v_mul_f32_e32 v12, 0x37800000, v3
	v_cndmask_b32_e32 v3, v3, v12, vcc
	v_cndmask_b32_e64 v11, v11, v20, s[8:9]
	v_mul_f32_e32 v18, 0x37800000, v11
	v_cmp_class_f32_e32 vcc, v1, v16
	v_cndmask_b32_e64 v12, v11, v18, s[2:3]
	v_cmp_lt_f32_e64 s[2:3], s13, v17
	v_cndmask_b32_e32 v11, v3, v1, vcc
	v_cmp_class_f32_e32 vcc, v2, v16
	v_cndmask_b32_e64 v3, 0, v15, s[6:7]
	s_nop 0
	v_cndmask_b32_e32 v12, v12, v2, vcc
	v_cmp_lt_f32_e64 vcc, |v7|, s16
	v_cndmask_b32_e64 v2, 0, v15, s[4:5]
	s_nop 0
	v_cndmask_b32_e32 v1, v7, v21, vcc
	v_sub_f32_e32 v1, v1, v2
	v_mul_f32_e32 v2, 0x3f317217, v6
	v_fma_f32 v2, v6, s15, -v2
	v_fmac_f32_e32 v2, 0x3377d1cf, v6
	v_fmac_f32_e32 v2, 0x3f317217, v6
	v_cmp_lt_f32_e64 vcc, |v6|, s16
	s_nop 1
	v_cndmask_b32_e32 v2, v6, v2, vcc
	v_cmp_lt_f32_e32 vcc, s13, v13
	v_sub_f32_e32 v2, v2, v3
	v_cndmask_b32_e64 v2, v2, v17, s[2:3]
	v_cndmask_b32_e32 v1, v1, v13, vcc
	v_mul_f32_e32 v6, 0x4f800000, v1
	v_cmp_gt_f32_e32 vcc, s17, v1
	s_nop 1
	v_cndmask_b32_e32 v1, v1, v6, vcc
	v_sqrt_f32_e32 v6, v1
	s_nop 0
	v_add_u32_e32 v3, -1, v6
	v_fma_f32 v7, -v3, v6, v1
	v_cmp_ge_f32_e64 s[2:3], 0, v7
	v_add_u32_e32 v7, 1, v6
	s_nop 0
	v_cndmask_b32_e64 v3, v6, v3, s[2:3]
	v_fma_f32 v6, -v7, v6, v1
	v_cmp_lt_f32_e64 s[2:3], 0, v6
	s_nop 1
	v_cndmask_b32_e64 v3, v3, v7, s[2:3]
	v_mul_f32_e32 v7, 0x4f800000, v2
	v_cmp_gt_f32_e64 s[2:3], s17, v2
	v_mul_f32_e32 v6, 0x37800000, v3
	v_cndmask_b32_e32 v3, v3, v6, vcc
	v_cndmask_b32_e64 v2, v2, v7, s[2:3]
	v_sqrt_f32_e32 v7, v2
	v_mul_f32_e32 v6, 0x3fb8aa3b, v4
	v_exp_f32_e32 v6, v6
	v_cmp_class_f32_e32 vcc, v1, v16
	v_add_f32_e32 v6, 1.0, v6
	s_nop 0
	v_cndmask_b32_e32 v13, v3, v1, vcc
	v_add_u32_e32 v1, -1, v7
	v_fma_f32 v3, -v1, v7, v2
	v_cmp_ge_f32_e32 vcc, 0, v3
	v_add_u32_e32 v3, 1, v7
	s_nop 0
	v_cndmask_b32_e32 v1, v7, v1, vcc
	v_cmp_gt_f32_e32 vcc, s14, v6
	v_fma_f32 v7, -v3, v7, v2
	v_cmp_lt_f32_e64 s[4:5], 0, v7
	v_cndmask_b32_e32 v14, 1.0, v14, vcc
	v_mul_f32_e32 v6, v6, v14
	v_log_f32_e32 v6, v6
	v_cndmask_b32_e64 v1, v1, v3, s[4:5]
	v_mul_f32_e32 v3, 0x37800000, v1
	v_cndmask_b32_e64 v1, v1, v3, s[2:3]
	v_mul_f32_e32 v7, 0x3f317217, v6
	v_fma_f32 v7, v6, s15, -v7
	v_fmac_f32_e32 v7, 0x3377d1cf, v6
	v_fmac_f32_e32 v7, 0x3f317217, v6
	v_cmp_lt_f32_e64 s[4:5], |v6|, s16
	v_cmp_class_f32_e64 s[2:3], v2, v16
	s_nop 0
	v_cndmask_b32_e64 v6, v6, v7, s[4:5]
	v_cndmask_b32_e32 v7, 0, v15, vcc
	v_sub_f32_e32 v6, v6, v7
	v_cmp_lt_f32_e32 vcc, s13, v4
	v_cndmask_b32_e64 v14, v1, v2, s[2:3]
	s_cselect_b64 s[4:5], -1, 0
	v_cndmask_b32_e32 v4, v6, v4, vcc
	v_mul_f32_e32 v6, 0x4f800000, v4
	v_cmp_gt_f32_e32 vcc, s17, v4
	s_cmp_lt_i32 s20, 1
	s_nop 0
	v_cndmask_b32_e32 v4, v4, v6, vcc
	v_sqrt_f32_e32 v6, v4
	s_nop 0
	v_add_u32_e32 v1, -1, v6
	v_fma_f32 v2, -v1, v6, v4
	v_cmp_ge_f32_e64 s[2:3], 0, v2
	v_add_u32_e32 v2, 1, v6
	v_fma_f32 v3, -v2, v6, v4
	v_cndmask_b32_e64 v1, v6, v1, s[2:3]
	v_cmp_lt_f32_e64 s[2:3], 0, v3
	s_nop 1
	v_cndmask_b32_e64 v1, v1, v2, s[2:3]
	v_mul_f32_e32 v2, 0x37800000, v1
	v_cndmask_b32_e32 v1, v1, v2, vcc
	v_cmp_class_f32_e32 vcc, v4, v16
	v_lshl_add_u64 v[2:3], v[8:9], 2, s[10:11]
	s_nop 0
	v_cndmask_b32_e32 v15, v1, v4, vcc
	s_cbranch_scc1 .LBB404_28
; %bb.2:
	s_load_dwordx2 s[6:7], s[0:1], 0x20
	s_cmp_lt_u32 s20, 4
	s_cbranch_scc1 .LBB404_21
; %bb.3:
	s_mov_b32 s9, 0
	s_and_b32 s12, s20, 0x7ffffffc
	v_ashrrev_i32_e32 v1, 31, v0
	v_mov_b32_e32 v5, 0
	s_mov_b32 s8, s9
	s_branch .LBB404_5
.LBB404_4:                              ;   in Loop: Header=BB404_5 Depth=1
	s_or_b64 exec, exec, s[10:11]
	s_add_i32 s8, s8, 4
	s_cmp_eq_u32 s8, s12
	s_cbranch_scc1 .LBB404_21
.LBB404_5:                              ; =>This Loop Header: Depth=1
                                        ;     Child Loop BB404_7 Depth 2
                                        ;     Child Loop BB404_11 Depth 2
	;; [unrolled: 1-line block ×4, first 2 shown]
	v_lshl_add_u64 v[6:7], s[8:9], 2, v[2:3]
	global_load_dword v4, v[6:7], off
	v_add_u32_e32 v8, s8, v0
	v_ashrrev_i32_e32 v9, 31, v8
	s_waitcnt lgkmcnt(0)
	v_lshl_add_u64 v[8:9], v[8:9], 2, s[6:7]
	s_mov_b64 s[10:11], 0
	v_mov_b32_e32 v16, v10
	s_mov_b64 s[14:15], 0
	s_waitcnt vmcnt(0)
	s_branch .LBB404_7
.LBB404_6:                              ;   in Loop: Header=BB404_7 Depth=2
	s_or_b64 exec, exec, s[16:17]
	s_cmp_gt_u32 s14, 3
	s_cselect_b64 s[2:3], -1, 0
	s_xor_b64 s[16:17], vcc, -1
	s_or_b64 s[2:3], s[16:17], s[2:3]
	s_add_u32 s14, s14, 1
	s_addc_u32 s15, s15, 0
	s_and_b64 s[2:3], exec, s[2:3]
	s_or_b64 s[10:11], s[2:3], s[10:11]
	v_add_u32_e32 v16, 64, v16
	s_andn2_b64 exec, exec, s[10:11]
	s_cbranch_execz .LBB404_9
.LBB404_7:                              ;   Parent Loop BB404_5 Depth=1
                                        ; =>  This Inner Loop Header: Depth=2
	v_cmp_ne_u32_e32 vcc, v4, v16
	v_cmp_eq_u32_e64 s[2:3], v4, v16
	s_and_saveexec_b64 s[16:17], s[2:3]
	s_cbranch_execz .LBB404_6
; %bb.8:                                ;   in Loop: Header=BB404_7 Depth=2
	s_cmp_eq_u32 s14, 1
	s_cselect_b64 s[2:3], -1, 0
	s_cmp_eq_u32 s14, 2
	v_cndmask_b32_e64 v17, v12, v11, s[2:3]
	s_cselect_b64 s[2:3], -1, 0
	s_cmp_eq_u32 s14, 3
	v_cndmask_b32_e64 v17, v17, v14, s[2:3]
	;; [unrolled: 3-line block ×3, first 2 shown]
	s_cselect_b64 s[2:3], -1, 0
	v_cndmask_b32_e64 v17, v17, v15, s[2:3]
	v_add_f32_e32 v5, v5, v17
	global_store_dword v[8:9], v4, off
	s_branch .LBB404_6
.LBB404_9:                              ;   in Loop: Header=BB404_5 Depth=1
	s_or_b64 exec, exec, s[10:11]
	global_load_dword v4, v[6:7], off offset:4
	s_ashr_i32 s3, s8, 31
	s_mov_b32 s2, s8
	v_lshl_add_u64 v[8:9], s[2:3], 0, v[0:1]
	v_lshl_add_u64 v[8:9], v[8:9], 2, s[6:7]
	s_mov_b64 s[10:11], 0
	v_mov_b32_e32 v16, v10
	s_mov_b64 s[14:15], 0
	s_waitcnt vmcnt(0)
	s_branch .LBB404_11
.LBB404_10:                             ;   in Loop: Header=BB404_11 Depth=2
	s_or_b64 exec, exec, s[16:17]
	s_cmp_gt_u32 s14, 3
	s_cselect_b64 s[2:3], -1, 0
	s_xor_b64 s[16:17], vcc, -1
	s_or_b64 s[2:3], s[16:17], s[2:3]
	s_add_u32 s14, s14, 1
	s_addc_u32 s15, s15, 0
	s_and_b64 s[2:3], exec, s[2:3]
	s_or_b64 s[10:11], s[2:3], s[10:11]
	v_add_u32_e32 v16, 64, v16
	s_andn2_b64 exec, exec, s[10:11]
	s_cbranch_execz .LBB404_13
.LBB404_11:                             ;   Parent Loop BB404_5 Depth=1
                                        ; =>  This Inner Loop Header: Depth=2
	v_cmp_ne_u32_e32 vcc, v4, v16
	v_cmp_eq_u32_e64 s[2:3], v4, v16
	s_and_saveexec_b64 s[16:17], s[2:3]
	s_cbranch_execz .LBB404_10
; %bb.12:                               ;   in Loop: Header=BB404_11 Depth=2
	s_cmp_eq_u32 s14, 1
	s_cselect_b64 s[2:3], -1, 0
	s_cmp_eq_u32 s14, 2
	v_cndmask_b32_e64 v17, v12, v11, s[2:3]
	s_cselect_b64 s[2:3], -1, 0
	s_cmp_eq_u32 s14, 3
	v_cndmask_b32_e64 v17, v17, v14, s[2:3]
	;; [unrolled: 3-line block ×3, first 2 shown]
	s_cselect_b64 s[2:3], -1, 0
	v_cndmask_b32_e64 v17, v17, v15, s[2:3]
	v_add_f32_e32 v5, v5, v17
	global_store_dword v[8:9], v4, off offset:4
	s_branch .LBB404_10
.LBB404_13:                             ;   in Loop: Header=BB404_5 Depth=1
	s_or_b64 exec, exec, s[10:11]
	global_load_dword v4, v[6:7], off offset:8
	s_mov_b64 s[10:11], 0
	v_mov_b32_e32 v16, v10
	s_mov_b64 s[14:15], 0
	s_waitcnt vmcnt(0)
	s_branch .LBB404_15
.LBB404_14:                             ;   in Loop: Header=BB404_15 Depth=2
	s_or_b64 exec, exec, s[16:17]
	s_cmp_gt_u32 s14, 3
	s_cselect_b64 s[2:3], -1, 0
	s_xor_b64 s[16:17], vcc, -1
	s_or_b64 s[2:3], s[16:17], s[2:3]
	s_add_u32 s14, s14, 1
	s_addc_u32 s15, s15, 0
	s_and_b64 s[2:3], exec, s[2:3]
	s_or_b64 s[10:11], s[2:3], s[10:11]
	v_add_u32_e32 v16, 64, v16
	s_andn2_b64 exec, exec, s[10:11]
	s_cbranch_execz .LBB404_17
.LBB404_15:                             ;   Parent Loop BB404_5 Depth=1
                                        ; =>  This Inner Loop Header: Depth=2
	v_cmp_ne_u32_e32 vcc, v4, v16
	v_cmp_eq_u32_e64 s[2:3], v4, v16
	s_and_saveexec_b64 s[16:17], s[2:3]
	s_cbranch_execz .LBB404_14
; %bb.16:                               ;   in Loop: Header=BB404_15 Depth=2
	s_cmp_eq_u32 s14, 1
	s_cselect_b64 s[2:3], -1, 0
	s_cmp_eq_u32 s14, 2
	v_cndmask_b32_e64 v17, v12, v11, s[2:3]
	s_cselect_b64 s[2:3], -1, 0
	s_cmp_eq_u32 s14, 3
	v_cndmask_b32_e64 v17, v17, v14, s[2:3]
	;; [unrolled: 3-line block ×3, first 2 shown]
	s_cselect_b64 s[2:3], -1, 0
	v_cndmask_b32_e64 v17, v17, v15, s[2:3]
	v_add_f32_e32 v5, v5, v17
	global_store_dword v[8:9], v4, off offset:8
	s_branch .LBB404_14
.LBB404_17:                             ;   in Loop: Header=BB404_5 Depth=1
	s_or_b64 exec, exec, s[10:11]
	global_load_dword v4, v[6:7], off offset:12
	s_mov_b64 s[10:11], 0
	v_mov_b32_e32 v6, v10
	s_mov_b64 s[14:15], 0
	s_waitcnt vmcnt(0)
	s_branch .LBB404_19
.LBB404_18:                             ;   in Loop: Header=BB404_19 Depth=2
	s_or_b64 exec, exec, s[16:17]
	s_cmp_gt_u32 s14, 3
	s_cselect_b64 s[2:3], -1, 0
	s_xor_b64 s[16:17], vcc, -1
	s_or_b64 s[2:3], s[16:17], s[2:3]
	s_add_u32 s14, s14, 1
	s_addc_u32 s15, s15, 0
	s_and_b64 s[2:3], exec, s[2:3]
	s_or_b64 s[10:11], s[2:3], s[10:11]
	v_add_u32_e32 v6, 64, v6
	s_andn2_b64 exec, exec, s[10:11]
	s_cbranch_execz .LBB404_4
.LBB404_19:                             ;   Parent Loop BB404_5 Depth=1
                                        ; =>  This Inner Loop Header: Depth=2
	v_cmp_ne_u32_e32 vcc, v4, v6
	v_cmp_eq_u32_e64 s[2:3], v4, v6
	s_and_saveexec_b64 s[16:17], s[2:3]
	s_cbranch_execz .LBB404_18
; %bb.20:                               ;   in Loop: Header=BB404_19 Depth=2
	s_cmp_eq_u32 s14, 1
	s_cselect_b64 s[2:3], -1, 0
	s_cmp_eq_u32 s14, 2
	v_cndmask_b32_e64 v7, v12, v11, s[2:3]
	s_cselect_b64 s[2:3], -1, 0
	s_cmp_eq_u32 s14, 3
	v_cndmask_b32_e64 v7, v7, v14, s[2:3]
	;; [unrolled: 3-line block ×3, first 2 shown]
	s_cselect_b64 s[2:3], -1, 0
	v_cndmask_b32_e64 v7, v7, v15, s[2:3]
	v_add_f32_e32 v5, v5, v7
	global_store_dword v[8:9], v4, off offset:12
	s_branch .LBB404_18
.LBB404_21:
	s_and_b32 s16, s20, 3
	s_cmp_eq_u32 s16, 0
	s_mov_b32 s13, 0
	s_cbranch_scc1 .LBB404_28
; %bb.22:
	s_mov_b32 s17, s13
	s_branch .LBB404_24
.LBB404_23:                             ;   in Loop: Header=BB404_24 Depth=1
	s_or_b64 exec, exec, s[8:9]
	s_add_i32 s12, s12, 1
	s_add_i32 s17, s17, 1
	s_cmp_lg_u32 s17, s16
	s_cbranch_scc0 .LBB404_28
.LBB404_24:                             ; =>This Loop Header: Depth=1
                                        ;     Child Loop BB404_26 Depth 2
	v_lshl_add_u64 v[6:7], s[12:13], 2, v[2:3]
	global_load_dword v1, v[6:7], off
	v_add_u32_e32 v6, s12, v0
	v_ashrrev_i32_e32 v7, 31, v6
	s_waitcnt lgkmcnt(0)
	v_lshl_add_u64 v[6:7], v[6:7], 2, s[6:7]
	s_mov_b64 s[8:9], 0
	v_mov_b32_e32 v4, v10
	s_mov_b64 s[10:11], 0
	s_waitcnt vmcnt(0)
	s_branch .LBB404_26
.LBB404_25:                             ;   in Loop: Header=BB404_26 Depth=2
	s_or_b64 exec, exec, s[14:15]
	s_cmp_gt_u32 s10, 3
	s_cselect_b64 s[2:3], -1, 0
	s_xor_b64 s[14:15], vcc, -1
	s_or_b64 s[2:3], s[14:15], s[2:3]
	s_add_u32 s10, s10, 1
	s_addc_u32 s11, s11, 0
	s_and_b64 s[2:3], exec, s[2:3]
	s_or_b64 s[8:9], s[2:3], s[8:9]
	v_add_u32_e32 v4, 64, v4
	s_andn2_b64 exec, exec, s[8:9]
	s_cbranch_execz .LBB404_23
.LBB404_26:                             ;   Parent Loop BB404_24 Depth=1
                                        ; =>  This Inner Loop Header: Depth=2
	v_cmp_ne_u32_e32 vcc, v1, v4
	v_cmp_eq_u32_e64 s[2:3], v1, v4
	s_and_saveexec_b64 s[14:15], s[2:3]
	s_cbranch_execz .LBB404_25
; %bb.27:                               ;   in Loop: Header=BB404_26 Depth=2
	s_cmp_eq_u32 s10, 1
	s_cselect_b64 s[2:3], -1, 0
	s_cmp_eq_u32 s10, 2
	v_cndmask_b32_e64 v8, v12, v11, s[2:3]
	s_cselect_b64 s[2:3], -1, 0
	s_cmp_eq_u32 s10, 3
	v_cndmask_b32_e64 v8, v8, v14, s[2:3]
	;; [unrolled: 3-line block ×3, first 2 shown]
	s_cselect_b64 s[2:3], -1, 0
	v_cndmask_b32_e64 v8, v8, v15, s[2:3]
	v_add_f32_e32 v5, v5, v8
	global_store_dword v[6:7], v1, off
	s_branch .LBB404_25
.LBB404_28:
	s_waitcnt lgkmcnt(0)
	s_load_dword s6, s[0:1], 0x3c
	s_waitcnt lgkmcnt(0)
	s_bitcmp1_b32 s6, 0
	s_cselect_b64 s[2:3], -1, 0
	s_bitcmp0_b32 s6, 0
	s_cbranch_scc0 .LBB404_32
; %bb.29:
	s_load_dwordx2 s[6:7], s[0:1], 0x40
	s_andn2_b64 vcc, exec, s[2:3]
	s_waitcnt lgkmcnt(0)
	v_cvt_f32_f64_e32 v16, s[6:7]
	s_cbranch_vccz .LBB404_33
.LBB404_30:
	s_andn2_b64 vcc, exec, s[4:5]
	s_cbranch_vccz .LBB404_34
.LBB404_31:
	s_endpgm
.LBB404_32:
	v_mbcnt_lo_u32_b32 v1, -1, 0
	v_mbcnt_hi_u32_b32 v1, -1, v1
	v_and_b32_e32 v4, 64, v1
	v_add_u32_e32 v4, 64, v4
	v_xor_b32_e32 v6, 32, v1
	v_cmp_lt_i32_e32 vcc, v6, v4
	v_xor_b32_e32 v7, 16, v1
	s_nop 0
	v_cndmask_b32_e32 v6, v1, v6, vcc
	v_lshlrev_b32_e32 v6, 2, v6
	ds_bpermute_b32 v6, v6, v5
	v_cmp_lt_i32_e32 vcc, v7, v4
	s_waitcnt lgkmcnt(0)
	v_add_f32_e32 v5, v5, v6
	v_cndmask_b32_e32 v6, v1, v7, vcc
	v_lshlrev_b32_e32 v6, 2, v6
	ds_bpermute_b32 v6, v6, v5
	v_xor_b32_e32 v7, 8, v1
	v_cmp_lt_i32_e32 vcc, v7, v4
	s_waitcnt lgkmcnt(0)
	v_add_f32_e32 v5, v5, v6
	v_cndmask_b32_e32 v6, v1, v7, vcc
	v_lshlrev_b32_e32 v6, 2, v6
	ds_bpermute_b32 v6, v6, v5
	v_xor_b32_e32 v7, 4, v1
	;; [unrolled: 7-line block ×4, first 2 shown]
	v_cmp_lt_i32_e32 vcc, v7, v4
	s_waitcnt lgkmcnt(0)
	v_add_f32_e32 v5, v5, v6
	v_cndmask_b32_e32 v1, v1, v7, vcc
	v_lshlrev_b32_e32 v1, 2, v1
	ds_bpermute_b32 v1, v1, v5
	s_waitcnt lgkmcnt(0)
	v_add_f32_e32 v5, v5, v1
	s_load_dwordx2 s[6:7], s[0:1], 0x40
	s_andn2_b64 vcc, exec, s[2:3]
	s_waitcnt lgkmcnt(0)
	v_cvt_f32_f64_e32 v16, s[6:7]
	s_cbranch_vccnz .LBB404_30
.LBB404_33:
	v_cmp_lt_f32_e32 vcc, 0, v5
	s_nop 1
	v_cndmask_b32_e32 v1, 1.0, v5, vcc
	v_div_scale_f32 v4, s[2:3], v1, v1, v16
	v_rcp_f32_e32 v5, v4
	s_nop 0
	v_fma_f32 v6, -v4, v5, 1.0
	v_fmac_f32_e32 v5, v6, v5
	v_div_scale_f32 v6, vcc, v16, v1, v16
	v_mul_f32_e32 v7, v6, v5
	v_fma_f32 v8, -v4, v7, v6
	v_fmac_f32_e32 v7, v8, v5
	v_fma_f32 v4, -v4, v7, v6
	v_div_fmas_f32 v4, v4, v5, v7
	v_div_fixup_f32 v16, v4, v1, v16
	s_andn2_b64 vcc, exec, s[4:5]
	s_cbranch_vccnz .LBB404_31
.LBB404_34:
	s_load_dwordx2 s[6:7], s[0:1], 0x10
	v_or_b32_e32 v20, 64, v10
	v_or_b32_e32 v19, 0x80, v10
	;; [unrolled: 1-line block ×4, first 2 shown]
	s_cmp_eq_u32 s20, 1
	s_mov_b32 s8, 0
	s_cbranch_scc1 .LBB404_57
; %bb.35:
	v_ashrrev_i32_e32 v1, 31, v0
	s_waitcnt lgkmcnt(0)
	v_lshl_add_u64 v[4:5], v[0:1], 2, s[6:7]
	s_and_b32 s8, s20, 0x7ffffffe
	v_lshl_add_u64 v[4:5], v[4:5], 0, 4
	v_lshl_add_u64 v[6:7], v[2:3], 0, 4
	s_mov_b32 s9, 0
	s_branch .LBB404_37
.LBB404_36:                             ;   in Loop: Header=BB404_37 Depth=1
	s_or_b64 exec, exec, s[0:1]
	s_add_i32 s9, s9, 2
	v_lshl_add_u64 v[4:5], v[4:5], 0, 8
	s_cmp_lg_u32 s8, s9
	v_lshl_add_u64 v[6:7], v[6:7], 0, 8
	s_cbranch_scc0 .LBB404_57
.LBB404_37:                             ; =>This Inner Loop Header: Depth=1
	global_load_dword v1, v[6:7], off offset:-4
	v_mov_b64_e32 v[8:9], 0
	s_waitcnt vmcnt(0)
	v_cmp_eq_u32_e32 vcc, v1, v10
	v_cmp_ne_u32_e64 s[0:1], v1, v10
	s_and_saveexec_b64 s[10:11], s[0:1]
	s_cbranch_execz .LBB404_45
; %bb.38:                               ;   in Loop: Header=BB404_37 Depth=1
	v_cmp_eq_u32_e64 s[0:1], v1, v20
	v_cmp_ne_u32_e64 s[2:3], v1, v20
	v_mov_b64_e32 v[8:9], 1
	s_and_saveexec_b64 s[12:13], s[2:3]
	s_cbranch_execz .LBB404_44
; %bb.39:                               ;   in Loop: Header=BB404_37 Depth=1
	v_cmp_eq_u32_e64 s[2:3], v1, v19
	v_cmp_ne_u32_e64 s[4:5], v1, v19
	v_mov_b64_e32 v[8:9], 2
	;; [unrolled: 6-line block ×3, first 2 shown]
	s_and_saveexec_b64 s[18:19], s[4:5]
	s_xor_b64 s[18:19], exec, s[18:19]
; %bb.41:                               ;   in Loop: Header=BB404_37 Depth=1
	v_cmp_eq_u32_e64 s[4:5], v1, v17
	s_andn2_b64 s[16:17], s[16:17], exec
	s_and_b64 s[4:5], s[4:5], exec
	v_mov_b64_e32 v[8:9], 4
	s_or_b64 s[16:17], s[16:17], s[4:5]
; %bb.42:                               ;   in Loop: Header=BB404_37 Depth=1
	s_or_b64 exec, exec, s[18:19]
	s_andn2_b64 s[2:3], s[2:3], exec
	s_and_b64 s[4:5], s[16:17], exec
	s_or_b64 s[2:3], s[2:3], s[4:5]
.LBB404_43:                             ;   in Loop: Header=BB404_37 Depth=1
	s_or_b64 exec, exec, s[14:15]
	s_andn2_b64 s[0:1], s[0:1], exec
	s_and_b64 s[2:3], s[2:3], exec
	s_or_b64 s[0:1], s[0:1], s[2:3]
.LBB404_44:                             ;   in Loop: Header=BB404_37 Depth=1
	s_or_b64 exec, exec, s[12:13]
	s_andn2_b64 s[2:3], vcc, exec
	s_and_b64 s[0:1], s[0:1], exec
	s_or_b64 vcc, s[2:3], s[0:1]
.LBB404_45:                             ;   in Loop: Header=BB404_37 Depth=1
	s_or_b64 exec, exec, s[10:11]
	s_and_saveexec_b64 s[0:1], vcc
	s_cbranch_execz .LBB404_47
; %bb.46:                               ;   in Loop: Header=BB404_37 Depth=1
	v_cmp_eq_u32_e32 vcc, 1, v8
	v_add_u32_e32 v22, s9, v0
	v_ashrrev_i32_e32 v23, 31, v22
	v_cndmask_b32_e32 v1, v12, v11, vcc
	v_cmp_eq_u32_e32 vcc, 2, v8
	s_nop 1
	v_cndmask_b32_e32 v1, v1, v14, vcc
	v_cmp_eq_u32_e32 vcc, 3, v8
	s_nop 1
	v_cndmask_b32_e32 v1, v1, v13, vcc
	v_cmp_eq_u32_e32 vcc, 4, v8
	v_lshl_add_u64 v[8:9], v[22:23], 2, s[6:7]
	s_nop 0
	v_cndmask_b32_e32 v1, v1, v15, vcc
	v_mul_f32_e32 v1, v16, v1
	global_store_dword v[8:9], v1, off
.LBB404_47:                             ;   in Loop: Header=BB404_37 Depth=1
	s_or_b64 exec, exec, s[0:1]
	global_load_dword v1, v[6:7], off
	v_mov_b64_e32 v[8:9], 0
	s_waitcnt vmcnt(0)
	v_cmp_eq_u32_e64 s[2:3], v1, v10
	v_cmp_ne_u32_e32 vcc, v1, v10
	s_and_saveexec_b64 s[4:5], vcc
	s_cbranch_execz .LBB404_55
; %bb.48:                               ;   in Loop: Header=BB404_37 Depth=1
	v_cmp_eq_u32_e32 vcc, v1, v20
	v_cmp_ne_u32_e64 s[0:1], v1, v20
	v_mov_b64_e32 v[8:9], 1
	s_and_saveexec_b64 s[10:11], s[0:1]
	s_cbranch_execz .LBB404_54
; %bb.49:                               ;   in Loop: Header=BB404_37 Depth=1
	v_cmp_eq_u32_e64 s[12:13], v1, v19
	v_cmp_ne_u32_e64 s[0:1], v1, v19
	v_mov_b64_e32 v[8:9], 2
	s_and_saveexec_b64 s[14:15], s[0:1]
	s_cbranch_execz .LBB404_53
; %bb.50:                               ;   in Loop: Header=BB404_37 Depth=1
	v_cmp_eq_u32_e64 s[16:17], v1, v18
	v_cmp_ne_u32_e64 s[0:1], v1, v18
	v_mov_b64_e32 v[8:9], 3
	s_and_saveexec_b64 s[18:19], s[0:1]
; %bb.51:                               ;   in Loop: Header=BB404_37 Depth=1
	v_cmp_eq_u32_e64 s[0:1], v1, v17
	s_andn2_b64 s[16:17], s[16:17], exec
	s_and_b64 s[0:1], s[0:1], exec
	v_mov_b64_e32 v[8:9], 4
	s_or_b64 s[16:17], s[16:17], s[0:1]
; %bb.52:                               ;   in Loop: Header=BB404_37 Depth=1
	s_or_b64 exec, exec, s[18:19]
	s_andn2_b64 s[0:1], s[12:13], exec
	s_and_b64 s[12:13], s[16:17], exec
	s_or_b64 s[12:13], s[0:1], s[12:13]
.LBB404_53:                             ;   in Loop: Header=BB404_37 Depth=1
	s_or_b64 exec, exec, s[14:15]
	s_andn2_b64 s[0:1], vcc, exec
	s_and_b64 s[12:13], s[12:13], exec
	s_or_b64 vcc, s[0:1], s[12:13]
.LBB404_54:                             ;   in Loop: Header=BB404_37 Depth=1
	s_or_b64 exec, exec, s[10:11]
	s_andn2_b64 s[0:1], s[2:3], exec
	s_and_b64 s[2:3], vcc, exec
	s_or_b64 s[2:3], s[0:1], s[2:3]
.LBB404_55:                             ;   in Loop: Header=BB404_37 Depth=1
	s_or_b64 exec, exec, s[4:5]
	s_and_saveexec_b64 s[0:1], s[2:3]
	s_cbranch_execz .LBB404_36
; %bb.56:                               ;   in Loop: Header=BB404_37 Depth=1
	v_cmp_eq_u32_e32 vcc, 1, v8
	s_nop 1
	v_cndmask_b32_e32 v1, v12, v11, vcc
	v_cmp_eq_u32_e32 vcc, 2, v8
	s_nop 1
	v_cndmask_b32_e32 v1, v1, v14, vcc
	;; [unrolled: 3-line block ×4, first 2 shown]
	v_mul_f32_e32 v1, v16, v1
	global_store_dword v[4:5], v1, off
	s_branch .LBB404_36
.LBB404_57:
	s_bitcmp0_b32 s20, 0
	s_mov_b32 s9, 0
	s_cbranch_scc1 .LBB404_31
; %bb.58:
	v_lshl_add_u64 v[2:3], s[8:9], 2, v[2:3]
	global_load_dword v1, v[2:3], off
	v_mov_b64_e32 v[2:3], 0
	s_waitcnt vmcnt(0)
	v_cmp_eq_u32_e64 s[2:3], v1, v10
	v_cmp_ne_u32_e32 vcc, v1, v10
	s_and_saveexec_b64 s[4:5], vcc
	s_cbranch_execz .LBB404_66
; %bb.59:
	v_cmp_eq_u32_e32 vcc, v1, v20
	v_cmp_ne_u32_e64 s[0:1], v1, v20
	v_mov_b64_e32 v[2:3], 1
	s_and_saveexec_b64 s[10:11], s[0:1]
	s_cbranch_execz .LBB404_65
; %bb.60:
	v_cmp_eq_u32_e64 s[12:13], v1, v19
	v_cmp_ne_u32_e64 s[0:1], v1, v19
	v_mov_b64_e32 v[2:3], 2
	s_and_saveexec_b64 s[14:15], s[0:1]
	s_cbranch_execz .LBB404_64
; %bb.61:
	v_cmp_eq_u32_e64 s[16:17], v1, v18
	v_cmp_ne_u32_e64 s[0:1], v1, v18
	v_mov_b64_e32 v[2:3], 3
	s_and_saveexec_b64 s[18:19], s[0:1]
; %bb.62:
	v_cmp_eq_u32_e64 s[0:1], v1, v17
	s_andn2_b64 s[16:17], s[16:17], exec
	s_and_b64 s[0:1], s[0:1], exec
	v_mov_b64_e32 v[2:3], 4
	s_or_b64 s[16:17], s[16:17], s[0:1]
; %bb.63:
	s_or_b64 exec, exec, s[18:19]
	s_andn2_b64 s[0:1], s[12:13], exec
	s_and_b64 s[12:13], s[16:17], exec
	s_or_b64 s[12:13], s[0:1], s[12:13]
.LBB404_64:
	s_or_b64 exec, exec, s[14:15]
	s_andn2_b64 s[0:1], vcc, exec
	s_and_b64 s[12:13], s[12:13], exec
	s_or_b64 vcc, s[0:1], s[12:13]
.LBB404_65:
	s_or_b64 exec, exec, s[10:11]
	s_andn2_b64 s[0:1], s[2:3], exec
	s_and_b64 s[2:3], vcc, exec
	s_or_b64 s[2:3], s[0:1], s[2:3]
.LBB404_66:
	s_or_b64 exec, exec, s[4:5]
	s_and_b64 exec, exec, s[2:3]
	s_cbranch_execz .LBB404_31
; %bb.67:
	v_cmp_eq_u32_e32 vcc, 1, v2
	v_add_u32_e32 v0, s8, v0
	s_nop 0
	v_cndmask_b32_e32 v1, v12, v11, vcc
	v_cmp_eq_u32_e32 vcc, 2, v2
	s_nop 1
	v_cndmask_b32_e32 v1, v1, v14, vcc
	v_cmp_eq_u32_e32 vcc, 3, v2
	;; [unrolled: 3-line block ×3, first 2 shown]
	s_nop 1
	v_cndmask_b32_e32 v1, v1, v15, vcc
	v_mul_f32_e32 v2, v16, v1
	v_ashrrev_i32_e32 v1, 31, v0
	s_waitcnt lgkmcnt(0)
	v_lshl_add_u64 v[0:1], v[0:1], 2, s[6:7]
	global_store_dword v[0:1], v2, off
	s_endpgm
	.section	.rodata,"a",@progbits
	.p2align	6, 0x0
	.amdhsa_kernel _ZN4vllm3moe22topkGatingSoftplusSqrtILi5ELi320ELi4ELi2ELi64ELb1Ei14__hip_bfloat16EEvPKT6_PKbPfiPT5_PiiiibdPKfPKS9_SF_
		.amdhsa_group_segment_fixed_size 0
		.amdhsa_private_segment_fixed_size 0
		.amdhsa_kernarg_size 96
		.amdhsa_user_sgpr_count 2
		.amdhsa_user_sgpr_dispatch_ptr 0
		.amdhsa_user_sgpr_queue_ptr 0
		.amdhsa_user_sgpr_kernarg_segment_ptr 1
		.amdhsa_user_sgpr_dispatch_id 0
		.amdhsa_user_sgpr_kernarg_preload_length 0
		.amdhsa_user_sgpr_kernarg_preload_offset 0
		.amdhsa_user_sgpr_private_segment_size 0
		.amdhsa_uses_dynamic_stack 0
		.amdhsa_enable_private_segment 0
		.amdhsa_system_sgpr_workgroup_id_x 1
		.amdhsa_system_sgpr_workgroup_id_y 0
		.amdhsa_system_sgpr_workgroup_id_z 0
		.amdhsa_system_sgpr_workgroup_info 0
		.amdhsa_system_vgpr_workitem_id 1
		.amdhsa_next_free_vgpr 26
		.amdhsa_next_free_sgpr 21
		.amdhsa_accum_offset 28
		.amdhsa_reserve_vcc 1
		.amdhsa_float_round_mode_32 0
		.amdhsa_float_round_mode_16_64 0
		.amdhsa_float_denorm_mode_32 3
		.amdhsa_float_denorm_mode_16_64 3
		.amdhsa_dx10_clamp 1
		.amdhsa_ieee_mode 1
		.amdhsa_fp16_overflow 0
		.amdhsa_tg_split 0
		.amdhsa_exception_fp_ieee_invalid_op 0
		.amdhsa_exception_fp_denorm_src 0
		.amdhsa_exception_fp_ieee_div_zero 0
		.amdhsa_exception_fp_ieee_overflow 0
		.amdhsa_exception_fp_ieee_underflow 0
		.amdhsa_exception_fp_ieee_inexact 0
		.amdhsa_exception_int_div_zero 0
	.end_amdhsa_kernel
	.section	.text._ZN4vllm3moe22topkGatingSoftplusSqrtILi5ELi320ELi4ELi2ELi64ELb1Ei14__hip_bfloat16EEvPKT6_PKbPfiPT5_PiiiibdPKfPKS9_SF_,"axG",@progbits,_ZN4vllm3moe22topkGatingSoftplusSqrtILi5ELi320ELi4ELi2ELi64ELb1Ei14__hip_bfloat16EEvPKT6_PKbPfiPT5_PiiiibdPKfPKS9_SF_,comdat
.Lfunc_end404:
	.size	_ZN4vllm3moe22topkGatingSoftplusSqrtILi5ELi320ELi4ELi2ELi64ELb1Ei14__hip_bfloat16EEvPKT6_PKbPfiPT5_PiiiibdPKfPKS9_SF_, .Lfunc_end404-_ZN4vllm3moe22topkGatingSoftplusSqrtILi5ELi320ELi4ELi2ELi64ELb1Ei14__hip_bfloat16EEvPKT6_PKbPfiPT5_PiiiibdPKfPKS9_SF_
                                        ; -- End function
	.section	.AMDGPU.csdata,"",@progbits
; Kernel info:
; codeLenInByte = 3880
; NumSgprs: 27
; NumVgprs: 26
; NumAgprs: 0
; TotalNumVgprs: 26
; ScratchSize: 0
; MemoryBound: 0
; FloatMode: 240
; IeeeMode: 1
; LDSByteSize: 0 bytes/workgroup (compile time only)
; SGPRBlocks: 3
; VGPRBlocks: 3
; NumSGPRsForWavesPerEU: 27
; NumVGPRsForWavesPerEU: 26
; AccumOffset: 28
; Occupancy: 8
; WaveLimiterHint : 1
; COMPUTE_PGM_RSRC2:SCRATCH_EN: 0
; COMPUTE_PGM_RSRC2:USER_SGPR: 2
; COMPUTE_PGM_RSRC2:TRAP_HANDLER: 0
; COMPUTE_PGM_RSRC2:TGID_X_EN: 1
; COMPUTE_PGM_RSRC2:TGID_Y_EN: 0
; COMPUTE_PGM_RSRC2:TGID_Z_EN: 0
; COMPUTE_PGM_RSRC2:TIDIG_COMP_CNT: 1
; COMPUTE_PGM_RSRC3_GFX90A:ACCUM_OFFSET: 6
; COMPUTE_PGM_RSRC3_GFX90A:TG_SPLIT: 0
	.section	.text._ZN4vllm3moe22topkGatingSoftplusSqrtILi5ELi320ELi4ELi2ELi64ELb0Ei14__hip_bfloat16EEvPKT6_PKbPfiPT5_PiiiibdPKfPKS9_SF_,"axG",@progbits,_ZN4vllm3moe22topkGatingSoftplusSqrtILi5ELi320ELi4ELi2ELi64ELb0Ei14__hip_bfloat16EEvPKT6_PKbPfiPT5_PiiiibdPKfPKS9_SF_,comdat
	.protected	_ZN4vllm3moe22topkGatingSoftplusSqrtILi5ELi320ELi4ELi2ELi64ELb0Ei14__hip_bfloat16EEvPKT6_PKbPfiPT5_PiiiibdPKfPKS9_SF_ ; -- Begin function _ZN4vllm3moe22topkGatingSoftplusSqrtILi5ELi320ELi4ELi2ELi64ELb0Ei14__hip_bfloat16EEvPKT6_PKbPfiPT5_PiiiibdPKfPKS9_SF_
	.globl	_ZN4vllm3moe22topkGatingSoftplusSqrtILi5ELi320ELi4ELi2ELi64ELb0Ei14__hip_bfloat16EEvPKT6_PKbPfiPT5_PiiiibdPKfPKS9_SF_
	.p2align	8
	.type	_ZN4vllm3moe22topkGatingSoftplusSqrtILi5ELi320ELi4ELi2ELi64ELb0Ei14__hip_bfloat16EEvPKT6_PKbPfiPT5_PiiiibdPKfPKS9_SF_,@function
_ZN4vllm3moe22topkGatingSoftplusSqrtILi5ELi320ELi4ELi2ELi64ELb0Ei14__hip_bfloat16EEvPKT6_PKbPfiPT5_PiiiibdPKfPKS9_SF_: ; @_ZN4vllm3moe22topkGatingSoftplusSqrtILi5ELi320ELi4ELi2ELi64ELb0Ei14__hip_bfloat16EEvPKT6_PKbPfiPT5_PiiiibdPKfPKS9_SF_
; %bb.0:
	s_load_dword s30, s[0:1], 0x18
	v_and_b32_e32 v1, 0x3ff, v0
	s_lshl_b32 s2, s2, 2
	v_lshrrev_b32_e32 v2, 6, v1
	v_bfe_u32 v0, v0, 10, 10
	v_add3_u32 v6, s2, v0, v2
	s_waitcnt lgkmcnt(0)
	v_cmp_gt_i32_e32 vcc, s30, v6
	s_and_saveexec_b64 s[2:3], vcc
	s_cbranch_execz .LBB405_59
; %bb.1:
	s_load_dwordx4 s[4:7], s[0:1], 0x0
	s_load_dwordx2 s[20:21], s[0:1], 0x10
	s_waitcnt lgkmcnt(0)
	s_cmp_eq_u64 s[6:7], 0
	s_cbranch_scc1 .LBB405_3
; %bb.2:
	v_ashrrev_i32_e32 v7, 31, v6
	v_lshl_add_u64 v[2:3], s[6:7], 0, v[6:7]
	global_load_ubyte v0, v[2:3], off
	s_waitcnt vmcnt(0)
	v_and_b32_e32 v0, 1, v0
	v_cmp_eq_u32_e32 vcc, 1, v0
	s_xor_b64 s[2:3], vcc, -1
	s_orn2_b64 s[22:23], s[2:3], exec
	s_branch .LBB405_4
.LBB405_3:
	s_mov_b64 s[22:23], -1
.LBB405_4:
	s_movk_i32 s2, 0x140
	v_mul_lo_u32 v4, v6, s2
	v_mov_b32_e32 v2, s4
	v_mov_b32_e32 v3, s5
	v_ashrrev_i32_e32 v5, 31, v4
	v_and_b32_e32 v8, 63, v1
	v_lshl_add_u64 v[2:3], v[4:5], 1, v[2:3]
	v_mov_b32_e32 v1, 0
	v_lshlrev_b32_e32 v0, 1, v8
	v_lshl_add_u64 v[10:11], v[2:3], 0, v[0:1]
	global_load_ushort v0, v[10:11], off
	global_load_ushort v1, v[10:11], off offset:128
	global_load_ushort v2, v[10:11], off offset:256
	;; [unrolled: 1-line block ×4, first 2 shown]
	s_mov_b32 s16, 0x800000
	v_mov_b32_e32 v9, 0x4f800000
	s_mov_b32 s7, 0x3f317217
	s_mov_b32 s14, 0x7f800000
	v_mov_b32_e32 v10, 0x41b17218
	s_mov_b32 s6, 0x41a00000
	s_mov_b32 s15, 0xf800000
	s_load_dwordx4 s[8:11], s[0:1], 0x40
	s_waitcnt lgkmcnt(0)
	s_cmp_lg_u64 s[10:11], 0
	s_cselect_b64 s[12:13], -1, 0
	s_and_b64 s[2:3], exec, s[12:13]
	s_waitcnt vmcnt(4)
	v_lshlrev_b32_e32 v0, 16, v0
	v_mul_f32_e32 v5, 0x3fb8aa3b, v0
	v_exp_f32_e32 v5, v5
	s_nop 0
	v_add_f32_e32 v5, 1.0, v5
	v_cmp_gt_f32_e32 vcc, s16, v5
	s_nop 1
	v_cndmask_b32_e32 v7, 1.0, v9, vcc
	v_mul_f32_e32 v5, v5, v7
	v_log_f32_e32 v11, v5
	v_cndmask_b32_e32 v12, 0, v10, vcc
	v_mov_b32_e32 v7, 0x260
	v_lshlrev_b32_e32 v5, 2, v8
	v_mul_f32_e32 v13, 0x3f317217, v11
	v_fma_f32 v13, v11, s7, -v13
	v_fmac_f32_e32 v13, 0x3377d1cf, v11
	v_fmac_f32_e32 v13, 0x3f317217, v11
	v_cmp_lt_f32_e64 vcc, |v11|, s14
	s_nop 1
	v_cndmask_b32_e32 v11, v11, v13, vcc
	v_sub_f32_e32 v11, v11, v12
	v_cmp_lt_f32_e32 vcc, s6, v0
	s_nop 1
	v_cndmask_b32_e32 v0, v11, v0, vcc
	v_mul_f32_e32 v11, 0x4f800000, v0
	v_cmp_gt_f32_e32 vcc, s15, v0
	s_nop 1
	v_cndmask_b32_e32 v0, v0, v11, vcc
	v_sqrt_f32_e32 v11, v0
	s_nop 0
	v_add_u32_e32 v12, -1, v11
	v_add_u32_e32 v13, 1, v11
	v_fma_f32 v14, -v12, v11, v0
	v_fma_f32 v15, -v13, v11, v0
	v_cmp_ge_f32_e64 s[4:5], 0, v14
	s_nop 1
	v_cndmask_b32_e64 v11, v11, v12, s[4:5]
	v_cmp_lt_f32_e64 s[4:5], 0, v15
	s_nop 1
	v_cndmask_b32_e64 v11, v11, v13, s[4:5]
	v_mul_f32_e32 v12, 0x37800000, v11
	v_cndmask_b32_e32 v11, v11, v12, vcc
	v_cmp_class_f32_e32 vcc, v0, v7
	s_nop 1
	v_cndmask_b32_e32 v0, v11, v0, vcc
	s_mov_b64 vcc, s[2:3]
	s_cbranch_vccz .LBB405_6
; %bb.5:
	global_load_dword v11, v5, s[10:11]
	s_waitcnt vmcnt(0)
	v_add_f32_e32 v0, v0, v11
.LBB405_6:
	s_waitcnt vmcnt(3)
	v_lshlrev_b32_e32 v1, 16, v1
	v_mul_f32_e32 v11, 0x3fb8aa3b, v1
	v_exp_f32_e32 v11, v11
	s_nop 0
	v_add_f32_e32 v11, 1.0, v11
	v_cmp_gt_f32_e32 vcc, s16, v11
	s_nop 1
	v_cndmask_b32_e32 v9, 1.0, v9, vcc
	v_mul_f32_e32 v9, v11, v9
	v_log_f32_e32 v9, v9
	v_cndmask_b32_e32 v10, 0, v10, vcc
	v_mul_f32_e32 v11, 0x3f317217, v9
	v_fma_f32 v11, v9, s7, -v11
	v_fmac_f32_e32 v11, 0x3377d1cf, v9
	v_fmac_f32_e32 v11, 0x3f317217, v9
	v_cmp_lt_f32_e64 vcc, |v9|, s14
	s_nop 1
	v_cndmask_b32_e32 v9, v9, v11, vcc
	v_sub_f32_e32 v9, v9, v10
	v_cmp_lt_f32_e32 vcc, s6, v1
	s_nop 1
	v_cndmask_b32_e32 v1, v9, v1, vcc
	v_mul_f32_e32 v9, 0x4f800000, v1
	v_cmp_gt_f32_e32 vcc, s15, v1
	s_nop 1
	v_cndmask_b32_e32 v1, v1, v9, vcc
	v_sqrt_f32_e32 v9, v1
	s_nop 0
	v_add_u32_e32 v10, -1, v9
	v_add_u32_e32 v11, 1, v9
	v_fma_f32 v12, -v10, v9, v1
	v_fma_f32 v13, -v11, v9, v1
	v_cmp_ge_f32_e64 s[2:3], 0, v12
	s_nop 1
	v_cndmask_b32_e64 v9, v9, v10, s[2:3]
	v_cmp_lt_f32_e64 s[2:3], 0, v13
	s_nop 1
	v_cndmask_b32_e64 v9, v9, v11, s[2:3]
	v_mul_f32_e32 v10, 0x37800000, v9
	v_cndmask_b32_e32 v9, v9, v10, vcc
	v_cndmask_b32_e64 v10, 0, 1, s[12:13]
	v_cmp_class_f32_e64 s[2:3], v1, v7
	v_cmp_ne_u32_e64 s[6:7], 1, v10
	s_andn2_b64 vcc, exec, s[12:13]
	v_cndmask_b32_e64 v1, v9, v1, s[2:3]
	s_cbranch_vccnz .LBB405_8
; %bb.7:
	global_load_dword v7, v5, s[10:11] offset:256
	s_waitcnt vmcnt(0)
	v_add_f32_e32 v1, v1, v7
.LBB405_8:
	s_waitcnt vmcnt(2)
	v_lshlrev_b32_e32 v2, 16, v2
	v_mul_f32_e32 v7, 0x3fb8aa3b, v2
	v_exp_f32_e32 v7, v7
	s_mov_b32 s14, 0x800000
	v_mov_b32_e32 v9, 0x4f800000
	s_mov_b32 s5, 0x3f317217
	v_add_f32_e32 v7, 1.0, v7
	v_cmp_gt_f32_e32 vcc, s14, v7
	s_mov_b32 s12, 0x7f800000
	s_mov_b32 s4, 0x41a00000
	v_cndmask_b32_e32 v10, 1.0, v9, vcc
	v_mul_f32_e32 v7, v7, v10
	v_log_f32_e32 v7, v7
	s_mov_b32 s13, 0xf800000
	v_mul_f32_e32 v10, 0x3f317217, v7
	v_fma_f32 v10, v7, s5, -v10
	v_fmac_f32_e32 v10, 0x3377d1cf, v7
	v_fmac_f32_e32 v10, 0x3f317217, v7
	v_cmp_lt_f32_e64 s[2:3], |v7|, s12
	s_nop 1
	v_cndmask_b32_e64 v7, v7, v10, s[2:3]
	v_mov_b32_e32 v10, 0x41b17218
	v_cndmask_b32_e32 v11, 0, v10, vcc
	v_sub_f32_e32 v7, v7, v11
	v_cmp_lt_f32_e32 vcc, s4, v2
	s_nop 1
	v_cndmask_b32_e32 v2, v7, v2, vcc
	v_mul_f32_e32 v7, 0x4f800000, v2
	v_cmp_gt_f32_e32 vcc, s13, v2
	s_nop 1
	v_cndmask_b32_e32 v2, v2, v7, vcc
	v_sqrt_f32_e32 v7, v2
	s_nop 0
	v_add_u32_e32 v11, -1, v7
	v_fma_f32 v12, -v11, v7, v2
	v_cmp_ge_f32_e64 s[2:3], 0, v12
	v_add_u32_e32 v12, 1, v7
	s_nop 0
	v_cndmask_b32_e64 v11, v7, v11, s[2:3]
	v_fma_f32 v7, -v12, v7, v2
	v_cmp_lt_f32_e64 s[2:3], 0, v7
	s_nop 1
	v_cndmask_b32_e64 v7, v11, v12, s[2:3]
	v_mul_f32_e32 v11, 0x37800000, v7
	v_cndmask_b32_e32 v11, v7, v11, vcc
	v_mov_b32_e32 v7, 0x260
	v_cmp_class_f32_e64 s[2:3], v2, v7
	s_and_b64 vcc, exec, s[6:7]
	s_nop 0
	v_cndmask_b32_e64 v2, v11, v2, s[2:3]
	s_cbranch_vccnz .LBB405_10
; %bb.9:
	global_load_dword v11, v5, s[10:11] offset:512
	s_waitcnt vmcnt(0)
	v_add_f32_e32 v2, v2, v11
.LBB405_10:
	s_waitcnt vmcnt(1)
	v_lshlrev_b32_e32 v3, 16, v3
	v_mul_f32_e32 v11, 0x3fb8aa3b, v3
	v_exp_f32_e32 v11, v11
	s_nop 0
	v_add_f32_e32 v11, 1.0, v11
	v_cmp_gt_f32_e32 vcc, s14, v11
	s_nop 1
	v_cndmask_b32_e32 v9, 1.0, v9, vcc
	v_mul_f32_e32 v9, v11, v9
	v_log_f32_e32 v9, v9
	v_cndmask_b32_e32 v10, 0, v10, vcc
	v_mul_f32_e32 v11, 0x3f317217, v9
	v_fma_f32 v11, v9, s5, -v11
	v_fmac_f32_e32 v11, 0x3377d1cf, v9
	v_fmac_f32_e32 v11, 0x3f317217, v9
	v_cmp_lt_f32_e64 vcc, |v9|, s12
	s_nop 1
	v_cndmask_b32_e32 v9, v9, v11, vcc
	v_sub_f32_e32 v9, v9, v10
	v_cmp_lt_f32_e32 vcc, s4, v3
	s_nop 1
	v_cndmask_b32_e32 v3, v9, v3, vcc
	v_mul_f32_e32 v9, 0x4f800000, v3
	v_cmp_gt_f32_e32 vcc, s13, v3
	s_nop 1
	v_cndmask_b32_e32 v3, v3, v9, vcc
	v_sqrt_f32_e32 v9, v3
	s_nop 0
	v_add_u32_e32 v10, -1, v9
	v_add_u32_e32 v11, 1, v9
	v_fma_f32 v12, -v10, v9, v3
	v_fma_f32 v13, -v11, v9, v3
	v_cmp_ge_f32_e64 s[2:3], 0, v12
	s_nop 1
	v_cndmask_b32_e64 v9, v9, v10, s[2:3]
	v_cmp_lt_f32_e64 s[2:3], 0, v13
	s_nop 1
	v_cndmask_b32_e64 v9, v9, v11, s[2:3]
	v_mul_f32_e32 v10, 0x37800000, v9
	v_cndmask_b32_e32 v9, v9, v10, vcc
	v_cmp_class_f32_e64 s[2:3], v3, v7
	s_and_b64 vcc, exec, s[6:7]
	s_nop 0
	v_cndmask_b32_e64 v3, v9, v3, s[2:3]
	s_cbranch_vccnz .LBB405_12
; %bb.11:
	global_load_dword v7, v5, s[10:11] offset:768
	s_waitcnt vmcnt(0)
	v_add_f32_e32 v3, v3, v7
.LBB405_12:
	s_waitcnt vmcnt(0)
	v_lshlrev_b32_e32 v4, 16, v4
	v_mul_f32_e32 v7, 0x3fb8aa3b, v4
	v_exp_f32_e32 v7, v7
	s_mov_b32 s2, 0x800000
	v_mov_b32_e32 v9, 0x4f800000
	s_mov_b32 s3, 0x7f800000
	v_add_f32_e32 v7, 1.0, v7
	v_cmp_gt_f32_e32 vcc, s2, v7
	s_mov_b32 s2, 0x3f317217
	s_nop 0
	v_cndmask_b32_e32 v9, 1.0, v9, vcc
	v_mul_f32_e32 v7, v7, v9
	v_log_f32_e32 v7, v7
	s_nop 0
	v_mul_f32_e32 v9, 0x3f317217, v7
	v_fma_f32 v9, v7, s2, -v9
	v_fmamk_f32 v9, v7, 0x3377d1cf, v9
	v_fmac_f32_e32 v9, 0x3f317217, v7
	v_cmp_lt_f32_e64 s[2:3], |v7|, s3
	s_nop 1
	v_cndmask_b32_e64 v7, v7, v9, s[2:3]
	v_mov_b32_e32 v9, 0x41b17218
	v_cndmask_b32_e32 v9, 0, v9, vcc
	v_sub_f32_e32 v7, v7, v9
	v_cmp_lt_f32_e32 vcc, s4, v4
	s_mov_b32 s2, 0xf800000
	s_nop 0
	v_cndmask_b32_e32 v4, v7, v4, vcc
	v_mul_f32_e32 v7, 0x4f800000, v4
	v_cmp_gt_f32_e32 vcc, s2, v4
	s_nop 1
	v_cndmask_b32_e32 v4, v4, v7, vcc
	v_sqrt_f32_e32 v7, v4
	s_nop 0
	v_add_u32_e32 v9, -1, v7
	v_fma_f32 v10, -v9, v7, v4
	v_cmp_ge_f32_e64 s[2:3], 0, v10
	v_add_u32_e32 v10, 1, v7
	s_nop 0
	v_cndmask_b32_e64 v9, v7, v9, s[2:3]
	v_fma_f32 v7, -v10, v7, v4
	v_cmp_lt_f32_e64 s[2:3], 0, v7
	s_nop 1
	v_cndmask_b32_e64 v7, v9, v10, s[2:3]
	v_mul_f32_e32 v9, 0x37800000, v7
	v_cndmask_b32_e32 v7, v7, v9, vcc
	v_mov_b32_e32 v9, 0x260
	v_cmp_class_f32_e64 s[2:3], v4, v9
	s_and_b64 vcc, exec, s[6:7]
	s_nop 0
	v_cndmask_b32_e64 v4, v7, v4, s[2:3]
	s_cbranch_vccnz .LBB405_14
; %bb.13:
	global_load_dword v5, v5, s[10:11] offset:1024
	s_waitcnt vmcnt(0)
	v_add_f32_e32 v4, v4, v5
.LBB405_14:
	s_load_dwordx4 s[12:15], s[0:1], 0x30
	v_cmp_eq_u32_e64 s[4:5], 0, v8
	s_waitcnt lgkmcnt(0)
	s_bitcmp1_b32 s15, 0
	s_cselect_b64 s[2:3], -1, 0
	s_cmp_gt_i32 s12, 0
	s_cselect_b64 s[24:25], -1, 0
	s_and_b64 vcc, exec, s[24:25]
	s_cbranch_vccz .LBB405_45
; %bb.15:
	v_mbcnt_lo_u32_b32 v5, -1, 0
	v_mbcnt_hi_u32_b32 v7, -1, v5
	v_and_b32_e32 v5, 64, v7
	v_add_u32_e32 v10, 64, v5
	v_xor_b32_e32 v11, 32, v7
	v_cmp_lt_i32_e32 vcc, v11, v10
	s_load_dwordx4 s[16:19], s[0:1], 0x20
	s_mov_b32 s15, 0
	v_cndmask_b32_e32 v11, v7, v11, vcc
	v_lshlrev_b32_e32 v15, 2, v11
	v_xor_b32_e32 v11, 16, v7
	v_cmp_lt_i32_e32 vcc, v11, v10
	v_mul_lo_u32 v5, v6, s12
	v_or_b32_e32 v9, 64, v8
	v_cndmask_b32_e32 v11, v7, v11, vcc
	v_lshlrev_b32_e32 v16, 2, v11
	v_xor_b32_e32 v11, 8, v7
	v_cmp_lt_i32_e32 vcc, v11, v10
	v_or_b32_e32 v12, 0x80, v8
	v_or_b32_e32 v13, 0xc0, v8
	v_cndmask_b32_e32 v11, v7, v11, vcc
	v_lshlrev_b32_e32 v17, 2, v11
	v_xor_b32_e32 v11, 4, v7
	v_cmp_lt_i32_e32 vcc, v11, v10
	v_or_b32_e32 v14, 0x100, v8
	v_mov_b32_e32 v21, 0x140
	v_cndmask_b32_e32 v11, v7, v11, vcc
	v_lshlrev_b32_e32 v18, 2, v11
	v_xor_b32_e32 v11, 2, v7
	v_cmp_lt_i32_e32 vcc, v11, v10
	v_mov_b32_e32 v22, 0xc61c4000
	v_mov_b32_e32 v23, v6
	v_cndmask_b32_e32 v11, v7, v11, vcc
	v_lshlrev_b32_e32 v19, 2, v11
	v_xor_b32_e32 v11, 1, v7
	v_cmp_lt_i32_e32 vcc, v11, v10
	s_nop 1
	v_cndmask_b32_e32 v7, v7, v11, vcc
	v_lshlrev_b32_e32 v20, 2, v7
	v_mov_b32_e32 v7, 0
	s_branch .LBB405_18
.LBB405_16:                             ;   in Loop: Header=BB405_18 Depth=1
	v_add_u32_e32 v26, s15, v5
	v_cmp_le_i32_e32 vcc, s13, v10
	v_cmp_gt_i32_e64 s[0:1], s14, v10
	v_ashrrev_i32_e32 v27, 31, v26
	s_and_b64 s[0:1], vcc, s[0:1]
	v_lshlrev_b64 v[26:27], 2, v[26:27]
	v_lshl_add_u64 v[28:29], s[20:21], 0, v[26:27]
	v_subrev_u32_e32 v11, s13, v10
	s_and_b64 vcc, s[22:23], s[0:1]
	global_store_dword v[28:29], v24, off
	v_cndmask_b32_e32 v11, v21, v11, vcc
	v_lshl_add_u64 v[28:29], s[16:17], 0, v[26:27]
	global_store_dword v[28:29], v11, off
	v_add_f32_e32 v11, v7, v24
	v_lshl_add_u64 v[26:27], s[18:19], 0, v[26:27]
	v_cndmask_b32_e64 v7, v7, v11, s[2:3]
	global_store_dword v[26:27], v23, off
.LBB405_17:                             ;   in Loop: Header=BB405_18 Depth=1
	s_or_b64 exec, exec, s[26:27]
	v_ashrrev_i32_e32 v11, 31, v10
	v_lshrrev_b32_e32 v11, 26, v11
	v_add_u32_e32 v11, v10, v11
	v_ashrrev_i32_e32 v24, 6, v11
	v_and_b32_e32 v11, 0xffffffc0, v11
	v_sub_u32_e32 v10, v10, v11
	v_cmp_ne_u32_e64 s[0:1], 0, v24
	v_cmp_eq_u32_e32 vcc, v8, v10
	s_add_i32 s15, s15, 1
	v_cndmask_b32_e64 v10, v22, v0, s[0:1]
	v_cmp_ne_u32_e64 s[0:1], 1, v24
	s_cmp_lt_i32 s15, s12
	s_cselect_b64 s[26:27], -1, 0
	v_cndmask_b32_e64 v11, v22, v1, s[0:1]
	v_cmp_ne_u32_e64 s[0:1], 2, v24
	s_and_b64 vcc, s[26:27], vcc
	v_cndmask_b32_e32 v1, v1, v11, vcc
	s_waitcnt lgkmcnt(0)
	v_cndmask_b32_e64 v25, v22, v2, s[0:1]
	v_cmp_ne_u32_e64 s[0:1], 3, v24
	v_cndmask_b32_e32 v2, v2, v25, vcc
	v_cndmask_b32_e32 v0, v0, v10, vcc
	v_cndmask_b32_e64 v26, v22, v3, s[0:1]
	v_cmp_ne_u32_e64 s[0:1], 4, v24
	v_cndmask_b32_e32 v3, v3, v26, vcc
	s_cmp_eq_u32 s12, s15
	v_cndmask_b32_e64 v24, v22, v4, s[0:1]
	v_cndmask_b32_e32 v4, v4, v24, vcc
	v_add_u32_e32 v23, s30, v23
	s_cbranch_scc1 .LBB405_46
.LBB405_18:                             ; =>This Inner Loop Header: Depth=1
	v_cmp_gt_f32_e32 vcc, v1, v0
	s_nop 1
	v_cndmask_b32_e32 v11, v0, v1, vcc
	v_cndmask_b32_e32 v10, v8, v9, vcc
	v_cmp_gt_f32_e32 vcc, v2, v11
	s_nop 1
	v_cndmask_b32_e32 v11, v11, v2, vcc
	v_cndmask_b32_e32 v10, v10, v12, vcc
	;; [unrolled: 4-line block ×4, first 2 shown]
	ds_bpermute_b32 v11, v15, v24
	ds_bpermute_b32 v25, v15, v10
	s_waitcnt lgkmcnt(0)
	v_cmp_lt_f32_e64 s[26:27], v24, v11
	v_cmp_nlt_f32_e32 vcc, v24, v11
	s_and_saveexec_b64 s[28:29], vcc
; %bb.19:                               ;   in Loop: Header=BB405_18 Depth=1
	v_cmp_eq_f32_e32 vcc, v24, v11
	v_cmp_lt_i32_e64 s[0:1], v25, v10
	s_and_b64 s[0:1], vcc, s[0:1]
	s_andn2_b64 s[26:27], s[26:27], exec
	s_and_b64 s[0:1], s[0:1], exec
	s_or_b64 s[26:27], s[26:27], s[0:1]
; %bb.20:                               ;   in Loop: Header=BB405_18 Depth=1
	s_or_b64 exec, exec, s[28:29]
	s_and_saveexec_b64 s[0:1], s[26:27]
; %bb.21:                               ;   in Loop: Header=BB405_18 Depth=1
	v_mov_b32_e32 v24, v11
	v_mov_b32_e32 v10, v25
; %bb.22:                               ;   in Loop: Header=BB405_18 Depth=1
	s_or_b64 exec, exec, s[0:1]
	ds_bpermute_b32 v11, v16, v24
	ds_bpermute_b32 v25, v16, v10
	s_waitcnt lgkmcnt(1)
	v_cmp_lt_f32_e64 s[26:27], v24, v11
	v_cmp_nlt_f32_e32 vcc, v24, v11
	s_and_saveexec_b64 s[28:29], vcc
	s_cbranch_execz .LBB405_24
; %bb.23:                               ;   in Loop: Header=BB405_18 Depth=1
	v_cmp_eq_f32_e32 vcc, v24, v11
	s_waitcnt lgkmcnt(0)
	v_cmp_lt_i32_e64 s[0:1], v25, v10
	s_and_b64 s[0:1], vcc, s[0:1]
	s_andn2_b64 s[26:27], s[26:27], exec
	s_and_b64 s[0:1], s[0:1], exec
	s_or_b64 s[26:27], s[26:27], s[0:1]
.LBB405_24:                             ;   in Loop: Header=BB405_18 Depth=1
	s_or_b64 exec, exec, s[28:29]
	s_and_saveexec_b64 s[0:1], s[26:27]
	s_cbranch_execz .LBB405_26
; %bb.25:                               ;   in Loop: Header=BB405_18 Depth=1
	v_mov_b32_e32 v24, v11
	s_waitcnt lgkmcnt(0)
	v_mov_b32_e32 v10, v25
.LBB405_26:                             ;   in Loop: Header=BB405_18 Depth=1
	s_or_b64 exec, exec, s[0:1]
	ds_bpermute_b32 v11, v17, v24
	s_waitcnt lgkmcnt(1)
	ds_bpermute_b32 v25, v17, v10
	s_waitcnt lgkmcnt(1)
	v_cmp_lt_f32_e64 s[26:27], v24, v11
	v_cmp_nlt_f32_e32 vcc, v24, v11
	s_and_saveexec_b64 s[28:29], vcc
	s_cbranch_execz .LBB405_28
; %bb.27:                               ;   in Loop: Header=BB405_18 Depth=1
	v_cmp_eq_f32_e32 vcc, v24, v11
	s_waitcnt lgkmcnt(0)
	v_cmp_lt_i32_e64 s[0:1], v25, v10
	s_and_b64 s[0:1], vcc, s[0:1]
	s_andn2_b64 s[26:27], s[26:27], exec
	s_and_b64 s[0:1], s[0:1], exec
	s_or_b64 s[26:27], s[26:27], s[0:1]
.LBB405_28:                             ;   in Loop: Header=BB405_18 Depth=1
	s_or_b64 exec, exec, s[28:29]
	s_and_saveexec_b64 s[0:1], s[26:27]
	s_cbranch_execz .LBB405_30
; %bb.29:                               ;   in Loop: Header=BB405_18 Depth=1
	v_mov_b32_e32 v24, v11
	s_waitcnt lgkmcnt(0)
	v_mov_b32_e32 v10, v25
.LBB405_30:                             ;   in Loop: Header=BB405_18 Depth=1
	s_or_b64 exec, exec, s[0:1]
	ds_bpermute_b32 v11, v18, v24
	s_waitcnt lgkmcnt(1)
	;; [unrolled: 26-line block ×4, first 2 shown]
	ds_bpermute_b32 v25, v20, v10
	s_waitcnt lgkmcnt(1)
	v_cmp_lt_f32_e64 s[26:27], v24, v11
	v_cmp_nlt_f32_e32 vcc, v24, v11
	s_and_saveexec_b64 s[28:29], vcc
	s_cbranch_execnz .LBB405_41
; %bb.39:                               ;   in Loop: Header=BB405_18 Depth=1
	s_or_b64 exec, exec, s[28:29]
	s_and_saveexec_b64 s[0:1], s[26:27]
	s_cbranch_execnz .LBB405_42
.LBB405_40:                             ;   in Loop: Header=BB405_18 Depth=1
	s_or_b64 exec, exec, s[0:1]
	s_and_saveexec_b64 s[26:27], s[4:5]
	s_cbranch_execz .LBB405_17
	s_branch .LBB405_43
.LBB405_41:                             ;   in Loop: Header=BB405_18 Depth=1
	v_cmp_eq_f32_e32 vcc, v24, v11
	s_waitcnt lgkmcnt(0)
	v_cmp_lt_i32_e64 s[0:1], v25, v10
	s_and_b64 s[0:1], vcc, s[0:1]
	s_andn2_b64 s[26:27], s[26:27], exec
	s_and_b64 s[0:1], s[0:1], exec
	s_or_b64 s[26:27], s[26:27], s[0:1]
	s_or_b64 exec, exec, s[28:29]
	s_and_saveexec_b64 s[0:1], s[26:27]
	s_cbranch_execz .LBB405_40
.LBB405_42:                             ;   in Loop: Header=BB405_18 Depth=1
	s_waitcnt lgkmcnt(0)
	v_mov_b32_e32 v10, v25
	v_mov_b32_e32 v24, v11
	s_or_b64 exec, exec, s[0:1]
	s_and_saveexec_b64 s[26:27], s[4:5]
	s_cbranch_execz .LBB405_17
.LBB405_43:                             ;   in Loop: Header=BB405_18 Depth=1
	s_and_b64 vcc, exec, s[6:7]
	s_cbranch_vccnz .LBB405_16
; %bb.44:                               ;   in Loop: Header=BB405_18 Depth=1
	v_ashrrev_i32_e32 v11, 31, v10
	v_lshl_add_u64 v[26:27], v[10:11], 2, s[10:11]
	global_load_dword v11, v[26:27], off
	s_waitcnt vmcnt(0)
	v_sub_f32_e32 v24, v24, v11
	s_branch .LBB405_16
.LBB405_45:
	v_mov_b32_e32 v7, 0
.LBB405_46:
	v_cmp_eq_u32_e32 vcc, 0, v8
	s_and_b64 exec, exec, vcc
	s_cbranch_execz .LBB405_59
; %bb.47:
	s_andn2_b64 vcc, exec, s[2:3]
	v_cvt_f32_f64_e32 v0, s[8:9]
	s_cbranch_vccnz .LBB405_49
; %bb.48:
	v_cmp_lt_f32_e32 vcc, 0, v7
	s_nop 1
	v_cndmask_b32_e32 v1, 1.0, v7, vcc
	v_div_scale_f32 v2, s[0:1], v1, v1, v0
	v_rcp_f32_e32 v3, v2
	s_nop 0
	v_fma_f32 v4, -v2, v3, 1.0
	v_fmac_f32_e32 v3, v4, v3
	v_div_scale_f32 v4, vcc, v0, v1, v0
	v_mul_f32_e32 v5, v4, v3
	v_fma_f32 v7, -v2, v5, v4
	v_fmac_f32_e32 v5, v7, v3
	v_fma_f32 v2, -v2, v5, v4
	v_div_fmas_f32 v2, v2, v3, v5
	v_div_fixup_f32 v0, v2, v1, v0
.LBB405_49:
	s_andn2_b64 vcc, exec, s[24:25]
	s_cbranch_vccnz .LBB405_59
; %bb.50:
	v_mul_lo_u32 v2, v6, s12
	s_cmp_gt_u32 s12, 3
	v_ashrrev_i32_e32 v3, 31, v2
	s_cbranch_scc0 .LBB405_54
; %bb.51:
	s_and_b32 s0, s12, 0x7ffffffc
	v_lshl_add_u64 v[4:5], v[2:3], 2, s[20:21]
	v_mov_b32_e32 v1, v0
	v_lshl_add_u64 v[4:5], v[4:5], 0, 8
	s_mov_b32 s1, s0
.LBB405_52:                             ; =>This Inner Loop Header: Depth=1
	global_load_dwordx4 v[6:9], v[4:5], off offset:-8
	s_add_i32 s1, s1, -4
	s_cmp_lg_u32 s1, 0
	s_waitcnt vmcnt(0)
	v_pk_mul_f32 v[6:7], v[0:1], v[6:7]
	v_pk_mul_f32 v[8:9], v[0:1], v[8:9]
	global_store_dwordx4 v[4:5], v[6:9], off offset:-8
	v_lshl_add_u64 v[4:5], v[4:5], 0, 16
	s_cbranch_scc1 .LBB405_52
; %bb.53:
	s_cmp_lg_u32 s0, s12
	s_cselect_b64 s[2:3], -1, 0
	s_branch .LBB405_56
.LBB405_54:
	s_mov_b64 s[2:3], 0
                                        ; implicit-def: $sgpr0
	s_cbranch_execz .LBB405_56
; %bb.55:
	s_mov_b64 s[2:3], -1
	s_mov_b32 s0, 0
.LBB405_56:
	s_andn2_b64 vcc, exec, s[2:3]
	s_cbranch_vccnz .LBB405_59
; %bb.57:
	s_mov_b32 s1, 0
	v_lshl_add_u64 v[2:3], v[2:3], 0, s[0:1]
	s_sub_i32 s2, s12, s0
	v_lshl_add_u64 v[2:3], v[2:3], 2, s[20:21]
.LBB405_58:                             ; =>This Inner Loop Header: Depth=1
	global_load_dword v1, v[2:3], off
	s_add_i32 s2, s2, -1
	s_cmp_lg_u32 s2, 0
	s_waitcnt vmcnt(0)
	v_mul_f32_e32 v1, v0, v1
	global_store_dword v[2:3], v1, off
	v_lshl_add_u64 v[2:3], v[2:3], 0, 4
	s_cbranch_scc1 .LBB405_58
.LBB405_59:
	s_endpgm
	.section	.rodata,"a",@progbits
	.p2align	6, 0x0
	.amdhsa_kernel _ZN4vllm3moe22topkGatingSoftplusSqrtILi5ELi320ELi4ELi2ELi64ELb0Ei14__hip_bfloat16EEvPKT6_PKbPfiPT5_PiiiibdPKfPKS9_SF_
		.amdhsa_group_segment_fixed_size 0
		.amdhsa_private_segment_fixed_size 0
		.amdhsa_kernarg_size 96
		.amdhsa_user_sgpr_count 2
		.amdhsa_user_sgpr_dispatch_ptr 0
		.amdhsa_user_sgpr_queue_ptr 0
		.amdhsa_user_sgpr_kernarg_segment_ptr 1
		.amdhsa_user_sgpr_dispatch_id 0
		.amdhsa_user_sgpr_kernarg_preload_length 0
		.amdhsa_user_sgpr_kernarg_preload_offset 0
		.amdhsa_user_sgpr_private_segment_size 0
		.amdhsa_uses_dynamic_stack 0
		.amdhsa_enable_private_segment 0
		.amdhsa_system_sgpr_workgroup_id_x 1
		.amdhsa_system_sgpr_workgroup_id_y 0
		.amdhsa_system_sgpr_workgroup_id_z 0
		.amdhsa_system_sgpr_workgroup_info 0
		.amdhsa_system_vgpr_workitem_id 1
		.amdhsa_next_free_vgpr 30
		.amdhsa_next_free_sgpr 31
		.amdhsa_accum_offset 32
		.amdhsa_reserve_vcc 1
		.amdhsa_float_round_mode_32 0
		.amdhsa_float_round_mode_16_64 0
		.amdhsa_float_denorm_mode_32 3
		.amdhsa_float_denorm_mode_16_64 3
		.amdhsa_dx10_clamp 1
		.amdhsa_ieee_mode 1
		.amdhsa_fp16_overflow 0
		.amdhsa_tg_split 0
		.amdhsa_exception_fp_ieee_invalid_op 0
		.amdhsa_exception_fp_denorm_src 0
		.amdhsa_exception_fp_ieee_div_zero 0
		.amdhsa_exception_fp_ieee_overflow 0
		.amdhsa_exception_fp_ieee_underflow 0
		.amdhsa_exception_fp_ieee_inexact 0
		.amdhsa_exception_int_div_zero 0
	.end_amdhsa_kernel
	.section	.text._ZN4vllm3moe22topkGatingSoftplusSqrtILi5ELi320ELi4ELi2ELi64ELb0Ei14__hip_bfloat16EEvPKT6_PKbPfiPT5_PiiiibdPKfPKS9_SF_,"axG",@progbits,_ZN4vllm3moe22topkGatingSoftplusSqrtILi5ELi320ELi4ELi2ELi64ELb0Ei14__hip_bfloat16EEvPKT6_PKbPfiPT5_PiiiibdPKfPKS9_SF_,comdat
.Lfunc_end405:
	.size	_ZN4vllm3moe22topkGatingSoftplusSqrtILi5ELi320ELi4ELi2ELi64ELb0Ei14__hip_bfloat16EEvPKT6_PKbPfiPT5_PiiiibdPKfPKS9_SF_, .Lfunc_end405-_ZN4vllm3moe22topkGatingSoftplusSqrtILi5ELi320ELi4ELi2ELi64ELb0Ei14__hip_bfloat16EEvPKT6_PKbPfiPT5_PiiiibdPKfPKS9_SF_
                                        ; -- End function
	.section	.AMDGPU.csdata,"",@progbits
; Kernel info:
; codeLenInByte = 3356
; NumSgprs: 37
; NumVgprs: 30
; NumAgprs: 0
; TotalNumVgprs: 30
; ScratchSize: 0
; MemoryBound: 0
; FloatMode: 240
; IeeeMode: 1
; LDSByteSize: 0 bytes/workgroup (compile time only)
; SGPRBlocks: 4
; VGPRBlocks: 3
; NumSGPRsForWavesPerEU: 37
; NumVGPRsForWavesPerEU: 30
; AccumOffset: 32
; Occupancy: 8
; WaveLimiterHint : 1
; COMPUTE_PGM_RSRC2:SCRATCH_EN: 0
; COMPUTE_PGM_RSRC2:USER_SGPR: 2
; COMPUTE_PGM_RSRC2:TRAP_HANDLER: 0
; COMPUTE_PGM_RSRC2:TGID_X_EN: 1
; COMPUTE_PGM_RSRC2:TGID_Y_EN: 0
; COMPUTE_PGM_RSRC2:TGID_Z_EN: 0
; COMPUTE_PGM_RSRC2:TIDIG_COMP_CNT: 1
; COMPUTE_PGM_RSRC3_GFX90A:ACCUM_OFFSET: 7
; COMPUTE_PGM_RSRC3_GFX90A:TG_SPLIT: 0
	.section	.text._ZN4vllm3moe22topkGatingSoftplusSqrtILi10ELi320ELi4ELi2ELi32ELb1Ei14__hip_bfloat16EEvPKT6_PKbPfiPT5_PiiiibdPKfPKS9_SF_,"axG",@progbits,_ZN4vllm3moe22topkGatingSoftplusSqrtILi10ELi320ELi4ELi2ELi32ELb1Ei14__hip_bfloat16EEvPKT6_PKbPfiPT5_PiiiibdPKfPKS9_SF_,comdat
	.protected	_ZN4vllm3moe22topkGatingSoftplusSqrtILi10ELi320ELi4ELi2ELi32ELb1Ei14__hip_bfloat16EEvPKT6_PKbPfiPT5_PiiiibdPKfPKS9_SF_ ; -- Begin function _ZN4vllm3moe22topkGatingSoftplusSqrtILi10ELi320ELi4ELi2ELi32ELb1Ei14__hip_bfloat16EEvPKT6_PKbPfiPT5_PiiiibdPKfPKS9_SF_
	.globl	_ZN4vllm3moe22topkGatingSoftplusSqrtILi10ELi320ELi4ELi2ELi32ELb1Ei14__hip_bfloat16EEvPKT6_PKbPfiPT5_PiiiibdPKfPKS9_SF_
	.p2align	8
	.type	_ZN4vllm3moe22topkGatingSoftplusSqrtILi10ELi320ELi4ELi2ELi32ELb1Ei14__hip_bfloat16EEvPKT6_PKbPfiPT5_PiiiibdPKfPKS9_SF_,@function
_ZN4vllm3moe22topkGatingSoftplusSqrtILi10ELi320ELi4ELi2ELi32ELb1Ei14__hip_bfloat16EEvPKT6_PKbPfiPT5_PiiiibdPKfPKS9_SF_: ; @_ZN4vllm3moe22topkGatingSoftplusSqrtILi10ELi320ELi4ELi2ELi32ELb1Ei14__hip_bfloat16EEvPKT6_PKbPfiPT5_PiiiibdPKfPKS9_SF_
; %bb.0:
	s_load_dword s3, s[0:1], 0x18
	v_and_b32_e32 v1, 0x3ff, v0
	s_lshl_b32 s2, s2, 2
	v_lshrrev_b32_e32 v2, 5, v1
	v_bfe_u32 v0, v0, 10, 10
	v_add3_u32 v10, s2, v0, v2
	s_waitcnt lgkmcnt(0)
	v_cmp_gt_i32_e32 vcc, s3, v10
	s_and_saveexec_b64 s[2:3], vcc
	s_cbranch_execz .LBB406_31
; %bb.1:
	s_load_dwordx2 s[2:3], s[0:1], 0x0
	s_load_dword s19, s[0:1], 0x30
	s_movk_i32 s4, 0x140
	v_mul_lo_u32 v2, v10, s4
	v_ashrrev_i32_e32 v3, 31, v2
	v_and_b32_e32 v20, 31, v1
	s_waitcnt lgkmcnt(0)
	v_lshl_add_u64 v[2:3], v[2:3], 1, s[2:3]
	v_lshlrev_b32_e32 v12, 1, v20
	v_mov_b32_e32 v13, 0
	v_lshl_add_u64 v[4:5], v[2:3], 0, v[12:13]
	s_load_dwordx4 s[8:11], s[0:1], 0x50
	global_load_ushort v2, v[4:5], off offset:64
	global_load_ushort v3, v[4:5], off
	global_load_ushort v6, v[4:5], off offset:192
	global_load_ushort v7, v[4:5], off offset:128
	v_ashrrev_i32_e32 v11, 31, v10
	s_mov_b32 s17, 0x800000
	s_mov_b32 s16, 0x3f317217
	s_waitcnt lgkmcnt(0)
	v_mov_b32_e32 v0, s8
	v_mov_b32_e32 v1, s9
	v_lshl_add_u64 v[0:1], v[10:11], 2, v[0:1]
	global_load_dword v12, v[0:1], off
	global_load_ushort v16, v[4:5], off offset:256
	global_load_ushort v17, v[4:5], off offset:320
	;; [unrolled: 1-line block ×4, first 2 shown]
	v_mov_b32_e32 v11, 0x4f800000
	s_mov_b32 s15, 0x7f800000
	v_mov_b32_e32 v9, 0x41b17218
	s_mov_b32 s14, 0x41a00000
	s_mov_b32 s13, 0xf800000
	v_mov_b32_e32 v8, 0x260
	s_cmp_gt_i32 s19, 0
	s_mov_b32 s12, 0
	v_mul_lo_u32 v10, v10, s19
	s_waitcnt vmcnt(8)
	v_lshlrev_b32_e32 v21, 16, v2
	s_waitcnt vmcnt(7)
	v_lshlrev_b32_e32 v22, 16, v3
	v_mul_f32_e32 v0, 0x3fb8aa3b, v22
	v_mul_f32_e32 v1, 0x3fb8aa3b, v21
	v_exp_f32_e32 v0, v0
	v_exp_f32_e32 v1, v1
	s_waitcnt vmcnt(6)
	v_lshlrev_b32_e32 v6, 16, v6
	s_waitcnt vmcnt(5)
	v_lshlrev_b32_e32 v7, 16, v7
	v_mul_f32_e32 v2, 0x3fb8aa3b, v7
	v_mul_f32_e32 v3, 0x3fb8aa3b, v6
	v_pk_add_f32 v[0:1], v[0:1], 1.0 op_sel_hi:[1,0]
	v_exp_f32_e32 v2, v2
	v_exp_f32_e32 v3, v3
	v_cmp_gt_f32_e32 vcc, s17, v1
	s_waitcnt vmcnt(4)
	v_mul_lo_u32 v14, v12, s19
	v_cmp_gt_f32_e64 s[2:3], s17, v0
	v_cndmask_b32_e32 v12, 1.0, v11, vcc
	v_mul_f32_e32 v1, v1, v12
	v_cndmask_b32_e64 v23, 1.0, v11, s[2:3]
	v_mul_f32_e32 v0, v0, v23
	v_log_f32_e32 v1, v1
	v_pk_add_f32 v[2:3], v[2:3], 1.0 op_sel_hi:[1,0]
	v_log_f32_e32 v0, v0
	v_cmp_gt_f32_e64 s[4:5], s17, v3
	v_cmp_gt_f32_e64 s[6:7], s17, v2
	v_cndmask_b32_e32 v12, 0, v9, vcc
	v_cndmask_b32_e64 v24, 1.0, v11, s[4:5]
	v_cndmask_b32_e64 v25, 1.0, v11, s[6:7]
	v_mul_f32_e32 v3, v3, v24
	v_mul_f32_e32 v24, 0x3f317217, v1
	;; [unrolled: 1-line block ×4, first 2 shown]
	v_fma_f32 v24, v1, s16, -v24
	v_fma_f32 v25, v0, s16, -v25
	v_fmac_f32_e32 v24, 0x3377d1cf, v1
	v_fmac_f32_e32 v25, 0x3377d1cf, v0
	;; [unrolled: 1-line block ×3, first 2 shown]
	v_cmp_lt_f32_e64 vcc, |v1|, s15
	v_fmac_f32_e32 v25, 0x3f317217, v0
	v_cndmask_b32_e64 v23, 0, v9, s[2:3]
	v_cndmask_b32_e32 v1, v1, v24, vcc
	v_cmp_lt_f32_e64 vcc, |v0|, s15
	v_sub_f32_e32 v1, v1, v12
	v_log_f32_e32 v3, v3
	v_cndmask_b32_e32 v0, v0, v25, vcc
	v_sub_f32_e32 v0, v0, v23
	v_cmp_lt_f32_e32 vcc, s14, v22
	v_mul_f32_e32 v26, 0x3f317217, v3
	v_fma_f32 v26, v3, s16, -v26
	v_cndmask_b32_e32 v0, v0, v22, vcc
	v_cmp_lt_f32_e32 vcc, s14, v21
	v_cmp_gt_f32_e64 s[2:3], s13, v0
	v_log_f32_e32 v2, v2
	v_cndmask_b32_e32 v1, v1, v21, vcc
	v_mul_f32_e32 v12, 0x4f800000, v1
	v_cmp_gt_f32_e32 vcc, s13, v1
	v_mul_f32_e32 v21, 0x4f800000, v0
	v_cndmask_b32_e64 v0, v0, v21, s[2:3]
	v_cndmask_b32_e32 v1, v1, v12, vcc
	v_sqrt_f32_e32 v12, v1
	v_sqrt_f32_e32 v21, v0
	v_fmac_f32_e32 v26, 0x3377d1cf, v3
	v_fmac_f32_e32 v26, 0x3f317217, v3
	v_add_u32_e32 v22, -1, v12
	v_add_u32_e32 v24, -1, v21
	v_fma_f32 v27, -v22, v12, v1
	v_add_u32_e32 v23, 1, v12
	v_fma_f32 v29, -v24, v21, v0
	v_cmp_ge_f32_e64 s[8:9], 0, v27
	v_add_u32_e32 v25, 1, v21
	v_fma_f32 v28, -v23, v12, v1
	v_cndmask_b32_e64 v12, v12, v22, s[8:9]
	v_cmp_ge_f32_e64 s[8:9], 0, v29
	v_fma_f32 v30, -v25, v21, v0
	s_waitcnt vmcnt(2)
	v_lshlrev_b32_e32 v17, 16, v17
	v_cndmask_b32_e64 v21, v21, v24, s[8:9]
	v_cmp_lt_f32_e64 s[8:9], 0, v28
	v_lshlrev_b32_e32 v16, 16, v16
	s_waitcnt vmcnt(0)
	v_lshlrev_b32_e32 v19, 16, v19
	v_cndmask_b32_e64 v12, v12, v23, s[8:9]
	v_cmp_lt_f32_e64 s[8:9], 0, v30
	v_mul_f32_e32 v22, 0x37800000, v12
	v_cndmask_b32_e32 v12, v12, v22, vcc
	v_cndmask_b32_e64 v21, v21, v25, s[8:9]
	v_mul_f32_e32 v23, 0x37800000, v21
	v_cmp_class_f32_e32 vcc, v1, v8
	v_cndmask_b32_e64 v21, v21, v23, s[2:3]
	v_cmp_lt_f32_e64 s[2:3], s14, v7
	v_cndmask_b32_e32 v1, v12, v1, vcc
	v_cmp_class_f32_e32 vcc, v0, v8
	v_cndmask_b32_e64 v12, 0, v9, s[4:5]
	v_lshlrev_b32_e32 v18, 16, v18
	v_cndmask_b32_e32 v0, v21, v0, vcc
	v_cmp_lt_f32_e64 vcc, |v3|, s15
	v_ashrrev_i32_e32 v15, 31, v14
	v_lshl_add_u64 v[14:15], v[14:15], 2, s[10:11]
	v_cndmask_b32_e32 v3, v3, v26, vcc
	v_sub_f32_e32 v3, v3, v12
	v_mul_f32_e32 v12, 0x3f317217, v2
	v_fma_f32 v12, v2, s16, -v12
	v_fmac_f32_e32 v12, 0x3377d1cf, v2
	v_fmac_f32_e32 v12, 0x3f317217, v2
	v_cmp_lt_f32_e64 vcc, |v2|, s15
	s_nop 1
	v_cndmask_b32_e32 v2, v2, v12, vcc
	v_cmp_lt_f32_e32 vcc, s14, v6
	v_cndmask_b32_e64 v12, 0, v9, s[6:7]
	v_sub_f32_e32 v2, v2, v12
	v_cndmask_b32_e32 v3, v3, v6, vcc
	v_mul_f32_e32 v6, 0x4f800000, v3
	v_cmp_gt_f32_e32 vcc, s13, v3
	v_cndmask_b32_e64 v2, v2, v7, s[2:3]
	s_nop 0
	v_cndmask_b32_e32 v3, v3, v6, vcc
	v_sqrt_f32_e32 v6, v3
	s_nop 0
	v_add_u32_e32 v7, -1, v6
	v_fma_f32 v12, -v7, v6, v3
	v_cmp_ge_f32_e64 s[2:3], 0, v12
	v_add_u32_e32 v12, 1, v6
	s_nop 0
	v_cndmask_b32_e64 v7, v6, v7, s[2:3]
	v_fma_f32 v6, -v12, v6, v3
	v_cmp_lt_f32_e64 s[2:3], 0, v6
	s_nop 1
	v_cndmask_b32_e64 v6, v7, v12, s[2:3]
	v_mul_f32_e32 v12, 0x4f800000, v2
	v_cmp_gt_f32_e64 s[2:3], s13, v2
	v_mul_f32_e32 v7, 0x37800000, v6
	v_cndmask_b32_e32 v6, v6, v7, vcc
	v_cndmask_b32_e64 v2, v2, v12, s[2:3]
	v_sqrt_f32_e32 v12, v2
	v_cmp_class_f32_e32 vcc, v3, v8
	v_add_u32_e32 v22, 1, v12
	s_nop 0
	v_cndmask_b32_e32 v3, v6, v3, vcc
	v_add_u32_e32 v6, -1, v12
	v_fma_f32 v7, -v6, v12, v2
	v_cmp_ge_f32_e32 vcc, 0, v7
	v_mul_f32_e32 v7, 0x3fb8aa3b, v17
	v_exp_f32_e32 v7, v7
	v_cndmask_b32_e32 v21, v12, v6, vcc
	v_mul_f32_e32 v6, 0x3fb8aa3b, v16
	v_fma_f32 v12, -v22, v12, v2
	v_exp_f32_e32 v6, v6
	v_cmp_lt_f32_e32 vcc, 0, v12
	v_pk_add_f32 v[6:7], v[6:7], 1.0 op_sel_hi:[1,0]
	s_nop 0
	v_cndmask_b32_e32 v12, v21, v22, vcc
	v_mul_f32_e32 v21, 0x37800000, v12
	v_cndmask_b32_e64 v12, v12, v21, s[2:3]
	v_cmp_class_f32_e64 s[2:3], v2, v8
	v_cmp_gt_f32_e32 vcc, s17, v7
	s_nop 0
	v_cndmask_b32_e64 v2, v12, v2, s[2:3]
	v_cmp_gt_f32_e64 s[2:3], s17, v6
	v_cndmask_b32_e32 v22, 1.0, v11, vcc
	v_mul_f32_e32 v7, v7, v22
	v_cndmask_b32_e64 v21, 1.0, v11, s[2:3]
	v_mul_f32_e32 v6, v6, v21
	global_load_ushort v21, v[4:5], off offset:512
	global_load_ushort v22, v[4:5], off offset:576
	v_log_f32_e32 v7, v7
	v_log_f32_e32 v6, v6
	v_mul_f32_e32 v12, 0x3f317217, v7
	v_fma_f32 v12, v7, s16, -v12
	v_fmac_f32_e32 v12, 0x3377d1cf, v7
	v_fmac_f32_e32 v12, 0x3f317217, v7
	v_cmp_lt_f32_e64 s[4:5], |v7|, s15
	s_waitcnt vmcnt(1)
	v_lshlrev_b32_e32 v21, 16, v21
	v_cndmask_b32_e64 v7, v7, v12, s[4:5]
	v_cndmask_b32_e32 v12, 0, v9, vcc
	v_sub_f32_e32 v7, v7, v12
	v_mul_f32_e32 v12, 0x3f317217, v6
	v_fma_f32 v12, v6, s16, -v12
	v_fmac_f32_e32 v12, 0x3377d1cf, v6
	v_fmac_f32_e32 v12, 0x3f317217, v6
	v_cmp_lt_f32_e64 vcc, |v6|, s15
	s_waitcnt vmcnt(0)
	v_lshlrev_b32_e32 v22, 16, v22
	v_cndmask_b32_e32 v6, v6, v12, vcc
	v_cmp_lt_f32_e32 vcc, s14, v17
	v_cndmask_b32_e64 v12, 0, v9, s[2:3]
	v_sub_f32_e32 v6, v6, v12
	v_cndmask_b32_e32 v7, v7, v17, vcc
	v_mul_f32_e32 v17, 0x4f800000, v7
	v_cmp_gt_f32_e32 vcc, s13, v7
	v_cmp_lt_f32_e64 s[2:3], s14, v16
	s_nop 0
	v_cndmask_b32_e32 v7, v7, v17, vcc
	v_sqrt_f32_e32 v17, v7
	v_cndmask_b32_e64 v6, v6, v16, s[2:3]
	v_add_u32_e32 v12, -1, v17
	v_fma_f32 v16, -v12, v17, v7
	v_cmp_ge_f32_e64 s[2:3], 0, v16
	v_add_u32_e32 v16, 1, v17
	s_nop 0
	v_cndmask_b32_e64 v12, v17, v12, s[2:3]
	v_fma_f32 v17, -v16, v17, v7
	v_cmp_lt_f32_e64 s[2:3], 0, v17
	v_mul_f32_e32 v17, 0x4f800000, v6
	s_nop 0
	v_cndmask_b32_e64 v12, v12, v16, s[2:3]
	v_cmp_gt_f32_e64 s[2:3], s13, v6
	v_mul_f32_e32 v16, 0x37800000, v12
	v_cndmask_b32_e32 v5, v12, v16, vcc
	v_cndmask_b32_e64 v4, v6, v17, s[2:3]
	v_sqrt_f32_e32 v6, v4
	v_cmp_class_f32_e32 vcc, v7, v8
	v_add_u32_e32 v16, 1, v6
	s_nop 0
	v_cndmask_b32_e32 v5, v5, v7, vcc
	v_add_u32_e32 v7, -1, v6
	v_fma_f32 v12, -v7, v6, v4
	v_cmp_ge_f32_e32 vcc, 0, v12
	v_fma_f32 v17, -v16, v6, v4
	s_nop 0
	v_cndmask_b32_e32 v12, v6, v7, vcc
	v_mul_f32_e32 v6, 0x3fb8aa3b, v18
	v_mul_f32_e32 v7, 0x3fb8aa3b, v19
	v_exp_f32_e32 v6, v6
	v_exp_f32_e32 v7, v7
	v_cmp_lt_f32_e32 vcc, 0, v17
	v_pk_add_f32 v[6:7], v[6:7], 1.0 op_sel_hi:[1,0]
	s_nop 0
	v_cndmask_b32_e32 v12, v12, v16, vcc
	v_cmp_gt_f32_e32 vcc, s17, v7
	v_mul_f32_e32 v16, 0x37800000, v12
	v_cndmask_b32_e64 v12, v12, v16, s[2:3]
	v_cndmask_b32_e32 v17, 1.0, v11, vcc
	v_mul_f32_e32 v7, v7, v17
	v_log_f32_e32 v7, v7
	v_cmp_class_f32_e64 s[2:3], v4, v8
	v_cmp_lt_f32_e64 s[4:5], |v7|, s15
	s_nop 0
	v_cndmask_b32_e64 v4, v12, v4, s[2:3]
	v_cmp_gt_f32_e64 s[2:3], s17, v6
	v_mul_f32_e32 v12, 0x3f317217, v7
	v_fma_f32 v12, v7, s16, -v12
	v_cndmask_b32_e64 v16, 1.0, v11, s[2:3]
	v_mul_f32_e32 v6, v6, v16
	v_log_f32_e32 v6, v6
	v_fmac_f32_e32 v12, 0x3377d1cf, v7
	v_fmac_f32_e32 v12, 0x3f317217, v7
	v_cndmask_b32_e64 v7, v7, v12, s[4:5]
	v_cndmask_b32_e32 v12, 0, v9, vcc
	v_sub_f32_e32 v7, v7, v12
	v_mul_f32_e32 v12, 0x3f317217, v6
	v_fma_f32 v12, v6, s16, -v12
	v_fmac_f32_e32 v12, 0x3377d1cf, v6
	v_fmac_f32_e32 v12, 0x3f317217, v6
	v_cmp_lt_f32_e64 vcc, |v6|, s15
	s_nop 1
	v_cndmask_b32_e32 v6, v6, v12, vcc
	v_cmp_lt_f32_e32 vcc, s14, v19
	v_cndmask_b32_e64 v12, 0, v9, s[2:3]
	v_sub_f32_e32 v6, v6, v12
	v_cndmask_b32_e32 v7, v7, v19, vcc
	v_mul_f32_e32 v16, 0x4f800000, v7
	v_cmp_gt_f32_e32 vcc, s13, v7
	v_cmp_lt_f32_e64 s[2:3], s14, v18
	s_nop 0
	v_cndmask_b32_e32 v7, v7, v16, vcc
	v_sqrt_f32_e32 v16, v7
	v_cndmask_b32_e64 v6, v6, v18, s[2:3]
	v_add_u32_e32 v12, -1, v16
	v_fma_f32 v17, -v12, v16, v7
	v_cmp_ge_f32_e64 s[2:3], 0, v17
	v_add_u32_e32 v17, 1, v16
	s_nop 0
	v_cndmask_b32_e64 v12, v16, v12, s[2:3]
	v_fma_f32 v16, -v17, v16, v7
	v_cmp_lt_f32_e64 s[2:3], 0, v16
	s_nop 1
	v_cndmask_b32_e64 v12, v12, v17, s[2:3]
	v_mul_f32_e32 v17, 0x4f800000, v6
	v_cmp_gt_f32_e64 s[2:3], s13, v6
	v_mul_f32_e32 v16, 0x37800000, v12
	v_cndmask_b32_e32 v12, v12, v16, vcc
	v_cndmask_b32_e64 v6, v6, v17, s[2:3]
	v_sqrt_f32_e32 v17, v6
	v_cmp_class_f32_e32 vcc, v7, v8
	v_add_u32_e32 v18, 1, v17
	s_nop 0
	v_cndmask_b32_e32 v7, v12, v7, vcc
	v_add_u32_e32 v12, -1, v17
	v_fma_f32 v16, -v12, v17, v6
	v_cmp_ge_f32_e32 vcc, 0, v16
	v_fma_f32 v19, -v18, v17, v6
	v_mul_f32_e32 v16, 0x3fb8aa3b, v21
	v_cndmask_b32_e32 v12, v17, v12, vcc
	v_mul_f32_e32 v17, 0x3fb8aa3b, v22
	v_exp_f32_e32 v16, v16
	v_exp_f32_e32 v17, v17
	v_cmp_lt_f32_e32 vcc, 0, v19
	v_pk_add_f32 v[16:17], v[16:17], 1.0 op_sel_hi:[1,0]
	s_nop 0
	v_cndmask_b32_e32 v12, v12, v18, vcc
	v_cmp_gt_f32_e32 vcc, s17, v17
	v_mul_f32_e32 v18, 0x37800000, v12
	v_cndmask_b32_e64 v12, v12, v18, s[2:3]
	v_cndmask_b32_e32 v19, 1.0, v11, vcc
	v_mul_f32_e32 v17, v17, v19
	v_log_f32_e32 v17, v17
	v_cmp_class_f32_e64 s[2:3], v6, v8
	v_cmp_lt_f32_e64 s[4:5], |v17|, s15
	s_nop 0
	v_cndmask_b32_e64 v6, v12, v6, s[2:3]
	v_cmp_gt_f32_e64 s[2:3], s17, v16
	v_mul_f32_e32 v12, 0x3f317217, v17
	v_fma_f32 v12, v17, s16, -v12
	v_cndmask_b32_e64 v11, 1.0, v11, s[2:3]
	v_mul_f32_e32 v11, v16, v11
	v_log_f32_e32 v11, v11
	v_fmac_f32_e32 v12, 0x3377d1cf, v17
	v_fmac_f32_e32 v12, 0x3f317217, v17
	v_cndmask_b32_e64 v12, v17, v12, s[4:5]
	v_cndmask_b32_e32 v16, 0, v9, vcc
	v_sub_f32_e32 v12, v12, v16
	v_mul_f32_e32 v16, 0x3f317217, v11
	v_fma_f32 v16, v11, s16, -v16
	v_fmac_f32_e32 v16, 0x3377d1cf, v11
	v_fmac_f32_e32 v16, 0x3f317217, v11
	v_cmp_lt_f32_e64 vcc, |v11|, s15
	v_cndmask_b32_e64 v9, 0, v9, s[2:3]
	v_cmp_lt_f32_e64 s[2:3], s14, v21
	v_cndmask_b32_e32 v11, v11, v16, vcc
	v_cmp_lt_f32_e32 vcc, s14, v22
	v_sub_f32_e32 v9, v11, v9
	v_cndmask_b32_e64 v9, v9, v21, s[2:3]
	v_cndmask_b32_e32 v12, v12, v22, vcc
	v_mul_f32_e32 v16, 0x4f800000, v12
	v_cmp_gt_f32_e32 vcc, s13, v12
	s_cselect_b64 s[4:5], -1, 0
	s_cmp_lt_i32 s19, 1
	v_cndmask_b32_e32 v12, v12, v16, vcc
	v_sqrt_f32_e32 v16, v12
	s_nop 0
	v_add_u32_e32 v11, -1, v16
	v_fma_f32 v17, -v11, v16, v12
	v_cmp_ge_f32_e64 s[2:3], 0, v17
	v_add_u32_e32 v17, 1, v16
	s_nop 0
	v_cndmask_b32_e64 v11, v16, v11, s[2:3]
	v_fma_f32 v16, -v17, v16, v12
	v_cmp_lt_f32_e64 s[2:3], 0, v16
	s_nop 1
	v_cndmask_b32_e64 v11, v11, v17, s[2:3]
	v_mul_f32_e32 v17, 0x4f800000, v9
	v_cmp_gt_f32_e64 s[2:3], s13, v9
	v_mul_f32_e32 v16, 0x37800000, v11
	s_nop 0
	v_cndmask_b32_e64 v17, v9, v17, s[2:3]
	v_sqrt_f32_e32 v18, v17
	v_cndmask_b32_e32 v9, v11, v16, vcc
	v_cmp_class_f32_e32 vcc, v12, v8
	v_add_u32_e32 v11, -1, v18
	s_nop 0
	v_cndmask_b32_e32 v9, v9, v12, vcc
	v_fma_f32 v12, -v11, v18, v17
	v_cmp_ge_f32_e32 vcc, 0, v12
	v_add_u32_e32 v12, 1, v18
	v_fma_f32 v16, -v12, v18, v17
	v_cndmask_b32_e32 v11, v18, v11, vcc
	v_cmp_lt_f32_e32 vcc, 0, v16
	s_nop 1
	v_cndmask_b32_e32 v11, v11, v12, vcc
	v_mul_f32_e32 v12, 0x37800000, v11
	v_cndmask_b32_e64 v11, v11, v12, s[2:3]
	v_cmp_class_f32_e32 vcc, v17, v8
	s_nop 1
	v_cndmask_b32_e32 v8, v11, v17, vcc
	s_cbranch_scc1 .LBB406_28
; %bb.2:
	s_load_dwordx2 s[6:7], s[0:1], 0x20
	s_cmp_lt_u32 s19, 4
	s_cbranch_scc1 .LBB406_21
; %bb.3:
	s_mov_b32 s9, 0
	s_and_b32 s12, s19, 0x7ffffffc
	v_ashrrev_i32_e32 v11, 31, v10
	v_mov_b32_e32 v13, 0
	s_mov_b32 s8, s9
	s_branch .LBB406_5
.LBB406_4:                              ;   in Loop: Header=BB406_5 Depth=1
	s_or_b64 exec, exec, s[10:11]
	s_add_i32 s8, s8, 4
	s_cmp_eq_u32 s8, s12
	s_cbranch_scc1 .LBB406_21
.LBB406_5:                              ; =>This Loop Header: Depth=1
                                        ;     Child Loop BB406_7 Depth 2
                                        ;     Child Loop BB406_11 Depth 2
	;; [unrolled: 1-line block ×4, first 2 shown]
	v_lshl_add_u64 v[16:17], s[8:9], 2, v[14:15]
	global_load_dword v12, v[16:17], off
	v_add_u32_e32 v18, s8, v10
	v_ashrrev_i32_e32 v19, 31, v18
	s_waitcnt lgkmcnt(0)
	v_lshl_add_u64 v[18:19], v[18:19], 2, s[6:7]
	s_mov_b64 s[10:11], 0
	v_mov_b32_e32 v21, v20
	s_mov_b64 s[14:15], 0
	s_waitcnt vmcnt(0)
	s_branch .LBB406_7
.LBB406_6:                              ;   in Loop: Header=BB406_7 Depth=2
	s_or_b64 exec, exec, s[16:17]
	s_cmp_gt_u32 s14, 8
	s_cselect_b64 s[2:3], -1, 0
	s_xor_b64 s[16:17], vcc, -1
	s_or_b64 s[2:3], s[16:17], s[2:3]
	s_add_u32 s14, s14, 1
	s_addc_u32 s15, s15, 0
	s_and_b64 s[2:3], exec, s[2:3]
	s_or_b64 s[10:11], s[2:3], s[10:11]
	v_add_u32_e32 v21, 32, v21
	s_andn2_b64 exec, exec, s[10:11]
	s_cbranch_execz .LBB406_9
.LBB406_7:                              ;   Parent Loop BB406_5 Depth=1
                                        ; =>  This Inner Loop Header: Depth=2
	v_cmp_ne_u32_e32 vcc, v12, v21
	v_cmp_eq_u32_e64 s[2:3], v12, v21
	s_and_saveexec_b64 s[16:17], s[2:3]
	s_cbranch_execz .LBB406_6
; %bb.8:                                ;   in Loop: Header=BB406_7 Depth=2
	s_set_gpr_idx_on s14, gpr_idx(SRC0)
	v_mov_b32_e32 v22, v0
	s_set_gpr_idx_off
	v_add_f32_e32 v13, v13, v22
	global_store_dword v[18:19], v12, off
	s_branch .LBB406_6
.LBB406_9:                              ;   in Loop: Header=BB406_5 Depth=1
	s_or_b64 exec, exec, s[10:11]
	global_load_dword v12, v[16:17], off offset:4
	s_ashr_i32 s3, s8, 31
	s_mov_b32 s2, s8
	v_lshl_add_u64 v[18:19], s[2:3], 0, v[10:11]
	v_lshl_add_u64 v[18:19], v[18:19], 2, s[6:7]
	s_mov_b64 s[10:11], 0
	v_mov_b32_e32 v21, v20
	s_mov_b64 s[14:15], 0
	s_waitcnt vmcnt(0)
	s_branch .LBB406_11
.LBB406_10:                             ;   in Loop: Header=BB406_11 Depth=2
	s_or_b64 exec, exec, s[16:17]
	s_cmp_gt_u32 s14, 8
	s_cselect_b64 s[2:3], -1, 0
	s_xor_b64 s[16:17], vcc, -1
	s_or_b64 s[2:3], s[16:17], s[2:3]
	s_add_u32 s14, s14, 1
	s_addc_u32 s15, s15, 0
	s_and_b64 s[2:3], exec, s[2:3]
	s_or_b64 s[10:11], s[2:3], s[10:11]
	v_add_u32_e32 v21, 32, v21
	s_andn2_b64 exec, exec, s[10:11]
	s_cbranch_execz .LBB406_13
.LBB406_11:                             ;   Parent Loop BB406_5 Depth=1
                                        ; =>  This Inner Loop Header: Depth=2
	v_cmp_ne_u32_e32 vcc, v12, v21
	v_cmp_eq_u32_e64 s[2:3], v12, v21
	s_and_saveexec_b64 s[16:17], s[2:3]
	s_cbranch_execz .LBB406_10
; %bb.12:                               ;   in Loop: Header=BB406_11 Depth=2
	s_set_gpr_idx_on s14, gpr_idx(SRC0)
	v_mov_b32_e32 v22, v0
	s_set_gpr_idx_off
	v_add_f32_e32 v13, v13, v22
	global_store_dword v[18:19], v12, off offset:4
	s_branch .LBB406_10
.LBB406_13:                             ;   in Loop: Header=BB406_5 Depth=1
	s_or_b64 exec, exec, s[10:11]
	global_load_dword v12, v[16:17], off offset:8
	s_mov_b64 s[10:11], 0
	v_mov_b32_e32 v21, v20
	s_mov_b64 s[14:15], 0
	s_waitcnt vmcnt(0)
	s_branch .LBB406_15
.LBB406_14:                             ;   in Loop: Header=BB406_15 Depth=2
	s_or_b64 exec, exec, s[16:17]
	s_cmp_gt_u32 s14, 8
	s_cselect_b64 s[2:3], -1, 0
	s_xor_b64 s[16:17], vcc, -1
	s_or_b64 s[2:3], s[16:17], s[2:3]
	s_add_u32 s14, s14, 1
	s_addc_u32 s15, s15, 0
	s_and_b64 s[2:3], exec, s[2:3]
	s_or_b64 s[10:11], s[2:3], s[10:11]
	v_add_u32_e32 v21, 32, v21
	s_andn2_b64 exec, exec, s[10:11]
	s_cbranch_execz .LBB406_17
.LBB406_15:                             ;   Parent Loop BB406_5 Depth=1
                                        ; =>  This Inner Loop Header: Depth=2
	v_cmp_ne_u32_e32 vcc, v12, v21
	v_cmp_eq_u32_e64 s[2:3], v12, v21
	s_and_saveexec_b64 s[16:17], s[2:3]
	s_cbranch_execz .LBB406_14
; %bb.16:                               ;   in Loop: Header=BB406_15 Depth=2
	s_set_gpr_idx_on s14, gpr_idx(SRC0)
	v_mov_b32_e32 v22, v0
	s_set_gpr_idx_off
	v_add_f32_e32 v13, v13, v22
	global_store_dword v[18:19], v12, off offset:8
	s_branch .LBB406_14
.LBB406_17:                             ;   in Loop: Header=BB406_5 Depth=1
	s_or_b64 exec, exec, s[10:11]
	global_load_dword v12, v[16:17], off offset:12
	s_mov_b64 s[10:11], 0
	v_mov_b32_e32 v16, v20
	s_mov_b64 s[14:15], 0
	s_waitcnt vmcnt(0)
	s_branch .LBB406_19
.LBB406_18:                             ;   in Loop: Header=BB406_19 Depth=2
	s_or_b64 exec, exec, s[16:17]
	s_cmp_gt_u32 s14, 8
	s_cselect_b64 s[2:3], -1, 0
	s_xor_b64 s[16:17], vcc, -1
	s_or_b64 s[2:3], s[16:17], s[2:3]
	s_add_u32 s14, s14, 1
	s_addc_u32 s15, s15, 0
	s_and_b64 s[2:3], exec, s[2:3]
	s_or_b64 s[10:11], s[2:3], s[10:11]
	v_add_u32_e32 v16, 32, v16
	s_andn2_b64 exec, exec, s[10:11]
	s_cbranch_execz .LBB406_4
.LBB406_19:                             ;   Parent Loop BB406_5 Depth=1
                                        ; =>  This Inner Loop Header: Depth=2
	v_cmp_ne_u32_e32 vcc, v12, v16
	v_cmp_eq_u32_e64 s[2:3], v12, v16
	s_and_saveexec_b64 s[16:17], s[2:3]
	s_cbranch_execz .LBB406_18
; %bb.20:                               ;   in Loop: Header=BB406_19 Depth=2
	s_set_gpr_idx_on s14, gpr_idx(SRC0)
	v_mov_b32_e32 v17, v0
	s_set_gpr_idx_off
	v_add_f32_e32 v13, v13, v17
	global_store_dword v[18:19], v12, off offset:12
	s_branch .LBB406_18
.LBB406_21:
	s_and_b32 s16, s19, 3
	s_cmp_eq_u32 s16, 0
	s_mov_b32 s13, 0
	s_cbranch_scc1 .LBB406_28
; %bb.22:
	s_mov_b32 s17, s13
	s_branch .LBB406_24
.LBB406_23:                             ;   in Loop: Header=BB406_24 Depth=1
	s_or_b64 exec, exec, s[8:9]
	s_add_i32 s12, s12, 1
	s_add_i32 s17, s17, 1
	s_cmp_lg_u32 s17, s16
	s_cbranch_scc0 .LBB406_28
.LBB406_24:                             ; =>This Loop Header: Depth=1
                                        ;     Child Loop BB406_26 Depth 2
	v_lshl_add_u64 v[16:17], s[12:13], 2, v[14:15]
	global_load_dword v11, v[16:17], off
	v_add_u32_e32 v16, s12, v10
	v_ashrrev_i32_e32 v17, 31, v16
	s_waitcnt lgkmcnt(0)
	v_lshl_add_u64 v[16:17], v[16:17], 2, s[6:7]
	s_mov_b64 s[8:9], 0
	v_mov_b32_e32 v12, v20
	s_mov_b64 s[10:11], 0
	s_waitcnt vmcnt(0)
	s_branch .LBB406_26
.LBB406_25:                             ;   in Loop: Header=BB406_26 Depth=2
	s_or_b64 exec, exec, s[14:15]
	s_cmp_gt_u32 s10, 8
	s_cselect_b64 s[2:3], -1, 0
	s_xor_b64 s[14:15], vcc, -1
	s_or_b64 s[2:3], s[14:15], s[2:3]
	s_add_u32 s10, s10, 1
	s_addc_u32 s11, s11, 0
	s_and_b64 s[2:3], exec, s[2:3]
	s_or_b64 s[8:9], s[2:3], s[8:9]
	v_add_u32_e32 v12, 32, v12
	s_andn2_b64 exec, exec, s[8:9]
	s_cbranch_execz .LBB406_23
.LBB406_26:                             ;   Parent Loop BB406_24 Depth=1
                                        ; =>  This Inner Loop Header: Depth=2
	v_cmp_ne_u32_e32 vcc, v11, v12
	v_cmp_eq_u32_e64 s[2:3], v11, v12
	s_and_saveexec_b64 s[14:15], s[2:3]
	s_cbranch_execz .LBB406_25
; %bb.27:                               ;   in Loop: Header=BB406_26 Depth=2
	s_set_gpr_idx_on s10, gpr_idx(SRC0)
	v_mov_b32_e32 v18, v0
	s_set_gpr_idx_off
	v_add_f32_e32 v13, v13, v18
	global_store_dword v[16:17], v11, off
	s_branch .LBB406_25
.LBB406_28:
	s_waitcnt lgkmcnt(0)
	s_load_dword s6, s[0:1], 0x3c
	s_waitcnt lgkmcnt(0)
	s_bitcmp1_b32 s6, 0
	s_cselect_b64 s[2:3], -1, 0
	s_bitcmp0_b32 s6, 0
	s_cbranch_scc0 .LBB406_32
; %bb.29:
	s_load_dwordx2 s[6:7], s[0:1], 0x40
	s_andn2_b64 vcc, exec, s[2:3]
	s_waitcnt lgkmcnt(0)
	v_cvt_f32_f64_e32 v21, s[6:7]
	s_cbranch_vccz .LBB406_33
.LBB406_30:
	s_andn2_b64 vcc, exec, s[4:5]
	s_cbranch_vccz .LBB406_34
.LBB406_31:
	s_endpgm
.LBB406_32:
	v_mbcnt_lo_u32_b32 v11, -1, 0
	v_mbcnt_hi_u32_b32 v11, -1, v11
	v_and_b32_e32 v12, 0x60, v11
	v_add_u32_e32 v12, 32, v12
	v_xor_b32_e32 v16, 16, v11
	v_cmp_lt_i32_e32 vcc, v16, v12
	v_xor_b32_e32 v17, 8, v11
	s_nop 0
	v_cndmask_b32_e32 v16, v11, v16, vcc
	v_lshlrev_b32_e32 v16, 2, v16
	ds_bpermute_b32 v16, v16, v13
	v_cmp_lt_i32_e32 vcc, v17, v12
	s_waitcnt lgkmcnt(0)
	v_add_f32_e32 v13, v13, v16
	v_cndmask_b32_e32 v16, v11, v17, vcc
	v_lshlrev_b32_e32 v16, 2, v16
	ds_bpermute_b32 v16, v16, v13
	v_xor_b32_e32 v17, 4, v11
	v_cmp_lt_i32_e32 vcc, v17, v12
	s_waitcnt lgkmcnt(0)
	v_add_f32_e32 v13, v13, v16
	v_cndmask_b32_e32 v16, v11, v17, vcc
	v_lshlrev_b32_e32 v16, 2, v16
	ds_bpermute_b32 v16, v16, v13
	v_xor_b32_e32 v17, 2, v11
	;; [unrolled: 7-line block ×3, first 2 shown]
	v_cmp_lt_i32_e32 vcc, v17, v12
	s_waitcnt lgkmcnt(0)
	v_add_f32_e32 v13, v13, v16
	v_cndmask_b32_e32 v11, v11, v17, vcc
	v_lshlrev_b32_e32 v11, 2, v11
	ds_bpermute_b32 v11, v11, v13
	s_waitcnt lgkmcnt(0)
	v_add_f32_e32 v13, v13, v11
	s_load_dwordx2 s[6:7], s[0:1], 0x40
	s_andn2_b64 vcc, exec, s[2:3]
	s_waitcnt lgkmcnt(0)
	v_cvt_f32_f64_e32 v21, s[6:7]
	s_cbranch_vccnz .LBB406_30
.LBB406_33:
	v_cmp_lt_f32_e32 vcc, 0, v13
	s_nop 1
	v_cndmask_b32_e32 v11, 1.0, v13, vcc
	v_div_scale_f32 v12, s[2:3], v11, v11, v21
	v_rcp_f32_e32 v13, v12
	s_nop 0
	v_fma_f32 v16, -v12, v13, 1.0
	v_fmac_f32_e32 v13, v16, v13
	v_div_scale_f32 v16, vcc, v21, v11, v21
	v_mul_f32_e32 v17, v16, v13
	v_fma_f32 v18, -v12, v17, v16
	v_fmac_f32_e32 v17, v18, v13
	v_fma_f32 v12, -v12, v17, v16
	v_div_fmas_f32 v12, v12, v13, v17
	v_div_fixup_f32 v21, v12, v11, v21
	s_andn2_b64 vcc, exec, s[4:5]
	s_cbranch_vccnz .LBB406_31
.LBB406_34:
	s_load_dwordx2 s[16:17], s[0:1], 0x10
	v_or_b32_e32 v30, 32, v20
	v_or_b32_e32 v29, 64, v20
	;; [unrolled: 1-line block ×9, first 2 shown]
	s_cmp_eq_u32 s19, 1
	s_mov_b32 s18, 0
	s_cbranch_scc1 .LBB406_77
; %bb.35:
	v_ashrrev_i32_e32 v11, 31, v10
	s_waitcnt lgkmcnt(0)
	v_lshl_add_u64 v[12:13], v[10:11], 2, s[16:17]
	s_and_b32 s18, s19, 0x7ffffffe
	v_lshl_add_u64 v[12:13], v[12:13], 0, 4
	v_lshl_add_u64 v[16:17], v[14:15], 0, 4
	s_mov_b32 s33, 0
	s_branch .LBB406_37
.LBB406_36:                             ;   in Loop: Header=BB406_37 Depth=1
	s_or_b64 exec, exec, s[0:1]
	s_add_i32 s33, s33, 2
	v_lshl_add_u64 v[12:13], v[12:13], 0, 8
	s_cmp_lg_u32 s18, s33
	v_lshl_add_u64 v[16:17], v[16:17], 0, 8
	s_cbranch_scc0 .LBB406_77
.LBB406_37:                             ; =>This Inner Loop Header: Depth=1
	global_load_dword v11, v[16:17], off offset:-4
	v_mov_b64_e32 v[18:19], 0
	s_waitcnt vmcnt(0)
	v_cmp_eq_u32_e32 vcc, v11, v20
	v_cmp_ne_u32_e64 s[0:1], v11, v20
	s_and_saveexec_b64 s[20:21], s[0:1]
	s_cbranch_execz .LBB406_55
; %bb.38:                               ;   in Loop: Header=BB406_37 Depth=1
	v_cmp_eq_u32_e64 s[0:1], v11, v30
	v_cmp_ne_u32_e64 s[2:3], v11, v30
	v_mov_b64_e32 v[18:19], 1
	s_and_saveexec_b64 s[22:23], s[2:3]
	s_cbranch_execz .LBB406_54
; %bb.39:                               ;   in Loop: Header=BB406_37 Depth=1
	v_cmp_eq_u32_e64 s[2:3], v11, v29
	v_cmp_ne_u32_e64 s[4:5], v11, v29
	v_mov_b64_e32 v[18:19], 2
	;; [unrolled: 6-line block ×8, first 2 shown]
	s_and_saveexec_b64 s[40:41], s[14:15]
	s_xor_b64 s[40:41], exec, s[40:41]
; %bb.46:                               ;   in Loop: Header=BB406_37 Depth=1
	v_cmp_eq_u32_e64 s[14:15], v11, v22
	s_andn2_b64 s[38:39], s[38:39], exec
	s_and_b64 s[14:15], s[14:15], exec
	v_mov_b64_e32 v[18:19], 9
	s_or_b64 s[38:39], s[38:39], s[14:15]
; %bb.47:                               ;   in Loop: Header=BB406_37 Depth=1
	s_or_b64 exec, exec, s[40:41]
	s_andn2_b64 s[12:13], s[12:13], exec
	s_and_b64 s[14:15], s[38:39], exec
	s_or_b64 s[12:13], s[12:13], s[14:15]
.LBB406_48:                             ;   in Loop: Header=BB406_37 Depth=1
	s_or_b64 exec, exec, s[36:37]
	s_andn2_b64 s[10:11], s[10:11], exec
	s_and_b64 s[12:13], s[12:13], exec
	s_or_b64 s[10:11], s[10:11], s[12:13]
.LBB406_49:                             ;   in Loop: Header=BB406_37 Depth=1
	s_or_b64 exec, exec, s[34:35]
	s_andn2_b64 s[8:9], s[8:9], exec
	s_and_b64 s[10:11], s[10:11], exec
	s_or_b64 s[8:9], s[8:9], s[10:11]
.LBB406_50:                             ;   in Loop: Header=BB406_37 Depth=1
	s_or_b64 exec, exec, s[30:31]
	s_andn2_b64 s[6:7], s[6:7], exec
	s_and_b64 s[8:9], s[8:9], exec
	s_or_b64 s[6:7], s[6:7], s[8:9]
.LBB406_51:                             ;   in Loop: Header=BB406_37 Depth=1
	s_or_b64 exec, exec, s[28:29]
	s_andn2_b64 s[4:5], s[4:5], exec
	s_and_b64 s[6:7], s[6:7], exec
	s_or_b64 s[4:5], s[4:5], s[6:7]
.LBB406_52:                             ;   in Loop: Header=BB406_37 Depth=1
	s_or_b64 exec, exec, s[26:27]
	s_andn2_b64 s[2:3], s[2:3], exec
	s_and_b64 s[4:5], s[4:5], exec
	s_or_b64 s[2:3], s[2:3], s[4:5]
.LBB406_53:                             ;   in Loop: Header=BB406_37 Depth=1
	s_or_b64 exec, exec, s[24:25]
	s_andn2_b64 s[0:1], s[0:1], exec
	s_and_b64 s[2:3], s[2:3], exec
	s_or_b64 s[0:1], s[0:1], s[2:3]
.LBB406_54:                             ;   in Loop: Header=BB406_37 Depth=1
	s_or_b64 exec, exec, s[22:23]
	s_andn2_b64 s[2:3], vcc, exec
	s_and_b64 s[0:1], s[0:1], exec
	s_or_b64 vcc, s[2:3], s[0:1]
.LBB406_55:                             ;   in Loop: Header=BB406_37 Depth=1
	s_or_b64 exec, exec, s[20:21]
	s_and_saveexec_b64 s[0:1], vcc
	s_cbranch_execz .LBB406_57
; %bb.56:                               ;   in Loop: Header=BB406_37 Depth=1
	v_cmp_eq_u32_e32 vcc, 1, v18
	v_add_u32_e32 v32, s33, v10
	v_ashrrev_i32_e32 v33, 31, v32
	v_cndmask_b32_e32 v11, v0, v1, vcc
	v_cmp_eq_u32_e32 vcc, 2, v18
	s_nop 1
	v_cndmask_b32_e32 v11, v11, v2, vcc
	v_cmp_eq_u32_e32 vcc, 3, v18
	s_nop 1
	;; [unrolled: 3-line block ×7, first 2 shown]
	v_cndmask_b32_e32 v11, v11, v8, vcc
	v_cmp_eq_u32_e32 vcc, 9, v18
	v_lshl_add_u64 v[18:19], v[32:33], 2, s[16:17]
	s_nop 0
	v_cndmask_b32_e32 v11, v11, v9, vcc
	v_mul_f32_e32 v11, v21, v11
	global_store_dword v[18:19], v11, off
.LBB406_57:                             ;   in Loop: Header=BB406_37 Depth=1
	s_or_b64 exec, exec, s[0:1]
	global_load_dword v11, v[16:17], off
	v_mov_b64_e32 v[18:19], 0
	s_waitcnt vmcnt(0)
	v_cmp_eq_u32_e64 s[12:13], v11, v20
	v_cmp_ne_u32_e32 vcc, v11, v20
	s_and_saveexec_b64 s[14:15], vcc
	s_cbranch_execz .LBB406_75
; %bb.58:                               ;   in Loop: Header=BB406_37 Depth=1
	v_cmp_eq_u32_e32 vcc, v11, v30
	v_cmp_ne_u32_e64 s[0:1], v11, v30
	v_mov_b64_e32 v[18:19], 1
	s_and_saveexec_b64 s[20:21], s[0:1]
	s_cbranch_execz .LBB406_74
; %bb.59:                               ;   in Loop: Header=BB406_37 Depth=1
	v_cmp_eq_u32_e64 s[0:1], v11, v29
	v_cmp_ne_u32_e64 s[2:3], v11, v29
	v_mov_b64_e32 v[18:19], 2
	s_and_saveexec_b64 s[22:23], s[2:3]
	s_cbranch_execz .LBB406_73
; %bb.60:                               ;   in Loop: Header=BB406_37 Depth=1
	v_cmp_eq_u32_e64 s[2:3], v11, v28
	;; [unrolled: 6-line block ×7, first 2 shown]
	v_cmp_ne_u32_e64 s[10:11], v11, v23
	v_mov_b64_e32 v[18:19], 8
	s_and_saveexec_b64 s[40:41], s[10:11]
; %bb.66:                               ;   in Loop: Header=BB406_37 Depth=1
	v_cmp_eq_u32_e64 s[10:11], v11, v22
	s_andn2_b64 s[38:39], s[38:39], exec
	s_and_b64 s[10:11], s[10:11], exec
	v_mov_b64_e32 v[18:19], 9
	s_or_b64 s[38:39], s[38:39], s[10:11]
; %bb.67:                               ;   in Loop: Header=BB406_37 Depth=1
	s_or_b64 exec, exec, s[40:41]
	s_andn2_b64 s[10:11], s[34:35], exec
	s_and_b64 s[34:35], s[38:39], exec
	s_or_b64 s[34:35], s[10:11], s[34:35]
.LBB406_68:                             ;   in Loop: Header=BB406_37 Depth=1
	s_or_b64 exec, exec, s[36:37]
	s_andn2_b64 s[8:9], s[8:9], exec
	s_and_b64 s[10:11], s[34:35], exec
	s_or_b64 s[8:9], s[8:9], s[10:11]
.LBB406_69:                             ;   in Loop: Header=BB406_37 Depth=1
	s_or_b64 exec, exec, s[30:31]
	s_andn2_b64 s[6:7], s[6:7], exec
	s_and_b64 s[8:9], s[8:9], exec
	s_or_b64 s[6:7], s[6:7], s[8:9]
.LBB406_70:                             ;   in Loop: Header=BB406_37 Depth=1
	s_or_b64 exec, exec, s[28:29]
	s_andn2_b64 s[4:5], s[4:5], exec
	s_and_b64 s[6:7], s[6:7], exec
	s_or_b64 s[4:5], s[4:5], s[6:7]
.LBB406_71:                             ;   in Loop: Header=BB406_37 Depth=1
	s_or_b64 exec, exec, s[26:27]
	s_andn2_b64 s[2:3], s[2:3], exec
	s_and_b64 s[4:5], s[4:5], exec
	s_or_b64 s[2:3], s[2:3], s[4:5]
.LBB406_72:                             ;   in Loop: Header=BB406_37 Depth=1
	s_or_b64 exec, exec, s[24:25]
	s_andn2_b64 s[0:1], s[0:1], exec
	s_and_b64 s[2:3], s[2:3], exec
	s_or_b64 s[0:1], s[0:1], s[2:3]
.LBB406_73:                             ;   in Loop: Header=BB406_37 Depth=1
	s_or_b64 exec, exec, s[22:23]
	s_andn2_b64 s[2:3], vcc, exec
	s_and_b64 s[0:1], s[0:1], exec
	s_or_b64 vcc, s[2:3], s[0:1]
.LBB406_74:                             ;   in Loop: Header=BB406_37 Depth=1
	s_or_b64 exec, exec, s[20:21]
	s_andn2_b64 s[0:1], s[12:13], exec
	s_and_b64 s[2:3], vcc, exec
	s_or_b64 s[12:13], s[0:1], s[2:3]
.LBB406_75:                             ;   in Loop: Header=BB406_37 Depth=1
	s_or_b64 exec, exec, s[14:15]
	s_and_saveexec_b64 s[0:1], s[12:13]
	s_cbranch_execz .LBB406_36
; %bb.76:                               ;   in Loop: Header=BB406_37 Depth=1
	v_cmp_eq_u32_e32 vcc, 1, v18
	s_nop 1
	v_cndmask_b32_e32 v11, v0, v1, vcc
	v_cmp_eq_u32_e32 vcc, 2, v18
	s_nop 1
	v_cndmask_b32_e32 v11, v11, v2, vcc
	;; [unrolled: 3-line block ×9, first 2 shown]
	v_mul_f32_e32 v11, v21, v11
	global_store_dword v[12:13], v11, off
	s_branch .LBB406_36
.LBB406_77:
	s_bitcmp0_b32 s19, 0
	s_mov_b32 s19, 0
	s_cbranch_scc1 .LBB406_31
; %bb.78:
	v_lshl_add_u64 v[12:13], s[18:19], 2, v[14:15]
	global_load_dword v11, v[12:13], off
	v_mov_b64_e32 v[12:13], 0
	s_waitcnt vmcnt(0)
	v_cmp_eq_u32_e64 s[12:13], v11, v20
	v_cmp_ne_u32_e32 vcc, v11, v20
	s_and_saveexec_b64 s[14:15], vcc
	s_cbranch_execz .LBB406_96
; %bb.79:
	v_cmp_eq_u32_e32 vcc, v11, v30
	v_cmp_ne_u32_e64 s[0:1], v11, v30
	v_mov_b64_e32 v[12:13], 1
	s_and_saveexec_b64 s[20:21], s[0:1]
	s_cbranch_execz .LBB406_95
; %bb.80:
	v_cmp_eq_u32_e64 s[0:1], v11, v29
	v_cmp_ne_u32_e64 s[2:3], v11, v29
	v_mov_b64_e32 v[12:13], 2
	s_and_saveexec_b64 s[22:23], s[2:3]
	s_cbranch_execz .LBB406_94
; %bb.81:
	v_cmp_eq_u32_e64 s[2:3], v11, v28
	;; [unrolled: 6-line block ×7, first 2 shown]
	v_cmp_ne_u32_e64 s[10:11], v11, v23
	v_mov_b64_e32 v[12:13], 8
	s_and_saveexec_b64 s[40:41], s[10:11]
; %bb.87:
	v_cmp_eq_u32_e64 s[10:11], v11, v22
	s_andn2_b64 s[38:39], s[38:39], exec
	s_and_b64 s[10:11], s[10:11], exec
	v_mov_b64_e32 v[12:13], 9
	s_or_b64 s[38:39], s[38:39], s[10:11]
; %bb.88:
	s_or_b64 exec, exec, s[40:41]
	s_andn2_b64 s[10:11], s[34:35], exec
	s_and_b64 s[34:35], s[38:39], exec
	s_or_b64 s[34:35], s[10:11], s[34:35]
.LBB406_89:
	s_or_b64 exec, exec, s[36:37]
	s_andn2_b64 s[8:9], s[8:9], exec
	s_and_b64 s[10:11], s[34:35], exec
	s_or_b64 s[8:9], s[8:9], s[10:11]
.LBB406_90:
	s_or_b64 exec, exec, s[30:31]
	s_andn2_b64 s[6:7], s[6:7], exec
	s_and_b64 s[8:9], s[8:9], exec
	s_or_b64 s[6:7], s[6:7], s[8:9]
.LBB406_91:
	s_or_b64 exec, exec, s[28:29]
	s_andn2_b64 s[4:5], s[4:5], exec
	s_and_b64 s[6:7], s[6:7], exec
	s_or_b64 s[4:5], s[4:5], s[6:7]
.LBB406_92:
	s_or_b64 exec, exec, s[26:27]
	s_andn2_b64 s[2:3], s[2:3], exec
	s_and_b64 s[4:5], s[4:5], exec
	s_or_b64 s[2:3], s[2:3], s[4:5]
.LBB406_93:
	s_or_b64 exec, exec, s[24:25]
	s_andn2_b64 s[0:1], s[0:1], exec
	s_and_b64 s[2:3], s[2:3], exec
	s_or_b64 s[0:1], s[0:1], s[2:3]
.LBB406_94:
	s_or_b64 exec, exec, s[22:23]
	s_andn2_b64 s[2:3], vcc, exec
	s_and_b64 s[0:1], s[0:1], exec
	s_or_b64 vcc, s[2:3], s[0:1]
.LBB406_95:
	s_or_b64 exec, exec, s[20:21]
	s_andn2_b64 s[0:1], s[12:13], exec
	s_and_b64 s[2:3], vcc, exec
	s_or_b64 s[12:13], s[0:1], s[2:3]
.LBB406_96:
	s_or_b64 exec, exec, s[14:15]
	s_and_b64 exec, exec, s[12:13]
	s_cbranch_execz .LBB406_31
; %bb.97:
	v_cmp_eq_u32_e32 vcc, 1, v12
	v_add_u32_e32 v10, s18, v10
	v_ashrrev_i32_e32 v11, 31, v10
	v_cndmask_b32_e32 v0, v0, v1, vcc
	v_cmp_eq_u32_e32 vcc, 2, v12
	s_nop 1
	v_cndmask_b32_e32 v0, v0, v2, vcc
	v_cmp_eq_u32_e32 vcc, 3, v12
	s_nop 1
	;; [unrolled: 3-line block ×8, first 2 shown]
	v_cndmask_b32_e32 v0, v0, v9, vcc
	v_mul_f32_e32 v2, v21, v0
	s_waitcnt lgkmcnt(0)
	v_lshl_add_u64 v[0:1], v[10:11], 2, s[16:17]
	global_store_dword v[0:1], v2, off
	s_endpgm
	.section	.rodata,"a",@progbits
	.p2align	6, 0x0
	.amdhsa_kernel _ZN4vllm3moe22topkGatingSoftplusSqrtILi10ELi320ELi4ELi2ELi32ELb1Ei14__hip_bfloat16EEvPKT6_PKbPfiPT5_PiiiibdPKfPKS9_SF_
		.amdhsa_group_segment_fixed_size 0
		.amdhsa_private_segment_fixed_size 0
		.amdhsa_kernarg_size 96
		.amdhsa_user_sgpr_count 2
		.amdhsa_user_sgpr_dispatch_ptr 0
		.amdhsa_user_sgpr_queue_ptr 0
		.amdhsa_user_sgpr_kernarg_segment_ptr 1
		.amdhsa_user_sgpr_dispatch_id 0
		.amdhsa_user_sgpr_kernarg_preload_length 0
		.amdhsa_user_sgpr_kernarg_preload_offset 0
		.amdhsa_user_sgpr_private_segment_size 0
		.amdhsa_uses_dynamic_stack 0
		.amdhsa_enable_private_segment 0
		.amdhsa_system_sgpr_workgroup_id_x 1
		.amdhsa_system_sgpr_workgroup_id_y 0
		.amdhsa_system_sgpr_workgroup_id_z 0
		.amdhsa_system_sgpr_workgroup_info 0
		.amdhsa_system_vgpr_workitem_id 1
		.amdhsa_next_free_vgpr 34
		.amdhsa_next_free_sgpr 42
		.amdhsa_accum_offset 36
		.amdhsa_reserve_vcc 1
		.amdhsa_float_round_mode_32 0
		.amdhsa_float_round_mode_16_64 0
		.amdhsa_float_denorm_mode_32 3
		.amdhsa_float_denorm_mode_16_64 3
		.amdhsa_dx10_clamp 1
		.amdhsa_ieee_mode 1
		.amdhsa_fp16_overflow 0
		.amdhsa_tg_split 0
		.amdhsa_exception_fp_ieee_invalid_op 0
		.amdhsa_exception_fp_denorm_src 0
		.amdhsa_exception_fp_ieee_div_zero 0
		.amdhsa_exception_fp_ieee_overflow 0
		.amdhsa_exception_fp_ieee_underflow 0
		.amdhsa_exception_fp_ieee_inexact 0
		.amdhsa_exception_int_div_zero 0
	.end_amdhsa_kernel
	.section	.text._ZN4vllm3moe22topkGatingSoftplusSqrtILi10ELi320ELi4ELi2ELi32ELb1Ei14__hip_bfloat16EEvPKT6_PKbPfiPT5_PiiiibdPKfPKS9_SF_,"axG",@progbits,_ZN4vllm3moe22topkGatingSoftplusSqrtILi10ELi320ELi4ELi2ELi32ELb1Ei14__hip_bfloat16EEvPKT6_PKbPfiPT5_PiiiibdPKfPKS9_SF_,comdat
.Lfunc_end406:
	.size	_ZN4vllm3moe22topkGatingSoftplusSqrtILi10ELi320ELi4ELi2ELi32ELb1Ei14__hip_bfloat16EEvPKT6_PKbPfiPT5_PiiiibdPKfPKS9_SF_, .Lfunc_end406-_ZN4vllm3moe22topkGatingSoftplusSqrtILi10ELi320ELi4ELi2ELi32ELb1Ei14__hip_bfloat16EEvPKT6_PKbPfiPT5_PiiiibdPKfPKS9_SF_
                                        ; -- End function
	.section	.AMDGPU.csdata,"",@progbits
; Kernel info:
; codeLenInByte = 5596
; NumSgprs: 48
; NumVgprs: 34
; NumAgprs: 0
; TotalNumVgprs: 34
; ScratchSize: 0
; MemoryBound: 0
; FloatMode: 240
; IeeeMode: 1
; LDSByteSize: 0 bytes/workgroup (compile time only)
; SGPRBlocks: 5
; VGPRBlocks: 4
; NumSGPRsForWavesPerEU: 48
; NumVGPRsForWavesPerEU: 34
; AccumOffset: 36
; Occupancy: 8
; WaveLimiterHint : 1
; COMPUTE_PGM_RSRC2:SCRATCH_EN: 0
; COMPUTE_PGM_RSRC2:USER_SGPR: 2
; COMPUTE_PGM_RSRC2:TRAP_HANDLER: 0
; COMPUTE_PGM_RSRC2:TGID_X_EN: 1
; COMPUTE_PGM_RSRC2:TGID_Y_EN: 0
; COMPUTE_PGM_RSRC2:TGID_Z_EN: 0
; COMPUTE_PGM_RSRC2:TIDIG_COMP_CNT: 1
; COMPUTE_PGM_RSRC3_GFX90A:ACCUM_OFFSET: 8
; COMPUTE_PGM_RSRC3_GFX90A:TG_SPLIT: 0
	.section	.text._ZN4vllm3moe22topkGatingSoftplusSqrtILi10ELi320ELi4ELi2ELi32ELb0Ei14__hip_bfloat16EEvPKT6_PKbPfiPT5_PiiiibdPKfPKS9_SF_,"axG",@progbits,_ZN4vllm3moe22topkGatingSoftplusSqrtILi10ELi320ELi4ELi2ELi32ELb0Ei14__hip_bfloat16EEvPKT6_PKbPfiPT5_PiiiibdPKfPKS9_SF_,comdat
	.protected	_ZN4vllm3moe22topkGatingSoftplusSqrtILi10ELi320ELi4ELi2ELi32ELb0Ei14__hip_bfloat16EEvPKT6_PKbPfiPT5_PiiiibdPKfPKS9_SF_ ; -- Begin function _ZN4vllm3moe22topkGatingSoftplusSqrtILi10ELi320ELi4ELi2ELi32ELb0Ei14__hip_bfloat16EEvPKT6_PKbPfiPT5_PiiiibdPKfPKS9_SF_
	.globl	_ZN4vllm3moe22topkGatingSoftplusSqrtILi10ELi320ELi4ELi2ELi32ELb0Ei14__hip_bfloat16EEvPKT6_PKbPfiPT5_PiiiibdPKfPKS9_SF_
	.p2align	8
	.type	_ZN4vllm3moe22topkGatingSoftplusSqrtILi10ELi320ELi4ELi2ELi32ELb0Ei14__hip_bfloat16EEvPKT6_PKbPfiPT5_PiiiibdPKfPKS9_SF_,@function
_ZN4vllm3moe22topkGatingSoftplusSqrtILi10ELi320ELi4ELi2ELi32ELb0Ei14__hip_bfloat16EEvPKT6_PKbPfiPT5_PiiiibdPKfPKS9_SF_: ; @_ZN4vllm3moe22topkGatingSoftplusSqrtILi10ELi320ELi4ELi2ELi32ELb0Ei14__hip_bfloat16EEvPKT6_PKbPfiPT5_PiiiibdPKfPKS9_SF_
; %bb.0:
	s_load_dword s30, s[0:1], 0x18
	v_and_b32_e32 v1, 0x3ff, v0
	s_lshl_b32 s2, s2, 2
	v_lshrrev_b32_e32 v2, 5, v1
	v_bfe_u32 v0, v0, 10, 10
	v_add3_u32 v10, s2, v0, v2
	s_waitcnt lgkmcnt(0)
	v_cmp_gt_i32_e32 vcc, s30, v10
	s_and_saveexec_b64 s[2:3], vcc
	s_cbranch_execz .LBB407_65
; %bb.1:
	s_load_dwordx4 s[4:7], s[0:1], 0x0
	s_load_dwordx2 s[20:21], s[0:1], 0x10
	s_waitcnt lgkmcnt(0)
	s_cmp_eq_u64 s[6:7], 0
	s_cbranch_scc1 .LBB407_3
; %bb.2:
	v_ashrrev_i32_e32 v11, 31, v10
	v_lshl_add_u64 v[2:3], s[6:7], 0, v[10:11]
	global_load_ubyte v0, v[2:3], off
	s_waitcnt vmcnt(0)
	v_and_b32_e32 v0, 1, v0
	v_cmp_eq_u32_e32 vcc, 1, v0
	s_xor_b64 s[2:3], vcc, -1
	s_orn2_b64 s[22:23], s[2:3], exec
	s_branch .LBB407_4
.LBB407_3:
	s_mov_b64 s[22:23], -1
.LBB407_4:
	s_movk_i32 s2, 0x140
	v_mul_lo_u32 v4, v10, s2
	v_mov_b32_e32 v2, s4
	v_mov_b32_e32 v3, s5
	v_ashrrev_i32_e32 v5, 31, v4
	v_and_b32_e32 v12, 31, v1
	v_lshl_add_u64 v[2:3], v[4:5], 1, v[2:3]
	v_mov_b32_e32 v1, 0
	v_lshlrev_b32_e32 v0, 1, v12
	v_lshl_add_u64 v[14:15], v[2:3], 0, v[0:1]
	global_load_ushort v0, v[14:15], off
	global_load_ushort v1, v[14:15], off offset:64
	global_load_ushort v2, v[14:15], off offset:128
	;; [unrolled: 1-line block ×9, first 2 shown]
	s_mov_b32 s16, 0x800000
	v_mov_b32_e32 v14, 0x4f800000
	s_mov_b32 s13, 0x3f317217
	s_mov_b32 s14, 0x7f800000
	v_mov_b32_e32 v15, 0x41b17218
	s_mov_b32 s12, 0x41a00000
	s_mov_b32 s15, 0xf800000
	s_load_dwordx4 s[8:11], s[0:1], 0x40
	s_waitcnt lgkmcnt(0)
	s_cmp_lg_u64 s[10:11], 0
	s_cselect_b64 s[6:7], -1, 0
	s_and_b64 s[2:3], exec, s[6:7]
	s_waitcnt vmcnt(9)
	v_lshlrev_b32_e32 v0, 16, v0
	v_mul_f32_e32 v11, 0x3fb8aa3b, v0
	v_exp_f32_e32 v11, v11
	s_nop 0
	v_add_f32_e32 v11, 1.0, v11
	v_cmp_gt_f32_e32 vcc, s16, v11
	s_nop 1
	v_cndmask_b32_e32 v13, 1.0, v14, vcc
	v_mul_f32_e32 v11, v11, v13
	v_log_f32_e32 v16, v11
	v_cndmask_b32_e32 v17, 0, v15, vcc
	v_mov_b32_e32 v13, 0x260
	v_lshlrev_b32_e32 v11, 2, v12
	v_mul_f32_e32 v18, 0x3f317217, v16
	v_fma_f32 v18, v16, s13, -v18
	v_fmac_f32_e32 v18, 0x3377d1cf, v16
	v_fmac_f32_e32 v18, 0x3f317217, v16
	v_cmp_lt_f32_e64 vcc, |v16|, s14
	s_nop 1
	v_cndmask_b32_e32 v16, v16, v18, vcc
	v_sub_f32_e32 v16, v16, v17
	v_cmp_lt_f32_e32 vcc, s12, v0
	s_nop 1
	v_cndmask_b32_e32 v0, v16, v0, vcc
	v_mul_f32_e32 v16, 0x4f800000, v0
	v_cmp_gt_f32_e32 vcc, s15, v0
	s_nop 1
	v_cndmask_b32_e32 v0, v0, v16, vcc
	v_sqrt_f32_e32 v16, v0
	s_nop 0
	v_add_u32_e32 v17, -1, v16
	v_add_u32_e32 v18, 1, v16
	v_fma_f32 v19, -v17, v16, v0
	v_fma_f32 v20, -v18, v16, v0
	v_cmp_ge_f32_e64 s[4:5], 0, v19
	s_nop 1
	v_cndmask_b32_e64 v16, v16, v17, s[4:5]
	v_cmp_lt_f32_e64 s[4:5], 0, v20
	s_nop 1
	v_cndmask_b32_e64 v16, v16, v18, s[4:5]
	v_mul_f32_e32 v17, 0x37800000, v16
	v_cndmask_b32_e32 v16, v16, v17, vcc
	v_cmp_class_f32_e32 vcc, v0, v13
	s_nop 1
	v_cndmask_b32_e32 v0, v16, v0, vcc
	s_mov_b64 vcc, s[2:3]
	s_cbranch_vccz .LBB407_6
; %bb.5:
	global_load_dword v16, v11, s[10:11]
	s_waitcnt vmcnt(0)
	v_add_f32_e32 v0, v0, v16
.LBB407_6:
	s_waitcnt vmcnt(8)
	v_lshlrev_b32_e32 v1, 16, v1
	v_mul_f32_e32 v16, 0x3fb8aa3b, v1
	v_exp_f32_e32 v16, v16
	s_nop 0
	v_add_f32_e32 v16, 1.0, v16
	v_cmp_gt_f32_e32 vcc, s16, v16
	s_nop 1
	v_cndmask_b32_e32 v14, 1.0, v14, vcc
	v_mul_f32_e32 v14, v16, v14
	v_log_f32_e32 v14, v14
	v_cndmask_b32_e32 v15, 0, v15, vcc
	v_mul_f32_e32 v16, 0x3f317217, v14
	v_fma_f32 v16, v14, s13, -v16
	v_fmac_f32_e32 v16, 0x3377d1cf, v14
	v_fmac_f32_e32 v16, 0x3f317217, v14
	v_cmp_lt_f32_e64 vcc, |v14|, s14
	s_nop 1
	v_cndmask_b32_e32 v14, v14, v16, vcc
	v_sub_f32_e32 v14, v14, v15
	v_cmp_lt_f32_e32 vcc, s12, v1
	s_nop 1
	v_cndmask_b32_e32 v1, v14, v1, vcc
	v_mul_f32_e32 v14, 0x4f800000, v1
	v_cmp_gt_f32_e32 vcc, s15, v1
	s_nop 1
	v_cndmask_b32_e32 v1, v1, v14, vcc
	v_sqrt_f32_e32 v14, v1
	v_cmp_class_f32_e64 s[4:5], v1, v13
	v_add_u32_e32 v15, -1, v14
	v_add_u32_e32 v16, 1, v14
	v_fma_f32 v17, -v15, v14, v1
	v_fma_f32 v18, -v16, v14, v1
	v_cmp_ge_f32_e64 s[2:3], 0, v17
	s_nop 1
	v_cndmask_b32_e64 v14, v14, v15, s[2:3]
	v_cmp_lt_f32_e64 s[2:3], 0, v18
	s_nop 1
	v_cndmask_b32_e64 v14, v14, v16, s[2:3]
	v_mul_f32_e32 v15, 0x37800000, v14
	v_cndmask_b32_e32 v14, v14, v15, vcc
	v_cndmask_b32_e64 v15, 0, 1, s[6:7]
	v_cmp_ne_u32_e64 s[2:3], 1, v15
	s_andn2_b64 vcc, exec, s[6:7]
	v_cndmask_b32_e64 v1, v14, v1, s[4:5]
	s_cbranch_vccnz .LBB407_8
; %bb.7:
	global_load_dword v13, v11, s[10:11] offset:128
	s_waitcnt vmcnt(0)
	v_add_f32_e32 v1, v1, v13
.LBB407_8:
	s_waitcnt vmcnt(7)
	v_lshlrev_b32_e32 v2, 16, v2
	v_mul_f32_e32 v13, 0x3fb8aa3b, v2
	v_exp_f32_e32 v13, v13
	s_mov_b32 s14, 0x800000
	v_mov_b32_e32 v14, 0x4f800000
	s_mov_b32 s7, 0x3f317217
	v_add_f32_e32 v13, 1.0, v13
	v_cmp_gt_f32_e32 vcc, s14, v13
	s_mov_b32 s12, 0x7f800000
	s_mov_b32 s6, 0x41a00000
	v_cndmask_b32_e32 v15, 1.0, v14, vcc
	v_mul_f32_e32 v13, v13, v15
	v_log_f32_e32 v13, v13
	s_mov_b32 s13, 0xf800000
	v_mul_f32_e32 v15, 0x3f317217, v13
	v_fma_f32 v15, v13, s7, -v15
	v_fmac_f32_e32 v15, 0x3377d1cf, v13
	v_fmac_f32_e32 v15, 0x3f317217, v13
	v_cmp_lt_f32_e64 s[4:5], |v13|, s12
	s_nop 1
	v_cndmask_b32_e64 v13, v13, v15, s[4:5]
	v_mov_b32_e32 v15, 0x41b17218
	v_cndmask_b32_e32 v16, 0, v15, vcc
	v_sub_f32_e32 v13, v13, v16
	v_cmp_lt_f32_e32 vcc, s6, v2
	s_nop 1
	v_cndmask_b32_e32 v2, v13, v2, vcc
	v_mul_f32_e32 v13, 0x4f800000, v2
	v_cmp_gt_f32_e32 vcc, s13, v2
	s_nop 1
	v_cndmask_b32_e32 v2, v2, v13, vcc
	v_sqrt_f32_e32 v13, v2
	s_nop 0
	v_add_u32_e32 v16, -1, v13
	v_fma_f32 v17, -v16, v13, v2
	v_cmp_ge_f32_e64 s[4:5], 0, v17
	v_add_u32_e32 v17, 1, v13
	s_nop 0
	v_cndmask_b32_e64 v16, v13, v16, s[4:5]
	v_fma_f32 v13, -v17, v13, v2
	v_cmp_lt_f32_e64 s[4:5], 0, v13
	s_nop 1
	v_cndmask_b32_e64 v13, v16, v17, s[4:5]
	v_mul_f32_e32 v16, 0x37800000, v13
	v_cndmask_b32_e32 v16, v13, v16, vcc
	v_mov_b32_e32 v13, 0x260
	v_cmp_class_f32_e64 s[4:5], v2, v13
	s_and_b64 vcc, exec, s[2:3]
	s_nop 0
	v_cndmask_b32_e64 v2, v16, v2, s[4:5]
	s_cbranch_vccnz .LBB407_10
; %bb.9:
	global_load_dword v16, v11, s[10:11] offset:256
	s_waitcnt vmcnt(0)
	v_add_f32_e32 v2, v2, v16
.LBB407_10:
	s_waitcnt vmcnt(6)
	v_lshlrev_b32_e32 v3, 16, v3
	v_mul_f32_e32 v16, 0x3fb8aa3b, v3
	v_exp_f32_e32 v16, v16
	s_nop 0
	v_add_f32_e32 v16, 1.0, v16
	v_cmp_gt_f32_e32 vcc, s14, v16
	s_nop 1
	v_cndmask_b32_e32 v14, 1.0, v14, vcc
	v_mul_f32_e32 v14, v16, v14
	v_log_f32_e32 v14, v14
	v_cndmask_b32_e32 v15, 0, v15, vcc
	v_mul_f32_e32 v16, 0x3f317217, v14
	v_fma_f32 v16, v14, s7, -v16
	v_fmac_f32_e32 v16, 0x3377d1cf, v14
	v_fmac_f32_e32 v16, 0x3f317217, v14
	v_cmp_lt_f32_e64 vcc, |v14|, s12
	s_nop 1
	v_cndmask_b32_e32 v14, v14, v16, vcc
	v_sub_f32_e32 v14, v14, v15
	v_cmp_lt_f32_e32 vcc, s6, v3
	s_nop 1
	v_cndmask_b32_e32 v3, v14, v3, vcc
	v_mul_f32_e32 v14, 0x4f800000, v3
	v_cmp_gt_f32_e32 vcc, s13, v3
	s_nop 1
	v_cndmask_b32_e32 v3, v3, v14, vcc
	v_sqrt_f32_e32 v14, v3
	s_nop 0
	v_add_u32_e32 v15, -1, v14
	v_add_u32_e32 v16, 1, v14
	v_fma_f32 v17, -v15, v14, v3
	v_fma_f32 v18, -v16, v14, v3
	v_cmp_ge_f32_e64 s[4:5], 0, v17
	s_nop 1
	v_cndmask_b32_e64 v14, v14, v15, s[4:5]
	v_cmp_lt_f32_e64 s[4:5], 0, v18
	s_nop 1
	v_cndmask_b32_e64 v14, v14, v16, s[4:5]
	v_mul_f32_e32 v15, 0x37800000, v14
	v_cndmask_b32_e32 v14, v14, v15, vcc
	v_cmp_class_f32_e64 s[4:5], v3, v13
	s_and_b64 vcc, exec, s[2:3]
	s_nop 0
	v_cndmask_b32_e64 v3, v14, v3, s[4:5]
	s_cbranch_vccnz .LBB407_12
; %bb.11:
	global_load_dword v13, v11, s[10:11] offset:384
	s_waitcnt vmcnt(0)
	v_add_f32_e32 v3, v3, v13
.LBB407_12:
	s_waitcnt vmcnt(5)
	v_lshlrev_b32_e32 v4, 16, v4
	v_mul_f32_e32 v13, 0x3fb8aa3b, v4
	v_exp_f32_e32 v13, v13
	v_mov_b32_e32 v14, 0x4f800000
	v_add_f32_e32 v13, 1.0, v13
	v_cmp_gt_f32_e32 vcc, s14, v13
	s_nop 1
	v_cndmask_b32_e32 v15, 1.0, v14, vcc
	v_mul_f32_e32 v13, v13, v15
	v_log_f32_e32 v13, v13
	s_nop 0
	v_mul_f32_e32 v15, 0x3f317217, v13
	v_fma_f32 v15, v13, s7, -v15
	v_fmac_f32_e32 v15, 0x3377d1cf, v13
	v_fmac_f32_e32 v15, 0x3f317217, v13
	v_cmp_lt_f32_e64 s[4:5], |v13|, s12
	s_nop 1
	v_cndmask_b32_e64 v13, v13, v15, s[4:5]
	v_mov_b32_e32 v15, 0x41b17218
	v_cndmask_b32_e32 v16, 0, v15, vcc
	v_sub_f32_e32 v13, v13, v16
	v_cmp_lt_f32_e32 vcc, s6, v4
	s_nop 1
	v_cndmask_b32_e32 v4, v13, v4, vcc
	v_mul_f32_e32 v13, 0x4f800000, v4
	v_cmp_gt_f32_e32 vcc, s13, v4
	s_nop 1
	v_cndmask_b32_e32 v4, v4, v13, vcc
	v_sqrt_f32_e32 v13, v4
	s_nop 0
	v_add_u32_e32 v16, -1, v13
	v_fma_f32 v17, -v16, v13, v4
	v_cmp_ge_f32_e64 s[4:5], 0, v17
	v_add_u32_e32 v17, 1, v13
	s_nop 0
	v_cndmask_b32_e64 v16, v13, v16, s[4:5]
	v_fma_f32 v13, -v17, v13, v4
	v_cmp_lt_f32_e64 s[4:5], 0, v13
	s_nop 1
	v_cndmask_b32_e64 v13, v16, v17, s[4:5]
	v_mul_f32_e32 v16, 0x37800000, v13
	v_cndmask_b32_e32 v16, v13, v16, vcc
	v_mov_b32_e32 v13, 0x260
	v_cmp_class_f32_e64 s[4:5], v4, v13
	s_and_b64 vcc, exec, s[2:3]
	s_nop 0
	v_cndmask_b32_e64 v4, v16, v4, s[4:5]
	s_cbranch_vccnz .LBB407_14
; %bb.13:
	global_load_dword v16, v11, s[10:11] offset:512
	s_waitcnt vmcnt(0)
	v_add_f32_e32 v4, v4, v16
.LBB407_14:
	s_waitcnt vmcnt(4)
	v_lshlrev_b32_e32 v5, 16, v5
	v_mul_f32_e32 v16, 0x3fb8aa3b, v5
	v_exp_f32_e32 v16, v16
	s_nop 0
	v_add_f32_e32 v16, 1.0, v16
	v_cmp_gt_f32_e32 vcc, s14, v16
	s_nop 1
	v_cndmask_b32_e32 v14, 1.0, v14, vcc
	v_mul_f32_e32 v14, v16, v14
	v_log_f32_e32 v14, v14
	v_cndmask_b32_e32 v15, 0, v15, vcc
	v_mul_f32_e32 v16, 0x3f317217, v14
	v_fma_f32 v16, v14, s7, -v16
	v_fmac_f32_e32 v16, 0x3377d1cf, v14
	v_fmac_f32_e32 v16, 0x3f317217, v14
	v_cmp_lt_f32_e64 vcc, |v14|, s12
	s_nop 1
	v_cndmask_b32_e32 v14, v14, v16, vcc
	v_sub_f32_e32 v14, v14, v15
	v_cmp_lt_f32_e32 vcc, s6, v5
	s_nop 1
	v_cndmask_b32_e32 v5, v14, v5, vcc
	v_mul_f32_e32 v14, 0x4f800000, v5
	v_cmp_gt_f32_e32 vcc, s13, v5
	s_nop 1
	v_cndmask_b32_e32 v5, v5, v14, vcc
	v_sqrt_f32_e32 v14, v5
	s_nop 0
	v_add_u32_e32 v15, -1, v14
	v_add_u32_e32 v16, 1, v14
	v_fma_f32 v17, -v15, v14, v5
	v_fma_f32 v18, -v16, v14, v5
	v_cmp_ge_f32_e64 s[4:5], 0, v17
	s_nop 1
	v_cndmask_b32_e64 v14, v14, v15, s[4:5]
	v_cmp_lt_f32_e64 s[4:5], 0, v18
	s_nop 1
	v_cndmask_b32_e64 v14, v14, v16, s[4:5]
	v_mul_f32_e32 v15, 0x37800000, v14
	v_cndmask_b32_e32 v14, v14, v15, vcc
	v_cmp_class_f32_e64 s[4:5], v5, v13
	s_and_b64 vcc, exec, s[2:3]
	s_nop 0
	v_cndmask_b32_e64 v5, v14, v5, s[4:5]
	s_cbranch_vccnz .LBB407_16
; %bb.15:
	global_load_dword v13, v11, s[10:11] offset:640
	s_waitcnt vmcnt(0)
	v_add_f32_e32 v5, v5, v13
.LBB407_16:
	s_waitcnt vmcnt(3)
	v_lshlrev_b32_e32 v6, 16, v6
	v_mul_f32_e32 v13, 0x3fb8aa3b, v6
	v_exp_f32_e32 v13, v13
	v_mov_b32_e32 v14, 0x4f800000
	v_add_f32_e32 v13, 1.0, v13
	v_cmp_gt_f32_e32 vcc, s14, v13
	s_nop 1
	v_cndmask_b32_e32 v15, 1.0, v14, vcc
	v_mul_f32_e32 v13, v13, v15
	v_log_f32_e32 v13, v13
	s_nop 0
	v_mul_f32_e32 v15, 0x3f317217, v13
	v_fma_f32 v15, v13, s7, -v15
	v_fmac_f32_e32 v15, 0x3377d1cf, v13
	v_fmac_f32_e32 v15, 0x3f317217, v13
	v_cmp_lt_f32_e64 s[4:5], |v13|, s12
	s_nop 1
	v_cndmask_b32_e64 v13, v13, v15, s[4:5]
	v_mov_b32_e32 v15, 0x41b17218
	v_cndmask_b32_e32 v16, 0, v15, vcc
	v_sub_f32_e32 v13, v13, v16
	v_cmp_lt_f32_e32 vcc, s6, v6
	s_nop 1
	v_cndmask_b32_e32 v6, v13, v6, vcc
	v_mul_f32_e32 v13, 0x4f800000, v6
	v_cmp_gt_f32_e32 vcc, s13, v6
	s_nop 1
	v_cndmask_b32_e32 v6, v6, v13, vcc
	v_sqrt_f32_e32 v13, v6
	s_nop 0
	v_add_u32_e32 v16, -1, v13
	v_fma_f32 v17, -v16, v13, v6
	v_cmp_ge_f32_e64 s[4:5], 0, v17
	v_add_u32_e32 v17, 1, v13
	s_nop 0
	v_cndmask_b32_e64 v16, v13, v16, s[4:5]
	v_fma_f32 v13, -v17, v13, v6
	v_cmp_lt_f32_e64 s[4:5], 0, v13
	s_nop 1
	v_cndmask_b32_e64 v13, v16, v17, s[4:5]
	v_mul_f32_e32 v16, 0x37800000, v13
	v_cndmask_b32_e32 v16, v13, v16, vcc
	v_mov_b32_e32 v13, 0x260
	v_cmp_class_f32_e64 s[4:5], v6, v13
	s_and_b64 vcc, exec, s[2:3]
	s_nop 0
	v_cndmask_b32_e64 v6, v16, v6, s[4:5]
	s_cbranch_vccnz .LBB407_18
; %bb.17:
	global_load_dword v16, v11, s[10:11] offset:768
	s_waitcnt vmcnt(0)
	v_add_f32_e32 v6, v6, v16
.LBB407_18:
	s_waitcnt vmcnt(2)
	v_lshlrev_b32_e32 v7, 16, v7
	v_mul_f32_e32 v16, 0x3fb8aa3b, v7
	v_exp_f32_e32 v16, v16
	s_nop 0
	v_add_f32_e32 v16, 1.0, v16
	v_cmp_gt_f32_e32 vcc, s14, v16
	s_nop 1
	v_cndmask_b32_e32 v14, 1.0, v14, vcc
	v_mul_f32_e32 v14, v16, v14
	v_log_f32_e32 v14, v14
	v_cndmask_b32_e32 v15, 0, v15, vcc
	v_mul_f32_e32 v16, 0x3f317217, v14
	v_fma_f32 v16, v14, s7, -v16
	v_fmac_f32_e32 v16, 0x3377d1cf, v14
	v_fmac_f32_e32 v16, 0x3f317217, v14
	v_cmp_lt_f32_e64 vcc, |v14|, s12
	s_nop 1
	v_cndmask_b32_e32 v14, v14, v16, vcc
	v_sub_f32_e32 v14, v14, v15
	v_cmp_lt_f32_e32 vcc, s6, v7
	s_nop 1
	v_cndmask_b32_e32 v7, v14, v7, vcc
	v_mul_f32_e32 v14, 0x4f800000, v7
	v_cmp_gt_f32_e32 vcc, s13, v7
	s_nop 1
	v_cndmask_b32_e32 v7, v7, v14, vcc
	v_sqrt_f32_e32 v14, v7
	s_nop 0
	v_add_u32_e32 v15, -1, v14
	v_add_u32_e32 v16, 1, v14
	v_fma_f32 v17, -v15, v14, v7
	v_fma_f32 v18, -v16, v14, v7
	v_cmp_ge_f32_e64 s[4:5], 0, v17
	s_nop 1
	v_cndmask_b32_e64 v14, v14, v15, s[4:5]
	v_cmp_lt_f32_e64 s[4:5], 0, v18
	s_nop 1
	v_cndmask_b32_e64 v14, v14, v16, s[4:5]
	v_mul_f32_e32 v15, 0x37800000, v14
	v_cndmask_b32_e32 v14, v14, v15, vcc
	v_cmp_class_f32_e64 s[4:5], v7, v13
	s_and_b64 vcc, exec, s[2:3]
	s_nop 0
	v_cndmask_b32_e64 v7, v14, v7, s[4:5]
	s_cbranch_vccnz .LBB407_20
; %bb.19:
	global_load_dword v13, v11, s[10:11] offset:896
	s_waitcnt vmcnt(0)
	v_add_f32_e32 v7, v7, v13
.LBB407_20:
	s_waitcnt vmcnt(1)
	v_lshlrev_b32_e32 v8, 16, v8
	v_mul_f32_e32 v13, 0x3fb8aa3b, v8
	v_exp_f32_e32 v13, v13
	v_mov_b32_e32 v14, 0x4f800000
	v_add_f32_e32 v13, 1.0, v13
	v_cmp_gt_f32_e32 vcc, s14, v13
	s_nop 1
	v_cndmask_b32_e32 v15, 1.0, v14, vcc
	v_mul_f32_e32 v13, v13, v15
	v_log_f32_e32 v13, v13
	s_nop 0
	v_mul_f32_e32 v15, 0x3f317217, v13
	v_fma_f32 v15, v13, s7, -v15
	v_fmac_f32_e32 v15, 0x3377d1cf, v13
	v_fmac_f32_e32 v15, 0x3f317217, v13
	v_cmp_lt_f32_e64 s[4:5], |v13|, s12
	s_nop 1
	v_cndmask_b32_e64 v13, v13, v15, s[4:5]
	v_mov_b32_e32 v15, 0x41b17218
	v_cndmask_b32_e32 v16, 0, v15, vcc
	v_sub_f32_e32 v13, v13, v16
	v_cmp_lt_f32_e32 vcc, s6, v8
	s_nop 1
	v_cndmask_b32_e32 v8, v13, v8, vcc
	v_mul_f32_e32 v13, 0x4f800000, v8
	v_cmp_gt_f32_e32 vcc, s13, v8
	s_nop 1
	v_cndmask_b32_e32 v8, v8, v13, vcc
	v_sqrt_f32_e32 v13, v8
	s_nop 0
	v_add_u32_e32 v16, -1, v13
	v_fma_f32 v17, -v16, v13, v8
	v_cmp_ge_f32_e64 s[4:5], 0, v17
	v_add_u32_e32 v17, 1, v13
	s_nop 0
	v_cndmask_b32_e64 v16, v13, v16, s[4:5]
	v_fma_f32 v13, -v17, v13, v8
	v_cmp_lt_f32_e64 s[4:5], 0, v13
	s_nop 1
	v_cndmask_b32_e64 v13, v16, v17, s[4:5]
	v_mul_f32_e32 v16, 0x37800000, v13
	v_cndmask_b32_e32 v16, v13, v16, vcc
	v_mov_b32_e32 v13, 0x260
	v_cmp_class_f32_e64 s[4:5], v8, v13
	s_and_b64 vcc, exec, s[2:3]
	s_nop 0
	v_cndmask_b32_e64 v8, v16, v8, s[4:5]
	s_cbranch_vccnz .LBB407_22
; %bb.21:
	global_load_dword v16, v11, s[10:11] offset:1024
	s_waitcnt vmcnt(0)
	v_add_f32_e32 v8, v8, v16
.LBB407_22:
	s_waitcnt vmcnt(0)
	v_lshlrev_b32_e32 v9, 16, v9
	v_mul_f32_e32 v16, 0x3fb8aa3b, v9
	v_exp_f32_e32 v16, v16
	s_nop 0
	v_add_f32_e32 v16, 1.0, v16
	v_cmp_gt_f32_e32 vcc, s14, v16
	s_nop 1
	v_cndmask_b32_e32 v14, 1.0, v14, vcc
	v_mul_f32_e32 v14, v16, v14
	v_log_f32_e32 v14, v14
	v_cndmask_b32_e32 v15, 0, v15, vcc
	v_mul_f32_e32 v16, 0x3f317217, v14
	v_fma_f32 v16, v14, s7, -v16
	v_fmac_f32_e32 v16, 0x3377d1cf, v14
	v_fmac_f32_e32 v16, 0x3f317217, v14
	v_cmp_lt_f32_e64 vcc, |v14|, s12
	s_nop 1
	v_cndmask_b32_e32 v14, v14, v16, vcc
	v_sub_f32_e32 v14, v14, v15
	v_cmp_lt_f32_e32 vcc, s6, v9
	s_nop 1
	v_cndmask_b32_e32 v9, v14, v9, vcc
	v_mul_f32_e32 v14, 0x4f800000, v9
	v_cmp_gt_f32_e32 vcc, s13, v9
	s_nop 1
	v_cndmask_b32_e32 v9, v9, v14, vcc
	v_sqrt_f32_e32 v14, v9
	s_nop 0
	v_add_u32_e32 v15, -1, v14
	v_add_u32_e32 v16, 1, v14
	v_fma_f32 v17, -v15, v14, v9
	v_fma_f32 v18, -v16, v14, v9
	v_cmp_ge_f32_e64 s[4:5], 0, v17
	s_nop 1
	v_cndmask_b32_e64 v14, v14, v15, s[4:5]
	v_cmp_lt_f32_e64 s[4:5], 0, v18
	s_nop 1
	v_cndmask_b32_e64 v14, v14, v16, s[4:5]
	v_mul_f32_e32 v15, 0x37800000, v14
	v_cndmask_b32_e32 v14, v14, v15, vcc
	v_cmp_class_f32_e64 s[4:5], v9, v13
	s_and_b64 vcc, exec, s[2:3]
	s_nop 0
	v_cndmask_b32_e64 v9, v14, v9, s[4:5]
	s_cbranch_vccnz .LBB407_24
; %bb.23:
	global_load_dword v11, v11, s[10:11] offset:1152
	s_waitcnt vmcnt(0)
	v_add_f32_e32 v9, v9, v11
.LBB407_24:
	s_load_dwordx4 s[12:15], s[0:1], 0x30
	s_mov_b32 s31, 0
	v_cmp_eq_u32_e64 s[6:7], 0, v12
	s_waitcnt lgkmcnt(0)
	s_bitcmp1_b32 s15, 0
	s_cselect_b64 s[4:5], -1, 0
	s_cmp_gt_i32 s12, 0
	s_cselect_b64 s[24:25], -1, 0
	s_and_b64 vcc, exec, s[24:25]
	s_cbranch_vccz .LBB407_51
; %bb.25:
	v_mbcnt_lo_u32_b32 v11, -1, 0
	v_mbcnt_hi_u32_b32 v14, -1, v11
	v_and_b32_e32 v11, 0x60, v14
	v_add_u32_e32 v15, 32, v11
	v_xor_b32_e32 v16, 16, v14
	v_cmp_lt_i32_e32 vcc, v16, v15
	s_load_dwordx4 s[16:19], s[0:1], 0x20
	v_mul_lo_u32 v11, v10, s12
	v_cndmask_b32_e32 v16, v14, v16, vcc
	v_lshlrev_b32_e32 v25, 2, v16
	v_xor_b32_e32 v16, 8, v14
	v_cmp_lt_i32_e32 vcc, v16, v15
	v_or_b32_e32 v13, 32, v12
	v_or_b32_e32 v17, 64, v12
	v_cndmask_b32_e32 v16, v14, v16, vcc
	v_lshlrev_b32_e32 v26, 2, v16
	v_xor_b32_e32 v16, 4, v14
	v_cmp_lt_i32_e32 vcc, v16, v15
	v_or_b32_e32 v18, 0x60, v12
	v_or_b32_e32 v19, 0x80, v12
	;; [unrolled: 6-line block ×4, first 2 shown]
	v_cndmask_b32_e32 v14, v14, v16, vcc
	v_or_b32_e32 v24, 0x120, v12
	v_lshlrev_b32_e32 v29, 2, v14
	v_mov_b32_e32 v16, 0
	v_mov_b32_e32 v30, 0x140
	;; [unrolled: 1-line block ×4, first 2 shown]
	s_branch .LBB407_28
.LBB407_26:                             ;   in Loop: Header=BB407_28 Depth=1
	s_waitcnt lgkmcnt(0)
	v_add_u32_e32 v34, s31, v11
	v_cmp_le_i32_e32 vcc, s13, v14
	v_cmp_gt_i32_e64 s[0:1], s14, v14
	v_ashrrev_i32_e32 v35, 31, v34
	s_and_b64 s[0:1], vcc, s[0:1]
	v_lshlrev_b64 v[34:35], 2, v[34:35]
	v_lshl_add_u64 v[36:37], s[20:21], 0, v[34:35]
	v_subrev_u32_e32 v15, s13, v14
	s_and_b64 vcc, s[22:23], s[0:1]
	global_store_dword v[36:37], v33, off
	v_cndmask_b32_e32 v15, v30, v15, vcc
	v_lshl_add_u64 v[36:37], s[16:17], 0, v[34:35]
	global_store_dword v[36:37], v15, off
	v_add_f32_e32 v15, v16, v33
	v_lshl_add_u64 v[34:35], s[18:19], 0, v[34:35]
	v_cndmask_b32_e64 v16, v16, v15, s[4:5]
	global_store_dword v[34:35], v32, off
.LBB407_27:                             ;   in Loop: Header=BB407_28 Depth=1
	s_or_b64 exec, exec, s[26:27]
	v_ashrrev_i32_e32 v15, 31, v14
	v_lshrrev_b32_e32 v15, 27, v15
	v_add_u32_e32 v15, v14, v15
	v_and_b32_e32 v33, 0xffffffe0, v15
	v_sub_u32_e32 v14, v14, v33
	s_add_i32 s31, s31, 1
	v_cmp_eq_u32_e32 vcc, v12, v14
	s_cmp_lt_i32 s31, s12
	v_ashrrev_i32_e32 v14, 5, v15
	s_cselect_b64 s[26:27], -1, 0
	v_cmp_ne_u32_e64 s[0:1], 9, v14
	s_and_b64 vcc, s[26:27], vcc
	s_cmp_eq_u32 s12, s31
	v_cndmask_b32_e64 v15, v31, v9, s[0:1]
	v_cmp_ne_u32_e64 s[0:1], 8, v14
	v_cndmask_b32_e32 v9, v9, v15, vcc
	v_add_u32_e32 v32, s30, v32
	v_cndmask_b32_e64 v15, v31, v8, s[0:1]
	v_cmp_ne_u32_e64 s[0:1], 7, v14
	v_cndmask_b32_e32 v8, v8, v15, vcc
	s_nop 0
	v_cndmask_b32_e64 v15, v31, v7, s[0:1]
	v_cmp_ne_u32_e64 s[0:1], 6, v14
	v_cndmask_b32_e32 v7, v7, v15, vcc
	s_nop 0
	;; [unrolled: 4-line block ×8, first 2 shown]
	v_cndmask_b32_e64 v14, v31, v0, s[0:1]
	v_cndmask_b32_e32 v0, v0, v14, vcc
	s_cbranch_scc1 .LBB407_52
.LBB407_28:                             ; =>This Inner Loop Header: Depth=1
	v_cmp_gt_f32_e32 vcc, v1, v0
	s_nop 1
	v_cndmask_b32_e32 v15, v0, v1, vcc
	v_cndmask_b32_e32 v14, v12, v13, vcc
	v_cmp_gt_f32_e32 vcc, v2, v15
	s_nop 1
	v_cndmask_b32_e32 v15, v15, v2, vcc
	v_cndmask_b32_e32 v14, v14, v17, vcc
	;; [unrolled: 4-line block ×9, first 2 shown]
	ds_bpermute_b32 v15, v25, v33
	s_waitcnt lgkmcnt(0)
	ds_bpermute_b32 v34, v25, v14
	s_waitcnt lgkmcnt(0)
	v_cmp_lt_f32_e64 s[26:27], v33, v15
	v_cmp_nlt_f32_e32 vcc, v33, v15
	s_and_saveexec_b64 s[28:29], vcc
; %bb.29:                               ;   in Loop: Header=BB407_28 Depth=1
	v_cmp_eq_f32_e32 vcc, v33, v15
	v_cmp_lt_i32_e64 s[0:1], v34, v14
	s_and_b64 s[0:1], vcc, s[0:1]
	s_andn2_b64 s[26:27], s[26:27], exec
	s_and_b64 s[0:1], s[0:1], exec
	s_or_b64 s[26:27], s[26:27], s[0:1]
; %bb.30:                               ;   in Loop: Header=BB407_28 Depth=1
	s_or_b64 exec, exec, s[28:29]
	s_and_saveexec_b64 s[0:1], s[26:27]
; %bb.31:                               ;   in Loop: Header=BB407_28 Depth=1
	v_mov_b32_e32 v33, v15
	v_mov_b32_e32 v14, v34
; %bb.32:                               ;   in Loop: Header=BB407_28 Depth=1
	s_or_b64 exec, exec, s[0:1]
	ds_bpermute_b32 v15, v26, v33
	ds_bpermute_b32 v34, v26, v14
	s_waitcnt lgkmcnt(1)
	v_cmp_lt_f32_e64 s[26:27], v33, v15
	v_cmp_nlt_f32_e32 vcc, v33, v15
	s_and_saveexec_b64 s[28:29], vcc
	s_cbranch_execz .LBB407_34
; %bb.33:                               ;   in Loop: Header=BB407_28 Depth=1
	v_cmp_eq_f32_e32 vcc, v33, v15
	s_waitcnt lgkmcnt(0)
	v_cmp_lt_i32_e64 s[0:1], v34, v14
	s_and_b64 s[0:1], vcc, s[0:1]
	s_andn2_b64 s[26:27], s[26:27], exec
	s_and_b64 s[0:1], s[0:1], exec
	s_or_b64 s[26:27], s[26:27], s[0:1]
.LBB407_34:                             ;   in Loop: Header=BB407_28 Depth=1
	s_or_b64 exec, exec, s[28:29]
	s_and_saveexec_b64 s[0:1], s[26:27]
	s_cbranch_execz .LBB407_36
; %bb.35:                               ;   in Loop: Header=BB407_28 Depth=1
	v_mov_b32_e32 v33, v15
	s_waitcnt lgkmcnt(0)
	v_mov_b32_e32 v14, v34
.LBB407_36:                             ;   in Loop: Header=BB407_28 Depth=1
	s_or_b64 exec, exec, s[0:1]
	ds_bpermute_b32 v15, v27, v33
	s_waitcnt lgkmcnt(1)
	ds_bpermute_b32 v34, v27, v14
	s_waitcnt lgkmcnt(1)
	v_cmp_lt_f32_e64 s[26:27], v33, v15
	v_cmp_nlt_f32_e32 vcc, v33, v15
	s_and_saveexec_b64 s[28:29], vcc
	s_cbranch_execz .LBB407_38
; %bb.37:                               ;   in Loop: Header=BB407_28 Depth=1
	v_cmp_eq_f32_e32 vcc, v33, v15
	s_waitcnt lgkmcnt(0)
	v_cmp_lt_i32_e64 s[0:1], v34, v14
	s_and_b64 s[0:1], vcc, s[0:1]
	s_andn2_b64 s[26:27], s[26:27], exec
	s_and_b64 s[0:1], s[0:1], exec
	s_or_b64 s[26:27], s[26:27], s[0:1]
.LBB407_38:                             ;   in Loop: Header=BB407_28 Depth=1
	s_or_b64 exec, exec, s[28:29]
	s_and_saveexec_b64 s[0:1], s[26:27]
	s_cbranch_execz .LBB407_40
; %bb.39:                               ;   in Loop: Header=BB407_28 Depth=1
	v_mov_b32_e32 v33, v15
	s_waitcnt lgkmcnt(0)
	v_mov_b32_e32 v14, v34
.LBB407_40:                             ;   in Loop: Header=BB407_28 Depth=1
	s_or_b64 exec, exec, s[0:1]
	ds_bpermute_b32 v15, v28, v33
	s_waitcnt lgkmcnt(1)
	;; [unrolled: 26-line block ×3, first 2 shown]
	ds_bpermute_b32 v34, v29, v14
	s_waitcnt lgkmcnt(1)
	v_cmp_lt_f32_e64 s[26:27], v33, v15
	v_cmp_nlt_f32_e32 vcc, v33, v15
	s_and_saveexec_b64 s[28:29], vcc
	s_cbranch_execnz .LBB407_47
; %bb.45:                               ;   in Loop: Header=BB407_28 Depth=1
	s_or_b64 exec, exec, s[28:29]
	s_and_saveexec_b64 s[0:1], s[26:27]
	s_cbranch_execnz .LBB407_48
.LBB407_46:                             ;   in Loop: Header=BB407_28 Depth=1
	s_or_b64 exec, exec, s[0:1]
	s_and_saveexec_b64 s[26:27], s[6:7]
	s_cbranch_execz .LBB407_27
	s_branch .LBB407_49
.LBB407_47:                             ;   in Loop: Header=BB407_28 Depth=1
	v_cmp_eq_f32_e32 vcc, v33, v15
	s_waitcnt lgkmcnt(0)
	v_cmp_lt_i32_e64 s[0:1], v34, v14
	s_and_b64 s[0:1], vcc, s[0:1]
	s_andn2_b64 s[26:27], s[26:27], exec
	s_and_b64 s[0:1], s[0:1], exec
	s_or_b64 s[26:27], s[26:27], s[0:1]
	s_or_b64 exec, exec, s[28:29]
	s_and_saveexec_b64 s[0:1], s[26:27]
	s_cbranch_execz .LBB407_46
.LBB407_48:                             ;   in Loop: Header=BB407_28 Depth=1
	s_waitcnt lgkmcnt(0)
	v_mov_b32_e32 v14, v34
	v_mov_b32_e32 v33, v15
	s_or_b64 exec, exec, s[0:1]
	s_and_saveexec_b64 s[26:27], s[6:7]
	s_cbranch_execz .LBB407_27
.LBB407_49:                             ;   in Loop: Header=BB407_28 Depth=1
	s_and_b64 vcc, exec, s[2:3]
	s_cbranch_vccnz .LBB407_26
; %bb.50:                               ;   in Loop: Header=BB407_28 Depth=1
	v_ashrrev_i32_e32 v15, 31, v14
	s_waitcnt lgkmcnt(0)
	v_lshl_add_u64 v[34:35], v[14:15], 2, s[10:11]
	global_load_dword v15, v[34:35], off
	s_waitcnt vmcnt(0)
	v_sub_f32_e32 v33, v33, v15
	s_branch .LBB407_26
.LBB407_51:
	v_mov_b32_e32 v16, 0
.LBB407_52:
	v_cmp_eq_u32_e32 vcc, 0, v12
	s_and_b64 exec, exec, vcc
	s_cbranch_execz .LBB407_65
; %bb.53:
	s_andn2_b64 vcc, exec, s[4:5]
	v_cvt_f32_f64_e32 v0, s[8:9]
	s_cbranch_vccnz .LBB407_55
; %bb.54:
	v_cmp_lt_f32_e32 vcc, 0, v16
	s_nop 1
	v_cndmask_b32_e32 v1, 1.0, v16, vcc
	v_div_scale_f32 v2, s[0:1], v1, v1, v0
	v_rcp_f32_e32 v3, v2
	s_nop 0
	v_fma_f32 v4, -v2, v3, 1.0
	v_fmac_f32_e32 v3, v4, v3
	v_div_scale_f32 v4, vcc, v0, v1, v0
	v_mul_f32_e32 v5, v4, v3
	v_fma_f32 v6, -v2, v5, v4
	v_fmac_f32_e32 v5, v6, v3
	v_fma_f32 v2, -v2, v5, v4
	v_div_fmas_f32 v2, v2, v3, v5
	v_div_fixup_f32 v0, v2, v1, v0
.LBB407_55:
	s_andn2_b64 vcc, exec, s[24:25]
	s_cbranch_vccnz .LBB407_65
; %bb.56:
	v_mul_lo_u32 v2, v10, s12
	s_cmp_gt_u32 s12, 3
	v_ashrrev_i32_e32 v3, 31, v2
	s_cbranch_scc0 .LBB407_60
; %bb.57:
	s_and_b32 s0, s12, 0x7ffffffc
	v_lshl_add_u64 v[4:5], v[2:3], 2, s[20:21]
	v_mov_b32_e32 v1, v0
	v_lshl_add_u64 v[4:5], v[4:5], 0, 8
	s_mov_b32 s1, s0
.LBB407_58:                             ; =>This Inner Loop Header: Depth=1
	global_load_dwordx4 v[6:9], v[4:5], off offset:-8
	s_add_i32 s1, s1, -4
	s_cmp_lg_u32 s1, 0
	s_waitcnt vmcnt(0)
	v_pk_mul_f32 v[6:7], v[0:1], v[6:7]
	v_pk_mul_f32 v[8:9], v[0:1], v[8:9]
	global_store_dwordx4 v[4:5], v[6:9], off offset:-8
	v_lshl_add_u64 v[4:5], v[4:5], 0, 16
	s_cbranch_scc1 .LBB407_58
; %bb.59:
	s_cmp_lg_u32 s0, s12
	s_cselect_b64 s[2:3], -1, 0
	s_branch .LBB407_62
.LBB407_60:
	s_mov_b64 s[2:3], 0
                                        ; implicit-def: $sgpr0
	s_cbranch_execz .LBB407_62
; %bb.61:
	s_mov_b64 s[2:3], -1
	s_mov_b32 s0, 0
.LBB407_62:
	s_andn2_b64 vcc, exec, s[2:3]
	s_cbranch_vccnz .LBB407_65
; %bb.63:
	s_mov_b32 s1, 0
	v_lshl_add_u64 v[2:3], v[2:3], 0, s[0:1]
	s_sub_i32 s2, s12, s0
	v_lshl_add_u64 v[2:3], v[2:3], 2, s[20:21]
.LBB407_64:                             ; =>This Inner Loop Header: Depth=1
	global_load_dword v1, v[2:3], off
	s_add_i32 s2, s2, -1
	s_cmp_lg_u32 s2, 0
	s_waitcnt vmcnt(0)
	v_mul_f32_e32 v1, v0, v1
	global_store_dword v[2:3], v1, off
	v_lshl_add_u64 v[2:3], v[2:3], 0, 4
	s_cbranch_scc1 .LBB407_64
.LBB407_65:
	s_endpgm
	.section	.rodata,"a",@progbits
	.p2align	6, 0x0
	.amdhsa_kernel _ZN4vllm3moe22topkGatingSoftplusSqrtILi10ELi320ELi4ELi2ELi32ELb0Ei14__hip_bfloat16EEvPKT6_PKbPfiPT5_PiiiibdPKfPKS9_SF_
		.amdhsa_group_segment_fixed_size 0
		.amdhsa_private_segment_fixed_size 0
		.amdhsa_kernarg_size 96
		.amdhsa_user_sgpr_count 2
		.amdhsa_user_sgpr_dispatch_ptr 0
		.amdhsa_user_sgpr_queue_ptr 0
		.amdhsa_user_sgpr_kernarg_segment_ptr 1
		.amdhsa_user_sgpr_dispatch_id 0
		.amdhsa_user_sgpr_kernarg_preload_length 0
		.amdhsa_user_sgpr_kernarg_preload_offset 0
		.amdhsa_user_sgpr_private_segment_size 0
		.amdhsa_uses_dynamic_stack 0
		.amdhsa_enable_private_segment 0
		.amdhsa_system_sgpr_workgroup_id_x 1
		.amdhsa_system_sgpr_workgroup_id_y 0
		.amdhsa_system_sgpr_workgroup_id_z 0
		.amdhsa_system_sgpr_workgroup_info 0
		.amdhsa_system_vgpr_workitem_id 1
		.amdhsa_next_free_vgpr 38
		.amdhsa_next_free_sgpr 32
		.amdhsa_accum_offset 40
		.amdhsa_reserve_vcc 1
		.amdhsa_float_round_mode_32 0
		.amdhsa_float_round_mode_16_64 0
		.amdhsa_float_denorm_mode_32 3
		.amdhsa_float_denorm_mode_16_64 3
		.amdhsa_dx10_clamp 1
		.amdhsa_ieee_mode 1
		.amdhsa_fp16_overflow 0
		.amdhsa_tg_split 0
		.amdhsa_exception_fp_ieee_invalid_op 0
		.amdhsa_exception_fp_denorm_src 0
		.amdhsa_exception_fp_ieee_div_zero 0
		.amdhsa_exception_fp_ieee_overflow 0
		.amdhsa_exception_fp_ieee_underflow 0
		.amdhsa_exception_fp_ieee_inexact 0
		.amdhsa_exception_int_div_zero 0
	.end_amdhsa_kernel
	.section	.text._ZN4vllm3moe22topkGatingSoftplusSqrtILi10ELi320ELi4ELi2ELi32ELb0Ei14__hip_bfloat16EEvPKT6_PKbPfiPT5_PiiiibdPKfPKS9_SF_,"axG",@progbits,_ZN4vllm3moe22topkGatingSoftplusSqrtILi10ELi320ELi4ELi2ELi32ELb0Ei14__hip_bfloat16EEvPKT6_PKbPfiPT5_PiiiibdPKfPKS9_SF_,comdat
.Lfunc_end407:
	.size	_ZN4vllm3moe22topkGatingSoftplusSqrtILi10ELi320ELi4ELi2ELi32ELb0Ei14__hip_bfloat16EEvPKT6_PKbPfiPT5_PiiiibdPKfPKS9_SF_, .Lfunc_end407-_ZN4vllm3moe22topkGatingSoftplusSqrtILi10ELi320ELi4ELi2ELi32ELb0Ei14__hip_bfloat16EEvPKT6_PKbPfiPT5_PiiiibdPKfPKS9_SF_
                                        ; -- End function
	.section	.AMDGPU.csdata,"",@progbits
; Kernel info:
; codeLenInByte = 4872
; NumSgprs: 38
; NumVgprs: 38
; NumAgprs: 0
; TotalNumVgprs: 38
; ScratchSize: 0
; MemoryBound: 0
; FloatMode: 240
; IeeeMode: 1
; LDSByteSize: 0 bytes/workgroup (compile time only)
; SGPRBlocks: 4
; VGPRBlocks: 4
; NumSGPRsForWavesPerEU: 38
; NumVGPRsForWavesPerEU: 38
; AccumOffset: 40
; Occupancy: 8
; WaveLimiterHint : 0
; COMPUTE_PGM_RSRC2:SCRATCH_EN: 0
; COMPUTE_PGM_RSRC2:USER_SGPR: 2
; COMPUTE_PGM_RSRC2:TRAP_HANDLER: 0
; COMPUTE_PGM_RSRC2:TGID_X_EN: 1
; COMPUTE_PGM_RSRC2:TGID_Y_EN: 0
; COMPUTE_PGM_RSRC2:TGID_Z_EN: 0
; COMPUTE_PGM_RSRC2:TIDIG_COMP_CNT: 1
; COMPUTE_PGM_RSRC3_GFX90A:ACCUM_OFFSET: 9
; COMPUTE_PGM_RSRC3_GFX90A:TG_SPLIT: 0
	.section	.text._ZN4vllm3moe22topkGatingSoftplusSqrtILi6ELi384ELi4ELi4ELi64ELb1Ei14__hip_bfloat16EEvPKT6_PKbPfiPT5_PiiiibdPKfPKS9_SF_,"axG",@progbits,_ZN4vllm3moe22topkGatingSoftplusSqrtILi6ELi384ELi4ELi4ELi64ELb1Ei14__hip_bfloat16EEvPKT6_PKbPfiPT5_PiiiibdPKfPKS9_SF_,comdat
	.protected	_ZN4vllm3moe22topkGatingSoftplusSqrtILi6ELi384ELi4ELi4ELi64ELb1Ei14__hip_bfloat16EEvPKT6_PKbPfiPT5_PiiiibdPKfPKS9_SF_ ; -- Begin function _ZN4vllm3moe22topkGatingSoftplusSqrtILi6ELi384ELi4ELi4ELi64ELb1Ei14__hip_bfloat16EEvPKT6_PKbPfiPT5_PiiiibdPKfPKS9_SF_
	.globl	_ZN4vllm3moe22topkGatingSoftplusSqrtILi6ELi384ELi4ELi4ELi64ELb1Ei14__hip_bfloat16EEvPKT6_PKbPfiPT5_PiiiibdPKfPKS9_SF_
	.p2align	8
	.type	_ZN4vllm3moe22topkGatingSoftplusSqrtILi6ELi384ELi4ELi4ELi64ELb1Ei14__hip_bfloat16EEvPKT6_PKbPfiPT5_PiiiibdPKfPKS9_SF_,@function
_ZN4vllm3moe22topkGatingSoftplusSqrtILi6ELi384ELi4ELi4ELi64ELb1Ei14__hip_bfloat16EEvPKT6_PKbPfiPT5_PiiiibdPKfPKS9_SF_: ; @_ZN4vllm3moe22topkGatingSoftplusSqrtILi6ELi384ELi4ELi4ELi64ELb1Ei14__hip_bfloat16EEvPKT6_PKbPfiPT5_PiiiibdPKfPKS9_SF_
; %bb.0:
	s_load_dword s3, s[0:1], 0x18
	v_and_b32_e32 v1, 0x3ff, v0
	s_lshl_b32 s2, s2, 2
	v_lshrrev_b32_e32 v2, 6, v1
	v_bfe_u32 v0, v0, 10, 10
	v_add3_u32 v0, s2, v0, v2
	s_waitcnt lgkmcnt(0)
	v_cmp_gt_i32_e32 vcc, s3, v0
	s_and_saveexec_b64 s[2:3], vcc
	s_cbranch_execz .LBB408_31
; %bb.1:
	s_load_dwordx2 s[2:3], s[0:1], 0x0
	s_load_dword s24, s[0:1], 0x30
	s_movk_i32 s4, 0x180
	v_mul_lo_u32 v2, v0, s4
	v_lshlrev_b32_e32 v1, 1, v1
	v_ashrrev_i32_e32 v3, 31, v2
	v_and_b32_e32 v10, 0x7e, v1
	s_waitcnt lgkmcnt(0)
	v_lshl_add_u64 v[4:5], v[2:3], 1, s[2:3]
	v_lshlrev_b32_e32 v2, 1, v10
	v_mov_b32_e32 v3, 0
	v_lshl_add_u64 v[4:5], v[4:5], 0, v[2:3]
	s_load_dwordx4 s[8:11], s[0:1], 0x50
	global_load_dword v2, v[4:5], off
	global_load_dword v6, v[4:5], off offset:256
	global_load_dword v7, v[4:5], off offset:512
	v_ashrrev_i32_e32 v1, 31, v0
	s_mov_b32 s17, 0x800000
	v_mov_b32_e32 v11, 0x4f800000
	s_waitcnt lgkmcnt(0)
	v_mov_b32_e32 v4, s8
	v_mov_b32_e32 v5, s9
	v_lshl_add_u64 v[4:5], v[0:1], 2, v[4:5]
	global_load_dword v1, v[4:5], off
	s_mov_b32 s15, 0x3f317217
	s_mov_b32 s16, 0x7f800000
	v_mov_b32_e32 v14, 0x41b17218
	s_mov_b32 s13, 0x41a00000
	s_mov_b32 s14, 0xf800000
	v_mov_b32_e32 v15, 0x260
	s_cmp_gt_i32 s24, 0
	s_mov_b32 s12, 0
	v_mul_lo_u32 v0, v0, s24
	s_waitcnt vmcnt(3)
	v_and_b32_e32 v12, 0xffff0000, v2
	v_lshlrev_b32_e32 v2, 16, v2
	v_mul_f32_e32 v4, 0x3fb8aa3b, v2
	v_mul_f32_e32 v5, 0x3fb8aa3b, v12
	v_exp_f32_e32 v4, v4
	v_exp_f32_e32 v5, v5
	s_waitcnt vmcnt(2)
	v_and_b32_e32 v13, 0xffff0000, v6
	v_lshlrev_b32_e32 v16, 16, v6
	s_waitcnt vmcnt(1)
	v_and_b32_e32 v17, 0xffff0000, v7
	v_lshlrev_b32_e32 v18, 16, v7
	v_mul_f32_e32 v6, 0x3fb8aa3b, v16
	v_mul_f32_e32 v7, 0x3fb8aa3b, v13
	v_pk_add_f32 v[4:5], v[4:5], 1.0 op_sel_hi:[1,0]
	v_exp_f32_e32 v6, v6
	v_exp_f32_e32 v7, v7
	v_cmp_gt_f32_e32 vcc, s17, v5
	s_waitcnt vmcnt(0)
	v_mul_lo_u32 v8, v1, s24
	v_cmp_gt_f32_e64 s[2:3], s17, v4
	v_cndmask_b32_e32 v1, 1.0, v11, vcc
	v_mul_f32_e32 v1, v5, v1
	v_cndmask_b32_e64 v19, 1.0, v11, s[2:3]
	v_mul_f32_e32 v4, v4, v19
	v_log_f32_e32 v1, v1
	v_pk_add_f32 v[6:7], v[6:7], 1.0 op_sel_hi:[1,0]
	v_log_f32_e32 v4, v4
	v_cmp_gt_f32_e64 s[4:5], s17, v7
	v_cmp_gt_f32_e64 s[6:7], s17, v6
	v_cndmask_b32_e32 v5, 0, v14, vcc
	v_cndmask_b32_e64 v20, 1.0, v11, s[4:5]
	v_cndmask_b32_e64 v21, 1.0, v11, s[6:7]
	v_mul_f32_e32 v7, v7, v20
	v_mul_f32_e32 v20, 0x3f317217, v1
	;; [unrolled: 1-line block ×4, first 2 shown]
	v_fma_f32 v20, v1, s15, -v20
	v_fma_f32 v21, v4, s15, -v21
	v_fmac_f32_e32 v20, 0x3377d1cf, v1
	v_fmac_f32_e32 v21, 0x3377d1cf, v4
	;; [unrolled: 1-line block ×3, first 2 shown]
	v_cmp_lt_f32_e64 vcc, |v1|, s16
	v_fmac_f32_e32 v21, 0x3f317217, v4
	v_cndmask_b32_e64 v19, 0, v14, s[2:3]
	v_cndmask_b32_e32 v1, v1, v20, vcc
	v_cmp_lt_f32_e64 vcc, |v4|, s16
	v_sub_f32_e32 v1, v1, v5
	v_log_f32_e32 v7, v7
	v_cndmask_b32_e32 v4, v4, v21, vcc
	v_sub_f32_e32 v4, v4, v19
	v_cmp_lt_f32_e32 vcc, s13, v2
	v_mul_f32_e32 v22, 0x3f317217, v7
	v_log_f32_e32 v6, v6
	v_cndmask_b32_e32 v2, v4, v2, vcc
	v_cmp_lt_f32_e32 vcc, s13, v12
	v_mul_f32_e32 v5, 0x4f800000, v2
	v_cmp_gt_f32_e64 s[2:3], s14, v2
	v_cndmask_b32_e32 v1, v1, v12, vcc
	v_mul_f32_e32 v4, 0x4f800000, v1
	v_cmp_gt_f32_e32 vcc, s14, v1
	v_cndmask_b32_e64 v2, v2, v5, s[2:3]
	v_sqrt_f32_e32 v5, v2
	v_cndmask_b32_e32 v1, v1, v4, vcc
	v_sqrt_f32_e32 v4, v1
	v_fma_f32 v22, v7, s15, -v22
	v_add_u32_e32 v20, -1, v5
	v_fma_f32 v25, -v20, v5, v2
	v_add_u32_e32 v12, -1, v4
	v_fma_f32 v23, -v12, v4, v1
	v_add_u32_e32 v19, 1, v4
	v_cmp_ge_f32_e64 s[8:9], 0, v23
	v_add_u32_e32 v21, 1, v5
	v_fma_f32 v24, -v19, v4, v1
	v_cndmask_b32_e64 v4, v4, v12, s[8:9]
	v_cmp_ge_f32_e64 s[8:9], 0, v25
	v_fma_f32 v26, -v21, v5, v2
	v_fmac_f32_e32 v22, 0x3377d1cf, v7
	v_cndmask_b32_e64 v5, v5, v20, s[8:9]
	v_cmp_lt_f32_e64 s[8:9], 0, v24
	v_fmac_f32_e32 v22, 0x3f317217, v7
	v_ashrrev_i32_e32 v9, 31, v8
	v_cndmask_b32_e64 v4, v4, v19, s[8:9]
	v_cmp_lt_f32_e64 s[8:9], 0, v26
	v_mul_f32_e32 v12, 0x37800000, v4
	v_cndmask_b32_e32 v4, v4, v12, vcc
	v_cndmask_b32_e64 v5, v5, v21, s[8:9]
	v_mul_f32_e32 v19, 0x37800000, v5
	v_cmp_class_f32_e32 vcc, v1, v15
	v_cndmask_b32_e64 v12, v5, v19, s[2:3]
	v_cmp_lt_f32_e64 s[2:3], s13, v16
	v_cndmask_b32_e32 v5, v4, v1, vcc
	v_cmp_class_f32_e32 vcc, v2, v15
	s_nop 1
	v_cndmask_b32_e32 v4, v12, v2, vcc
	v_cmp_lt_f32_e64 vcc, |v7|, s16
	v_cndmask_b32_e64 v2, 0, v14, s[4:5]
	s_nop 0
	v_cndmask_b32_e32 v1, v7, v22, vcc
	v_sub_f32_e32 v1, v1, v2
	v_mul_f32_e32 v2, 0x3f317217, v6
	v_fma_f32 v2, v6, s15, -v2
	v_fmac_f32_e32 v2, 0x3377d1cf, v6
	v_fmac_f32_e32 v2, 0x3f317217, v6
	v_cmp_lt_f32_e64 vcc, |v6|, s16
	s_nop 1
	v_cndmask_b32_e32 v2, v6, v2, vcc
	v_cmp_lt_f32_e32 vcc, s13, v13
	v_cndmask_b32_e64 v6, 0, v14, s[6:7]
	v_sub_f32_e32 v2, v2, v6
	v_cndmask_b32_e32 v1, v1, v13, vcc
	v_mul_f32_e32 v7, 0x4f800000, v1
	v_cmp_gt_f32_e32 vcc, s14, v1
	v_cndmask_b32_e64 v2, v2, v16, s[2:3]
	v_mul_f32_e32 v13, 0x3fb8aa3b, v17
	v_cndmask_b32_e32 v1, v1, v7, vcc
	v_sqrt_f32_e32 v7, v1
	v_exp_f32_e32 v13, v13
	v_add_u32_e32 v6, -1, v7
	v_fma_f32 v12, -v6, v7, v1
	v_cmp_ge_f32_e64 s[2:3], 0, v12
	v_add_u32_e32 v12, 1, v7
	s_nop 0
	v_cndmask_b32_e64 v6, v7, v6, s[2:3]
	v_fma_f32 v7, -v12, v7, v1
	v_cmp_lt_f32_e64 s[2:3], 0, v7
	s_nop 1
	v_cndmask_b32_e64 v6, v6, v12, s[2:3]
	v_mul_f32_e32 v12, 0x4f800000, v2
	v_cmp_gt_f32_e64 s[2:3], s14, v2
	v_mul_f32_e32 v7, 0x37800000, v6
	v_cndmask_b32_e32 v6, v6, v7, vcc
	v_cndmask_b32_e64 v2, v2, v12, s[2:3]
	v_sqrt_f32_e32 v12, v2
	v_cmp_class_f32_e32 vcc, v1, v15
	s_nop 1
	v_cndmask_b32_e32 v7, v6, v1, vcc
	v_add_u32_e32 v1, -1, v12
	v_fma_f32 v6, -v1, v12, v2
	v_cmp_ge_f32_e32 vcc, 0, v6
	v_add_u32_e32 v6, 1, v12
	v_fma_f32 v16, -v6, v12, v2
	v_cndmask_b32_e32 v1, v12, v1, vcc
	v_mul_f32_e32 v12, 0x3fb8aa3b, v18
	v_exp_f32_e32 v12, v12
	v_cmp_lt_f32_e32 vcc, 0, v16
	v_pk_add_f32 v[12:13], v[12:13], 1.0 op_sel_hi:[1,0]
	s_nop 0
	v_cndmask_b32_e32 v1, v1, v6, vcc
	v_mul_f32_e32 v6, 0x37800000, v1
	v_cmp_gt_f32_e32 vcc, s17, v13
	v_cndmask_b32_e64 v1, v1, v6, s[2:3]
	v_cmp_class_f32_e64 s[2:3], v2, v15
	v_cndmask_b32_e32 v6, 1.0, v11, vcc
	v_mul_f32_e32 v6, v13, v6
	v_log_f32_e32 v13, v6
	v_cndmask_b32_e64 v6, v1, v2, s[2:3]
	v_cmp_gt_f32_e64 s[2:3], s17, v12
	scratch_store_dwordx4 off, v[4:7], off
	v_mul_f32_e32 v1, 0x3f317217, v13
	v_cndmask_b32_e64 v2, 1.0, v11, s[2:3]
	v_mul_f32_e32 v2, v12, v2
	v_fma_f32 v1, v13, s15, -v1
	v_log_f32_e32 v2, v2
	v_fmac_f32_e32 v1, 0x3377d1cf, v13
	v_fmac_f32_e32 v1, 0x3f317217, v13
	v_cmp_lt_f32_e64 s[4:5], |v13|, s16
	v_cndmask_b32_e32 v4, 0, v14, vcc
	v_cmp_lt_f32_e64 vcc, |v2|, s16
	v_cndmask_b32_e64 v1, v13, v1, s[4:5]
	v_sub_f32_e32 v1, v1, v4
	v_mul_f32_e32 v4, 0x3f317217, v2
	v_fma_f32 v4, v2, s15, -v4
	v_fmac_f32_e32 v4, 0x3377d1cf, v2
	v_fmac_f32_e32 v4, 0x3f317217, v2
	v_cndmask_b32_e32 v2, v2, v4, vcc
	v_cmp_lt_f32_e32 vcc, s13, v17
	v_cndmask_b32_e64 v4, 0, v14, s[2:3]
	v_sub_f32_e32 v2, v2, v4
	v_cndmask_b32_e32 v1, v1, v17, vcc
	v_mul_f32_e32 v5, 0x4f800000, v1
	v_cmp_gt_f32_e32 vcc, s14, v1
	v_cmp_lt_f32_e64 s[2:3], s13, v18
	s_cselect_b64 s[4:5], -1, 0
	v_cndmask_b32_e32 v1, v1, v5, vcc
	v_sqrt_f32_e32 v5, v1
	v_cndmask_b32_e64 v2, v2, v18, s[2:3]
	s_cmp_lt_i32 s24, 1
	v_add_u32_e32 v4, -1, v5
	v_fma_f32 v6, -v4, v5, v1
	v_cmp_ge_f32_e64 s[2:3], 0, v6
	v_add_u32_e32 v6, 1, v5
	s_nop 0
	v_cndmask_b32_e64 v4, v5, v4, s[2:3]
	v_fma_f32 v5, -v6, v5, v1
	v_cmp_lt_f32_e64 s[2:3], 0, v5
	s_nop 1
	v_cndmask_b32_e64 v4, v4, v6, s[2:3]
	v_mul_f32_e32 v6, 0x4f800000, v2
	v_cmp_gt_f32_e64 s[2:3], s14, v2
	v_mul_f32_e32 v5, 0x37800000, v4
	v_cndmask_b32_e32 v4, v4, v5, vcc
	v_cndmask_b32_e64 v2, v2, v6, s[2:3]
	v_sqrt_f32_e32 v6, v2
	v_cmp_class_f32_e32 vcc, v1, v15
	s_nop 1
	v_cndmask_b32_e32 v5, v4, v1, vcc
	v_add_u32_e32 v1, -1, v6
	v_fma_f32 v4, -v1, v6, v2
	v_cmp_ge_f32_e32 vcc, 0, v4
	v_add_u32_e32 v4, 1, v6
	s_nop 0
	v_cndmask_b32_e32 v1, v6, v1, vcc
	v_fma_f32 v6, -v4, v6, v2
	v_cmp_lt_f32_e32 vcc, 0, v6
	s_nop 1
	v_cndmask_b32_e32 v1, v1, v4, vcc
	v_mul_f32_e32 v4, 0x37800000, v1
	v_cndmask_b32_e64 v1, v1, v4, s[2:3]
	v_cmp_class_f32_e32 vcc, v2, v15
	s_nop 1
	v_cndmask_b32_e32 v4, v1, v2, vcc
	scratch_store_dwordx2 off, v[4:5], off offset:16
	v_lshl_add_u64 v[4:5], v[8:9], 2, s[10:11]
	s_cbranch_scc1 .LBB408_28
; %bb.2:
	s_load_dwordx2 s[6:7], s[0:1], 0x20
	s_cmp_lt_u32 s24, 4
	s_cbranch_scc1 .LBB408_21
; %bb.3:
	s_mov_b32 s9, 0
	s_and_b32 s12, s24, 0x7ffffffc
	v_ashrrev_i32_e32 v1, 31, v0
	v_mov_b32_e32 v3, 0
	s_mov_b32 s8, s9
	s_branch .LBB408_5
.LBB408_4:                              ;   in Loop: Header=BB408_5 Depth=1
	s_or_b64 exec, exec, s[10:11]
	s_add_i32 s8, s8, 4
	s_cmp_eq_u32 s8, s12
	s_cbranch_scc1 .LBB408_21
.LBB408_5:                              ; =>This Loop Header: Depth=1
                                        ;     Child Loop BB408_7 Depth 2
                                        ;     Child Loop BB408_11 Depth 2
	;; [unrolled: 1-line block ×4, first 2 shown]
	v_lshl_add_u64 v[6:7], s[8:9], 2, v[4:5]
	global_load_dword v2, v[6:7], off
	v_add_u32_e32 v8, s8, v0
	v_ashrrev_i32_e32 v9, 31, v8
	s_waitcnt lgkmcnt(0)
	v_lshl_add_u64 v[8:9], v[8:9], 2, s[6:7]
	v_mov_b32_e32 v11, 0
	s_mov_b64 s[10:11], 0
	s_mov_b32 s13, 0
	s_mov_b32 s16, 0
	s_branch .LBB408_7
.LBB408_6:                              ;   in Loop: Header=BB408_7 Depth=2
	s_or_b64 exec, exec, s[14:15]
	s_add_i32 s17, s16, 1
	s_cmp_gt_u32 s16, 4
	s_cselect_b64 s[2:3], -1, 0
	s_xor_b64 s[14:15], vcc, -1
	s_or_b64 s[2:3], s[14:15], s[2:3]
	s_add_i32 s13, s13, 64
	s_and_b64 s[2:3], exec, s[2:3]
	v_add_u32_e32 v11, 4, v11
	s_or_b64 s[10:11], s[2:3], s[10:11]
	s_mov_b32 s16, s17
	s_andn2_b64 exec, exec, s[10:11]
	s_cbranch_execz .LBB408_9
.LBB408_7:                              ;   Parent Loop BB408_5 Depth=1
                                        ; =>  This Inner Loop Header: Depth=2
	s_and_b32 s2, s16, 1
	s_and_b32 s3, s13, 0x180
	s_or_b32 s2, s2, s3
	v_or_b32_e32 v12, s2, v10
	s_waitcnt vmcnt(0)
	v_cmp_ne_u32_e32 vcc, v2, v12
	v_cmp_eq_u32_e64 s[2:3], v2, v12
	s_and_saveexec_b64 s[14:15], s[2:3]
	s_cbranch_execz .LBB408_6
; %bb.8:                                ;   in Loop: Header=BB408_7 Depth=2
	scratch_load_dword v12, v11, off
	s_waitcnt vmcnt(0)
	v_add_f32_e32 v3, v3, v12
	global_store_dword v[8:9], v2, off
	s_branch .LBB408_6
.LBB408_9:                              ;   in Loop: Header=BB408_5 Depth=1
	s_or_b64 exec, exec, s[10:11]
	global_load_dword v2, v[6:7], off offset:4
	s_ashr_i32 s3, s8, 31
	s_mov_b32 s2, s8
	v_lshl_add_u64 v[8:9], s[2:3], 0, v[0:1]
	v_lshl_add_u64 v[8:9], v[8:9], 2, s[6:7]
	v_mov_b32_e32 v11, 0
	s_mov_b32 s13, 0
	s_mov_b64 s[10:11], 0
	s_mov_b32 s16, 0
	s_branch .LBB408_11
.LBB408_10:                             ;   in Loop: Header=BB408_11 Depth=2
	s_or_b64 exec, exec, s[14:15]
	s_add_i32 s17, s16, 1
	s_cmp_gt_u32 s16, 4
	s_cselect_b64 s[2:3], -1, 0
	s_xor_b64 s[14:15], vcc, -1
	s_or_b64 s[2:3], s[14:15], s[2:3]
	s_add_i32 s13, s13, 64
	s_and_b64 s[2:3], exec, s[2:3]
	v_add_u32_e32 v11, 4, v11
	s_or_b64 s[10:11], s[2:3], s[10:11]
	s_mov_b32 s16, s17
	s_andn2_b64 exec, exec, s[10:11]
	s_cbranch_execz .LBB408_13
.LBB408_11:                             ;   Parent Loop BB408_5 Depth=1
                                        ; =>  This Inner Loop Header: Depth=2
	s_and_b32 s2, s16, 1
	s_and_b32 s3, s13, 0x180
	s_or_b32 s2, s2, s3
	v_or_b32_e32 v12, s2, v10
	s_waitcnt vmcnt(0)
	v_cmp_ne_u32_e32 vcc, v2, v12
	v_cmp_eq_u32_e64 s[2:3], v2, v12
	s_and_saveexec_b64 s[14:15], s[2:3]
	s_cbranch_execz .LBB408_10
; %bb.12:                               ;   in Loop: Header=BB408_11 Depth=2
	scratch_load_dword v12, v11, off
	s_waitcnt vmcnt(0)
	v_add_f32_e32 v3, v3, v12
	global_store_dword v[8:9], v2, off offset:4
	s_branch .LBB408_10
.LBB408_13:                             ;   in Loop: Header=BB408_5 Depth=1
	s_or_b64 exec, exec, s[10:11]
	global_load_dword v2, v[6:7], off offset:8
	v_mov_b32_e32 v11, 0
	s_mov_b32 s13, 0
	s_mov_b64 s[10:11], 0
	s_mov_b32 s16, 0
	s_branch .LBB408_15
.LBB408_14:                             ;   in Loop: Header=BB408_15 Depth=2
	s_or_b64 exec, exec, s[14:15]
	s_add_i32 s17, s16, 1
	s_cmp_gt_u32 s16, 4
	s_cselect_b64 s[2:3], -1, 0
	s_xor_b64 s[14:15], vcc, -1
	s_or_b64 s[2:3], s[14:15], s[2:3]
	s_add_i32 s13, s13, 64
	s_and_b64 s[2:3], exec, s[2:3]
	v_add_u32_e32 v11, 4, v11
	s_or_b64 s[10:11], s[2:3], s[10:11]
	s_mov_b32 s16, s17
	s_andn2_b64 exec, exec, s[10:11]
	s_cbranch_execz .LBB408_17
.LBB408_15:                             ;   Parent Loop BB408_5 Depth=1
                                        ; =>  This Inner Loop Header: Depth=2
	s_and_b32 s2, s16, 1
	s_and_b32 s3, s13, 0x180
	s_or_b32 s2, s2, s3
	v_or_b32_e32 v12, s2, v10
	s_waitcnt vmcnt(0)
	v_cmp_ne_u32_e32 vcc, v2, v12
	v_cmp_eq_u32_e64 s[2:3], v2, v12
	s_and_saveexec_b64 s[14:15], s[2:3]
	s_cbranch_execz .LBB408_14
; %bb.16:                               ;   in Loop: Header=BB408_15 Depth=2
	scratch_load_dword v12, v11, off
	s_waitcnt vmcnt(0)
	v_add_f32_e32 v3, v3, v12
	global_store_dword v[8:9], v2, off offset:8
	s_branch .LBB408_14
.LBB408_17:                             ;   in Loop: Header=BB408_5 Depth=1
	s_or_b64 exec, exec, s[10:11]
	global_load_dword v2, v[6:7], off offset:12
	v_mov_b32_e32 v6, 0
	s_mov_b32 s13, 0
	s_mov_b64 s[10:11], 0
	s_mov_b32 s16, 0
	s_branch .LBB408_19
.LBB408_18:                             ;   in Loop: Header=BB408_19 Depth=2
	s_or_b64 exec, exec, s[14:15]
	s_add_i32 s17, s16, 1
	s_cmp_gt_u32 s16, 4
	s_cselect_b64 s[2:3], -1, 0
	s_xor_b64 s[14:15], vcc, -1
	s_or_b64 s[2:3], s[14:15], s[2:3]
	s_add_i32 s13, s13, 64
	s_and_b64 s[2:3], exec, s[2:3]
	v_add_u32_e32 v6, 4, v6
	s_or_b64 s[10:11], s[2:3], s[10:11]
	s_mov_b32 s16, s17
	s_andn2_b64 exec, exec, s[10:11]
	s_cbranch_execz .LBB408_4
.LBB408_19:                             ;   Parent Loop BB408_5 Depth=1
                                        ; =>  This Inner Loop Header: Depth=2
	s_and_b32 s2, s16, 1
	s_and_b32 s3, s13, 0x180
	s_or_b32 s2, s2, s3
	v_or_b32_e32 v7, s2, v10
	s_waitcnt vmcnt(0)
	v_cmp_ne_u32_e32 vcc, v2, v7
	v_cmp_eq_u32_e64 s[2:3], v2, v7
	s_and_saveexec_b64 s[14:15], s[2:3]
	s_cbranch_execz .LBB408_18
; %bb.20:                               ;   in Loop: Header=BB408_19 Depth=2
	scratch_load_dword v7, v6, off
	s_waitcnt vmcnt(0)
	v_add_f32_e32 v3, v3, v7
	global_store_dword v[8:9], v2, off offset:12
	s_branch .LBB408_18
.LBB408_21:
	s_and_b32 s14, s24, 3
	s_cmp_eq_u32 s14, 0
	s_mov_b32 s13, 0
	s_cbranch_scc1 .LBB408_28
; %bb.22:
	s_mov_b32 s15, s13
	s_branch .LBB408_24
.LBB408_23:                             ;   in Loop: Header=BB408_24 Depth=1
	s_or_b64 exec, exec, s[8:9]
	s_add_i32 s12, s12, 1
	s_add_i32 s15, s15, 1
	s_cmp_lg_u32 s15, s14
	s_cbranch_scc0 .LBB408_28
.LBB408_24:                             ; =>This Loop Header: Depth=1
                                        ;     Child Loop BB408_26 Depth 2
	v_lshl_add_u64 v[6:7], s[12:13], 2, v[4:5]
	global_load_dword v1, v[6:7], off
	v_add_u32_e32 v6, s12, v0
	v_ashrrev_i32_e32 v7, 31, v6
	s_waitcnt lgkmcnt(0)
	v_lshl_add_u64 v[6:7], v[6:7], 2, s[6:7]
	v_mov_b32_e32 v2, 0
	s_mov_b32 s16, 0
	s_mov_b64 s[8:9], 0
	s_mov_b32 s17, 0
	s_branch .LBB408_26
.LBB408_25:                             ;   in Loop: Header=BB408_26 Depth=2
	s_or_b64 exec, exec, s[10:11]
	s_add_i32 s18, s17, 1
	s_cmp_gt_u32 s17, 4
	s_cselect_b64 s[2:3], -1, 0
	s_xor_b64 s[10:11], vcc, -1
	s_or_b64 s[2:3], s[10:11], s[2:3]
	s_add_i32 s16, s16, 64
	s_and_b64 s[2:3], exec, s[2:3]
	v_add_u32_e32 v2, 4, v2
	s_or_b64 s[8:9], s[2:3], s[8:9]
	s_mov_b32 s17, s18
	s_andn2_b64 exec, exec, s[8:9]
	s_cbranch_execz .LBB408_23
.LBB408_26:                             ;   Parent Loop BB408_24 Depth=1
                                        ; =>  This Inner Loop Header: Depth=2
	s_and_b32 s2, s17, 1
	s_and_b32 s3, s16, 0x180
	s_or_b32 s2, s2, s3
	v_or_b32_e32 v8, s2, v10
	s_waitcnt vmcnt(0)
	v_cmp_ne_u32_e32 vcc, v1, v8
	v_cmp_eq_u32_e64 s[2:3], v1, v8
	s_and_saveexec_b64 s[10:11], s[2:3]
	s_cbranch_execz .LBB408_25
; %bb.27:                               ;   in Loop: Header=BB408_26 Depth=2
	scratch_load_dword v8, v2, off
	s_waitcnt vmcnt(0)
	v_add_f32_e32 v3, v3, v8
	global_store_dword v[6:7], v1, off
	s_branch .LBB408_25
.LBB408_28:
	s_waitcnt lgkmcnt(0)
	s_load_dword s6, s[0:1], 0x3c
	s_waitcnt lgkmcnt(0)
	s_bitcmp1_b32 s6, 0
	s_cselect_b64 s[2:3], -1, 0
	s_bitcmp0_b32 s6, 0
	s_cbranch_scc0 .LBB408_32
; %bb.29:
	s_load_dwordx2 s[6:7], s[0:1], 0x40
	s_andn2_b64 vcc, exec, s[2:3]
	s_waitcnt lgkmcnt(0)
	v_cvt_f32_f64_e32 v8, s[6:7]
	s_cbranch_vccz .LBB408_33
.LBB408_30:
	s_andn2_b64 vcc, exec, s[4:5]
	s_cbranch_vccz .LBB408_34
.LBB408_31:
	s_endpgm
.LBB408_32:
	v_mbcnt_lo_u32_b32 v1, -1, 0
	v_mbcnt_hi_u32_b32 v1, -1, v1
	v_and_b32_e32 v2, 64, v1
	v_add_u32_e32 v2, 64, v2
	v_xor_b32_e32 v6, 32, v1
	v_cmp_lt_i32_e32 vcc, v6, v2
	v_xor_b32_e32 v7, 16, v1
	s_nop 0
	v_cndmask_b32_e32 v6, v1, v6, vcc
	v_lshlrev_b32_e32 v6, 2, v6
	ds_bpermute_b32 v6, v6, v3
	v_cmp_lt_i32_e32 vcc, v7, v2
	s_waitcnt lgkmcnt(0)
	v_add_f32_e32 v3, v3, v6
	v_cndmask_b32_e32 v6, v1, v7, vcc
	v_lshlrev_b32_e32 v6, 2, v6
	ds_bpermute_b32 v6, v6, v3
	v_xor_b32_e32 v7, 8, v1
	v_cmp_lt_i32_e32 vcc, v7, v2
	s_waitcnt lgkmcnt(0)
	v_add_f32_e32 v3, v3, v6
	v_cndmask_b32_e32 v6, v1, v7, vcc
	v_lshlrev_b32_e32 v6, 2, v6
	ds_bpermute_b32 v6, v6, v3
	v_xor_b32_e32 v7, 4, v1
	;; [unrolled: 7-line block ×4, first 2 shown]
	v_cmp_lt_i32_e32 vcc, v7, v2
	s_waitcnt lgkmcnt(0)
	v_add_f32_e32 v3, v3, v6
	v_cndmask_b32_e32 v1, v1, v7, vcc
	v_lshlrev_b32_e32 v1, 2, v1
	ds_bpermute_b32 v1, v1, v3
	s_waitcnt lgkmcnt(0)
	v_add_f32_e32 v3, v3, v1
	s_load_dwordx2 s[6:7], s[0:1], 0x40
	s_andn2_b64 vcc, exec, s[2:3]
	s_waitcnt lgkmcnt(0)
	v_cvt_f32_f64_e32 v8, s[6:7]
	s_cbranch_vccnz .LBB408_30
.LBB408_33:
	v_cmp_lt_f32_e32 vcc, 0, v3
	s_nop 1
	v_cndmask_b32_e32 v1, 1.0, v3, vcc
	v_div_scale_f32 v2, s[2:3], v1, v1, v8
	v_rcp_f32_e32 v3, v2
	s_nop 0
	v_fma_f32 v6, -v2, v3, 1.0
	v_fmac_f32_e32 v3, v6, v3
	v_div_scale_f32 v6, vcc, v8, v1, v8
	v_mul_f32_e32 v7, v6, v3
	v_fma_f32 v9, -v2, v7, v6
	v_fmac_f32_e32 v7, v9, v3
	v_fma_f32 v2, -v2, v7, v6
	v_div_fmas_f32 v2, v2, v3, v7
	v_div_fixup_f32 v8, v2, v1, v8
	s_andn2_b64 vcc, exec, s[4:5]
	s_cbranch_vccnz .LBB408_31
.LBB408_34:
	s_load_dwordx2 s[8:9], s[0:1], 0x10
	v_mov_b32_e32 v1, 0
	v_or_b32_e32 v16, 4, v1
	v_or_b32_e32 v14, 8, v1
	;; [unrolled: 1-line block ×3, first 2 shown]
	v_add_u32_e32 v9, 16, v1
	v_add_u32_e32 v11, 20, v1
	v_or_b32_e32 v19, 1, v10
	v_or_b32_e32 v18, 0x80, v10
	;; [unrolled: 1-line block ×5, first 2 shown]
	s_cmp_eq_u32 s24, 1
	s_mov_b32 s10, 0
	s_cbranch_scc1 .LBB408_61
; %bb.35:
	v_ashrrev_i32_e32 v1, 31, v0
	s_waitcnt lgkmcnt(0)
	v_lshl_add_u64 v[2:3], v[0:1], 2, s[8:9]
	s_and_b32 s10, s24, 0x7ffffffe
	v_lshl_add_u64 v[2:3], v[2:3], 0, 4
	v_lshl_add_u64 v[6:7], v[4:5], 0, 4
	s_mov_b32 s11, 0
	s_branch .LBB408_37
.LBB408_36:                             ;   in Loop: Header=BB408_37 Depth=1
	s_or_b64 exec, exec, s[0:1]
	s_add_i32 s11, s11, 2
	v_lshl_add_u64 v[2:3], v[2:3], 0, 8
	s_cmp_eq_u32 s10, s11
	v_lshl_add_u64 v[6:7], v[6:7], 0, 8
	s_cbranch_scc1 .LBB408_61
.LBB408_37:                             ; =>This Inner Loop Header: Depth=1
	global_load_dword v20, v[6:7], off offset:-4
	v_mov_b32_e32 v1, 0
	s_waitcnt vmcnt(0)
	v_cmp_eq_u32_e32 vcc, v20, v10
	v_cmp_ne_u32_e64 s[0:1], v20, v10
	s_and_saveexec_b64 s[12:13], s[0:1]
	s_cbranch_execz .LBB408_47
; %bb.38:                               ;   in Loop: Header=BB408_37 Depth=1
	v_cmp_eq_u32_e64 s[0:1], v20, v19
	v_cmp_ne_u32_e64 s[2:3], v20, v19
	v_mov_b32_e32 v1, v16
	s_and_saveexec_b64 s[14:15], s[2:3]
	s_cbranch_execz .LBB408_46
; %bb.39:                               ;   in Loop: Header=BB408_37 Depth=1
	v_cmp_eq_u32_e64 s[2:3], v20, v18
	v_cmp_ne_u32_e64 s[4:5], v20, v18
	v_mov_b32_e32 v1, v14
	;; [unrolled: 6-line block ×4, first 2 shown]
	s_and_saveexec_b64 s[22:23], s[6:7]
	s_xor_b64 s[22:23], exec, s[22:23]
; %bb.42:                               ;   in Loop: Header=BB408_37 Depth=1
	v_cmp_eq_u32_e64 s[6:7], v20, v13
	s_andn2_b64 s[20:21], s[20:21], exec
	s_and_b64 s[6:7], s[6:7], exec
	s_or_b64 s[20:21], s[20:21], s[6:7]
	v_mov_b32_e32 v1, v11
; %bb.43:                               ;   in Loop: Header=BB408_37 Depth=1
	s_or_b64 exec, exec, s[22:23]
	s_andn2_b64 s[4:5], s[4:5], exec
	s_and_b64 s[6:7], s[20:21], exec
	s_or_b64 s[4:5], s[4:5], s[6:7]
.LBB408_44:                             ;   in Loop: Header=BB408_37 Depth=1
	s_or_b64 exec, exec, s[18:19]
	s_andn2_b64 s[2:3], s[2:3], exec
	s_and_b64 s[4:5], s[4:5], exec
	s_or_b64 s[2:3], s[2:3], s[4:5]
.LBB408_45:                             ;   in Loop: Header=BB408_37 Depth=1
	s_or_b64 exec, exec, s[16:17]
	s_andn2_b64 s[0:1], s[0:1], exec
	s_and_b64 s[2:3], s[2:3], exec
	s_or_b64 s[0:1], s[0:1], s[2:3]
.LBB408_46:                             ;   in Loop: Header=BB408_37 Depth=1
	s_or_b64 exec, exec, s[14:15]
	s_andn2_b64 s[2:3], vcc, exec
	s_and_b64 s[0:1], s[0:1], exec
	s_or_b64 vcc, s[2:3], s[0:1]
.LBB408_47:                             ;   in Loop: Header=BB408_37 Depth=1
	s_or_b64 exec, exec, s[12:13]
	s_and_saveexec_b64 s[0:1], vcc
	s_cbranch_execz .LBB408_49
; %bb.48:                               ;   in Loop: Header=BB408_37 Depth=1
	scratch_load_dword v1, v1, off
	v_add_u32_e32 v20, s11, v0
	v_ashrrev_i32_e32 v21, 31, v20
	v_lshl_add_u64 v[20:21], v[20:21], 2, s[8:9]
	s_waitcnt vmcnt(0)
	v_mul_f32_e32 v1, v8, v1
	global_store_dword v[20:21], v1, off
.LBB408_49:                             ;   in Loop: Header=BB408_37 Depth=1
	s_or_b64 exec, exec, s[0:1]
	global_load_dword v20, v[6:7], off
	v_mov_b32_e32 v1, 0
	s_waitcnt vmcnt(0)
	v_cmp_eq_u32_e64 s[4:5], v20, v10
	v_cmp_ne_u32_e32 vcc, v20, v10
	s_and_saveexec_b64 s[6:7], vcc
	s_cbranch_execz .LBB408_59
; %bb.50:                               ;   in Loop: Header=BB408_37 Depth=1
	v_cmp_eq_u32_e32 vcc, v20, v19
	v_cmp_ne_u32_e64 s[0:1], v20, v19
	v_mov_b32_e32 v1, v16
	s_and_saveexec_b64 s[12:13], s[0:1]
	s_cbranch_execz .LBB408_58
; %bb.51:                               ;   in Loop: Header=BB408_37 Depth=1
	v_cmp_eq_u32_e64 s[0:1], v20, v18
	v_cmp_ne_u32_e64 s[2:3], v20, v18
	v_mov_b32_e32 v1, v14
	s_and_saveexec_b64 s[14:15], s[2:3]
	s_cbranch_execz .LBB408_57
; %bb.52:                               ;   in Loop: Header=BB408_37 Depth=1
	v_cmp_eq_u32_e64 s[16:17], v20, v17
	;; [unrolled: 6-line block ×3, first 2 shown]
	v_cmp_ne_u32_e64 s[2:3], v20, v15
	v_mov_b32_e32 v1, v9
	s_and_saveexec_b64 s[22:23], s[2:3]
; %bb.54:                               ;   in Loop: Header=BB408_37 Depth=1
	v_cmp_eq_u32_e64 s[2:3], v20, v13
	s_andn2_b64 s[20:21], s[20:21], exec
	s_and_b64 s[2:3], s[2:3], exec
	s_or_b64 s[20:21], s[20:21], s[2:3]
	v_mov_b32_e32 v1, v11
; %bb.55:                               ;   in Loop: Header=BB408_37 Depth=1
	s_or_b64 exec, exec, s[22:23]
	s_andn2_b64 s[2:3], s[16:17], exec
	s_and_b64 s[16:17], s[20:21], exec
	s_or_b64 s[16:17], s[2:3], s[16:17]
.LBB408_56:                             ;   in Loop: Header=BB408_37 Depth=1
	s_or_b64 exec, exec, s[18:19]
	s_andn2_b64 s[0:1], s[0:1], exec
	s_and_b64 s[2:3], s[16:17], exec
	s_or_b64 s[0:1], s[0:1], s[2:3]
.LBB408_57:                             ;   in Loop: Header=BB408_37 Depth=1
	s_or_b64 exec, exec, s[14:15]
	s_andn2_b64 s[2:3], vcc, exec
	s_and_b64 s[0:1], s[0:1], exec
	s_or_b64 vcc, s[2:3], s[0:1]
.LBB408_58:                             ;   in Loop: Header=BB408_37 Depth=1
	s_or_b64 exec, exec, s[12:13]
	s_andn2_b64 s[0:1], s[4:5], exec
	s_and_b64 s[2:3], vcc, exec
	s_or_b64 s[4:5], s[0:1], s[2:3]
.LBB408_59:                             ;   in Loop: Header=BB408_37 Depth=1
	s_or_b64 exec, exec, s[6:7]
	s_and_saveexec_b64 s[0:1], s[4:5]
	s_cbranch_execz .LBB408_36
; %bb.60:                               ;   in Loop: Header=BB408_37 Depth=1
	scratch_load_dword v1, v1, off
	s_waitcnt vmcnt(0)
	v_mul_f32_e32 v1, v8, v1
	global_store_dword v[2:3], v1, off
	s_branch .LBB408_36
.LBB408_61:
	s_bitcmp0_b32 s24, 0
	s_mov_b32 s11, 0
	s_cbranch_scc1 .LBB408_31
; %bb.62:
	v_lshl_add_u64 v[2:3], s[10:11], 2, v[4:5]
	global_load_dword v1, v[2:3], off
	v_mov_b32_e32 v2, 0
	s_waitcnt vmcnt(0)
	v_cmp_eq_u32_e64 s[4:5], v1, v10
	v_cmp_ne_u32_e32 vcc, v1, v10
	s_and_saveexec_b64 s[6:7], vcc
	s_cbranch_execz .LBB408_72
; %bb.63:
	v_cmp_eq_u32_e32 vcc, v1, v19
	v_cmp_ne_u32_e64 s[0:1], v1, v19
	s_and_saveexec_b64 s[12:13], s[0:1]
	s_cbranch_execz .LBB408_71
; %bb.64:
	v_cmp_eq_u32_e64 s[0:1], v1, v18
	v_cmp_ne_u32_e64 s[2:3], v1, v18
	s_and_saveexec_b64 s[14:15], s[2:3]
	s_cbranch_execz .LBB408_70
; %bb.65:
	v_cmp_eq_u32_e64 s[16:17], v1, v17
	;; [unrolled: 5-line block ×3, first 2 shown]
	v_cmp_ne_u32_e64 s[2:3], v1, v15
	s_and_saveexec_b64 s[22:23], s[2:3]
; %bb.67:
	v_cmp_eq_u32_e64 s[2:3], v1, v13
	s_andn2_b64 s[20:21], s[20:21], exec
	s_and_b64 s[2:3], s[2:3], exec
	s_or_b64 s[20:21], s[20:21], s[2:3]
	v_mov_b32_e32 v9, v11
; %bb.68:
	s_or_b64 exec, exec, s[22:23]
	s_andn2_b64 s[2:3], s[16:17], exec
	s_and_b64 s[16:17], s[20:21], exec
	s_or_b64 s[16:17], s[2:3], s[16:17]
	v_mov_b32_e32 v12, v9
.LBB408_69:
	s_or_b64 exec, exec, s[18:19]
	s_andn2_b64 s[0:1], s[0:1], exec
	s_and_b64 s[2:3], s[16:17], exec
	s_or_b64 s[0:1], s[0:1], s[2:3]
	v_mov_b32_e32 v14, v12
.LBB408_70:
	s_or_b64 exec, exec, s[14:15]
	s_andn2_b64 s[2:3], vcc, exec
	s_and_b64 s[0:1], s[0:1], exec
	s_or_b64 vcc, s[2:3], s[0:1]
	v_mov_b32_e32 v16, v14
.LBB408_71:
	s_or_b64 exec, exec, s[12:13]
	s_andn2_b64 s[0:1], s[4:5], exec
	s_and_b64 s[2:3], vcc, exec
	s_or_b64 s[4:5], s[0:1], s[2:3]
	v_mov_b32_e32 v2, v16
.LBB408_72:
	s_or_b64 exec, exec, s[6:7]
	s_and_b64 exec, exec, s[4:5]
	s_cbranch_execz .LBB408_31
; %bb.73:
	scratch_load_dword v2, v2, off
	v_add_u32_e32 v0, s10, v0
	v_ashrrev_i32_e32 v1, 31, v0
	s_waitcnt lgkmcnt(0)
	v_lshl_add_u64 v[0:1], v[0:1], 2, s[8:9]
	s_waitcnt vmcnt(0)
	v_mul_f32_e32 v2, v8, v2
	global_store_dword v[0:1], v2, off
	s_endpgm
	.section	.rodata,"a",@progbits
	.p2align	6, 0x0
	.amdhsa_kernel _ZN4vllm3moe22topkGatingSoftplusSqrtILi6ELi384ELi4ELi4ELi64ELb1Ei14__hip_bfloat16EEvPKT6_PKbPfiPT5_PiiiibdPKfPKS9_SF_
		.amdhsa_group_segment_fixed_size 0
		.amdhsa_private_segment_fixed_size 32
		.amdhsa_kernarg_size 96
		.amdhsa_user_sgpr_count 2
		.amdhsa_user_sgpr_dispatch_ptr 0
		.amdhsa_user_sgpr_queue_ptr 0
		.amdhsa_user_sgpr_kernarg_segment_ptr 1
		.amdhsa_user_sgpr_dispatch_id 0
		.amdhsa_user_sgpr_kernarg_preload_length 0
		.amdhsa_user_sgpr_kernarg_preload_offset 0
		.amdhsa_user_sgpr_private_segment_size 0
		.amdhsa_uses_dynamic_stack 0
		.amdhsa_enable_private_segment 1
		.amdhsa_system_sgpr_workgroup_id_x 1
		.amdhsa_system_sgpr_workgroup_id_y 0
		.amdhsa_system_sgpr_workgroup_id_z 0
		.amdhsa_system_sgpr_workgroup_info 0
		.amdhsa_system_vgpr_workitem_id 1
		.amdhsa_next_free_vgpr 27
		.amdhsa_next_free_sgpr 25
		.amdhsa_accum_offset 28
		.amdhsa_reserve_vcc 1
		.amdhsa_float_round_mode_32 0
		.amdhsa_float_round_mode_16_64 0
		.amdhsa_float_denorm_mode_32 3
		.amdhsa_float_denorm_mode_16_64 3
		.amdhsa_dx10_clamp 1
		.amdhsa_ieee_mode 1
		.amdhsa_fp16_overflow 0
		.amdhsa_tg_split 0
		.amdhsa_exception_fp_ieee_invalid_op 0
		.amdhsa_exception_fp_denorm_src 0
		.amdhsa_exception_fp_ieee_div_zero 0
		.amdhsa_exception_fp_ieee_overflow 0
		.amdhsa_exception_fp_ieee_underflow 0
		.amdhsa_exception_fp_ieee_inexact 0
		.amdhsa_exception_int_div_zero 0
	.end_amdhsa_kernel
	.section	.text._ZN4vllm3moe22topkGatingSoftplusSqrtILi6ELi384ELi4ELi4ELi64ELb1Ei14__hip_bfloat16EEvPKT6_PKbPfiPT5_PiiiibdPKfPKS9_SF_,"axG",@progbits,_ZN4vllm3moe22topkGatingSoftplusSqrtILi6ELi384ELi4ELi4ELi64ELb1Ei14__hip_bfloat16EEvPKT6_PKbPfiPT5_PiiiibdPKfPKS9_SF_,comdat
.Lfunc_end408:
	.size	_ZN4vllm3moe22topkGatingSoftplusSqrtILi6ELi384ELi4ELi4ELi64ELb1Ei14__hip_bfloat16EEvPKT6_PKbPfiPT5_PiiiibdPKfPKS9_SF_, .Lfunc_end408-_ZN4vllm3moe22topkGatingSoftplusSqrtILi6ELi384ELi4ELi4ELi64ELb1Ei14__hip_bfloat16EEvPKT6_PKbPfiPT5_PiiiibdPKfPKS9_SF_
                                        ; -- End function
	.section	.AMDGPU.csdata,"",@progbits
; Kernel info:
; codeLenInByte = 4024
; NumSgprs: 31
; NumVgprs: 27
; NumAgprs: 0
; TotalNumVgprs: 27
; ScratchSize: 32
; MemoryBound: 0
; FloatMode: 240
; IeeeMode: 1
; LDSByteSize: 0 bytes/workgroup (compile time only)
; SGPRBlocks: 3
; VGPRBlocks: 3
; NumSGPRsForWavesPerEU: 31
; NumVGPRsForWavesPerEU: 27
; AccumOffset: 28
; Occupancy: 8
; WaveLimiterHint : 1
; COMPUTE_PGM_RSRC2:SCRATCH_EN: 1
; COMPUTE_PGM_RSRC2:USER_SGPR: 2
; COMPUTE_PGM_RSRC2:TRAP_HANDLER: 0
; COMPUTE_PGM_RSRC2:TGID_X_EN: 1
; COMPUTE_PGM_RSRC2:TGID_Y_EN: 0
; COMPUTE_PGM_RSRC2:TGID_Z_EN: 0
; COMPUTE_PGM_RSRC2:TIDIG_COMP_CNT: 1
; COMPUTE_PGM_RSRC3_GFX90A:ACCUM_OFFSET: 6
; COMPUTE_PGM_RSRC3_GFX90A:TG_SPLIT: 0
	.section	.text._ZN4vllm3moe22topkGatingSoftplusSqrtILi6ELi384ELi4ELi4ELi64ELb0Ei14__hip_bfloat16EEvPKT6_PKbPfiPT5_PiiiibdPKfPKS9_SF_,"axG",@progbits,_ZN4vllm3moe22topkGatingSoftplusSqrtILi6ELi384ELi4ELi4ELi64ELb0Ei14__hip_bfloat16EEvPKT6_PKbPfiPT5_PiiiibdPKfPKS9_SF_,comdat
	.protected	_ZN4vllm3moe22topkGatingSoftplusSqrtILi6ELi384ELi4ELi4ELi64ELb0Ei14__hip_bfloat16EEvPKT6_PKbPfiPT5_PiiiibdPKfPKS9_SF_ ; -- Begin function _ZN4vllm3moe22topkGatingSoftplusSqrtILi6ELi384ELi4ELi4ELi64ELb0Ei14__hip_bfloat16EEvPKT6_PKbPfiPT5_PiiiibdPKfPKS9_SF_
	.globl	_ZN4vllm3moe22topkGatingSoftplusSqrtILi6ELi384ELi4ELi4ELi64ELb0Ei14__hip_bfloat16EEvPKT6_PKbPfiPT5_PiiiibdPKfPKS9_SF_
	.p2align	8
	.type	_ZN4vllm3moe22topkGatingSoftplusSqrtILi6ELi384ELi4ELi4ELi64ELb0Ei14__hip_bfloat16EEvPKT6_PKbPfiPT5_PiiiibdPKfPKS9_SF_,@function
_ZN4vllm3moe22topkGatingSoftplusSqrtILi6ELi384ELi4ELi4ELi64ELb0Ei14__hip_bfloat16EEvPKT6_PKbPfiPT5_PiiiibdPKfPKS9_SF_: ; @_ZN4vllm3moe22topkGatingSoftplusSqrtILi6ELi384ELi4ELi4ELi64ELb0Ei14__hip_bfloat16EEvPKT6_PKbPfiPT5_PiiiibdPKfPKS9_SF_
; %bb.0:
	s_load_dword s30, s[0:1], 0x18
	v_and_b32_e32 v1, 0x3ff, v0
	s_lshl_b32 s2, s2, 2
	v_lshrrev_b32_e32 v2, 6, v1
	v_bfe_u32 v0, v0, 10, 10
	v_add3_u32 v6, s2, v0, v2
	s_waitcnt lgkmcnt(0)
	v_cmp_gt_i32_e32 vcc, s30, v6
	s_and_saveexec_b64 s[2:3], vcc
	s_cbranch_execz .LBB409_65
; %bb.1:
	s_load_dwordx4 s[4:7], s[0:1], 0x0
	s_load_dwordx2 s[20:21], s[0:1], 0x10
	s_waitcnt lgkmcnt(0)
	s_cmp_eq_u64 s[6:7], 0
	s_cbranch_scc1 .LBB409_3
; %bb.2:
	v_ashrrev_i32_e32 v7, 31, v6
	v_lshl_add_u64 v[2:3], s[6:7], 0, v[6:7]
	global_load_ubyte v0, v[2:3], off
	s_waitcnt vmcnt(0)
	v_and_b32_e32 v0, 1, v0
	v_cmp_eq_u32_e32 vcc, 1, v0
	s_xor_b64 s[2:3], vcc, -1
	s_orn2_b64 s[22:23], s[2:3], exec
	s_branch .LBB409_4
.LBB409_3:
	s_mov_b64 s[22:23], -1
.LBB409_4:
	s_movk_i32 s2, 0x180
	v_mul_lo_u32 v4, v6, s2
	v_mov_b32_e32 v2, s4
	v_mov_b32_e32 v3, s5
	v_ashrrev_i32_e32 v5, 31, v4
	v_and_b32_e32 v7, 63, v1
	v_lshl_add_u64 v[2:3], v[4:5], 1, v[2:3]
	v_mov_b32_e32 v1, 0
	v_lshlrev_b32_e32 v0, 2, v7
	v_lshl_add_u64 v[0:1], v[2:3], 0, v[0:1]
	global_load_dword v2, v[0:1], off
	global_load_dword v3, v[0:1], off offset:256
	global_load_dword v5, v[0:1], off offset:512
	s_mov_b32 s16, 0x800000
	v_mov_b32_e32 v4, 0x4f800000
	s_mov_b32 s13, 0x3f317217
	s_mov_b32 s14, 0x7f800000
	v_mov_b32_e32 v9, 0x41b17218
	s_mov_b32 s12, 0x41a00000
	s_mov_b32 s15, 0xf800000
	s_load_dwordx4 s[8:11], s[0:1], 0x40
	s_waitcnt lgkmcnt(0)
	s_cmp_lg_u64 s[10:11], 0
	s_cselect_b64 s[6:7], -1, 0
	s_and_b64 s[2:3], exec, s[6:7]
	s_waitcnt vmcnt(2)
	v_lshlrev_b32_e32 v0, 16, v2
	v_mul_f32_e32 v1, 0x3fb8aa3b, v0
	v_exp_f32_e32 v8, v1
	v_mov_b32_e32 v1, 0x260
	v_add_f32_e32 v8, 1.0, v8
	v_cmp_gt_f32_e32 vcc, s16, v8
	s_nop 1
	v_cndmask_b32_e32 v10, 1.0, v4, vcc
	v_mul_f32_e32 v8, v8, v10
	v_log_f32_e32 v11, v8
	v_cndmask_b32_e32 v12, 0, v9, vcc
	v_lshlrev_b32_e32 v10, 1, v7
	v_lshlrev_b32_e32 v8, 2, v10
	v_mul_f32_e32 v13, 0x3f317217, v11
	v_fma_f32 v13, v11, s13, -v13
	v_fmac_f32_e32 v13, 0x3377d1cf, v11
	v_fmac_f32_e32 v13, 0x3f317217, v11
	v_cmp_lt_f32_e64 vcc, |v11|, s14
	s_nop 1
	v_cndmask_b32_e32 v11, v11, v13, vcc
	v_sub_f32_e32 v11, v11, v12
	v_cmp_lt_f32_e32 vcc, s12, v0
	s_nop 1
	v_cndmask_b32_e32 v0, v11, v0, vcc
	v_mul_f32_e32 v11, 0x4f800000, v0
	v_cmp_gt_f32_e32 vcc, s15, v0
	s_nop 1
	v_cndmask_b32_e32 v0, v0, v11, vcc
	v_sqrt_f32_e32 v11, v0
	s_nop 0
	v_add_u32_e32 v12, -1, v11
	v_add_u32_e32 v13, 1, v11
	v_fma_f32 v14, -v12, v11, v0
	v_fma_f32 v15, -v13, v11, v0
	v_cmp_ge_f32_e64 s[4:5], 0, v14
	s_nop 1
	v_cndmask_b32_e64 v11, v11, v12, s[4:5]
	v_cmp_lt_f32_e64 s[4:5], 0, v15
	s_nop 1
	v_cndmask_b32_e64 v11, v11, v13, s[4:5]
	v_mul_f32_e32 v12, 0x37800000, v11
	v_cndmask_b32_e32 v11, v11, v12, vcc
	v_cmp_class_f32_e32 vcc, v0, v1
	s_nop 1
	v_cndmask_b32_e32 v0, v11, v0, vcc
	s_mov_b64 vcc, s[2:3]
	s_cbranch_vccz .LBB409_6
; %bb.5:
	global_load_dword v11, v8, s[10:11]
	s_waitcnt vmcnt(0)
	v_add_f32_e32 v0, v0, v11
.LBB409_6:
	v_and_b32_e32 v2, 0xffff0000, v2
	v_mul_f32_e32 v11, 0x3fb8aa3b, v2
	v_exp_f32_e32 v11, v11
	s_nop 0
	v_add_f32_e32 v11, 1.0, v11
	v_cmp_gt_f32_e32 vcc, s16, v11
	s_nop 1
	v_cndmask_b32_e32 v4, 1.0, v4, vcc
	v_mul_f32_e32 v4, v11, v4
	v_log_f32_e32 v4, v4
	v_cndmask_b32_e32 v9, 0, v9, vcc
	v_mul_f32_e32 v11, 0x3f317217, v4
	v_fma_f32 v11, v4, s13, -v11
	v_fmac_f32_e32 v11, 0x3377d1cf, v4
	v_fmac_f32_e32 v11, 0x3f317217, v4
	v_cmp_lt_f32_e64 vcc, |v4|, s14
	s_nop 1
	v_cndmask_b32_e32 v4, v4, v11, vcc
	v_sub_f32_e32 v4, v4, v9
	v_cmp_lt_f32_e32 vcc, s12, v2
	s_nop 1
	v_cndmask_b32_e32 v2, v4, v2, vcc
	v_mul_f32_e32 v4, 0x4f800000, v2
	v_cmp_gt_f32_e32 vcc, s15, v2
	s_nop 1
	v_cndmask_b32_e32 v2, v2, v4, vcc
	v_sqrt_f32_e32 v4, v2
	v_cmp_class_f32_e64 s[4:5], v2, v1
	v_add_u32_e32 v9, -1, v4
	v_add_u32_e32 v11, 1, v4
	v_fma_f32 v12, -v9, v4, v2
	v_fma_f32 v13, -v11, v4, v2
	v_cmp_ge_f32_e64 s[2:3], 0, v12
	s_nop 1
	v_cndmask_b32_e64 v4, v4, v9, s[2:3]
	v_cmp_lt_f32_e64 s[2:3], 0, v13
	s_nop 1
	v_cndmask_b32_e64 v4, v4, v11, s[2:3]
	v_mul_f32_e32 v9, 0x37800000, v4
	v_cndmask_b32_e32 v4, v4, v9, vcc
	v_cndmask_b32_e64 v9, 0, 1, s[6:7]
	v_cmp_ne_u32_e64 s[2:3], 1, v9
	s_andn2_b64 vcc, exec, s[6:7]
	v_cndmask_b32_e64 v1, v4, v2, s[4:5]
	s_cbranch_vccnz .LBB409_8
; %bb.7:
	global_load_dword v2, v8, s[10:11] offset:4
	s_waitcnt vmcnt(0)
	v_add_f32_e32 v1, v1, v2
.LBB409_8:
	s_waitcnt vmcnt(1)
	v_lshlrev_b32_e32 v2, 16, v3
	v_mul_f32_e32 v4, 0x3fb8aa3b, v2
	v_exp_f32_e32 v4, v4
	s_mov_b32 s14, 0x800000
	v_mov_b32_e32 v9, 0x4f800000
	s_mov_b32 s7, 0x3f317217
	v_add_f32_e32 v4, 1.0, v4
	v_cmp_gt_f32_e32 vcc, s14, v4
	s_mov_b32 s12, 0x7f800000
	s_mov_b32 s6, 0x41a00000
	v_cndmask_b32_e32 v11, 1.0, v9, vcc
	v_mul_f32_e32 v4, v4, v11
	v_log_f32_e32 v4, v4
	s_mov_b32 s13, 0xf800000
	v_mul_f32_e32 v11, 0x3f317217, v4
	v_fma_f32 v11, v4, s7, -v11
	v_fmac_f32_e32 v11, 0x3377d1cf, v4
	v_fmac_f32_e32 v11, 0x3f317217, v4
	v_cmp_lt_f32_e64 s[4:5], |v4|, s12
	s_nop 1
	v_cndmask_b32_e64 v4, v4, v11, s[4:5]
	v_mov_b32_e32 v11, 0x41b17218
	v_cndmask_b32_e32 v12, 0, v11, vcc
	v_sub_f32_e32 v4, v4, v12
	v_cmp_lt_f32_e32 vcc, s6, v2
	s_nop 1
	v_cndmask_b32_e32 v2, v4, v2, vcc
	v_mul_f32_e32 v4, 0x4f800000, v2
	v_cmp_gt_f32_e32 vcc, s13, v2
	s_nop 1
	v_cndmask_b32_e32 v2, v2, v4, vcc
	v_sqrt_f32_e32 v4, v2
	s_nop 0
	v_add_u32_e32 v12, -1, v4
	v_fma_f32 v13, -v12, v4, v2
	v_cmp_ge_f32_e64 s[4:5], 0, v13
	v_add_u32_e32 v13, 1, v4
	s_nop 0
	v_cndmask_b32_e64 v12, v4, v12, s[4:5]
	v_fma_f32 v4, -v13, v4, v2
	v_cmp_lt_f32_e64 s[4:5], 0, v4
	s_nop 1
	v_cndmask_b32_e64 v4, v12, v13, s[4:5]
	v_mul_f32_e32 v12, 0x37800000, v4
	v_cndmask_b32_e32 v12, v4, v12, vcc
	v_mov_b32_e32 v4, 0x260
	v_cmp_class_f32_e64 s[4:5], v2, v4
	s_and_b64 vcc, exec, s[2:3]
	s_nop 0
	v_cndmask_b32_e64 v2, v12, v2, s[4:5]
	s_cbranch_vccnz .LBB409_10
; %bb.9:
	global_load_dword v12, v8, s[10:11] offset:512
	s_waitcnt vmcnt(0)
	v_add_f32_e32 v2, v2, v12
.LBB409_10:
	v_and_b32_e32 v3, 0xffff0000, v3
	v_mul_f32_e32 v12, 0x3fb8aa3b, v3
	v_exp_f32_e32 v12, v12
	s_nop 0
	v_add_f32_e32 v12, 1.0, v12
	v_cmp_gt_f32_e32 vcc, s14, v12
	s_nop 1
	v_cndmask_b32_e32 v9, 1.0, v9, vcc
	v_mul_f32_e32 v9, v12, v9
	v_log_f32_e32 v9, v9
	v_cndmask_b32_e32 v11, 0, v11, vcc
	v_mul_f32_e32 v12, 0x3f317217, v9
	v_fma_f32 v12, v9, s7, -v12
	v_fmac_f32_e32 v12, 0x3377d1cf, v9
	v_fmac_f32_e32 v12, 0x3f317217, v9
	v_cmp_lt_f32_e64 vcc, |v9|, s12
	s_nop 1
	v_cndmask_b32_e32 v9, v9, v12, vcc
	v_sub_f32_e32 v9, v9, v11
	v_cmp_lt_f32_e32 vcc, s6, v3
	s_nop 1
	v_cndmask_b32_e32 v3, v9, v3, vcc
	v_mul_f32_e32 v9, 0x4f800000, v3
	v_cmp_gt_f32_e32 vcc, s13, v3
	s_nop 1
	v_cndmask_b32_e32 v3, v3, v9, vcc
	v_sqrt_f32_e32 v9, v3
	s_nop 0
	v_add_u32_e32 v11, -1, v9
	v_add_u32_e32 v12, 1, v9
	v_fma_f32 v13, -v11, v9, v3
	v_fma_f32 v14, -v12, v9, v3
	v_cmp_ge_f32_e64 s[4:5], 0, v13
	s_nop 1
	v_cndmask_b32_e64 v9, v9, v11, s[4:5]
	v_cmp_lt_f32_e64 s[4:5], 0, v14
	s_nop 1
	v_cndmask_b32_e64 v9, v9, v12, s[4:5]
	v_mul_f32_e32 v11, 0x37800000, v9
	v_cndmask_b32_e32 v9, v9, v11, vcc
	v_cmp_class_f32_e64 s[4:5], v3, v4
	s_and_b64 vcc, exec, s[2:3]
	s_nop 0
	v_cndmask_b32_e64 v3, v9, v3, s[4:5]
	s_cbranch_vccnz .LBB409_12
; %bb.11:
	global_load_dword v4, v8, s[10:11] offset:516
	s_waitcnt vmcnt(0)
	v_add_f32_e32 v3, v3, v4
.LBB409_12:
	s_waitcnt vmcnt(0)
	v_lshlrev_b32_e32 v4, 16, v5
	v_mul_f32_e32 v9, 0x3fb8aa3b, v4
	v_exp_f32_e32 v9, v9
	v_mov_b32_e32 v11, 0x4f800000
	v_add_f32_e32 v9, 1.0, v9
	v_cmp_gt_f32_e32 vcc, s14, v9
	s_nop 1
	v_cndmask_b32_e32 v12, 1.0, v11, vcc
	v_mul_f32_e32 v9, v9, v12
	v_log_f32_e32 v9, v9
	s_nop 0
	v_mul_f32_e32 v12, 0x3f317217, v9
	v_fma_f32 v12, v9, s7, -v12
	v_fmac_f32_e32 v12, 0x3377d1cf, v9
	v_fmac_f32_e32 v12, 0x3f317217, v9
	v_cmp_lt_f32_e64 s[4:5], |v9|, s12
	s_nop 1
	v_cndmask_b32_e64 v9, v9, v12, s[4:5]
	v_mov_b32_e32 v12, 0x41b17218
	v_cndmask_b32_e32 v13, 0, v12, vcc
	v_sub_f32_e32 v9, v9, v13
	v_cmp_lt_f32_e32 vcc, s6, v4
	s_nop 1
	v_cndmask_b32_e32 v4, v9, v4, vcc
	v_mul_f32_e32 v9, 0x4f800000, v4
	v_cmp_gt_f32_e32 vcc, s13, v4
	s_nop 1
	v_cndmask_b32_e32 v4, v4, v9, vcc
	v_sqrt_f32_e32 v9, v4
	s_nop 0
	v_add_u32_e32 v13, -1, v9
	v_fma_f32 v14, -v13, v9, v4
	v_cmp_ge_f32_e64 s[4:5], 0, v14
	v_add_u32_e32 v14, 1, v9
	s_nop 0
	v_cndmask_b32_e64 v13, v9, v13, s[4:5]
	v_fma_f32 v9, -v14, v9, v4
	v_cmp_lt_f32_e64 s[4:5], 0, v9
	s_nop 1
	v_cndmask_b32_e64 v9, v13, v14, s[4:5]
	v_mul_f32_e32 v13, 0x37800000, v9
	v_cndmask_b32_e32 v13, v9, v13, vcc
	v_mov_b32_e32 v9, 0x260
	v_cmp_class_f32_e64 s[4:5], v4, v9
	s_and_b64 vcc, exec, s[2:3]
	s_nop 0
	v_cndmask_b32_e64 v4, v13, v4, s[4:5]
	s_cbranch_vccnz .LBB409_14
; %bb.13:
	global_load_dword v13, v8, s[10:11] offset:1024
	s_waitcnt vmcnt(0)
	v_add_f32_e32 v4, v4, v13
.LBB409_14:
	v_and_b32_e32 v5, 0xffff0000, v5
	v_mul_f32_e32 v13, 0x3fb8aa3b, v5
	v_exp_f32_e32 v13, v13
	s_nop 0
	v_add_f32_e32 v13, 1.0, v13
	v_cmp_gt_f32_e32 vcc, s14, v13
	s_nop 1
	v_cndmask_b32_e32 v11, 1.0, v11, vcc
	v_mul_f32_e32 v11, v13, v11
	v_log_f32_e32 v11, v11
	v_cndmask_b32_e32 v12, 0, v12, vcc
	v_mul_f32_e32 v13, 0x3f317217, v11
	v_fma_f32 v13, v11, s7, -v13
	v_fmac_f32_e32 v13, 0x3377d1cf, v11
	v_fmac_f32_e32 v13, 0x3f317217, v11
	v_cmp_lt_f32_e64 vcc, |v11|, s12
	s_nop 1
	v_cndmask_b32_e32 v11, v11, v13, vcc
	v_sub_f32_e32 v11, v11, v12
	v_cmp_lt_f32_e32 vcc, s6, v5
	s_nop 1
	v_cndmask_b32_e32 v5, v11, v5, vcc
	v_mul_f32_e32 v11, 0x4f800000, v5
	v_cmp_gt_f32_e32 vcc, s13, v5
	s_nop 1
	v_cndmask_b32_e32 v5, v5, v11, vcc
	v_sqrt_f32_e32 v11, v5
	s_nop 0
	v_add_u32_e32 v12, -1, v11
	v_add_u32_e32 v13, 1, v11
	v_fma_f32 v14, -v12, v11, v5
	v_fma_f32 v15, -v13, v11, v5
	v_cmp_ge_f32_e64 s[4:5], 0, v14
	s_nop 1
	v_cndmask_b32_e64 v11, v11, v12, s[4:5]
	v_cmp_lt_f32_e64 s[4:5], 0, v15
	s_nop 1
	v_cndmask_b32_e64 v11, v11, v13, s[4:5]
	v_mul_f32_e32 v12, 0x37800000, v11
	v_cndmask_b32_e32 v11, v11, v12, vcc
	v_cmp_class_f32_e64 s[4:5], v5, v9
	s_and_b64 vcc, exec, s[2:3]
	s_nop 0
	v_cndmask_b32_e64 v5, v11, v5, s[4:5]
	s_cbranch_vccnz .LBB409_16
; %bb.15:
	global_load_dword v8, v8, s[10:11] offset:1028
	s_waitcnt vmcnt(0)
	v_add_f32_e32 v5, v5, v8
.LBB409_16:
	s_load_dwordx4 s[12:15], s[0:1], 0x30
	s_mov_b32 s31, 0
	v_cmp_eq_u32_e64 s[6:7], 0, v7
	s_waitcnt lgkmcnt(0)
	s_bitcmp1_b32 s15, 0
	s_cselect_b64 s[4:5], -1, 0
	s_cmp_gt_i32 s12, 0
	s_cselect_b64 s[24:25], -1, 0
	s_and_b64 vcc, exec, s[24:25]
	s_cbranch_vccz .LBB409_51
; %bb.17:
	v_mbcnt_lo_u32_b32 v8, -1, 0
	v_mbcnt_hi_u32_b32 v8, -1, v8
	v_and_b32_e32 v9, 64, v8
	v_add_u32_e32 v9, 64, v9
	v_xor_b32_e32 v11, 32, v8
	v_cmp_lt_i32_e32 vcc, v11, v9
	s_load_dwordx4 s[16:19], s[0:1], 0x20
	v_mul_lo_u32 v12, v6, s12
	v_cndmask_b32_e32 v11, v8, v11, vcc
	v_lshlrev_b32_e32 v13, 2, v11
	v_xor_b32_e32 v11, 16, v8
	v_cmp_lt_i32_e32 vcc, v11, v9
	v_mov_b32_e32 v19, 0x80
	v_mov_b32_e32 v20, 0x81
	v_cndmask_b32_e32 v11, v8, v11, vcc
	v_lshlrev_b32_e32 v14, 2, v11
	v_xor_b32_e32 v11, 8, v8
	v_cmp_lt_i32_e32 vcc, v11, v9
	v_mov_b32_e32 v21, 0x100
	v_mov_b32_e32 v22, 0x101
	;; [unrolled: 6-line block ×3, first 2 shown]
	v_cndmask_b32_e32 v11, v8, v11, vcc
	v_lshlrev_b32_e32 v16, 2, v11
	v_xor_b32_e32 v11, 2, v8
	v_cmp_lt_i32_e32 vcc, v11, v9
	v_mov_b32_e32 v25, v6
	s_nop 0
	v_cndmask_b32_e32 v11, v8, v11, vcc
	v_lshlrev_b32_e32 v17, 2, v11
	v_xor_b32_e32 v11, 1, v8
	v_cmp_lt_i32_e32 vcc, v11, v9
	s_nop 1
	v_cndmask_b32_e32 v8, v8, v11, vcc
	v_lshlrev_b32_e32 v18, 2, v8
	v_mov_b32_e32 v11, 0
	s_branch .LBB409_20
.LBB409_18:                             ;   in Loop: Header=BB409_20 Depth=1
	s_or_b64 exec, exec, s[0:1]
.LBB409_19:                             ;   in Loop: Header=BB409_20 Depth=1
	s_cmp_eq_u32 s12, s31
	v_add_u32_e32 v25, s30, v25
	s_cbranch_scc1 .LBB409_52
.LBB409_20:                             ; =>This Inner Loop Header: Depth=1
	v_cmp_gt_f32_e32 vcc, v1, v0
	s_nop 1
	v_cndmask_b32_e32 v9, v0, v1, vcc
	v_cndmask_b32_e64 v8, 0, 1, vcc
	v_cmp_gt_f32_e32 vcc, v2, v9
	s_nop 1
	v_cndmask_b32_e32 v9, v9, v2, vcc
	v_cndmask_b32_e32 v8, v8, v19, vcc
	v_cmp_gt_f32_e32 vcc, v3, v9
	s_nop 1
	v_cndmask_b32_e32 v9, v9, v3, vcc
	v_cndmask_b32_e32 v8, v8, v20, vcc
	;; [unrolled: 4-line block ×4, first 2 shown]
	ds_bpermute_b32 v9, v13, v26
	v_or_b32_e32 v8, v10, v8
	s_waitcnt lgkmcnt(0)
	ds_bpermute_b32 v27, v13, v8
	s_waitcnt lgkmcnt(0)
	v_cmp_lt_f32_e64 s[26:27], v26, v9
	v_cmp_nlt_f32_e32 vcc, v26, v9
	s_and_saveexec_b64 s[28:29], vcc
; %bb.21:                               ;   in Loop: Header=BB409_20 Depth=1
	v_cmp_eq_f32_e32 vcc, v26, v9
	v_cmp_lt_i32_e64 s[0:1], v27, v8
	s_and_b64 s[0:1], vcc, s[0:1]
	s_andn2_b64 s[26:27], s[26:27], exec
	s_and_b64 s[0:1], s[0:1], exec
	s_or_b64 s[26:27], s[26:27], s[0:1]
; %bb.22:                               ;   in Loop: Header=BB409_20 Depth=1
	s_or_b64 exec, exec, s[28:29]
	s_and_saveexec_b64 s[0:1], s[26:27]
; %bb.23:                               ;   in Loop: Header=BB409_20 Depth=1
	v_mov_b32_e32 v26, v9
	v_mov_b32_e32 v8, v27
; %bb.24:                               ;   in Loop: Header=BB409_20 Depth=1
	s_or_b64 exec, exec, s[0:1]
	ds_bpermute_b32 v9, v14, v26
	ds_bpermute_b32 v27, v14, v8
	s_waitcnt lgkmcnt(1)
	v_cmp_lt_f32_e64 s[26:27], v26, v9
	v_cmp_nlt_f32_e32 vcc, v26, v9
	s_and_saveexec_b64 s[28:29], vcc
	s_cbranch_execz .LBB409_26
; %bb.25:                               ;   in Loop: Header=BB409_20 Depth=1
	v_cmp_eq_f32_e32 vcc, v26, v9
	s_waitcnt lgkmcnt(0)
	v_cmp_lt_i32_e64 s[0:1], v27, v8
	s_and_b64 s[0:1], vcc, s[0:1]
	s_andn2_b64 s[26:27], s[26:27], exec
	s_and_b64 s[0:1], s[0:1], exec
	s_or_b64 s[26:27], s[26:27], s[0:1]
.LBB409_26:                             ;   in Loop: Header=BB409_20 Depth=1
	s_or_b64 exec, exec, s[28:29]
	s_and_saveexec_b64 s[0:1], s[26:27]
	s_cbranch_execz .LBB409_28
; %bb.27:                               ;   in Loop: Header=BB409_20 Depth=1
	v_mov_b32_e32 v26, v9
	s_waitcnt lgkmcnt(0)
	v_mov_b32_e32 v8, v27
.LBB409_28:                             ;   in Loop: Header=BB409_20 Depth=1
	s_or_b64 exec, exec, s[0:1]
	ds_bpermute_b32 v9, v15, v26
	s_waitcnt lgkmcnt(1)
	ds_bpermute_b32 v27, v15, v8
	s_waitcnt lgkmcnt(1)
	v_cmp_lt_f32_e64 s[26:27], v26, v9
	v_cmp_nlt_f32_e32 vcc, v26, v9
	s_and_saveexec_b64 s[28:29], vcc
	s_cbranch_execz .LBB409_30
; %bb.29:                               ;   in Loop: Header=BB409_20 Depth=1
	v_cmp_eq_f32_e32 vcc, v26, v9
	s_waitcnt lgkmcnt(0)
	v_cmp_lt_i32_e64 s[0:1], v27, v8
	s_and_b64 s[0:1], vcc, s[0:1]
	s_andn2_b64 s[26:27], s[26:27], exec
	s_and_b64 s[0:1], s[0:1], exec
	s_or_b64 s[26:27], s[26:27], s[0:1]
.LBB409_30:                             ;   in Loop: Header=BB409_20 Depth=1
	s_or_b64 exec, exec, s[28:29]
	s_and_saveexec_b64 s[0:1], s[26:27]
	s_cbranch_execz .LBB409_32
; %bb.31:                               ;   in Loop: Header=BB409_20 Depth=1
	v_mov_b32_e32 v26, v9
	s_waitcnt lgkmcnt(0)
	v_mov_b32_e32 v8, v27
.LBB409_32:                             ;   in Loop: Header=BB409_20 Depth=1
	s_or_b64 exec, exec, s[0:1]
	ds_bpermute_b32 v9, v16, v26
	s_waitcnt lgkmcnt(1)
	;; [unrolled: 26-line block ×4, first 2 shown]
	ds_bpermute_b32 v27, v18, v8
	s_waitcnt lgkmcnt(1)
	v_cmp_lt_f32_e64 s[26:27], v26, v9
	v_cmp_nlt_f32_e32 vcc, v26, v9
	s_and_saveexec_b64 s[28:29], vcc
	s_cbranch_execnz .LBB409_44
; %bb.41:                               ;   in Loop: Header=BB409_20 Depth=1
	s_or_b64 exec, exec, s[28:29]
	s_and_saveexec_b64 s[0:1], s[26:27]
	s_cbranch_execnz .LBB409_45
.LBB409_42:                             ;   in Loop: Header=BB409_20 Depth=1
	s_or_b64 exec, exec, s[0:1]
	s_and_saveexec_b64 s[26:27], s[6:7]
	s_cbranch_execnz .LBB409_46
.LBB409_43:                             ;   in Loop: Header=BB409_20 Depth=1
	s_or_b64 exec, exec, s[26:27]
	s_add_i32 s31, s31, 1
	s_cmp_ge_i32 s31, s12
	s_cbranch_scc1 .LBB409_19
	s_branch .LBB409_49
.LBB409_44:                             ;   in Loop: Header=BB409_20 Depth=1
	v_cmp_eq_f32_e32 vcc, v26, v9
	s_waitcnt lgkmcnt(0)
	v_cmp_lt_i32_e64 s[0:1], v27, v8
	s_and_b64 s[0:1], vcc, s[0:1]
	s_andn2_b64 s[26:27], s[26:27], exec
	s_and_b64 s[0:1], s[0:1], exec
	s_or_b64 s[26:27], s[26:27], s[0:1]
	s_or_b64 exec, exec, s[28:29]
	s_and_saveexec_b64 s[0:1], s[26:27]
	s_cbranch_execz .LBB409_42
.LBB409_45:                             ;   in Loop: Header=BB409_20 Depth=1
	s_waitcnt lgkmcnt(0)
	v_mov_b32_e32 v8, v27
	v_mov_b32_e32 v26, v9
	s_or_b64 exec, exec, s[0:1]
	s_and_saveexec_b64 s[26:27], s[6:7]
	s_cbranch_execz .LBB409_43
.LBB409_46:                             ;   in Loop: Header=BB409_20 Depth=1
	s_and_b64 vcc, exec, s[2:3]
	s_cbranch_vccnz .LBB409_48
; %bb.47:                               ;   in Loop: Header=BB409_20 Depth=1
	v_ashrrev_i32_e32 v9, 31, v8
	v_lshl_add_u64 v[28:29], v[8:9], 2, s[10:11]
	global_load_dword v9, v[28:29], off
	s_waitcnt vmcnt(0)
	v_sub_f32_e32 v26, v26, v9
.LBB409_48:                             ;   in Loop: Header=BB409_20 Depth=1
	v_add_u32_e32 v28, s31, v12
	v_cmp_le_i32_e32 vcc, s13, v8
	v_cmp_gt_i32_e64 s[0:1], s14, v8
	v_ashrrev_i32_e32 v29, 31, v28
	s_and_b64 s[0:1], vcc, s[0:1]
	v_lshlrev_b64 v[28:29], 2, v[28:29]
	v_lshl_add_u64 v[30:31], s[20:21], 0, v[28:29]
	v_subrev_u32_e32 v9, s13, v8
	s_and_b64 vcc, s[22:23], s[0:1]
	global_store_dword v[30:31], v26, off
	v_cndmask_b32_e32 v9, v23, v9, vcc
	v_lshl_add_u64 v[30:31], s[16:17], 0, v[28:29]
	global_store_dword v[30:31], v9, off
	v_add_f32_e32 v9, v11, v26
	v_lshl_add_u64 v[28:29], s[18:19], 0, v[28:29]
	v_cndmask_b32_e64 v11, v11, v9, s[4:5]
	global_store_dword v[28:29], v25, off
	s_or_b64 exec, exec, s[26:27]
	s_add_i32 s31, s31, 1
	s_cmp_ge_i32 s31, s12
	s_cbranch_scc1 .LBB409_19
.LBB409_49:                             ;   in Loop: Header=BB409_20 Depth=1
	v_lshrrev_b32_e32 v9, 31, v8
	v_add_u32_e32 v26, v8, v9
	v_ashrrev_i32_e32 v9, 1, v26
	v_ashrrev_i32_e32 v26, 31, v26
	v_lshrrev_b32_e32 v26, 26, v26
	v_add_u32_e32 v26, v9, v26
	v_and_b32_e32 v26, 0xffffffc0, v26
	v_sub_u32_e32 v26, v9, v26
	v_cmp_eq_u32_e32 vcc, v7, v26
	s_and_saveexec_b64 s[0:1], vcc
	s_cbranch_execz .LBB409_18
; %bb.50:                               ;   in Loop: Header=BB409_20 Depth=1
	v_ashrrev_i32_e32 v26, 31, v8
	v_lshrrev_b32_e32 v26, 25, v26
	v_add_u32_e32 v26, v8, v26
	v_lshlrev_b32_e32 v9, 1, v9
	v_ashrrev_i32_e32 v26, 7, v26
	v_sub_u32_e32 v8, v8, v9
	v_lshl_add_u32 v8, v26, 1, v8
	v_cmp_ne_u32_e32 vcc, 5, v8
	s_nop 1
	v_cndmask_b32_e32 v5, v24, v5, vcc
	v_cmp_ne_u32_e32 vcc, 4, v8
	s_nop 1
	v_cndmask_b32_e32 v4, v24, v4, vcc
	v_cmp_ne_u32_e32 vcc, 3, v8
	s_nop 1
	v_cndmask_b32_e32 v3, v24, v3, vcc
	v_cmp_ne_u32_e32 vcc, 2, v8
	s_nop 1
	v_cndmask_b32_e32 v2, v24, v2, vcc
	v_cmp_ne_u32_e32 vcc, 1, v8
	s_nop 1
	v_cndmask_b32_e32 v1, v24, v1, vcc
	v_cmp_ne_u32_e32 vcc, 0, v8
	s_nop 1
	v_cndmask_b32_e32 v0, v24, v0, vcc
	s_branch .LBB409_18
.LBB409_51:
	v_mov_b32_e32 v11, 0
.LBB409_52:
	v_cmp_eq_u32_e32 vcc, 0, v7
	s_and_b64 exec, exec, vcc
	s_cbranch_execz .LBB409_65
; %bb.53:
	s_andn2_b64 vcc, exec, s[4:5]
	v_cvt_f32_f64_e32 v0, s[8:9]
	s_cbranch_vccnz .LBB409_55
; %bb.54:
	v_cmp_lt_f32_e32 vcc, 0, v11
	s_nop 1
	v_cndmask_b32_e32 v1, 1.0, v11, vcc
	v_div_scale_f32 v2, s[0:1], v1, v1, v0
	v_rcp_f32_e32 v3, v2
	s_nop 0
	v_fma_f32 v4, -v2, v3, 1.0
	v_fmac_f32_e32 v3, v4, v3
	v_div_scale_f32 v4, vcc, v0, v1, v0
	v_mul_f32_e32 v5, v4, v3
	v_fma_f32 v7, -v2, v5, v4
	v_fmac_f32_e32 v5, v7, v3
	v_fma_f32 v2, -v2, v5, v4
	v_div_fmas_f32 v2, v2, v3, v5
	v_div_fixup_f32 v0, v2, v1, v0
.LBB409_55:
	s_andn2_b64 vcc, exec, s[24:25]
	s_cbranch_vccnz .LBB409_65
; %bb.56:
	v_mul_lo_u32 v2, v6, s12
	s_cmp_gt_u32 s12, 3
	v_ashrrev_i32_e32 v3, 31, v2
	s_cbranch_scc0 .LBB409_60
; %bb.57:
	s_and_b32 s0, s12, 0x7ffffffc
	v_lshl_add_u64 v[4:5], v[2:3], 2, s[20:21]
	v_mov_b32_e32 v1, v0
	v_lshl_add_u64 v[4:5], v[4:5], 0, 8
	s_mov_b32 s1, s0
.LBB409_58:                             ; =>This Inner Loop Header: Depth=1
	global_load_dwordx4 v[6:9], v[4:5], off offset:-8
	s_add_i32 s1, s1, -4
	s_cmp_lg_u32 s1, 0
	s_waitcnt vmcnt(0)
	v_pk_mul_f32 v[6:7], v[0:1], v[6:7]
	v_pk_mul_f32 v[8:9], v[0:1], v[8:9]
	global_store_dwordx4 v[4:5], v[6:9], off offset:-8
	v_lshl_add_u64 v[4:5], v[4:5], 0, 16
	s_cbranch_scc1 .LBB409_58
; %bb.59:
	s_cmp_lg_u32 s0, s12
	s_cselect_b64 s[2:3], -1, 0
	s_branch .LBB409_62
.LBB409_60:
	s_mov_b64 s[2:3], 0
                                        ; implicit-def: $sgpr0
	s_cbranch_execz .LBB409_62
; %bb.61:
	s_mov_b64 s[2:3], -1
	s_mov_b32 s0, 0
.LBB409_62:
	s_andn2_b64 vcc, exec, s[2:3]
	s_cbranch_vccnz .LBB409_65
; %bb.63:
	s_mov_b32 s1, 0
	v_lshl_add_u64 v[2:3], v[2:3], 0, s[0:1]
	s_sub_i32 s2, s12, s0
	v_lshl_add_u64 v[2:3], v[2:3], 2, s[20:21]
.LBB409_64:                             ; =>This Inner Loop Header: Depth=1
	global_load_dword v1, v[2:3], off
	s_add_i32 s2, s2, -1
	s_cmp_lg_u32 s2, 0
	s_waitcnt vmcnt(0)
	v_mul_f32_e32 v1, v0, v1
	global_store_dword v[2:3], v1, off
	v_lshl_add_u64 v[2:3], v[2:3], 0, 4
	s_cbranch_scc1 .LBB409_64
.LBB409_65:
	s_endpgm
	.section	.rodata,"a",@progbits
	.p2align	6, 0x0
	.amdhsa_kernel _ZN4vllm3moe22topkGatingSoftplusSqrtILi6ELi384ELi4ELi4ELi64ELb0Ei14__hip_bfloat16EEvPKT6_PKbPfiPT5_PiiiibdPKfPKS9_SF_
		.amdhsa_group_segment_fixed_size 0
		.amdhsa_private_segment_fixed_size 0
		.amdhsa_kernarg_size 96
		.amdhsa_user_sgpr_count 2
		.amdhsa_user_sgpr_dispatch_ptr 0
		.amdhsa_user_sgpr_queue_ptr 0
		.amdhsa_user_sgpr_kernarg_segment_ptr 1
		.amdhsa_user_sgpr_dispatch_id 0
		.amdhsa_user_sgpr_kernarg_preload_length 0
		.amdhsa_user_sgpr_kernarg_preload_offset 0
		.amdhsa_user_sgpr_private_segment_size 0
		.amdhsa_uses_dynamic_stack 0
		.amdhsa_enable_private_segment 0
		.amdhsa_system_sgpr_workgroup_id_x 1
		.amdhsa_system_sgpr_workgroup_id_y 0
		.amdhsa_system_sgpr_workgroup_id_z 0
		.amdhsa_system_sgpr_workgroup_info 0
		.amdhsa_system_vgpr_workitem_id 1
		.amdhsa_next_free_vgpr 32
		.amdhsa_next_free_sgpr 32
		.amdhsa_accum_offset 32
		.amdhsa_reserve_vcc 1
		.amdhsa_float_round_mode_32 0
		.amdhsa_float_round_mode_16_64 0
		.amdhsa_float_denorm_mode_32 3
		.amdhsa_float_denorm_mode_16_64 3
		.amdhsa_dx10_clamp 1
		.amdhsa_ieee_mode 1
		.amdhsa_fp16_overflow 0
		.amdhsa_tg_split 0
		.amdhsa_exception_fp_ieee_invalid_op 0
		.amdhsa_exception_fp_denorm_src 0
		.amdhsa_exception_fp_ieee_div_zero 0
		.amdhsa_exception_fp_ieee_overflow 0
		.amdhsa_exception_fp_ieee_underflow 0
		.amdhsa_exception_fp_ieee_inexact 0
		.amdhsa_exception_int_div_zero 0
	.end_amdhsa_kernel
	.section	.text._ZN4vllm3moe22topkGatingSoftplusSqrtILi6ELi384ELi4ELi4ELi64ELb0Ei14__hip_bfloat16EEvPKT6_PKbPfiPT5_PiiiibdPKfPKS9_SF_,"axG",@progbits,_ZN4vllm3moe22topkGatingSoftplusSqrtILi6ELi384ELi4ELi4ELi64ELb0Ei14__hip_bfloat16EEvPKT6_PKbPfiPT5_PiiiibdPKfPKS9_SF_,comdat
.Lfunc_end409:
	.size	_ZN4vllm3moe22topkGatingSoftplusSqrtILi6ELi384ELi4ELi4ELi64ELb0Ei14__hip_bfloat16EEvPKT6_PKbPfiPT5_PiiiibdPKfPKS9_SF_, .Lfunc_end409-_ZN4vllm3moe22topkGatingSoftplusSqrtILi6ELi384ELi4ELi4ELi64ELb0Ei14__hip_bfloat16EEvPKT6_PKbPfiPT5_PiiiibdPKfPKS9_SF_
                                        ; -- End function
	.section	.AMDGPU.csdata,"",@progbits
; Kernel info:
; codeLenInByte = 3636
; NumSgprs: 38
; NumVgprs: 32
; NumAgprs: 0
; TotalNumVgprs: 32
; ScratchSize: 0
; MemoryBound: 0
; FloatMode: 240
; IeeeMode: 1
; LDSByteSize: 0 bytes/workgroup (compile time only)
; SGPRBlocks: 4
; VGPRBlocks: 3
; NumSGPRsForWavesPerEU: 38
; NumVGPRsForWavesPerEU: 32
; AccumOffset: 32
; Occupancy: 8
; WaveLimiterHint : 1
; COMPUTE_PGM_RSRC2:SCRATCH_EN: 0
; COMPUTE_PGM_RSRC2:USER_SGPR: 2
; COMPUTE_PGM_RSRC2:TRAP_HANDLER: 0
; COMPUTE_PGM_RSRC2:TGID_X_EN: 1
; COMPUTE_PGM_RSRC2:TGID_Y_EN: 0
; COMPUTE_PGM_RSRC2:TGID_Z_EN: 0
; COMPUTE_PGM_RSRC2:TIDIG_COMP_CNT: 1
; COMPUTE_PGM_RSRC3_GFX90A:ACCUM_OFFSET: 7
; COMPUTE_PGM_RSRC3_GFX90A:TG_SPLIT: 0
	.section	.text._ZN4vllm3moe22topkGatingSoftplusSqrtILi12ELi384ELi4ELi4ELi32ELb1Ei14__hip_bfloat16EEvPKT6_PKbPfiPT5_PiiiibdPKfPKS9_SF_,"axG",@progbits,_ZN4vllm3moe22topkGatingSoftplusSqrtILi12ELi384ELi4ELi4ELi32ELb1Ei14__hip_bfloat16EEvPKT6_PKbPfiPT5_PiiiibdPKfPKS9_SF_,comdat
	.protected	_ZN4vllm3moe22topkGatingSoftplusSqrtILi12ELi384ELi4ELi4ELi32ELb1Ei14__hip_bfloat16EEvPKT6_PKbPfiPT5_PiiiibdPKfPKS9_SF_ ; -- Begin function _ZN4vllm3moe22topkGatingSoftplusSqrtILi12ELi384ELi4ELi4ELi32ELb1Ei14__hip_bfloat16EEvPKT6_PKbPfiPT5_PiiiibdPKfPKS9_SF_
	.globl	_ZN4vllm3moe22topkGatingSoftplusSqrtILi12ELi384ELi4ELi4ELi32ELb1Ei14__hip_bfloat16EEvPKT6_PKbPfiPT5_PiiiibdPKfPKS9_SF_
	.p2align	8
	.type	_ZN4vllm3moe22topkGatingSoftplusSqrtILi12ELi384ELi4ELi4ELi32ELb1Ei14__hip_bfloat16EEvPKT6_PKbPfiPT5_PiiiibdPKfPKS9_SF_,@function
_ZN4vllm3moe22topkGatingSoftplusSqrtILi12ELi384ELi4ELi4ELi32ELb1Ei14__hip_bfloat16EEvPKT6_PKbPfiPT5_PiiiibdPKfPKS9_SF_: ; @_ZN4vllm3moe22topkGatingSoftplusSqrtILi12ELi384ELi4ELi4ELi32ELb1Ei14__hip_bfloat16EEvPKT6_PKbPfiPT5_PiiiibdPKfPKS9_SF_
; %bb.0:
	s_load_dword s3, s[0:1], 0x18
	v_and_b32_e32 v1, 0x3ff, v0
	s_lshl_b32 s2, s2, 2
	v_lshrrev_b32_e32 v2, 5, v1
	v_bfe_u32 v0, v0, 10, 10
	v_add3_u32 v4, s2, v0, v2
	s_waitcnt lgkmcnt(0)
	v_cmp_gt_i32_e32 vcc, s3, v4
	s_and_saveexec_b64 s[2:3], vcc
	s_cbranch_execz .LBB410_59
; %bb.1:
	s_load_dwordx2 s[2:3], s[0:1], 0x0
	s_load_dword s33, s[0:1], 0x30
	s_movk_i32 s4, 0x180
	v_mul_lo_u32 v2, v4, s4
	v_lshlrev_b32_e32 v0, 1, v1
	v_ashrrev_i32_e32 v3, 31, v2
	v_and_b32_e32 v10, 62, v0
	s_waitcnt lgkmcnt(0)
	v_lshl_add_u64 v[2:3], v[2:3], 1, s[2:3]
	v_lshlrev_b32_e32 v0, 1, v10
	v_mov_b32_e32 v1, 0
	v_lshl_add_u64 v[2:3], v[2:3], 0, v[0:1]
	s_load_dwordx4 s[4:7], s[0:1], 0x50
	global_load_dword v6, v[2:3], off
	global_load_dword v7, v[2:3], off offset:128
	global_load_dword v9, v[2:3], off offset:256
	;; [unrolled: 1-line block ×5, first 2 shown]
	v_ashrrev_i32_e32 v5, 31, v4
	s_mov_b32 s13, 0x800000
	s_mov_b32 s11, 0x3f317217
	s_waitcnt lgkmcnt(0)
	v_mov_b32_e32 v2, s4
	v_mov_b32_e32 v3, s5
	v_lshl_add_u64 v[2:3], v[4:5], 2, v[2:3]
	global_load_dword v16, v[2:3], off
	v_mov_b32_e32 v5, 0x4f800000
	s_mov_b32 s12, 0x7f800000
	v_mov_b32_e32 v8, 0x41b17218
	s_mov_b32 s9, 0x41a00000
	s_mov_b32 s10, 0xf800000
	v_mov_b32_e32 v2, s6
	v_mov_b32_e32 v3, s7
	;; [unrolled: 1-line block ×3, first 2 shown]
	s_cmp_gt_i32 s33, 0
	s_mov_b32 s8, 0
	s_waitcnt vmcnt(6)
	v_and_b32_e32 v17, 0xffff0000, v6
	v_lshlrev_b32_e32 v18, 16, v6
	s_waitcnt vmcnt(5)
	v_and_b32_e32 v19, 0xffff0000, v7
	v_lshlrev_b32_e32 v20, 16, v7
	v_mul_f32_e32 v6, 0x3fb8aa3b, v18
	v_mul_f32_e32 v7, 0x3fb8aa3b, v17
	s_waitcnt vmcnt(2)
	v_and_b32_e32 v23, 0xffff0000, v12
	v_lshlrev_b32_e32 v24, 16, v12
	s_waitcnt vmcnt(1)
	v_and_b32_e32 v25, 0xffff0000, v13
	v_lshlrev_b32_e32 v26, 16, v13
	v_exp_f32_e32 v12, v6
	v_exp_f32_e32 v13, v7
	v_mul_f32_e32 v14, 0x3fb8aa3b, v20
	v_mul_f32_e32 v15, 0x3fb8aa3b, v19
	v_exp_f32_e32 v14, v14
	v_pk_add_f32 v[12:13], v[12:13], 1.0 op_sel_hi:[1,0]
	v_exp_f32_e32 v15, v15
	v_cmp_gt_f32_e32 vcc, s13, v13
	s_waitcnt vmcnt(0)
	v_mul_lo_u32 v6, v16, s33
	v_cmp_gt_f32_e64 s[2:3], s13, v12
	v_cndmask_b32_e32 v16, 1.0, v5, vcc
	v_mul_f32_e32 v13, v13, v16
	v_cndmask_b32_e64 v27, 1.0, v5, s[2:3]
	v_mul_f32_e32 v12, v12, v27
	v_log_f32_e32 v13, v13
	v_pk_add_f32 v[14:15], v[14:15], 1.0 op_sel_hi:[1,0]
	v_log_f32_e32 v12, v12
	v_cmp_gt_f32_e64 s[4:5], s13, v15
	v_cndmask_b32_e32 v16, 0, v8, vcc
	v_cmp_lt_f32_e64 vcc, |v13|, s12
	v_cndmask_b32_e64 v28, 1.0, v5, s[4:5]
	v_mul_f32_e32 v15, v15, v28
	v_mul_f32_e32 v28, 0x3f317217, v13
	;; [unrolled: 1-line block ×3, first 2 shown]
	v_fma_f32 v28, v13, s11, -v28
	v_fma_f32 v29, v12, s11, -v29
	v_fmac_f32_e32 v28, 0x3377d1cf, v13
	v_fmac_f32_e32 v29, 0x3377d1cf, v12
	;; [unrolled: 1-line block ×4, first 2 shown]
	v_cndmask_b32_e32 v13, v13, v28, vcc
	v_cmp_lt_f32_e64 vcc, |v12|, s12
	v_cndmask_b32_e64 v27, 0, v8, s[2:3]
	v_sub_f32_e32 v13, v13, v16
	v_cndmask_b32_e32 v12, v12, v29, vcc
	v_sub_f32_e32 v12, v12, v27
	v_cmp_lt_f32_e32 vcc, s9, v18
	v_log_f32_e32 v15, v15
	v_and_b32_e32 v21, 0xffff0000, v9
	v_cndmask_b32_e32 v12, v12, v18, vcc
	v_cmp_lt_f32_e32 vcc, s9, v17
	v_cmp_gt_f32_e64 s[2:3], s10, v12
	v_lshlrev_b32_e32 v9, 16, v9
	v_cndmask_b32_e32 v13, v13, v17, vcc
	v_mul_f32_e32 v16, 0x4f800000, v13
	v_cmp_gt_f32_e32 vcc, s10, v13
	v_mul_f32_e32 v17, 0x4f800000, v12
	v_cndmask_b32_e64 v12, v12, v17, s[2:3]
	v_cndmask_b32_e32 v13, v13, v16, vcc
	v_sqrt_f32_e32 v16, v13
	v_sqrt_f32_e32 v17, v12
	v_and_b32_e32 v22, 0xffff0000, v11
	v_lshlrev_b32_e32 v11, 16, v11
	v_add_u32_e32 v18, -1, v16
	v_add_u32_e32 v28, -1, v17
	v_fma_f32 v30, -v18, v16, v13
	v_add_u32_e32 v27, 1, v16
	v_fma_f32 v32, -v28, v17, v12
	v_cmp_ge_f32_e64 s[6:7], 0, v30
	v_add_u32_e32 v29, 1, v17
	v_fma_f32 v31, -v27, v16, v13
	v_cndmask_b32_e64 v16, v16, v18, s[6:7]
	v_cmp_ge_f32_e64 s[6:7], 0, v32
	v_fma_f32 v33, -v29, v17, v12
	v_ashrrev_i32_e32 v7, 31, v6
	v_cndmask_b32_e64 v17, v17, v28, s[6:7]
	v_cmp_lt_f32_e64 s[6:7], 0, v31
	v_lshl_add_u64 v[2:3], v[6:7], 2, v[2:3]
	s_nop 0
	v_cndmask_b32_e64 v16, v16, v27, s[6:7]
	v_cmp_lt_f32_e64 s[6:7], 0, v33
	v_mul_f32_e32 v18, 0x37800000, v16
	v_cndmask_b32_e32 v16, v16, v18, vcc
	v_cndmask_b32_e64 v17, v17, v29, s[6:7]
	v_mul_f32_e32 v27, 0x37800000, v17
	v_cmp_class_f32_e32 vcc, v13, v0
	v_cndmask_b32_e64 v17, v17, v27, s[2:3]
	v_cmp_lt_f32_e64 s[2:3], |v15|, s12
	v_cndmask_b32_e32 v13, v16, v13, vcc
	v_cmp_class_f32_e32 vcc, v12, v0
	v_mul_f32_e32 v16, 0x3f317217, v15
	v_fma_f32 v16, v15, s11, -v16
	v_cndmask_b32_e32 v12, v17, v12, vcc
	v_cmp_gt_f32_e32 vcc, s13, v14
	v_fmac_f32_e32 v16, 0x3377d1cf, v15
	v_fmac_f32_e32 v16, 0x3f317217, v15
	v_cndmask_b32_e32 v17, 1.0, v5, vcc
	v_mul_f32_e32 v14, v14, v17
	v_log_f32_e32 v14, v14
	v_cndmask_b32_e64 v15, v15, v16, s[2:3]
	v_cndmask_b32_e64 v16, 0, v8, s[4:5]
	v_sub_f32_e32 v15, v15, v16
	v_mul_f32_e32 v16, 0x3f317217, v14
	v_fma_f32 v16, v14, s11, -v16
	v_fmac_f32_e32 v16, 0x3377d1cf, v14
	v_fmac_f32_e32 v16, 0x3f317217, v14
	v_cmp_lt_f32_e64 s[2:3], |v14|, s12
	s_nop 1
	v_cndmask_b32_e64 v14, v14, v16, s[2:3]
	v_cndmask_b32_e32 v16, 0, v8, vcc
	v_cmp_lt_f32_e32 vcc, s9, v19
	v_sub_f32_e32 v14, v14, v16
	v_cmp_lt_f32_e64 s[2:3], s9, v20
	v_cndmask_b32_e32 v15, v15, v19, vcc
	v_mul_f32_e32 v17, 0x4f800000, v15
	v_cmp_gt_f32_e32 vcc, s10, v15
	v_cndmask_b32_e64 v14, v14, v20, s[2:3]
	s_nop 0
	v_cndmask_b32_e32 v15, v15, v17, vcc
	v_sqrt_f32_e32 v17, v15
	s_nop 0
	v_add_u32_e32 v16, -1, v17
	v_fma_f32 v18, -v16, v17, v15
	v_cmp_ge_f32_e64 s[2:3], 0, v18
	v_add_u32_e32 v18, 1, v17
	s_nop 0
	v_cndmask_b32_e64 v16, v17, v16, s[2:3]
	v_fma_f32 v17, -v18, v17, v15
	v_cmp_lt_f32_e64 s[2:3], 0, v17
	s_nop 1
	v_cndmask_b32_e64 v16, v16, v18, s[2:3]
	v_mul_f32_e32 v18, 0x4f800000, v14
	v_cmp_gt_f32_e64 s[2:3], s10, v14
	v_mul_f32_e32 v17, 0x37800000, v16
	v_cndmask_b32_e32 v16, v16, v17, vcc
	v_cndmask_b32_e64 v14, v14, v18, s[2:3]
	v_sqrt_f32_e32 v18, v14
	v_cmp_class_f32_e32 vcc, v15, v0
	v_add_u32_e32 v20, 1, v18
	s_nop 0
	v_cndmask_b32_e32 v15, v16, v15, vcc
	v_add_u32_e32 v16, -1, v18
	v_fma_f32 v17, -v16, v18, v14
	v_cmp_ge_f32_e32 vcc, 0, v17
	v_mul_f32_e32 v17, 0x3fb8aa3b, v21
	v_exp_f32_e32 v17, v17
	v_cndmask_b32_e32 v19, v18, v16, vcc
	v_mul_f32_e32 v16, 0x3fb8aa3b, v9
	v_exp_f32_e32 v16, v16
	v_fma_f32 v18, -v20, v18, v14
	v_cmp_lt_f32_e32 vcc, 0, v18
	v_pk_add_f32 v[16:17], v[16:17], 1.0 op_sel_hi:[1,0]
	s_nop 0
	v_cndmask_b32_e32 v18, v19, v20, vcc
	v_mul_f32_e32 v19, 0x37800000, v18
	v_cmp_gt_f32_e32 vcc, s13, v17
	v_cndmask_b32_e64 v18, v18, v19, s[2:3]
	v_cmp_class_f32_e64 s[2:3], v14, v0
	v_cndmask_b32_e32 v19, 1.0, v5, vcc
	v_mul_f32_e32 v17, v17, v19
	v_log_f32_e32 v17, v17
	v_cndmask_b32_e64 v14, v18, v14, s[2:3]
	v_cmp_gt_f32_e64 s[2:3], s13, v16
	scratch_store_dwordx4 off, v[12:15], off
	v_cmp_lt_f32_e64 s[4:5], |v17|, s12
	s_nop 0
	v_cndmask_b32_e64 v13, 1.0, v5, s[2:3]
	v_mul_f32_e32 v12, 0x3f317217, v17
	v_mul_f32_e32 v13, v16, v13
	v_fma_f32 v12, v17, s11, -v12
	v_log_f32_e32 v13, v13
	v_fmac_f32_e32 v12, 0x3377d1cf, v17
	v_fmac_f32_e32 v12, 0x3f317217, v17
	v_cndmask_b32_e64 v12, v17, v12, s[4:5]
	v_cndmask_b32_e32 v14, 0, v8, vcc
	v_sub_f32_e32 v12, v12, v14
	v_mul_f32_e32 v14, 0x3f317217, v13
	v_fma_f32 v14, v13, s11, -v14
	v_fmac_f32_e32 v14, 0x3377d1cf, v13
	v_fmac_f32_e32 v14, 0x3f317217, v13
	v_cmp_lt_f32_e64 vcc, |v13|, s12
	s_nop 1
	v_cndmask_b32_e32 v13, v13, v14, vcc
	v_cmp_lt_f32_e32 vcc, s9, v21
	v_cndmask_b32_e64 v14, 0, v8, s[2:3]
	v_sub_f32_e32 v13, v13, v14
	v_cndmask_b32_e32 v12, v12, v21, vcc
	v_mul_f32_e32 v15, 0x4f800000, v12
	v_cmp_gt_f32_e32 vcc, s10, v12
	v_cmp_lt_f32_e64 s[2:3], s9, v9
	s_nop 0
	v_cndmask_b32_e32 v12, v12, v15, vcc
	v_sqrt_f32_e32 v15, v12
	v_cndmask_b32_e64 v9, v13, v9, s[2:3]
	v_add_u32_e32 v13, -1, v15
	v_fma_f32 v14, -v13, v15, v12
	v_cmp_ge_f32_e64 s[2:3], 0, v14
	v_add_u32_e32 v14, 1, v15
	s_nop 0
	v_cndmask_b32_e64 v13, v15, v13, s[2:3]
	v_fma_f32 v15, -v14, v15, v12
	v_cmp_lt_f32_e64 s[2:3], 0, v15
	v_mul_f32_e32 v15, 0x4f800000, v9
	s_nop 0
	v_cndmask_b32_e64 v13, v13, v14, s[2:3]
	v_cmp_gt_f32_e64 s[2:3], s10, v9
	v_mul_f32_e32 v14, 0x37800000, v13
	v_cndmask_b32_e32 v13, v13, v14, vcc
	v_cndmask_b32_e64 v9, v9, v15, s[2:3]
	v_sqrt_f32_e32 v15, v9
	v_cmp_class_f32_e32 vcc, v12, v0
	v_add_u32_e32 v16, 1, v15
	s_nop 0
	v_cndmask_b32_e32 v13, v13, v12, vcc
	v_add_u32_e32 v12, -1, v15
	v_fma_f32 v14, -v12, v15, v9
	v_cmp_ge_f32_e32 vcc, 0, v14
	v_fma_f32 v17, -v16, v15, v9
	v_mul_f32_e32 v14, 0x3fb8aa3b, v11
	v_cndmask_b32_e32 v12, v15, v12, vcc
	v_mul_f32_e32 v15, 0x3fb8aa3b, v22
	v_exp_f32_e32 v14, v14
	v_exp_f32_e32 v15, v15
	v_cmp_lt_f32_e32 vcc, 0, v17
	v_pk_add_f32 v[14:15], v[14:15], 1.0 op_sel_hi:[1,0]
	s_nop 0
	v_cndmask_b32_e32 v12, v12, v16, vcc
	v_cmp_gt_f32_e32 vcc, s13, v15
	v_mul_f32_e32 v16, 0x37800000, v12
	v_cndmask_b32_e64 v12, v12, v16, s[2:3]
	v_cndmask_b32_e32 v17, 1.0, v5, vcc
	v_mul_f32_e32 v15, v15, v17
	v_log_f32_e32 v15, v15
	v_cmp_class_f32_e64 s[2:3], v9, v0
	v_mul_f32_e32 v17, 0x3fb8aa3b, v23
	v_exp_f32_e32 v17, v17
	v_cndmask_b32_e64 v12, v12, v9, s[2:3]
	v_cmp_gt_f32_e64 s[2:3], s13, v14
	v_mul_f32_e32 v9, 0x3f317217, v15
	v_fma_f32 v9, v15, s11, -v9
	v_cndmask_b32_e64 v16, 1.0, v5, s[2:3]
	v_mul_f32_e32 v14, v14, v16
	v_log_f32_e32 v14, v14
	v_fmac_f32_e32 v9, 0x3377d1cf, v15
	v_fmac_f32_e32 v9, 0x3f317217, v15
	v_cmp_lt_f32_e64 s[4:5], |v15|, s12
	s_nop 1
	v_cndmask_b32_e64 v9, v15, v9, s[4:5]
	v_cndmask_b32_e32 v15, 0, v8, vcc
	v_sub_f32_e32 v9, v9, v15
	v_mul_f32_e32 v15, 0x3f317217, v14
	v_fma_f32 v15, v14, s11, -v15
	v_fmac_f32_e32 v15, 0x3377d1cf, v14
	v_fmac_f32_e32 v15, 0x3f317217, v14
	v_cmp_lt_f32_e64 vcc, |v14|, s12
	s_nop 1
	v_cndmask_b32_e32 v14, v14, v15, vcc
	v_cmp_lt_f32_e32 vcc, s9, v22
	v_cndmask_b32_e64 v15, 0, v8, s[2:3]
	v_sub_f32_e32 v14, v14, v15
	v_cndmask_b32_e32 v9, v9, v22, vcc
	v_mul_f32_e32 v16, 0x4f800000, v9
	v_cmp_gt_f32_e32 vcc, s10, v9
	v_cmp_lt_f32_e64 s[2:3], s9, v11
	s_nop 0
	v_cndmask_b32_e32 v9, v9, v16, vcc
	v_sqrt_f32_e32 v16, v9
	v_cndmask_b32_e64 v11, v14, v11, s[2:3]
	v_add_u32_e32 v14, -1, v16
	v_fma_f32 v15, -v14, v16, v9
	v_cmp_ge_f32_e64 s[2:3], 0, v15
	v_add_u32_e32 v15, 1, v16
	s_nop 0
	v_cndmask_b32_e64 v14, v16, v14, s[2:3]
	v_fma_f32 v16, -v15, v16, v9
	v_cmp_lt_f32_e64 s[2:3], 0, v16
	v_mul_f32_e32 v16, 0x4f800000, v11
	s_nop 0
	v_cndmask_b32_e64 v14, v14, v15, s[2:3]
	v_cmp_gt_f32_e64 s[2:3], s10, v11
	v_mul_f32_e32 v15, 0x37800000, v14
	v_cndmask_b32_e32 v14, v14, v15, vcc
	v_cndmask_b32_e64 v11, v11, v16, s[2:3]
	v_sqrt_f32_e32 v16, v11
	v_cmp_class_f32_e32 vcc, v9, v0
	s_nop 1
	v_cndmask_b32_e32 v15, v14, v9, vcc
	v_add_u32_e32 v9, -1, v16
	v_fma_f32 v14, -v9, v16, v11
	v_cmp_ge_f32_e32 vcc, 0, v14
	v_add_u32_e32 v14, 1, v16
	v_fma_f32 v18, -v14, v16, v11
	v_cndmask_b32_e32 v9, v16, v9, vcc
	v_mul_f32_e32 v16, 0x3fb8aa3b, v24
	v_exp_f32_e32 v16, v16
	v_cmp_lt_f32_e32 vcc, 0, v18
	v_pk_add_f32 v[16:17], v[16:17], 1.0 op_sel_hi:[1,0]
	s_nop 0
	v_cndmask_b32_e32 v9, v9, v14, vcc
	v_mul_f32_e32 v14, 0x37800000, v9
	v_cmp_gt_f32_e32 vcc, s13, v17
	v_cndmask_b32_e64 v9, v9, v14, s[2:3]
	v_cmp_class_f32_e64 s[2:3], v11, v0
	v_cndmask_b32_e32 v14, 1.0, v5, vcc
	v_mul_f32_e32 v14, v17, v14
	v_log_f32_e32 v17, v14
	v_cndmask_b32_e64 v14, v9, v11, s[2:3]
	v_cmp_gt_f32_e64 s[2:3], s13, v16
	scratch_store_dwordx4 off, v[12:15], off offset:16
	v_mul_f32_e32 v9, 0x3f317217, v17
	v_cndmask_b32_e64 v11, 1.0, v5, s[2:3]
	v_mul_f32_e32 v11, v16, v11
	v_fma_f32 v9, v17, s11, -v9
	v_log_f32_e32 v11, v11
	v_fmac_f32_e32 v9, 0x3377d1cf, v17
	v_fmac_f32_e32 v9, 0x3f317217, v17
	v_cmp_lt_f32_e64 s[4:5], |v17|, s12
	v_cndmask_b32_e32 v12, 0, v8, vcc
	v_cmp_lt_f32_e64 vcc, |v11|, s12
	v_cndmask_b32_e64 v9, v17, v9, s[4:5]
	v_sub_f32_e32 v9, v9, v12
	v_mul_f32_e32 v12, 0x3f317217, v11
	v_fma_f32 v12, v11, s11, -v12
	v_fmac_f32_e32 v12, 0x3377d1cf, v11
	v_fmac_f32_e32 v12, 0x3f317217, v11
	v_cndmask_b32_e32 v11, v11, v12, vcc
	v_cmp_lt_f32_e32 vcc, s9, v23
	v_cndmask_b32_e64 v12, 0, v8, s[2:3]
	v_sub_f32_e32 v11, v11, v12
	v_cndmask_b32_e32 v9, v9, v23, vcc
	v_mul_f32_e32 v13, 0x4f800000, v9
	v_cmp_gt_f32_e32 vcc, s10, v9
	v_cmp_lt_f32_e64 s[2:3], s9, v24
	v_mul_f32_e32 v15, 0x3fb8aa3b, v25
	v_cndmask_b32_e32 v9, v9, v13, vcc
	v_sqrt_f32_e32 v13, v9
	v_cndmask_b32_e64 v11, v11, v24, s[2:3]
	v_exp_f32_e32 v15, v15
	v_add_u32_e32 v12, -1, v13
	v_fma_f32 v14, -v12, v13, v9
	v_cmp_ge_f32_e64 s[2:3], 0, v14
	v_add_u32_e32 v14, 1, v13
	s_nop 0
	v_cndmask_b32_e64 v12, v13, v12, s[2:3]
	v_fma_f32 v13, -v14, v13, v9
	v_cmp_lt_f32_e64 s[2:3], 0, v13
	s_nop 1
	v_cndmask_b32_e64 v12, v12, v14, s[2:3]
	v_mul_f32_e32 v14, 0x4f800000, v11
	v_cmp_gt_f32_e64 s[2:3], s10, v11
	v_mul_f32_e32 v13, 0x37800000, v12
	v_cndmask_b32_e32 v12, v12, v13, vcc
	v_cndmask_b32_e64 v11, v11, v14, s[2:3]
	v_sqrt_f32_e32 v14, v11
	v_cmp_class_f32_e32 vcc, v9, v0
	s_nop 1
	v_cndmask_b32_e32 v13, v12, v9, vcc
	v_add_u32_e32 v9, -1, v14
	v_fma_f32 v12, -v9, v14, v11
	v_cmp_ge_f32_e32 vcc, 0, v12
	v_add_u32_e32 v12, 1, v14
	v_fma_f32 v16, -v12, v14, v11
	v_cndmask_b32_e32 v9, v14, v9, vcc
	v_mul_f32_e32 v14, 0x3fb8aa3b, v26
	v_exp_f32_e32 v14, v14
	v_cmp_lt_f32_e32 vcc, 0, v16
	v_pk_add_f32 v[14:15], v[14:15], 1.0 op_sel_hi:[1,0]
	s_nop 0
	v_cndmask_b32_e32 v9, v9, v12, vcc
	v_cmp_gt_f32_e32 vcc, s13, v15
	v_mul_f32_e32 v12, 0x37800000, v9
	v_cndmask_b32_e64 v9, v9, v12, s[2:3]
	v_cndmask_b32_e32 v16, 1.0, v5, vcc
	v_mul_f32_e32 v15, v15, v16
	v_log_f32_e32 v15, v15
	v_cmp_class_f32_e64 s[2:3], v11, v0
	v_cmp_lt_f32_e64 s[4:5], |v15|, s12
	s_nop 0
	v_cndmask_b32_e64 v12, v9, v11, s[2:3]
	v_cmp_gt_f32_e64 s[2:3], s13, v14
	v_mul_f32_e32 v9, 0x3f317217, v15
	v_fma_f32 v9, v15, s11, -v9
	v_cndmask_b32_e64 v5, 1.0, v5, s[2:3]
	v_mul_f32_e32 v5, v14, v5
	v_log_f32_e32 v5, v5
	v_fmac_f32_e32 v9, 0x3377d1cf, v15
	v_fmac_f32_e32 v9, 0x3f317217, v15
	v_cndmask_b32_e64 v9, v15, v9, s[4:5]
	v_cndmask_b32_e32 v11, 0, v8, vcc
	v_sub_f32_e32 v9, v9, v11
	v_mul_f32_e32 v11, 0x3f317217, v5
	v_fma_f32 v11, v5, s11, -v11
	v_fmac_f32_e32 v11, 0x3377d1cf, v5
	v_fmac_f32_e32 v11, 0x3f317217, v5
	v_cmp_lt_f32_e64 vcc, |v5|, s12
	v_cndmask_b32_e64 v8, 0, v8, s[2:3]
	v_cmp_lt_f32_e64 s[2:3], s9, v26
	v_cndmask_b32_e32 v5, v5, v11, vcc
	v_cmp_lt_f32_e32 vcc, s9, v25
	v_sub_f32_e32 v5, v5, v8
	v_cndmask_b32_e64 v5, v5, v26, s[2:3]
	v_cndmask_b32_e32 v9, v9, v25, vcc
	v_mul_f32_e32 v11, 0x4f800000, v9
	v_cmp_gt_f32_e32 vcc, s10, v9
	s_cselect_b64 s[4:5], -1, 0
	s_cmp_lt_i32 s33, 1
	v_cndmask_b32_e32 v9, v9, v11, vcc
	v_sqrt_f32_e32 v11, v9
	s_nop 0
	v_add_u32_e32 v8, -1, v11
	v_fma_f32 v14, -v8, v11, v9
	v_cmp_ge_f32_e64 s[2:3], 0, v14
	v_add_u32_e32 v14, 1, v11
	s_nop 0
	v_cndmask_b32_e64 v8, v11, v8, s[2:3]
	v_fma_f32 v11, -v14, v11, v9
	v_cmp_lt_f32_e64 s[2:3], 0, v11
	s_nop 1
	v_cndmask_b32_e64 v8, v8, v14, s[2:3]
	v_mul_f32_e32 v14, 0x4f800000, v5
	v_cmp_gt_f32_e64 s[2:3], s10, v5
	v_mul_f32_e32 v11, 0x37800000, v8
	v_cndmask_b32_e32 v8, v8, v11, vcc
	v_cndmask_b32_e64 v5, v5, v14, s[2:3]
	v_sqrt_f32_e32 v14, v5
	v_cmp_class_f32_e32 vcc, v9, v0
	s_nop 1
	v_cndmask_b32_e32 v15, v8, v9, vcc
	v_add_u32_e32 v8, -1, v14
	v_fma_f32 v9, -v8, v14, v5
	v_cmp_ge_f32_e32 vcc, 0, v9
	v_add_u32_e32 v9, 1, v14
	v_fma_f32 v11, -v9, v14, v5
	v_cndmask_b32_e32 v8, v14, v8, vcc
	v_cmp_lt_f32_e32 vcc, 0, v11
	s_nop 1
	v_cndmask_b32_e32 v8, v8, v9, vcc
	v_mul_f32_e32 v9, 0x37800000, v8
	v_cndmask_b32_e64 v8, v8, v9, s[2:3]
	v_cmp_class_f32_e32 vcc, v5, v0
	v_mul_lo_u32 v0, v4, s33
	s_nop 0
	v_cndmask_b32_e32 v14, v8, v5, vcc
	scratch_store_dwordx4 off, v[12:15], off offset:32
	s_cbranch_scc1 .LBB410_28
; %bb.2:
	s_load_dwordx2 s[6:7], s[0:1], 0x20
	s_cmp_lt_u32 s33, 4
	v_mul_lo_u32 v4, v4, s33
	s_cbranch_scc1 .LBB410_21
; %bb.3:
	s_mov_b32 s11, 0
	s_and_b32 s8, s33, 0x7ffffffc
	v_ashrrev_i32_e32 v5, 31, v4
	v_mov_b32_e32 v1, 0
	s_mov_b32 s10, s11
	s_branch .LBB410_5
.LBB410_4:                              ;   in Loop: Header=BB410_5 Depth=1
	s_or_b64 exec, exec, s[12:13]
	s_add_i32 s10, s10, 4
	s_cmp_eq_u32 s10, s8
	s_cbranch_scc1 .LBB410_21
.LBB410_5:                              ; =>This Loop Header: Depth=1
                                        ;     Child Loop BB410_7 Depth 2
                                        ;     Child Loop BB410_11 Depth 2
	;; [unrolled: 1-line block ×4, first 2 shown]
	v_lshl_add_u64 v[6:7], s[10:11], 2, v[2:3]
	global_load_dword v11, v[6:7], off
	v_add_u32_e32 v8, s10, v4
	v_ashrrev_i32_e32 v9, 31, v8
	s_waitcnt lgkmcnt(0)
	v_lshl_add_u64 v[8:9], v[8:9], 2, s[6:7]
	v_mov_b32_e32 v12, 0
	s_mov_b64 s[12:13], 0
	s_mov_b32 s9, 0
	s_mov_b32 s16, 0
	s_branch .LBB410_7
.LBB410_6:                              ;   in Loop: Header=BB410_7 Depth=2
	s_or_b64 exec, exec, s[14:15]
	s_add_i32 s17, s16, 1
	s_cmp_gt_u32 s16, 10
	s_cselect_b64 s[2:3], -1, 0
	s_xor_b64 s[14:15], vcc, -1
	s_or_b64 s[2:3], s[14:15], s[2:3]
	s_add_i32 s9, s9, 32
	s_and_b64 s[2:3], exec, s[2:3]
	v_add_u32_e32 v12, 4, v12
	s_or_b64 s[12:13], s[2:3], s[12:13]
	s_mov_b32 s16, s17
	s_andn2_b64 exec, exec, s[12:13]
	s_cbranch_execz .LBB410_9
.LBB410_7:                              ;   Parent Loop BB410_5 Depth=1
                                        ; =>  This Inner Loop Header: Depth=2
	s_and_b32 s2, s16, 1
	s_and_b32 s3, s9, 0x1c0
	s_or_b32 s2, s2, s3
	v_or_b32_e32 v13, s2, v10
	s_waitcnt vmcnt(0)
	v_cmp_ne_u32_e32 vcc, v11, v13
	v_cmp_eq_u32_e64 s[2:3], v11, v13
	s_and_saveexec_b64 s[14:15], s[2:3]
	s_cbranch_execz .LBB410_6
; %bb.8:                                ;   in Loop: Header=BB410_7 Depth=2
	scratch_load_dword v13, v12, off
	s_waitcnt vmcnt(0)
	v_add_f32_e32 v1, v1, v13
	global_store_dword v[8:9], v11, off
	s_branch .LBB410_6
.LBB410_9:                              ;   in Loop: Header=BB410_5 Depth=1
	s_or_b64 exec, exec, s[12:13]
	global_load_dword v11, v[6:7], off offset:4
	s_ashr_i32 s3, s10, 31
	s_mov_b32 s2, s10
	v_lshl_add_u64 v[8:9], s[2:3], 0, v[4:5]
	v_lshl_add_u64 v[8:9], v[8:9], 2, s[6:7]
	v_mov_b32_e32 v12, 0
	s_mov_b32 s9, 0
	s_mov_b64 s[12:13], 0
	s_mov_b32 s16, 0
	s_branch .LBB410_11
.LBB410_10:                             ;   in Loop: Header=BB410_11 Depth=2
	s_or_b64 exec, exec, s[14:15]
	s_add_i32 s17, s16, 1
	s_cmp_gt_u32 s16, 10
	s_cselect_b64 s[2:3], -1, 0
	s_xor_b64 s[14:15], vcc, -1
	s_or_b64 s[2:3], s[14:15], s[2:3]
	s_add_i32 s9, s9, 32
	s_and_b64 s[2:3], exec, s[2:3]
	v_add_u32_e32 v12, 4, v12
	s_or_b64 s[12:13], s[2:3], s[12:13]
	s_mov_b32 s16, s17
	s_andn2_b64 exec, exec, s[12:13]
	s_cbranch_execz .LBB410_13
.LBB410_11:                             ;   Parent Loop BB410_5 Depth=1
                                        ; =>  This Inner Loop Header: Depth=2
	s_and_b32 s2, s16, 1
	s_and_b32 s3, s9, 0x1c0
	s_or_b32 s2, s2, s3
	v_or_b32_e32 v13, s2, v10
	s_waitcnt vmcnt(0)
	v_cmp_ne_u32_e32 vcc, v11, v13
	v_cmp_eq_u32_e64 s[2:3], v11, v13
	s_and_saveexec_b64 s[14:15], s[2:3]
	s_cbranch_execz .LBB410_10
; %bb.12:                               ;   in Loop: Header=BB410_11 Depth=2
	scratch_load_dword v13, v12, off
	s_waitcnt vmcnt(0)
	v_add_f32_e32 v1, v1, v13
	global_store_dword v[8:9], v11, off offset:4
	s_branch .LBB410_10
.LBB410_13:                             ;   in Loop: Header=BB410_5 Depth=1
	s_or_b64 exec, exec, s[12:13]
	global_load_dword v11, v[6:7], off offset:8
	v_mov_b32_e32 v12, 0
	s_mov_b32 s9, 0
	s_mov_b64 s[12:13], 0
	s_mov_b32 s16, 0
	s_branch .LBB410_15
.LBB410_14:                             ;   in Loop: Header=BB410_15 Depth=2
	s_or_b64 exec, exec, s[14:15]
	s_add_i32 s17, s16, 1
	s_cmp_gt_u32 s16, 10
	s_cselect_b64 s[2:3], -1, 0
	s_xor_b64 s[14:15], vcc, -1
	s_or_b64 s[2:3], s[14:15], s[2:3]
	s_add_i32 s9, s9, 32
	s_and_b64 s[2:3], exec, s[2:3]
	v_add_u32_e32 v12, 4, v12
	s_or_b64 s[12:13], s[2:3], s[12:13]
	s_mov_b32 s16, s17
	s_andn2_b64 exec, exec, s[12:13]
	s_cbranch_execz .LBB410_17
.LBB410_15:                             ;   Parent Loop BB410_5 Depth=1
                                        ; =>  This Inner Loop Header: Depth=2
	s_and_b32 s2, s16, 1
	s_and_b32 s3, s9, 0x1c0
	s_or_b32 s2, s2, s3
	v_or_b32_e32 v13, s2, v10
	s_waitcnt vmcnt(0)
	v_cmp_ne_u32_e32 vcc, v11, v13
	v_cmp_eq_u32_e64 s[2:3], v11, v13
	s_and_saveexec_b64 s[14:15], s[2:3]
	s_cbranch_execz .LBB410_14
; %bb.16:                               ;   in Loop: Header=BB410_15 Depth=2
	scratch_load_dword v13, v12, off
	s_waitcnt vmcnt(0)
	v_add_f32_e32 v1, v1, v13
	global_store_dword v[8:9], v11, off offset:8
	s_branch .LBB410_14
.LBB410_17:                             ;   in Loop: Header=BB410_5 Depth=1
	s_or_b64 exec, exec, s[12:13]
	global_load_dword v6, v[6:7], off offset:12
	v_mov_b32_e32 v7, 0
	s_mov_b32 s9, 0
	s_mov_b64 s[12:13], 0
	s_mov_b32 s16, 0
	s_branch .LBB410_19
.LBB410_18:                             ;   in Loop: Header=BB410_19 Depth=2
	s_or_b64 exec, exec, s[14:15]
	s_add_i32 s17, s16, 1
	s_cmp_gt_u32 s16, 10
	s_cselect_b64 s[2:3], -1, 0
	s_xor_b64 s[14:15], vcc, -1
	s_or_b64 s[2:3], s[14:15], s[2:3]
	s_add_i32 s9, s9, 32
	s_and_b64 s[2:3], exec, s[2:3]
	v_add_u32_e32 v7, 4, v7
	s_or_b64 s[12:13], s[2:3], s[12:13]
	s_mov_b32 s16, s17
	s_andn2_b64 exec, exec, s[12:13]
	s_cbranch_execz .LBB410_4
.LBB410_19:                             ;   Parent Loop BB410_5 Depth=1
                                        ; =>  This Inner Loop Header: Depth=2
	s_and_b32 s2, s16, 1
	s_and_b32 s3, s9, 0x1c0
	s_or_b32 s2, s2, s3
	v_or_b32_e32 v11, s2, v10
	s_waitcnt vmcnt(0)
	v_cmp_ne_u32_e32 vcc, v6, v11
	v_cmp_eq_u32_e64 s[2:3], v6, v11
	s_and_saveexec_b64 s[14:15], s[2:3]
	s_cbranch_execz .LBB410_18
; %bb.20:                               ;   in Loop: Header=BB410_19 Depth=2
	scratch_load_dword v11, v7, off
	s_waitcnt vmcnt(0)
	v_add_f32_e32 v1, v1, v11
	global_store_dword v[8:9], v6, off offset:12
	s_branch .LBB410_18
.LBB410_21:
	s_and_b32 s14, s33, 3
	s_cmp_eq_u32 s14, 0
	s_mov_b32 s9, 0
	s_cbranch_scc1 .LBB410_28
; %bb.22:
	s_mov_b32 s15, s9
	s_branch .LBB410_24
.LBB410_23:                             ;   in Loop: Header=BB410_24 Depth=1
	s_or_b64 exec, exec, s[10:11]
	s_add_i32 s8, s8, 1
	s_add_i32 s15, s15, 1
	s_cmp_lg_u32 s15, s14
	s_cbranch_scc0 .LBB410_28
.LBB410_24:                             ; =>This Loop Header: Depth=1
                                        ;     Child Loop BB410_26 Depth 2
	v_lshl_add_u64 v[6:7], s[8:9], 2, v[2:3]
	global_load_dword v5, v[6:7], off
	v_add_u32_e32 v6, s8, v4
	v_ashrrev_i32_e32 v7, 31, v6
	s_waitcnt lgkmcnt(0)
	v_lshl_add_u64 v[6:7], v[6:7], 2, s[6:7]
	v_mov_b32_e32 v8, 0
	s_mov_b32 s16, 0
	s_mov_b64 s[10:11], 0
	s_mov_b32 s17, 0
	s_branch .LBB410_26
.LBB410_25:                             ;   in Loop: Header=BB410_26 Depth=2
	s_or_b64 exec, exec, s[12:13]
	s_add_i32 s18, s17, 1
	s_cmp_gt_u32 s17, 10
	s_cselect_b64 s[2:3], -1, 0
	s_xor_b64 s[12:13], vcc, -1
	s_or_b64 s[2:3], s[12:13], s[2:3]
	s_add_i32 s16, s16, 32
	s_and_b64 s[2:3], exec, s[2:3]
	v_add_u32_e32 v8, 4, v8
	s_or_b64 s[10:11], s[2:3], s[10:11]
	s_mov_b32 s17, s18
	s_andn2_b64 exec, exec, s[10:11]
	s_cbranch_execz .LBB410_23
.LBB410_26:                             ;   Parent Loop BB410_24 Depth=1
                                        ; =>  This Inner Loop Header: Depth=2
	s_and_b32 s2, s17, 1
	s_and_b32 s3, s16, 0x1c0
	s_or_b32 s2, s2, s3
	v_or_b32_e32 v9, s2, v10
	s_waitcnt vmcnt(0)
	v_cmp_ne_u32_e32 vcc, v5, v9
	v_cmp_eq_u32_e64 s[2:3], v5, v9
	s_and_saveexec_b64 s[12:13], s[2:3]
	s_cbranch_execz .LBB410_25
; %bb.27:                               ;   in Loop: Header=BB410_26 Depth=2
	scratch_load_dword v9, v8, off
	s_waitcnt vmcnt(0)
	v_add_f32_e32 v1, v1, v9
	global_store_dword v[6:7], v5, off
	s_branch .LBB410_25
.LBB410_28:
	s_waitcnt lgkmcnt(0)
	s_load_dword s6, s[0:1], 0x3c
	s_waitcnt lgkmcnt(0)
	s_bitcmp1_b32 s6, 0
	s_cselect_b64 s[2:3], -1, 0
	s_bitcmp0_b32 s6, 0
	s_cbranch_scc0 .LBB410_31
; %bb.29:
	s_load_dwordx2 s[6:7], s[0:1], 0x40
	s_andn2_b64 vcc, exec, s[2:3]
	s_waitcnt lgkmcnt(0)
	v_cvt_f32_f64_e32 v4, s[6:7]
	s_cbranch_vccz .LBB410_32
.LBB410_30:
	s_andn2_b64 vcc, exec, s[4:5]
	s_cbranch_vccz .LBB410_33
	s_branch .LBB410_59
.LBB410_31:
	v_mbcnt_lo_u32_b32 v4, -1, 0
	v_mbcnt_hi_u32_b32 v4, -1, v4
	v_and_b32_e32 v5, 0x60, v4
	v_add_u32_e32 v5, 32, v5
	v_xor_b32_e32 v6, 16, v4
	v_cmp_lt_i32_e32 vcc, v6, v5
	v_xor_b32_e32 v7, 8, v4
	s_nop 0
	v_cndmask_b32_e32 v6, v4, v6, vcc
	v_lshlrev_b32_e32 v6, 2, v6
	ds_bpermute_b32 v6, v6, v1
	v_cmp_lt_i32_e32 vcc, v7, v5
	s_waitcnt lgkmcnt(0)
	v_add_f32_e32 v1, v1, v6
	v_cndmask_b32_e32 v6, v4, v7, vcc
	v_lshlrev_b32_e32 v6, 2, v6
	ds_bpermute_b32 v6, v6, v1
	v_xor_b32_e32 v7, 4, v4
	v_cmp_lt_i32_e32 vcc, v7, v5
	s_waitcnt lgkmcnt(0)
	v_add_f32_e32 v1, v1, v6
	v_cndmask_b32_e32 v6, v4, v7, vcc
	v_lshlrev_b32_e32 v6, 2, v6
	ds_bpermute_b32 v6, v6, v1
	v_xor_b32_e32 v7, 2, v4
	v_cmp_lt_i32_e32 vcc, v7, v5
	s_waitcnt lgkmcnt(0)
	v_add_f32_e32 v1, v1, v6
	v_cndmask_b32_e32 v6, v4, v7, vcc
	v_lshlrev_b32_e32 v6, 2, v6
	ds_bpermute_b32 v6, v6, v1
	v_xor_b32_e32 v7, 1, v4
	v_cmp_lt_i32_e32 vcc, v7, v5
	s_waitcnt lgkmcnt(0)
	v_add_f32_e32 v1, v1, v6
	v_cndmask_b32_e32 v4, v4, v7, vcc
	v_lshlrev_b32_e32 v4, 2, v4
	ds_bpermute_b32 v4, v4, v1
	s_waitcnt lgkmcnt(0)
	v_add_f32_e32 v1, v1, v4
	s_load_dwordx2 s[6:7], s[0:1], 0x40
	s_andn2_b64 vcc, exec, s[2:3]
	s_waitcnt lgkmcnt(0)
	v_cvt_f32_f64_e32 v4, s[6:7]
	s_cbranch_vccnz .LBB410_30
.LBB410_32:
	v_cmp_lt_f32_e32 vcc, 0, v1
	s_nop 1
	v_cndmask_b32_e32 v1, 1.0, v1, vcc
	v_div_scale_f32 v5, s[2:3], v1, v1, v4
	v_rcp_f32_e32 v6, v5
	s_nop 0
	v_fma_f32 v7, -v5, v6, 1.0
	v_fmac_f32_e32 v6, v7, v6
	v_div_scale_f32 v7, vcc, v4, v1, v4
	v_mul_f32_e32 v8, v7, v6
	v_fma_f32 v9, -v5, v8, v7
	v_fmac_f32_e32 v8, v9, v6
	v_fma_f32 v5, -v5, v8, v7
	v_div_fmas_f32 v5, v5, v6, v8
	v_div_fixup_f32 v4, v5, v1, v4
	s_andn2_b64 vcc, exec, s[4:5]
	s_cbranch_vccnz .LBB410_59
.LBB410_33:
	s_load_dwordx2 s[20:21], s[0:1], 0x10
	v_mov_b32_e32 v1, 0
	v_or_b32_e32 v5, 4, v1
	v_or_b32_e32 v6, 8, v1
	;; [unrolled: 1-line block ×3, first 2 shown]
	v_add_u32_e32 v8, 16, v1
	v_add_u32_e32 v9, 20, v1
	;; [unrolled: 1-line block ×8, first 2 shown]
	v_or_b32_e32 v17, 1, v10
	v_or_b32_e32 v18, 64, v10
	;; [unrolled: 1-line block ×11, first 2 shown]
	s_branch .LBB410_35
.LBB410_34:                             ;   in Loop: Header=BB410_35 Depth=1
	s_or_b64 exec, exec, s[0:1]
	s_add_i32 s33, s33, -1
	v_add_u32_e32 v0, 1, v0
	s_cmp_eq_u32 s33, 0
	v_lshl_add_u64 v[2:3], v[2:3], 0, 4
	s_cbranch_scc1 .LBB410_59
.LBB410_35:                             ; =>This Inner Loop Header: Depth=1
	global_load_dword v28, v[2:3], off
	v_mov_b32_e32 v1, 0
	s_waitcnt vmcnt(0)
	v_cmp_eq_u32_e32 vcc, v28, v10
	v_cmp_ne_u32_e64 s[0:1], v28, v10
	s_and_saveexec_b64 s[22:23], s[0:1]
	s_cbranch_execz .LBB410_57
; %bb.36:                               ;   in Loop: Header=BB410_35 Depth=1
	v_cmp_eq_u32_e64 s[0:1], v28, v17
	v_cmp_ne_u32_e64 s[2:3], v28, v17
	v_mov_b32_e32 v1, v5
	s_and_saveexec_b64 s[24:25], s[2:3]
	s_cbranch_execz .LBB410_56
; %bb.37:                               ;   in Loop: Header=BB410_35 Depth=1
	v_cmp_eq_u32_e64 s[2:3], v28, v18
	v_cmp_ne_u32_e64 s[4:5], v28, v18
	v_mov_b32_e32 v1, v6
	;; [unrolled: 6-line block ×10, first 2 shown]
	s_and_saveexec_b64 s[46:47], s[18:19]
	s_xor_b64 s[46:47], exec, s[46:47]
; %bb.46:                               ;   in Loop: Header=BB410_35 Depth=1
	v_cmp_eq_u32_e64 s[18:19], v28, v27
	s_andn2_b64 s[44:45], s[44:45], exec
	s_and_b64 s[18:19], s[18:19], exec
	s_or_b64 s[44:45], s[44:45], s[18:19]
	v_mov_b32_e32 v1, v16
; %bb.47:                               ;   in Loop: Header=BB410_35 Depth=1
	s_or_b64 exec, exec, s[46:47]
	s_andn2_b64 s[16:17], s[16:17], exec
	s_and_b64 s[18:19], s[44:45], exec
	s_or_b64 s[16:17], s[16:17], s[18:19]
.LBB410_48:                             ;   in Loop: Header=BB410_35 Depth=1
	s_or_b64 exec, exec, s[42:43]
	s_andn2_b64 s[14:15], s[14:15], exec
	s_and_b64 s[16:17], s[16:17], exec
	s_or_b64 s[14:15], s[14:15], s[16:17]
.LBB410_49:                             ;   in Loop: Header=BB410_35 Depth=1
	s_or_b64 exec, exec, s[40:41]
	s_andn2_b64 s[12:13], s[12:13], exec
	s_and_b64 s[14:15], s[14:15], exec
	s_or_b64 s[12:13], s[12:13], s[14:15]
.LBB410_50:                             ;   in Loop: Header=BB410_35 Depth=1
	s_or_b64 exec, exec, s[38:39]
	s_andn2_b64 s[10:11], s[10:11], exec
	s_and_b64 s[12:13], s[12:13], exec
	s_or_b64 s[10:11], s[10:11], s[12:13]
.LBB410_51:                             ;   in Loop: Header=BB410_35 Depth=1
	s_or_b64 exec, exec, s[36:37]
	s_andn2_b64 s[8:9], s[8:9], exec
	s_and_b64 s[10:11], s[10:11], exec
	s_or_b64 s[8:9], s[8:9], s[10:11]
.LBB410_52:                             ;   in Loop: Header=BB410_35 Depth=1
	s_or_b64 exec, exec, s[34:35]
	s_andn2_b64 s[6:7], s[6:7], exec
	s_and_b64 s[8:9], s[8:9], exec
	s_or_b64 s[6:7], s[6:7], s[8:9]
.LBB410_53:                             ;   in Loop: Header=BB410_35 Depth=1
	s_or_b64 exec, exec, s[30:31]
	s_andn2_b64 s[4:5], s[4:5], exec
	s_and_b64 s[6:7], s[6:7], exec
	s_or_b64 s[4:5], s[4:5], s[6:7]
.LBB410_54:                             ;   in Loop: Header=BB410_35 Depth=1
	s_or_b64 exec, exec, s[28:29]
	s_andn2_b64 s[2:3], s[2:3], exec
	s_and_b64 s[4:5], s[4:5], exec
	s_or_b64 s[2:3], s[2:3], s[4:5]
.LBB410_55:                             ;   in Loop: Header=BB410_35 Depth=1
	s_or_b64 exec, exec, s[26:27]
	s_andn2_b64 s[0:1], s[0:1], exec
	s_and_b64 s[2:3], s[2:3], exec
	s_or_b64 s[0:1], s[0:1], s[2:3]
.LBB410_56:                             ;   in Loop: Header=BB410_35 Depth=1
	s_or_b64 exec, exec, s[24:25]
	s_andn2_b64 s[2:3], vcc, exec
	s_and_b64 s[0:1], s[0:1], exec
	s_or_b64 vcc, s[2:3], s[0:1]
.LBB410_57:                             ;   in Loop: Header=BB410_35 Depth=1
	s_or_b64 exec, exec, s[22:23]
	s_and_saveexec_b64 s[0:1], vcc
	s_cbranch_execz .LBB410_34
; %bb.58:                               ;   in Loop: Header=BB410_35 Depth=1
	scratch_load_dword v28, v1, off
	v_ashrrev_i32_e32 v1, 31, v0
	s_waitcnt vmcnt(0)
	v_mul_f32_e32 v30, v4, v28
	s_waitcnt lgkmcnt(0)
	v_lshl_add_u64 v[28:29], v[0:1], 2, s[20:21]
	global_store_dword v[28:29], v30, off
	s_branch .LBB410_34
.LBB410_59:
	s_endpgm
	.section	.rodata,"a",@progbits
	.p2align	6, 0x0
	.amdhsa_kernel _ZN4vllm3moe22topkGatingSoftplusSqrtILi12ELi384ELi4ELi4ELi32ELb1Ei14__hip_bfloat16EEvPKT6_PKbPfiPT5_PiiiibdPKfPKS9_SF_
		.amdhsa_group_segment_fixed_size 0
		.amdhsa_private_segment_fixed_size 64
		.amdhsa_kernarg_size 96
		.amdhsa_user_sgpr_count 2
		.amdhsa_user_sgpr_dispatch_ptr 0
		.amdhsa_user_sgpr_queue_ptr 0
		.amdhsa_user_sgpr_kernarg_segment_ptr 1
		.amdhsa_user_sgpr_dispatch_id 0
		.amdhsa_user_sgpr_kernarg_preload_length 0
		.amdhsa_user_sgpr_kernarg_preload_offset 0
		.amdhsa_user_sgpr_private_segment_size 0
		.amdhsa_uses_dynamic_stack 0
		.amdhsa_enable_private_segment 1
		.amdhsa_system_sgpr_workgroup_id_x 1
		.amdhsa_system_sgpr_workgroup_id_y 0
		.amdhsa_system_sgpr_workgroup_id_z 0
		.amdhsa_system_sgpr_workgroup_info 0
		.amdhsa_system_vgpr_workitem_id 1
		.amdhsa_next_free_vgpr 34
		.amdhsa_next_free_sgpr 48
		.amdhsa_accum_offset 36
		.amdhsa_reserve_vcc 1
		.amdhsa_float_round_mode_32 0
		.amdhsa_float_round_mode_16_64 0
		.amdhsa_float_denorm_mode_32 3
		.amdhsa_float_denorm_mode_16_64 3
		.amdhsa_dx10_clamp 1
		.amdhsa_ieee_mode 1
		.amdhsa_fp16_overflow 0
		.amdhsa_tg_split 0
		.amdhsa_exception_fp_ieee_invalid_op 0
		.amdhsa_exception_fp_denorm_src 0
		.amdhsa_exception_fp_ieee_div_zero 0
		.amdhsa_exception_fp_ieee_overflow 0
		.amdhsa_exception_fp_ieee_underflow 0
		.amdhsa_exception_fp_ieee_inexact 0
		.amdhsa_exception_int_div_zero 0
	.end_amdhsa_kernel
	.section	.text._ZN4vllm3moe22topkGatingSoftplusSqrtILi12ELi384ELi4ELi4ELi32ELb1Ei14__hip_bfloat16EEvPKT6_PKbPfiPT5_PiiiibdPKfPKS9_SF_,"axG",@progbits,_ZN4vllm3moe22topkGatingSoftplusSqrtILi12ELi384ELi4ELi4ELi32ELb1Ei14__hip_bfloat16EEvPKT6_PKbPfiPT5_PiiiibdPKfPKS9_SF_,comdat
.Lfunc_end410:
	.size	_ZN4vllm3moe22topkGatingSoftplusSqrtILi12ELi384ELi4ELi4ELi32ELb1Ei14__hip_bfloat16EEvPKT6_PKbPfiPT5_PiiiibdPKfPKS9_SF_, .Lfunc_end410-_ZN4vllm3moe22topkGatingSoftplusSqrtILi12ELi384ELi4ELi4ELi32ELb1Ei14__hip_bfloat16EEvPKT6_PKbPfiPT5_PiiiibdPKfPKS9_SF_
                                        ; -- End function
	.section	.AMDGPU.csdata,"",@progbits
; Kernel info:
; codeLenInByte = 5068
; NumSgprs: 54
; NumVgprs: 34
; NumAgprs: 0
; TotalNumVgprs: 34
; ScratchSize: 64
; MemoryBound: 0
; FloatMode: 240
; IeeeMode: 1
; LDSByteSize: 0 bytes/workgroup (compile time only)
; SGPRBlocks: 6
; VGPRBlocks: 4
; NumSGPRsForWavesPerEU: 54
; NumVGPRsForWavesPerEU: 34
; AccumOffset: 36
; Occupancy: 8
; WaveLimiterHint : 1
; COMPUTE_PGM_RSRC2:SCRATCH_EN: 1
; COMPUTE_PGM_RSRC2:USER_SGPR: 2
; COMPUTE_PGM_RSRC2:TRAP_HANDLER: 0
; COMPUTE_PGM_RSRC2:TGID_X_EN: 1
; COMPUTE_PGM_RSRC2:TGID_Y_EN: 0
; COMPUTE_PGM_RSRC2:TGID_Z_EN: 0
; COMPUTE_PGM_RSRC2:TIDIG_COMP_CNT: 1
; COMPUTE_PGM_RSRC3_GFX90A:ACCUM_OFFSET: 8
; COMPUTE_PGM_RSRC3_GFX90A:TG_SPLIT: 0
	.section	.text._ZN4vllm3moe22topkGatingSoftplusSqrtILi12ELi384ELi4ELi4ELi32ELb0Ei14__hip_bfloat16EEvPKT6_PKbPfiPT5_PiiiibdPKfPKS9_SF_,"axG",@progbits,_ZN4vllm3moe22topkGatingSoftplusSqrtILi12ELi384ELi4ELi4ELi32ELb0Ei14__hip_bfloat16EEvPKT6_PKbPfiPT5_PiiiibdPKfPKS9_SF_,comdat
	.protected	_ZN4vllm3moe22topkGatingSoftplusSqrtILi12ELi384ELi4ELi4ELi32ELb0Ei14__hip_bfloat16EEvPKT6_PKbPfiPT5_PiiiibdPKfPKS9_SF_ ; -- Begin function _ZN4vllm3moe22topkGatingSoftplusSqrtILi12ELi384ELi4ELi4ELi32ELb0Ei14__hip_bfloat16EEvPKT6_PKbPfiPT5_PiiiibdPKfPKS9_SF_
	.globl	_ZN4vllm3moe22topkGatingSoftplusSqrtILi12ELi384ELi4ELi4ELi32ELb0Ei14__hip_bfloat16EEvPKT6_PKbPfiPT5_PiiiibdPKfPKS9_SF_
	.p2align	8
	.type	_ZN4vllm3moe22topkGatingSoftplusSqrtILi12ELi384ELi4ELi4ELi32ELb0Ei14__hip_bfloat16EEvPKT6_PKbPfiPT5_PiiiibdPKfPKS9_SF_,@function
_ZN4vllm3moe22topkGatingSoftplusSqrtILi12ELi384ELi4ELi4ELi32ELb0Ei14__hip_bfloat16EEvPKT6_PKbPfiPT5_PiiiibdPKfPKS9_SF_: ; @_ZN4vllm3moe22topkGatingSoftplusSqrtILi12ELi384ELi4ELi4ELi32ELb0Ei14__hip_bfloat16EEvPKT6_PKbPfiPT5_PiiiibdPKfPKS9_SF_
; %bb.0:
	s_load_dword s33, s[0:1], 0x18
	v_and_b32_e32 v1, 0x3ff, v0
	s_lshl_b32 s2, s2, 2
	v_lshrrev_b32_e32 v2, 5, v1
	v_bfe_u32 v0, v0, 10, 10
	v_add3_u32 v12, s2, v0, v2
	s_waitcnt lgkmcnt(0)
	v_cmp_gt_i32_e32 vcc, s33, v12
	s_and_saveexec_b64 s[2:3], vcc
	s_cbranch_execz .LBB411_73
; %bb.1:
	s_load_dwordx4 s[4:7], s[0:1], 0x0
	s_load_dwordx2 s[34:35], s[0:1], 0x10
	s_waitcnt lgkmcnt(0)
	s_cmp_eq_u64 s[6:7], 0
	s_cbranch_scc1 .LBB411_3
; %bb.2:
	v_ashrrev_i32_e32 v13, 31, v12
	v_lshl_add_u64 v[2:3], s[6:7], 0, v[12:13]
	global_load_ubyte v0, v[2:3], off
	s_waitcnt vmcnt(0)
	v_and_b32_e32 v0, 1, v0
	v_cmp_eq_u32_e32 vcc, 1, v0
	s_xor_b64 s[2:3], vcc, -1
	s_orn2_b64 s[44:45], s[2:3], exec
	s_branch .LBB411_4
.LBB411_3:
	s_mov_b64 s[44:45], -1
.LBB411_4:
	s_movk_i32 s2, 0x180
	v_mul_lo_u32 v4, v12, s2
	v_mov_b32_e32 v2, s4
	v_mov_b32_e32 v3, s5
	v_ashrrev_i32_e32 v5, 31, v4
	v_and_b32_e32 v13, 31, v1
	v_lshl_add_u64 v[2:3], v[4:5], 1, v[2:3]
	v_mov_b32_e32 v1, 0
	v_lshlrev_b32_e32 v0, 2, v13
	v_lshl_add_u64 v[0:1], v[2:3], 0, v[0:1]
	global_load_dword v2, v[0:1], off
	global_load_dword v3, v[0:1], off offset:128
	global_load_dword v5, v[0:1], off offset:256
	;; [unrolled: 1-line block ×5, first 2 shown]
	s_mov_b32 s12, 0x800000
	v_mov_b32_e32 v4, 0x4f800000
	s_mov_b32 s9, 0x3f317217
	s_mov_b32 s10, 0x7f800000
	v_mov_b32_e32 v6, 0x41b17218
	s_mov_b32 s8, 0x41a00000
	s_mov_b32 s11, 0xf800000
	s_load_dwordx4 s[28:31], s[0:1], 0x40
	v_lshlrev_b32_e32 v16, 1, v13
	v_lshlrev_b32_e32 v14, 2, v16
	s_waitcnt lgkmcnt(0)
	s_cmp_lg_u64 s[30:31], 0
	s_cselect_b64 s[6:7], -1, 0
	s_and_b64 s[2:3], exec, s[6:7]
	s_waitcnt vmcnt(5)
	v_lshlrev_b32_e32 v0, 16, v2
	v_mul_f32_e32 v1, 0x3fb8aa3b, v0
	v_exp_f32_e32 v8, v1
	v_mov_b32_e32 v1, 0x260
	v_add_f32_e32 v8, 1.0, v8
	v_cmp_gt_f32_e32 vcc, s12, v8
	s_nop 1
	v_cndmask_b32_e32 v10, 1.0, v4, vcc
	v_mul_f32_e32 v8, v8, v10
	v_log_f32_e32 v8, v8
	v_cndmask_b32_e32 v10, 0, v6, vcc
	v_mul_f32_e32 v15, 0x3f317217, v8
	v_fma_f32 v15, v8, s9, -v15
	v_fmac_f32_e32 v15, 0x3377d1cf, v8
	v_fmac_f32_e32 v15, 0x3f317217, v8
	v_cmp_lt_f32_e64 vcc, |v8|, s10
	s_nop 1
	v_cndmask_b32_e32 v8, v8, v15, vcc
	v_sub_f32_e32 v8, v8, v10
	v_cmp_lt_f32_e32 vcc, s8, v0
	s_nop 1
	v_cndmask_b32_e32 v0, v8, v0, vcc
	v_mul_f32_e32 v8, 0x4f800000, v0
	v_cmp_gt_f32_e32 vcc, s11, v0
	s_nop 1
	v_cndmask_b32_e32 v0, v0, v8, vcc
	v_sqrt_f32_e32 v8, v0
	s_nop 0
	v_add_u32_e32 v10, -1, v8
	v_add_u32_e32 v15, 1, v8
	v_fma_f32 v17, -v10, v8, v0
	v_fma_f32 v18, -v15, v8, v0
	v_cmp_ge_f32_e64 s[4:5], 0, v17
	s_nop 1
	v_cndmask_b32_e64 v8, v8, v10, s[4:5]
	v_cmp_lt_f32_e64 s[4:5], 0, v18
	s_nop 1
	v_cndmask_b32_e64 v8, v8, v15, s[4:5]
	v_mul_f32_e32 v10, 0x37800000, v8
	v_cndmask_b32_e32 v8, v8, v10, vcc
	v_cmp_class_f32_e32 vcc, v0, v1
	s_nop 1
	v_cndmask_b32_e32 v0, v8, v0, vcc
	s_mov_b64 vcc, s[2:3]
	s_cbranch_vccz .LBB411_6
; %bb.5:
	global_load_dword v8, v14, s[30:31]
	s_waitcnt vmcnt(0)
	v_add_f32_e32 v0, v0, v8
.LBB411_6:
	v_and_b32_e32 v2, 0xffff0000, v2
	v_mul_f32_e32 v8, 0x3fb8aa3b, v2
	v_exp_f32_e32 v8, v8
	s_nop 0
	v_add_f32_e32 v8, 1.0, v8
	v_cmp_gt_f32_e32 vcc, s12, v8
	s_nop 1
	v_cndmask_b32_e32 v4, 1.0, v4, vcc
	v_mul_f32_e32 v4, v8, v4
	v_log_f32_e32 v4, v4
	v_cndmask_b32_e32 v6, 0, v6, vcc
	v_mul_f32_e32 v8, 0x3f317217, v4
	v_fma_f32 v8, v4, s9, -v8
	v_fmac_f32_e32 v8, 0x3377d1cf, v4
	v_fmac_f32_e32 v8, 0x3f317217, v4
	v_cmp_lt_f32_e64 vcc, |v4|, s10
	s_nop 1
	v_cndmask_b32_e32 v4, v4, v8, vcc
	v_sub_f32_e32 v4, v4, v6
	v_cmp_lt_f32_e32 vcc, s8, v2
	s_nop 1
	v_cndmask_b32_e32 v2, v4, v2, vcc
	v_mul_f32_e32 v4, 0x4f800000, v2
	v_cmp_gt_f32_e32 vcc, s11, v2
	s_nop 1
	v_cndmask_b32_e32 v2, v2, v4, vcc
	v_sqrt_f32_e32 v4, v2
	v_cmp_class_f32_e64 s[4:5], v2, v1
	v_add_u32_e32 v6, -1, v4
	v_add_u32_e32 v8, 1, v4
	v_fma_f32 v10, -v6, v4, v2
	v_fma_f32 v15, -v8, v4, v2
	v_cmp_ge_f32_e64 s[2:3], 0, v10
	s_nop 1
	v_cndmask_b32_e64 v4, v4, v6, s[2:3]
	v_cmp_lt_f32_e64 s[2:3], 0, v15
	s_nop 1
	v_cndmask_b32_e64 v4, v4, v8, s[2:3]
	v_mul_f32_e32 v6, 0x37800000, v4
	v_cndmask_b32_e32 v4, v4, v6, vcc
	v_cndmask_b32_e64 v6, 0, 1, s[6:7]
	v_cmp_ne_u32_e64 s[2:3], 1, v6
	s_andn2_b64 vcc, exec, s[6:7]
	v_cndmask_b32_e64 v1, v4, v2, s[4:5]
	s_cbranch_vccnz .LBB411_8
; %bb.7:
	global_load_dword v2, v14, s[30:31] offset:4
	s_waitcnt vmcnt(0)
	v_add_f32_e32 v1, v1, v2
.LBB411_8:
	s_waitcnt vmcnt(4)
	v_lshlrev_b32_e32 v2, 16, v3
	v_mul_f32_e32 v4, 0x3fb8aa3b, v2
	v_exp_f32_e32 v4, v4
	s_mov_b32 s10, 0x800000
	v_mov_b32_e32 v6, 0x4f800000
	s_mov_b32 s7, 0x3f317217
	v_add_f32_e32 v4, 1.0, v4
	v_cmp_gt_f32_e32 vcc, s10, v4
	s_mov_b32 s8, 0x7f800000
	s_mov_b32 s6, 0x41a00000
	v_cndmask_b32_e32 v8, 1.0, v6, vcc
	v_mul_f32_e32 v4, v4, v8
	v_log_f32_e32 v4, v4
	s_mov_b32 s9, 0xf800000
	v_mul_f32_e32 v8, 0x3f317217, v4
	v_fma_f32 v8, v4, s7, -v8
	v_fmac_f32_e32 v8, 0x3377d1cf, v4
	v_fmac_f32_e32 v8, 0x3f317217, v4
	v_cmp_lt_f32_e64 s[4:5], |v4|, s8
	s_nop 1
	v_cndmask_b32_e64 v4, v4, v8, s[4:5]
	v_mov_b32_e32 v8, 0x41b17218
	v_cndmask_b32_e32 v10, 0, v8, vcc
	v_sub_f32_e32 v4, v4, v10
	v_cmp_lt_f32_e32 vcc, s6, v2
	s_nop 1
	v_cndmask_b32_e32 v2, v4, v2, vcc
	v_mul_f32_e32 v4, 0x4f800000, v2
	v_cmp_gt_f32_e32 vcc, s9, v2
	s_nop 1
	v_cndmask_b32_e32 v2, v2, v4, vcc
	v_sqrt_f32_e32 v4, v2
	s_nop 0
	v_add_u32_e32 v10, -1, v4
	v_fma_f32 v15, -v10, v4, v2
	v_cmp_ge_f32_e64 s[4:5], 0, v15
	v_add_u32_e32 v15, 1, v4
	s_nop 0
	v_cndmask_b32_e64 v10, v4, v10, s[4:5]
	v_fma_f32 v4, -v15, v4, v2
	v_cmp_lt_f32_e64 s[4:5], 0, v4
	s_nop 1
	v_cndmask_b32_e64 v4, v10, v15, s[4:5]
	v_mul_f32_e32 v10, 0x37800000, v4
	v_cndmask_b32_e32 v10, v4, v10, vcc
	v_mov_b32_e32 v4, 0x260
	v_cmp_class_f32_e64 s[4:5], v2, v4
	s_and_b64 vcc, exec, s[2:3]
	s_nop 0
	v_cndmask_b32_e64 v2, v10, v2, s[4:5]
	s_cbranch_vccnz .LBB411_10
; %bb.9:
	global_load_dword v10, v14, s[30:31] offset:256
	s_waitcnt vmcnt(0)
	v_add_f32_e32 v2, v2, v10
.LBB411_10:
	v_and_b32_e32 v3, 0xffff0000, v3
	v_mul_f32_e32 v10, 0x3fb8aa3b, v3
	v_exp_f32_e32 v10, v10
	s_nop 0
	v_add_f32_e32 v10, 1.0, v10
	v_cmp_gt_f32_e32 vcc, s10, v10
	s_nop 1
	v_cndmask_b32_e32 v6, 1.0, v6, vcc
	v_mul_f32_e32 v6, v10, v6
	v_log_f32_e32 v6, v6
	v_cndmask_b32_e32 v8, 0, v8, vcc
	v_mul_f32_e32 v10, 0x3f317217, v6
	v_fma_f32 v10, v6, s7, -v10
	v_fmac_f32_e32 v10, 0x3377d1cf, v6
	v_fmac_f32_e32 v10, 0x3f317217, v6
	v_cmp_lt_f32_e64 vcc, |v6|, s8
	s_nop 1
	v_cndmask_b32_e32 v6, v6, v10, vcc
	v_sub_f32_e32 v6, v6, v8
	v_cmp_lt_f32_e32 vcc, s6, v3
	s_nop 1
	v_cndmask_b32_e32 v3, v6, v3, vcc
	v_mul_f32_e32 v6, 0x4f800000, v3
	v_cmp_gt_f32_e32 vcc, s9, v3
	s_nop 1
	v_cndmask_b32_e32 v3, v3, v6, vcc
	v_sqrt_f32_e32 v6, v3
	s_nop 0
	v_add_u32_e32 v8, -1, v6
	v_add_u32_e32 v10, 1, v6
	v_fma_f32 v15, -v8, v6, v3
	v_fma_f32 v17, -v10, v6, v3
	v_cmp_ge_f32_e64 s[4:5], 0, v15
	s_nop 1
	v_cndmask_b32_e64 v6, v6, v8, s[4:5]
	v_cmp_lt_f32_e64 s[4:5], 0, v17
	s_nop 1
	v_cndmask_b32_e64 v6, v6, v10, s[4:5]
	v_mul_f32_e32 v8, 0x37800000, v6
	v_cndmask_b32_e32 v6, v6, v8, vcc
	v_cmp_class_f32_e64 s[4:5], v3, v4
	s_and_b64 vcc, exec, s[2:3]
	s_nop 0
	v_cndmask_b32_e64 v3, v6, v3, s[4:5]
	s_cbranch_vccnz .LBB411_12
; %bb.11:
	global_load_dword v4, v14, s[30:31] offset:260
	s_waitcnt vmcnt(0)
	v_add_f32_e32 v3, v3, v4
.LBB411_12:
	s_waitcnt vmcnt(3)
	v_lshlrev_b32_e32 v4, 16, v5
	v_mul_f32_e32 v6, 0x3fb8aa3b, v4
	v_exp_f32_e32 v6, v6
	v_mov_b32_e32 v8, 0x4f800000
	v_add_f32_e32 v6, 1.0, v6
	v_cmp_gt_f32_e32 vcc, s10, v6
	s_nop 1
	v_cndmask_b32_e32 v10, 1.0, v8, vcc
	v_mul_f32_e32 v6, v6, v10
	v_log_f32_e32 v6, v6
	s_nop 0
	v_mul_f32_e32 v10, 0x3f317217, v6
	v_fma_f32 v10, v6, s7, -v10
	v_fmac_f32_e32 v10, 0x3377d1cf, v6
	v_fmac_f32_e32 v10, 0x3f317217, v6
	v_cmp_lt_f32_e64 s[4:5], |v6|, s8
	s_nop 1
	v_cndmask_b32_e64 v6, v6, v10, s[4:5]
	v_mov_b32_e32 v10, 0x41b17218
	v_cndmask_b32_e32 v15, 0, v10, vcc
	v_sub_f32_e32 v6, v6, v15
	v_cmp_lt_f32_e32 vcc, s6, v4
	s_nop 1
	v_cndmask_b32_e32 v4, v6, v4, vcc
	v_mul_f32_e32 v6, 0x4f800000, v4
	v_cmp_gt_f32_e32 vcc, s9, v4
	s_nop 1
	v_cndmask_b32_e32 v4, v4, v6, vcc
	v_sqrt_f32_e32 v6, v4
	s_nop 0
	v_add_u32_e32 v15, -1, v6
	v_fma_f32 v17, -v15, v6, v4
	v_cmp_ge_f32_e64 s[4:5], 0, v17
	v_add_u32_e32 v17, 1, v6
	s_nop 0
	v_cndmask_b32_e64 v15, v6, v15, s[4:5]
	v_fma_f32 v6, -v17, v6, v4
	v_cmp_lt_f32_e64 s[4:5], 0, v6
	s_nop 1
	v_cndmask_b32_e64 v6, v15, v17, s[4:5]
	v_mul_f32_e32 v15, 0x37800000, v6
	v_cndmask_b32_e32 v15, v6, v15, vcc
	v_mov_b32_e32 v6, 0x260
	v_cmp_class_f32_e64 s[4:5], v4, v6
	s_and_b64 vcc, exec, s[2:3]
	s_nop 0
	v_cndmask_b32_e64 v4, v15, v4, s[4:5]
	s_cbranch_vccnz .LBB411_14
; %bb.13:
	global_load_dword v15, v14, s[30:31] offset:512
	s_waitcnt vmcnt(0)
	v_add_f32_e32 v4, v4, v15
.LBB411_14:
	v_and_b32_e32 v5, 0xffff0000, v5
	v_mul_f32_e32 v15, 0x3fb8aa3b, v5
	v_exp_f32_e32 v15, v15
	s_nop 0
	v_add_f32_e32 v15, 1.0, v15
	v_cmp_gt_f32_e32 vcc, s10, v15
	s_nop 1
	v_cndmask_b32_e32 v8, 1.0, v8, vcc
	v_mul_f32_e32 v8, v15, v8
	v_log_f32_e32 v8, v8
	v_cndmask_b32_e32 v10, 0, v10, vcc
	v_mul_f32_e32 v15, 0x3f317217, v8
	v_fma_f32 v15, v8, s7, -v15
	v_fmac_f32_e32 v15, 0x3377d1cf, v8
	v_fmac_f32_e32 v15, 0x3f317217, v8
	v_cmp_lt_f32_e64 vcc, |v8|, s8
	s_nop 1
	v_cndmask_b32_e32 v8, v8, v15, vcc
	v_sub_f32_e32 v8, v8, v10
	v_cmp_lt_f32_e32 vcc, s6, v5
	s_nop 1
	v_cndmask_b32_e32 v5, v8, v5, vcc
	v_mul_f32_e32 v8, 0x4f800000, v5
	v_cmp_gt_f32_e32 vcc, s9, v5
	s_nop 1
	v_cndmask_b32_e32 v5, v5, v8, vcc
	v_sqrt_f32_e32 v8, v5
	s_nop 0
	v_add_u32_e32 v10, -1, v8
	v_add_u32_e32 v15, 1, v8
	v_fma_f32 v17, -v10, v8, v5
	v_fma_f32 v18, -v15, v8, v5
	v_cmp_ge_f32_e64 s[4:5], 0, v17
	s_nop 1
	v_cndmask_b32_e64 v8, v8, v10, s[4:5]
	v_cmp_lt_f32_e64 s[4:5], 0, v18
	s_nop 1
	v_cndmask_b32_e64 v8, v8, v15, s[4:5]
	v_mul_f32_e32 v10, 0x37800000, v8
	v_cndmask_b32_e32 v8, v8, v10, vcc
	v_cmp_class_f32_e64 s[4:5], v5, v6
	s_and_b64 vcc, exec, s[2:3]
	s_nop 0
	v_cndmask_b32_e64 v5, v8, v5, s[4:5]
	s_cbranch_vccnz .LBB411_16
; %bb.15:
	global_load_dword v6, v14, s[30:31] offset:516
	s_waitcnt vmcnt(0)
	v_add_f32_e32 v5, v5, v6
.LBB411_16:
	s_waitcnt vmcnt(2)
	v_lshlrev_b32_e32 v6, 16, v7
	v_mul_f32_e32 v8, 0x3fb8aa3b, v6
	v_exp_f32_e32 v8, v8
	v_mov_b32_e32 v10, 0x4f800000
	v_add_f32_e32 v8, 1.0, v8
	v_cmp_gt_f32_e32 vcc, s10, v8
	s_nop 1
	v_cndmask_b32_e32 v15, 1.0, v10, vcc
	v_mul_f32_e32 v8, v8, v15
	v_log_f32_e32 v8, v8
	s_nop 0
	v_mul_f32_e32 v15, 0x3f317217, v8
	v_fma_f32 v15, v8, s7, -v15
	v_fmac_f32_e32 v15, 0x3377d1cf, v8
	v_fmac_f32_e32 v15, 0x3f317217, v8
	v_cmp_lt_f32_e64 s[4:5], |v8|, s8
	s_nop 1
	v_cndmask_b32_e64 v8, v8, v15, s[4:5]
	v_mov_b32_e32 v15, 0x41b17218
	v_cndmask_b32_e32 v17, 0, v15, vcc
	v_sub_f32_e32 v8, v8, v17
	v_cmp_lt_f32_e32 vcc, s6, v6
	s_nop 1
	v_cndmask_b32_e32 v6, v8, v6, vcc
	v_mul_f32_e32 v8, 0x4f800000, v6
	v_cmp_gt_f32_e32 vcc, s9, v6
	s_nop 1
	v_cndmask_b32_e32 v6, v6, v8, vcc
	v_sqrt_f32_e32 v8, v6
	s_nop 0
	v_add_u32_e32 v17, -1, v8
	v_fma_f32 v18, -v17, v8, v6
	v_cmp_ge_f32_e64 s[4:5], 0, v18
	v_add_u32_e32 v18, 1, v8
	s_nop 0
	v_cndmask_b32_e64 v17, v8, v17, s[4:5]
	v_fma_f32 v8, -v18, v8, v6
	v_cmp_lt_f32_e64 s[4:5], 0, v8
	s_nop 1
	v_cndmask_b32_e64 v8, v17, v18, s[4:5]
	v_mul_f32_e32 v17, 0x37800000, v8
	v_cndmask_b32_e32 v17, v8, v17, vcc
	v_mov_b32_e32 v8, 0x260
	v_cmp_class_f32_e64 s[4:5], v6, v8
	s_and_b64 vcc, exec, s[2:3]
	s_nop 0
	v_cndmask_b32_e64 v6, v17, v6, s[4:5]
	s_cbranch_vccnz .LBB411_18
; %bb.17:
	global_load_dword v17, v14, s[30:31] offset:768
	s_waitcnt vmcnt(0)
	v_add_f32_e32 v6, v6, v17
.LBB411_18:
	v_and_b32_e32 v7, 0xffff0000, v7
	v_mul_f32_e32 v17, 0x3fb8aa3b, v7
	v_exp_f32_e32 v17, v17
	s_nop 0
	v_add_f32_e32 v17, 1.0, v17
	v_cmp_gt_f32_e32 vcc, s10, v17
	s_nop 1
	v_cndmask_b32_e32 v10, 1.0, v10, vcc
	v_mul_f32_e32 v10, v17, v10
	v_log_f32_e32 v10, v10
	v_cndmask_b32_e32 v15, 0, v15, vcc
	v_mul_f32_e32 v17, 0x3f317217, v10
	v_fma_f32 v17, v10, s7, -v17
	v_fmac_f32_e32 v17, 0x3377d1cf, v10
	v_fmac_f32_e32 v17, 0x3f317217, v10
	v_cmp_lt_f32_e64 vcc, |v10|, s8
	s_nop 1
	v_cndmask_b32_e32 v10, v10, v17, vcc
	v_sub_f32_e32 v10, v10, v15
	v_cmp_lt_f32_e32 vcc, s6, v7
	s_nop 1
	v_cndmask_b32_e32 v7, v10, v7, vcc
	v_mul_f32_e32 v10, 0x4f800000, v7
	v_cmp_gt_f32_e32 vcc, s9, v7
	s_nop 1
	v_cndmask_b32_e32 v7, v7, v10, vcc
	v_sqrt_f32_e32 v10, v7
	s_nop 0
	v_add_u32_e32 v15, -1, v10
	v_add_u32_e32 v17, 1, v10
	v_fma_f32 v18, -v15, v10, v7
	v_fma_f32 v19, -v17, v10, v7
	v_cmp_ge_f32_e64 s[4:5], 0, v18
	s_nop 1
	v_cndmask_b32_e64 v10, v10, v15, s[4:5]
	v_cmp_lt_f32_e64 s[4:5], 0, v19
	s_nop 1
	v_cndmask_b32_e64 v10, v10, v17, s[4:5]
	v_mul_f32_e32 v15, 0x37800000, v10
	v_cndmask_b32_e32 v10, v10, v15, vcc
	v_cmp_class_f32_e64 s[4:5], v7, v8
	s_and_b64 vcc, exec, s[2:3]
	s_nop 0
	v_cndmask_b32_e64 v7, v10, v7, s[4:5]
	s_cbranch_vccnz .LBB411_20
; %bb.19:
	global_load_dword v8, v14, s[30:31] offset:772
	s_waitcnt vmcnt(0)
	v_add_f32_e32 v7, v7, v8
.LBB411_20:
	s_waitcnt vmcnt(1)
	v_lshlrev_b32_e32 v8, 16, v9
	v_mul_f32_e32 v10, 0x3fb8aa3b, v8
	v_exp_f32_e32 v10, v10
	v_mov_b32_e32 v15, 0x4f800000
	v_add_f32_e32 v10, 1.0, v10
	v_cmp_gt_f32_e32 vcc, s10, v10
	s_nop 1
	v_cndmask_b32_e32 v17, 1.0, v15, vcc
	v_mul_f32_e32 v10, v10, v17
	v_log_f32_e32 v10, v10
	s_nop 0
	v_mul_f32_e32 v17, 0x3f317217, v10
	v_fma_f32 v17, v10, s7, -v17
	v_fmac_f32_e32 v17, 0x3377d1cf, v10
	v_fmac_f32_e32 v17, 0x3f317217, v10
	v_cmp_lt_f32_e64 s[4:5], |v10|, s8
	s_nop 1
	v_cndmask_b32_e64 v10, v10, v17, s[4:5]
	v_mov_b32_e32 v17, 0x41b17218
	v_cndmask_b32_e32 v18, 0, v17, vcc
	v_sub_f32_e32 v10, v10, v18
	v_cmp_lt_f32_e32 vcc, s6, v8
	s_nop 1
	v_cndmask_b32_e32 v8, v10, v8, vcc
	v_mul_f32_e32 v10, 0x4f800000, v8
	v_cmp_gt_f32_e32 vcc, s9, v8
	s_nop 1
	v_cndmask_b32_e32 v8, v8, v10, vcc
	v_sqrt_f32_e32 v10, v8
	s_nop 0
	v_add_u32_e32 v18, -1, v10
	v_fma_f32 v19, -v18, v10, v8
	v_cmp_ge_f32_e64 s[4:5], 0, v19
	v_add_u32_e32 v19, 1, v10
	s_nop 0
	v_cndmask_b32_e64 v18, v10, v18, s[4:5]
	v_fma_f32 v10, -v19, v10, v8
	v_cmp_lt_f32_e64 s[4:5], 0, v10
	s_nop 1
	v_cndmask_b32_e64 v10, v18, v19, s[4:5]
	v_mul_f32_e32 v18, 0x37800000, v10
	v_cndmask_b32_e32 v18, v10, v18, vcc
	v_mov_b32_e32 v10, 0x260
	v_cmp_class_f32_e64 s[4:5], v8, v10
	s_and_b64 vcc, exec, s[2:3]
	s_nop 0
	v_cndmask_b32_e64 v8, v18, v8, s[4:5]
	s_cbranch_vccnz .LBB411_22
; %bb.21:
	global_load_dword v18, v14, s[30:31] offset:1024
	s_waitcnt vmcnt(0)
	v_add_f32_e32 v8, v8, v18
.LBB411_22:
	v_and_b32_e32 v9, 0xffff0000, v9
	v_mul_f32_e32 v18, 0x3fb8aa3b, v9
	v_exp_f32_e32 v18, v18
	s_nop 0
	v_add_f32_e32 v18, 1.0, v18
	v_cmp_gt_f32_e32 vcc, s10, v18
	s_nop 1
	v_cndmask_b32_e32 v15, 1.0, v15, vcc
	v_mul_f32_e32 v15, v18, v15
	v_log_f32_e32 v15, v15
	v_cndmask_b32_e32 v17, 0, v17, vcc
	v_mul_f32_e32 v18, 0x3f317217, v15
	v_fma_f32 v18, v15, s7, -v18
	v_fmac_f32_e32 v18, 0x3377d1cf, v15
	v_fmac_f32_e32 v18, 0x3f317217, v15
	v_cmp_lt_f32_e64 vcc, |v15|, s8
	s_nop 1
	v_cndmask_b32_e32 v15, v15, v18, vcc
	v_sub_f32_e32 v15, v15, v17
	v_cmp_lt_f32_e32 vcc, s6, v9
	s_nop 1
	v_cndmask_b32_e32 v9, v15, v9, vcc
	v_mul_f32_e32 v15, 0x4f800000, v9
	v_cmp_gt_f32_e32 vcc, s9, v9
	s_nop 1
	v_cndmask_b32_e32 v9, v9, v15, vcc
	v_sqrt_f32_e32 v15, v9
	s_nop 0
	v_add_u32_e32 v17, -1, v15
	v_add_u32_e32 v18, 1, v15
	v_fma_f32 v19, -v17, v15, v9
	v_fma_f32 v20, -v18, v15, v9
	v_cmp_ge_f32_e64 s[4:5], 0, v19
	s_nop 1
	v_cndmask_b32_e64 v15, v15, v17, s[4:5]
	v_cmp_lt_f32_e64 s[4:5], 0, v20
	s_nop 1
	v_cndmask_b32_e64 v15, v15, v18, s[4:5]
	v_mul_f32_e32 v17, 0x37800000, v15
	v_cndmask_b32_e32 v15, v15, v17, vcc
	v_cmp_class_f32_e64 s[4:5], v9, v10
	s_and_b64 vcc, exec, s[2:3]
	s_nop 0
	v_cndmask_b32_e64 v9, v15, v9, s[4:5]
	s_cbranch_vccnz .LBB411_24
; %bb.23:
	global_load_dword v10, v14, s[30:31] offset:1028
	s_waitcnt vmcnt(0)
	v_add_f32_e32 v9, v9, v10
.LBB411_24:
	s_waitcnt vmcnt(0)
	v_lshlrev_b32_e32 v10, 16, v11
	v_mul_f32_e32 v15, 0x3fb8aa3b, v10
	v_exp_f32_e32 v15, v15
	v_mov_b32_e32 v17, 0x4f800000
	v_add_f32_e32 v15, 1.0, v15
	v_cmp_gt_f32_e32 vcc, s10, v15
	s_nop 1
	v_cndmask_b32_e32 v18, 1.0, v17, vcc
	v_mul_f32_e32 v15, v15, v18
	v_log_f32_e32 v15, v15
	s_nop 0
	v_mul_f32_e32 v18, 0x3f317217, v15
	v_fma_f32 v18, v15, s7, -v18
	v_fmac_f32_e32 v18, 0x3377d1cf, v15
	v_fmac_f32_e32 v18, 0x3f317217, v15
	v_cmp_lt_f32_e64 s[4:5], |v15|, s8
	s_nop 1
	v_cndmask_b32_e64 v15, v15, v18, s[4:5]
	v_mov_b32_e32 v18, 0x41b17218
	v_cndmask_b32_e32 v19, 0, v18, vcc
	v_sub_f32_e32 v15, v15, v19
	v_cmp_lt_f32_e32 vcc, s6, v10
	s_nop 1
	v_cndmask_b32_e32 v10, v15, v10, vcc
	v_mul_f32_e32 v15, 0x4f800000, v10
	v_cmp_gt_f32_e32 vcc, s9, v10
	s_nop 1
	v_cndmask_b32_e32 v10, v10, v15, vcc
	v_sqrt_f32_e32 v15, v10
	s_nop 0
	v_add_u32_e32 v19, -1, v15
	v_fma_f32 v20, -v19, v15, v10
	v_cmp_ge_f32_e64 s[4:5], 0, v20
	v_add_u32_e32 v20, 1, v15
	s_nop 0
	v_cndmask_b32_e64 v19, v15, v19, s[4:5]
	v_fma_f32 v15, -v20, v15, v10
	v_cmp_lt_f32_e64 s[4:5], 0, v15
	s_nop 1
	v_cndmask_b32_e64 v15, v19, v20, s[4:5]
	v_mul_f32_e32 v19, 0x37800000, v15
	v_cndmask_b32_e32 v19, v15, v19, vcc
	v_mov_b32_e32 v15, 0x260
	v_cmp_class_f32_e64 s[4:5], v10, v15
	s_and_b64 vcc, exec, s[2:3]
	s_nop 0
	v_cndmask_b32_e64 v10, v19, v10, s[4:5]
	s_cbranch_vccnz .LBB411_26
; %bb.25:
	global_load_dword v19, v14, s[30:31] offset:1280
	s_waitcnt vmcnt(0)
	v_add_f32_e32 v10, v10, v19
.LBB411_26:
	v_and_b32_e32 v11, 0xffff0000, v11
	v_mul_f32_e32 v19, 0x3fb8aa3b, v11
	v_exp_f32_e32 v19, v19
	s_nop 0
	v_add_f32_e32 v19, 1.0, v19
	v_cmp_gt_f32_e32 vcc, s10, v19
	s_nop 1
	v_cndmask_b32_e32 v17, 1.0, v17, vcc
	v_mul_f32_e32 v17, v19, v17
	v_log_f32_e32 v17, v17
	v_cndmask_b32_e32 v18, 0, v18, vcc
	v_mul_f32_e32 v19, 0x3f317217, v17
	v_fma_f32 v19, v17, s7, -v19
	v_fmac_f32_e32 v19, 0x3377d1cf, v17
	v_fmac_f32_e32 v19, 0x3f317217, v17
	v_cmp_lt_f32_e64 vcc, |v17|, s8
	s_nop 1
	v_cndmask_b32_e32 v17, v17, v19, vcc
	v_sub_f32_e32 v17, v17, v18
	v_cmp_lt_f32_e32 vcc, s6, v11
	s_nop 1
	v_cndmask_b32_e32 v11, v17, v11, vcc
	v_mul_f32_e32 v17, 0x4f800000, v11
	v_cmp_gt_f32_e32 vcc, s9, v11
	s_nop 1
	v_cndmask_b32_e32 v11, v11, v17, vcc
	v_sqrt_f32_e32 v17, v11
	s_nop 0
	v_add_u32_e32 v18, -1, v17
	v_add_u32_e32 v19, 1, v17
	v_fma_f32 v20, -v18, v17, v11
	v_fma_f32 v21, -v19, v17, v11
	v_cmp_ge_f32_e64 s[4:5], 0, v20
	s_nop 1
	v_cndmask_b32_e64 v17, v17, v18, s[4:5]
	v_cmp_lt_f32_e64 s[4:5], 0, v21
	s_nop 1
	v_cndmask_b32_e64 v17, v17, v19, s[4:5]
	v_mul_f32_e32 v18, 0x37800000, v17
	v_cndmask_b32_e32 v17, v17, v18, vcc
	v_cmp_class_f32_e64 s[4:5], v11, v15
	s_and_b64 vcc, exec, s[2:3]
	s_nop 0
	v_cndmask_b32_e64 v11, v17, v11, s[4:5]
	s_cbranch_vccnz .LBB411_28
; %bb.27:
	global_load_dword v14, v14, s[30:31] offset:1284
	s_waitcnt vmcnt(0)
	v_add_f32_e32 v11, v11, v14
.LBB411_28:
	s_load_dwordx4 s[36:39], s[0:1], 0x30
	s_mov_b32 s50, 0
	v_cmp_eq_u32_e64 s[6:7], 0, v13
	s_waitcnt lgkmcnt(0)
	s_bitcmp1_b32 s39, 0
	s_cselect_b64 s[4:5], -1, 0
	s_cmp_gt_i32 s36, 0
	s_cselect_b64 s[46:47], -1, 0
	s_and_b64 vcc, exec, s[46:47]
	s_cbranch_vccz .LBB411_59
; %bb.29:
	v_mbcnt_lo_u32_b32 v14, -1, 0
	v_mbcnt_hi_u32_b32 v14, -1, v14
	v_and_b32_e32 v15, 0x60, v14
	v_add_u32_e32 v15, 32, v15
	v_xor_b32_e32 v17, 16, v14
	v_cmp_lt_i32_e32 vcc, v17, v15
	s_load_dwordx4 s[40:43], s[0:1], 0x20
	v_mul_lo_u32 v18, v12, s36
	v_cndmask_b32_e32 v17, v14, v17, vcc
	v_lshlrev_b32_e32 v19, 2, v17
	v_xor_b32_e32 v17, 8, v14
	v_cmp_lt_i32_e32 vcc, v17, v15
	v_mov_b32_e32 v24, 0x41
	v_mov_b32_e32 v25, 0x80
	v_cndmask_b32_e32 v17, v14, v17, vcc
	v_lshlrev_b32_e32 v20, 2, v17
	v_xor_b32_e32 v17, 4, v14
	v_cmp_lt_i32_e32 vcc, v17, v15
	v_mov_b32_e32 v26, 0x81
	v_mov_b32_e32 v27, 0xc0
	;; [unrolled: 6-line block ×4, first 2 shown]
	v_cndmask_b32_e32 v14, v14, v17, vcc
	v_lshlrev_b32_e32 v23, 2, v14
	v_mov_b32_e32 v17, 0
	v_mov_b32_e32 v32, 0x141
	;; [unrolled: 1-line block ×5, first 2 shown]
	s_branch .LBB411_32
.LBB411_30:                             ;   in Loop: Header=BB411_32 Depth=1
	s_or_b64 exec, exec, s[48:49]
.LBB411_31:                             ;   in Loop: Header=BB411_32 Depth=1
	s_cmp_eq_u32 s36, s50
	v_add_u32_e32 v35, s33, v35
	s_cbranch_scc1 .LBB411_60
.LBB411_32:                             ; =>This Inner Loop Header: Depth=1
	v_cmp_gt_f32_e32 vcc, v1, v0
	s_nop 1
	v_cndmask_b32_e32 v15, v0, v1, vcc
	v_cndmask_b32_e64 v14, 0, 1, vcc
	v_cmp_gt_f32_e32 vcc, v2, v15
	s_nop 1
	v_cndmask_b32_e32 v15, v15, v2, vcc
	v_cndmask_b32_e64 v14, v14, 64, vcc
	v_cmp_gt_f32_e32 vcc, v3, v15
	s_nop 1
	v_cndmask_b32_e32 v15, v15, v3, vcc
	v_cndmask_b32_e32 v14, v14, v24, vcc
	v_cmp_gt_f32_e32 vcc, v4, v15
	s_nop 1
	v_cndmask_b32_e32 v15, v15, v4, vcc
	v_cndmask_b32_e32 v14, v14, v25, vcc
	;; [unrolled: 4-line block ×9, first 2 shown]
	ds_bpermute_b32 v15, v19, v36
	v_or_b32_e32 v14, v16, v14
	s_waitcnt lgkmcnt(0)
	ds_bpermute_b32 v37, v19, v14
	s_waitcnt lgkmcnt(0)
	v_cmp_lt_f32_e64 s[8:9], v36, v15
	v_cmp_nlt_f32_e32 vcc, v36, v15
	s_and_saveexec_b64 s[10:11], vcc
; %bb.33:                               ;   in Loop: Header=BB411_32 Depth=1
	v_cmp_eq_f32_e32 vcc, v36, v15
	v_cmp_lt_i32_e64 s[0:1], v37, v14
	s_and_b64 s[0:1], vcc, s[0:1]
	s_andn2_b64 s[8:9], s[8:9], exec
	s_and_b64 s[0:1], s[0:1], exec
	s_or_b64 s[8:9], s[8:9], s[0:1]
; %bb.34:                               ;   in Loop: Header=BB411_32 Depth=1
	s_or_b64 exec, exec, s[10:11]
	s_and_saveexec_b64 s[0:1], s[8:9]
; %bb.35:                               ;   in Loop: Header=BB411_32 Depth=1
	v_mov_b32_e32 v36, v15
	v_mov_b32_e32 v14, v37
; %bb.36:                               ;   in Loop: Header=BB411_32 Depth=1
	s_or_b64 exec, exec, s[0:1]
	ds_bpermute_b32 v15, v20, v36
	ds_bpermute_b32 v37, v20, v14
	s_waitcnt lgkmcnt(1)
	v_cmp_lt_f32_e64 s[8:9], v36, v15
	v_cmp_nlt_f32_e32 vcc, v36, v15
	s_and_saveexec_b64 s[10:11], vcc
	s_cbranch_execz .LBB411_38
; %bb.37:                               ;   in Loop: Header=BB411_32 Depth=1
	v_cmp_eq_f32_e32 vcc, v36, v15
	s_waitcnt lgkmcnt(0)
	v_cmp_lt_i32_e64 s[0:1], v37, v14
	s_and_b64 s[0:1], vcc, s[0:1]
	s_andn2_b64 s[8:9], s[8:9], exec
	s_and_b64 s[0:1], s[0:1], exec
	s_or_b64 s[8:9], s[8:9], s[0:1]
.LBB411_38:                             ;   in Loop: Header=BB411_32 Depth=1
	s_or_b64 exec, exec, s[10:11]
	s_and_saveexec_b64 s[0:1], s[8:9]
	s_cbranch_execz .LBB411_40
; %bb.39:                               ;   in Loop: Header=BB411_32 Depth=1
	v_mov_b32_e32 v36, v15
	s_waitcnt lgkmcnt(0)
	v_mov_b32_e32 v14, v37
.LBB411_40:                             ;   in Loop: Header=BB411_32 Depth=1
	s_or_b64 exec, exec, s[0:1]
	ds_bpermute_b32 v15, v21, v36
	s_waitcnt lgkmcnt(1)
	ds_bpermute_b32 v37, v21, v14
	s_waitcnt lgkmcnt(1)
	v_cmp_lt_f32_e64 s[8:9], v36, v15
	v_cmp_nlt_f32_e32 vcc, v36, v15
	s_and_saveexec_b64 s[10:11], vcc
	s_cbranch_execz .LBB411_42
; %bb.41:                               ;   in Loop: Header=BB411_32 Depth=1
	v_cmp_eq_f32_e32 vcc, v36, v15
	s_waitcnt lgkmcnt(0)
	v_cmp_lt_i32_e64 s[0:1], v37, v14
	s_and_b64 s[0:1], vcc, s[0:1]
	s_andn2_b64 s[8:9], s[8:9], exec
	s_and_b64 s[0:1], s[0:1], exec
	s_or_b64 s[8:9], s[8:9], s[0:1]
.LBB411_42:                             ;   in Loop: Header=BB411_32 Depth=1
	s_or_b64 exec, exec, s[10:11]
	s_and_saveexec_b64 s[0:1], s[8:9]
	s_cbranch_execz .LBB411_44
; %bb.43:                               ;   in Loop: Header=BB411_32 Depth=1
	v_mov_b32_e32 v36, v15
	s_waitcnt lgkmcnt(0)
	v_mov_b32_e32 v14, v37
.LBB411_44:                             ;   in Loop: Header=BB411_32 Depth=1
	s_or_b64 exec, exec, s[0:1]
	ds_bpermute_b32 v15, v22, v36
	s_waitcnt lgkmcnt(1)
	ds_bpermute_b32 v37, v22, v14
	s_waitcnt lgkmcnt(1)
	v_cmp_lt_f32_e64 s[8:9], v36, v15
	v_cmp_nlt_f32_e32 vcc, v36, v15
	s_and_saveexec_b64 s[10:11], vcc
	s_cbranch_execz .LBB411_46
; %bb.45:                               ;   in Loop: Header=BB411_32 Depth=1
	v_cmp_eq_f32_e32 vcc, v36, v15
	s_waitcnt lgkmcnt(0)
	v_cmp_lt_i32_e64 s[0:1], v37, v14
	s_and_b64 s[0:1], vcc, s[0:1]
	s_andn2_b64 s[8:9], s[8:9], exec
	s_and_b64 s[0:1], s[0:1], exec
	s_or_b64 s[8:9], s[8:9], s[0:1]
.LBB411_46:                             ;   in Loop: Header=BB411_32 Depth=1
	s_or_b64 exec, exec, s[10:11]
	s_and_saveexec_b64 s[0:1], s[8:9]
	s_cbranch_execz .LBB411_48
; %bb.47:                               ;   in Loop: Header=BB411_32 Depth=1
	v_mov_b32_e32 v36, v15
	s_waitcnt lgkmcnt(0)
	v_mov_b32_e32 v14, v37
.LBB411_48:                             ;   in Loop: Header=BB411_32 Depth=1
	s_or_b64 exec, exec, s[0:1]
	ds_bpermute_b32 v15, v23, v36
	s_waitcnt lgkmcnt(1)
	ds_bpermute_b32 v37, v23, v14
	s_waitcnt lgkmcnt(1)
	v_cmp_lt_f32_e64 s[8:9], v36, v15
	v_cmp_nlt_f32_e32 vcc, v36, v15
	s_and_saveexec_b64 s[10:11], vcc
	s_cbranch_execnz .LBB411_52
; %bb.49:                               ;   in Loop: Header=BB411_32 Depth=1
	s_or_b64 exec, exec, s[10:11]
	s_and_saveexec_b64 s[0:1], s[8:9]
	s_cbranch_execnz .LBB411_53
.LBB411_50:                             ;   in Loop: Header=BB411_32 Depth=1
	s_or_b64 exec, exec, s[0:1]
	s_and_saveexec_b64 s[8:9], s[6:7]
	s_cbranch_execnz .LBB411_54
.LBB411_51:                             ;   in Loop: Header=BB411_32 Depth=1
	s_or_b64 exec, exec, s[8:9]
	s_add_i32 s50, s50, 1
	s_cmp_ge_i32 s50, s36
	s_cbranch_scc1 .LBB411_31
	s_branch .LBB411_57
.LBB411_52:                             ;   in Loop: Header=BB411_32 Depth=1
	v_cmp_eq_f32_e32 vcc, v36, v15
	s_waitcnt lgkmcnt(0)
	v_cmp_lt_i32_e64 s[0:1], v37, v14
	s_and_b64 s[0:1], vcc, s[0:1]
	s_andn2_b64 s[8:9], s[8:9], exec
	s_and_b64 s[0:1], s[0:1], exec
	s_or_b64 s[8:9], s[8:9], s[0:1]
	s_or_b64 exec, exec, s[10:11]
	s_and_saveexec_b64 s[0:1], s[8:9]
	s_cbranch_execz .LBB411_50
.LBB411_53:                             ;   in Loop: Header=BB411_32 Depth=1
	s_waitcnt lgkmcnt(0)
	v_mov_b32_e32 v14, v37
	v_mov_b32_e32 v36, v15
	s_or_b64 exec, exec, s[0:1]
	s_and_saveexec_b64 s[8:9], s[6:7]
	s_cbranch_execz .LBB411_51
.LBB411_54:                             ;   in Loop: Header=BB411_32 Depth=1
	s_and_b64 vcc, exec, s[2:3]
	s_cbranch_vccnz .LBB411_56
; %bb.55:                               ;   in Loop: Header=BB411_32 Depth=1
	v_ashrrev_i32_e32 v15, 31, v14
	v_lshl_add_u64 v[38:39], v[14:15], 2, s[30:31]
	global_load_dword v15, v[38:39], off
	s_waitcnt vmcnt(0)
	v_sub_f32_e32 v36, v36, v15
.LBB411_56:                             ;   in Loop: Header=BB411_32 Depth=1
	v_add_u32_e32 v38, s50, v18
	v_cmp_le_i32_e32 vcc, s37, v14
	v_cmp_gt_i32_e64 s[0:1], s38, v14
	v_ashrrev_i32_e32 v39, 31, v38
	s_and_b64 s[0:1], vcc, s[0:1]
	v_lshlrev_b64 v[38:39], 2, v[38:39]
	v_lshl_add_u64 v[40:41], s[34:35], 0, v[38:39]
	v_subrev_u32_e32 v15, s37, v14
	s_and_b64 vcc, s[44:45], s[0:1]
	global_store_dword v[40:41], v36, off
	v_cndmask_b32_e32 v15, v33, v15, vcc
	v_lshl_add_u64 v[40:41], s[40:41], 0, v[38:39]
	global_store_dword v[40:41], v15, off
	v_add_f32_e32 v15, v17, v36
	v_lshl_add_u64 v[38:39], s[42:43], 0, v[38:39]
	v_cndmask_b32_e64 v17, v17, v15, s[4:5]
	global_store_dword v[38:39], v35, off
	s_or_b64 exec, exec, s[8:9]
	s_add_i32 s50, s50, 1
	s_cmp_ge_i32 s50, s36
	s_cbranch_scc1 .LBB411_31
.LBB411_57:                             ;   in Loop: Header=BB411_32 Depth=1
	v_lshrrev_b32_e32 v15, 31, v14
	v_add_u32_e32 v36, v14, v15
	v_ashrrev_i32_e32 v15, 1, v36
	v_ashrrev_i32_e32 v36, 31, v36
	v_lshrrev_b32_e32 v36, 27, v36
	v_add_u32_e32 v36, v15, v36
	v_and_b32_e32 v36, 0xffffffe0, v36
	v_sub_u32_e32 v36, v15, v36
	v_cmp_eq_u32_e32 vcc, v13, v36
	s_and_saveexec_b64 s[48:49], vcc
	s_cbranch_execz .LBB411_30
; %bb.58:                               ;   in Loop: Header=BB411_32 Depth=1
	v_ashrrev_i32_e32 v36, 31, v14
	v_lshrrev_b32_e32 v36, 26, v36
	v_add_u32_e32 v36, v14, v36
	v_lshlrev_b32_e32 v15, 1, v15
	v_sub_u32_e32 v14, v14, v15
	v_ashrrev_i32_e32 v15, 6, v36
	v_lshl_add_u32 v14, v15, 1, v14
	v_cmp_ne_u32_e32 vcc, 10, v14
	v_cmp_ne_u32_e64 s[0:1], 9, v14
	v_cmp_ne_u32_e64 s[8:9], 8, v14
	;; [unrolled: 1-line block ×11, first 2 shown]
	v_cndmask_b32_e32 v10, v34, v10, vcc
	v_cndmask_b32_e64 v9, v34, v9, s[0:1]
	v_cndmask_b32_e64 v11, v34, v11, s[26:27]
	;; [unrolled: 1-line block ×11, first 2 shown]
	s_branch .LBB411_30
.LBB411_59:
	v_mov_b32_e32 v17, 0
.LBB411_60:
	v_cmp_eq_u32_e32 vcc, 0, v13
	s_and_b64 exec, exec, vcc
	s_cbranch_execz .LBB411_73
; %bb.61:
	s_andn2_b64 vcc, exec, s[4:5]
	v_cvt_f32_f64_e32 v0, s[28:29]
	s_cbranch_vccnz .LBB411_63
; %bb.62:
	v_cmp_lt_f32_e32 vcc, 0, v17
	s_nop 1
	v_cndmask_b32_e32 v1, 1.0, v17, vcc
	v_div_scale_f32 v2, s[0:1], v1, v1, v0
	v_rcp_f32_e32 v3, v2
	s_nop 0
	v_fma_f32 v4, -v2, v3, 1.0
	v_fmac_f32_e32 v3, v4, v3
	v_div_scale_f32 v4, vcc, v0, v1, v0
	v_mul_f32_e32 v5, v4, v3
	v_fma_f32 v6, -v2, v5, v4
	v_fmac_f32_e32 v5, v6, v3
	v_fma_f32 v2, -v2, v5, v4
	v_div_fmas_f32 v2, v2, v3, v5
	v_div_fixup_f32 v0, v2, v1, v0
.LBB411_63:
	s_andn2_b64 vcc, exec, s[46:47]
	s_cbranch_vccnz .LBB411_73
; %bb.64:
	v_mul_lo_u32 v2, v12, s36
	s_cmp_gt_u32 s36, 3
	v_ashrrev_i32_e32 v3, 31, v2
	s_cbranch_scc0 .LBB411_68
; %bb.65:
	s_and_b32 s0, s36, 0x7ffffffc
	v_lshl_add_u64 v[4:5], v[2:3], 2, s[34:35]
	v_mov_b32_e32 v1, v0
	v_lshl_add_u64 v[4:5], v[4:5], 0, 8
	s_mov_b32 s1, s0
.LBB411_66:                             ; =>This Inner Loop Header: Depth=1
	global_load_dwordx4 v[6:9], v[4:5], off offset:-8
	s_add_i32 s1, s1, -4
	s_cmp_lg_u32 s1, 0
	s_waitcnt vmcnt(0)
	v_pk_mul_f32 v[6:7], v[0:1], v[6:7]
	v_pk_mul_f32 v[8:9], v[0:1], v[8:9]
	global_store_dwordx4 v[4:5], v[6:9], off offset:-8
	v_lshl_add_u64 v[4:5], v[4:5], 0, 16
	s_cbranch_scc1 .LBB411_66
; %bb.67:
	s_cmp_lg_u32 s0, s36
	s_cselect_b64 s[2:3], -1, 0
	s_branch .LBB411_70
.LBB411_68:
	s_mov_b64 s[2:3], 0
                                        ; implicit-def: $sgpr0
	s_cbranch_execz .LBB411_70
; %bb.69:
	s_mov_b64 s[2:3], -1
	s_mov_b32 s0, 0
.LBB411_70:
	s_andn2_b64 vcc, exec, s[2:3]
	s_cbranch_vccnz .LBB411_73
; %bb.71:
	s_mov_b32 s1, 0
	v_lshl_add_u64 v[2:3], v[2:3], 0, s[0:1]
	s_sub_i32 s2, s36, s0
	v_lshl_add_u64 v[2:3], v[2:3], 2, s[34:35]
.LBB411_72:                             ; =>This Inner Loop Header: Depth=1
	global_load_dword v1, v[2:3], off
	s_add_i32 s2, s2, -1
	s_cmp_lg_u32 s2, 0
	s_waitcnt vmcnt(0)
	v_mul_f32_e32 v1, v0, v1
	global_store_dword v[2:3], v1, off
	v_lshl_add_u64 v[2:3], v[2:3], 0, 4
	s_cbranch_scc1 .LBB411_72
.LBB411_73:
	s_endpgm
	.section	.rodata,"a",@progbits
	.p2align	6, 0x0
	.amdhsa_kernel _ZN4vllm3moe22topkGatingSoftplusSqrtILi12ELi384ELi4ELi4ELi32ELb0Ei14__hip_bfloat16EEvPKT6_PKbPfiPT5_PiiiibdPKfPKS9_SF_
		.amdhsa_group_segment_fixed_size 0
		.amdhsa_private_segment_fixed_size 0
		.amdhsa_kernarg_size 96
		.amdhsa_user_sgpr_count 2
		.amdhsa_user_sgpr_dispatch_ptr 0
		.amdhsa_user_sgpr_queue_ptr 0
		.amdhsa_user_sgpr_kernarg_segment_ptr 1
		.amdhsa_user_sgpr_dispatch_id 0
		.amdhsa_user_sgpr_kernarg_preload_length 0
		.amdhsa_user_sgpr_kernarg_preload_offset 0
		.amdhsa_user_sgpr_private_segment_size 0
		.amdhsa_uses_dynamic_stack 0
		.amdhsa_enable_private_segment 0
		.amdhsa_system_sgpr_workgroup_id_x 1
		.amdhsa_system_sgpr_workgroup_id_y 0
		.amdhsa_system_sgpr_workgroup_id_z 0
		.amdhsa_system_sgpr_workgroup_info 0
		.amdhsa_system_vgpr_workitem_id 1
		.amdhsa_next_free_vgpr 42
		.amdhsa_next_free_sgpr 51
		.amdhsa_accum_offset 44
		.amdhsa_reserve_vcc 1
		.amdhsa_float_round_mode_32 0
		.amdhsa_float_round_mode_16_64 0
		.amdhsa_float_denorm_mode_32 3
		.amdhsa_float_denorm_mode_16_64 3
		.amdhsa_dx10_clamp 1
		.amdhsa_ieee_mode 1
		.amdhsa_fp16_overflow 0
		.amdhsa_tg_split 0
		.amdhsa_exception_fp_ieee_invalid_op 0
		.amdhsa_exception_fp_denorm_src 0
		.amdhsa_exception_fp_ieee_div_zero 0
		.amdhsa_exception_fp_ieee_overflow 0
		.amdhsa_exception_fp_ieee_underflow 0
		.amdhsa_exception_fp_ieee_inexact 0
		.amdhsa_exception_int_div_zero 0
	.end_amdhsa_kernel
	.section	.text._ZN4vllm3moe22topkGatingSoftplusSqrtILi12ELi384ELi4ELi4ELi32ELb0Ei14__hip_bfloat16EEvPKT6_PKbPfiPT5_PiiiibdPKfPKS9_SF_,"axG",@progbits,_ZN4vllm3moe22topkGatingSoftplusSqrtILi12ELi384ELi4ELi4ELi32ELb0Ei14__hip_bfloat16EEvPKT6_PKbPfiPT5_PiiiibdPKfPKS9_SF_,comdat
.Lfunc_end411:
	.size	_ZN4vllm3moe22topkGatingSoftplusSqrtILi12ELi384ELi4ELi4ELi32ELb0Ei14__hip_bfloat16EEvPKT6_PKbPfiPT5_PiiiibdPKfPKS9_SF_, .Lfunc_end411-_ZN4vllm3moe22topkGatingSoftplusSqrtILi12ELi384ELi4ELi4ELi32ELb0Ei14__hip_bfloat16EEvPKT6_PKbPfiPT5_PiiiibdPKfPKS9_SF_
                                        ; -- End function
	.section	.AMDGPU.csdata,"",@progbits
; Kernel info:
; codeLenInByte = 5456
; NumSgprs: 57
; NumVgprs: 42
; NumAgprs: 0
; TotalNumVgprs: 42
; ScratchSize: 0
; MemoryBound: 0
; FloatMode: 240
; IeeeMode: 1
; LDSByteSize: 0 bytes/workgroup (compile time only)
; SGPRBlocks: 7
; VGPRBlocks: 5
; NumSGPRsForWavesPerEU: 57
; NumVGPRsForWavesPerEU: 42
; AccumOffset: 44
; Occupancy: 8
; WaveLimiterHint : 1
; COMPUTE_PGM_RSRC2:SCRATCH_EN: 0
; COMPUTE_PGM_RSRC2:USER_SGPR: 2
; COMPUTE_PGM_RSRC2:TRAP_HANDLER: 0
; COMPUTE_PGM_RSRC2:TGID_X_EN: 1
; COMPUTE_PGM_RSRC2:TGID_Y_EN: 0
; COMPUTE_PGM_RSRC2:TGID_Z_EN: 0
; COMPUTE_PGM_RSRC2:TIDIG_COMP_CNT: 1
; COMPUTE_PGM_RSRC3_GFX90A:ACCUM_OFFSET: 10
; COMPUTE_PGM_RSRC3_GFX90A:TG_SPLIT: 0
	.section	.text._ZN4vllm3moe22topkGatingSoftplusSqrtILi7ELi448ELi4ELi2ELi64ELb1Ei14__hip_bfloat16EEvPKT6_PKbPfiPT5_PiiiibdPKfPKS9_SF_,"axG",@progbits,_ZN4vllm3moe22topkGatingSoftplusSqrtILi7ELi448ELi4ELi2ELi64ELb1Ei14__hip_bfloat16EEvPKT6_PKbPfiPT5_PiiiibdPKfPKS9_SF_,comdat
	.protected	_ZN4vllm3moe22topkGatingSoftplusSqrtILi7ELi448ELi4ELi2ELi64ELb1Ei14__hip_bfloat16EEvPKT6_PKbPfiPT5_PiiiibdPKfPKS9_SF_ ; -- Begin function _ZN4vllm3moe22topkGatingSoftplusSqrtILi7ELi448ELi4ELi2ELi64ELb1Ei14__hip_bfloat16EEvPKT6_PKbPfiPT5_PiiiibdPKfPKS9_SF_
	.globl	_ZN4vllm3moe22topkGatingSoftplusSqrtILi7ELi448ELi4ELi2ELi64ELb1Ei14__hip_bfloat16EEvPKT6_PKbPfiPT5_PiiiibdPKfPKS9_SF_
	.p2align	8
	.type	_ZN4vllm3moe22topkGatingSoftplusSqrtILi7ELi448ELi4ELi2ELi64ELb1Ei14__hip_bfloat16EEvPKT6_PKbPfiPT5_PiiiibdPKfPKS9_SF_,@function
_ZN4vllm3moe22topkGatingSoftplusSqrtILi7ELi448ELi4ELi2ELi64ELb1Ei14__hip_bfloat16EEvPKT6_PKbPfiPT5_PiiiibdPKfPKS9_SF_: ; @_ZN4vllm3moe22topkGatingSoftplusSqrtILi7ELi448ELi4ELi2ELi64ELb1Ei14__hip_bfloat16EEvPKT6_PKbPfiPT5_PiiiibdPKfPKS9_SF_
; %bb.0:
	s_load_dword s3, s[0:1], 0x18
	v_and_b32_e32 v1, 0x3ff, v0
	s_lshl_b32 s2, s2, 2
	v_lshrrev_b32_e32 v2, 6, v1
	v_bfe_u32 v0, v0, 10, 10
	v_add3_u32 v0, s2, v0, v2
	s_waitcnt lgkmcnt(0)
	v_cmp_gt_i32_e32 vcc, s3, v0
	s_and_saveexec_b64 s[2:3], vcc
	s_cbranch_execz .LBB412_31
; %bb.1:
	s_load_dwordx2 s[2:3], s[0:1], 0x0
	s_load_dword s28, s[0:1], 0x30
	s_movk_i32 s4, 0x1c0
	v_mul_lo_u32 v2, v0, s4
	v_ashrrev_i32_e32 v3, 31, v2
	v_and_b32_e32 v10, 63, v1
	s_waitcnt lgkmcnt(0)
	v_lshl_add_u64 v[4:5], v[2:3], 1, s[2:3]
	v_lshlrev_b32_e32 v2, 1, v10
	v_mov_b32_e32 v3, 0
	v_lshl_add_u64 v[4:5], v[4:5], 0, v[2:3]
	s_load_dwordx4 s[8:11], s[0:1], 0x50
	global_load_ushort v2, v[4:5], off offset:768
	global_load_ushort v8, v[4:5], off offset:128
	global_load_ushort v9, v[4:5], off
	global_load_ushort v11, v[4:5], off offset:384
	global_load_ushort v12, v[4:5], off offset:256
	v_ashrrev_i32_e32 v1, 31, v0
	s_mov_b32 s17, 0x800000
	v_mov_b32_e32 v16, 0x4f800000
	s_waitcnt lgkmcnt(0)
	v_mov_b32_e32 v6, s8
	v_mov_b32_e32 v7, s9
	v_lshl_add_u64 v[6:7], v[0:1], 2, v[6:7]
	global_load_dword v1, v[6:7], off
	global_load_ushort v14, v[4:5], off offset:512
	global_load_ushort v15, v[4:5], off offset:640
	s_mov_b32 s16, 0x3f317217
	s_mov_b32 s15, 0x7f800000
	v_mov_b32_e32 v17, 0x41b17218
	s_mov_b32 s13, 0x41a00000
	s_mov_b32 s14, 0xf800000
	v_mov_b32_e32 v18, 0x260
	s_cmp_gt_i32 s28, 0
	s_mov_b32 s12, 0
	v_mul_lo_u32 v0, v0, s28
	s_waitcnt vmcnt(7)
	v_lshlrev_b32_e32 v2, 16, v2
	s_waitcnt vmcnt(6)
	v_lshlrev_b32_e32 v13, 16, v8
	;; [unrolled: 2-line block ×3, first 2 shown]
	v_mul_f32_e32 v4, 0x3fb8aa3b, v19
	v_mul_f32_e32 v5, 0x3fb8aa3b, v13
	v_exp_f32_e32 v6, v4
	v_exp_f32_e32 v7, v5
	s_waitcnt vmcnt(4)
	v_lshlrev_b32_e32 v20, 16, v11
	s_waitcnt vmcnt(3)
	v_lshlrev_b32_e32 v21, 16, v12
	v_mul_f32_e32 v8, 0x3fb8aa3b, v21
	v_mul_f32_e32 v9, 0x3fb8aa3b, v20
	v_pk_add_f32 v[6:7], v[6:7], 1.0 op_sel_hi:[1,0]
	v_exp_f32_e32 v8, v8
	v_exp_f32_e32 v9, v9
	v_cmp_gt_f32_e32 vcc, s17, v7
	s_waitcnt vmcnt(2)
	v_mul_lo_u32 v4, v1, s28
	v_cmp_gt_f32_e64 s[2:3], s17, v6
	v_cndmask_b32_e32 v1, 1.0, v16, vcc
	v_mul_f32_e32 v1, v7, v1
	v_cndmask_b32_e64 v11, 1.0, v16, s[2:3]
	v_mul_f32_e32 v6, v6, v11
	v_log_f32_e32 v1, v1
	v_pk_add_f32 v[8:9], v[8:9], 1.0 op_sel_hi:[1,0]
	v_log_f32_e32 v6, v6
	v_cmp_gt_f32_e64 s[4:5], s17, v9
	v_cmp_gt_f32_e64 s[6:7], s17, v8
	v_cndmask_b32_e32 v7, 0, v17, vcc
	v_cndmask_b32_e64 v12, 1.0, v16, s[4:5]
	v_cndmask_b32_e64 v22, 1.0, v16, s[6:7]
	v_mul_f32_e32 v9, v9, v12
	v_mul_f32_e32 v12, 0x3f317217, v1
	;; [unrolled: 1-line block ×4, first 2 shown]
	v_fma_f32 v12, v1, s16, -v12
	v_fma_f32 v22, v6, s16, -v22
	v_fmac_f32_e32 v12, 0x3377d1cf, v1
	v_fmac_f32_e32 v22, 0x3377d1cf, v6
	;; [unrolled: 1-line block ×3, first 2 shown]
	v_cmp_lt_f32_e64 vcc, |v1|, s15
	v_fmac_f32_e32 v22, 0x3f317217, v6
	v_cndmask_b32_e64 v11, 0, v17, s[2:3]
	v_cndmask_b32_e32 v1, v1, v12, vcc
	v_cmp_lt_f32_e64 vcc, |v6|, s15
	v_sub_f32_e32 v1, v1, v7
	v_log_f32_e32 v9, v9
	v_cndmask_b32_e32 v6, v6, v22, vcc
	v_sub_f32_e32 v6, v6, v11
	v_cmp_lt_f32_e32 vcc, s13, v19
	v_mul_f32_e32 v23, 0x3f317217, v9
	v_fma_f32 v23, v9, s16, -v23
	v_cndmask_b32_e32 v6, v6, v19, vcc
	v_cmp_lt_f32_e32 vcc, s13, v13
	v_mul_f32_e32 v11, 0x4f800000, v6
	v_cmp_gt_f32_e64 s[2:3], s14, v6
	v_cndmask_b32_e32 v1, v1, v13, vcc
	v_mul_f32_e32 v7, 0x4f800000, v1
	v_cmp_gt_f32_e32 vcc, s14, v1
	v_cndmask_b32_e64 v6, v6, v11, s[2:3]
	v_sqrt_f32_e32 v11, v6
	v_cndmask_b32_e32 v1, v1, v7, vcc
	v_sqrt_f32_e32 v7, v1
	v_fmac_f32_e32 v23, 0x3377d1cf, v9
	v_add_u32_e32 v19, -1, v11
	v_fma_f32 v26, -v19, v11, v6
	v_add_u32_e32 v12, -1, v7
	v_fma_f32 v24, -v12, v7, v1
	v_add_u32_e32 v13, 1, v7
	v_cmp_ge_f32_e64 s[8:9], 0, v24
	v_add_u32_e32 v22, 1, v11
	v_fma_f32 v25, -v13, v7, v1
	v_cndmask_b32_e64 v7, v7, v12, s[8:9]
	v_cmp_ge_f32_e64 s[8:9], 0, v26
	v_fma_f32 v27, -v22, v11, v6
	v_fmac_f32_e32 v23, 0x3f317217, v9
	v_cndmask_b32_e64 v11, v11, v19, s[8:9]
	v_cmp_lt_f32_e64 s[8:9], 0, v25
	s_waitcnt vmcnt(0)
	v_lshlrev_b32_e32 v15, 16, v15
	v_ashrrev_i32_e32 v5, 31, v4
	v_cndmask_b32_e64 v7, v7, v13, s[8:9]
	v_cmp_lt_f32_e64 s[8:9], 0, v27
	v_mul_f32_e32 v12, 0x37800000, v7
	v_cndmask_b32_e32 v7, v7, v12, vcc
	v_cndmask_b32_e64 v11, v11, v22, s[8:9]
	v_mul_f32_e32 v13, 0x37800000, v11
	v_cmp_class_f32_e32 vcc, v1, v18
	v_cndmask_b32_e64 v12, v11, v13, s[2:3]
	v_cmp_lt_f32_e64 s[2:3], s13, v21
	v_cndmask_b32_e32 v11, v7, v1, vcc
	v_log_f32_e32 v1, v8
	v_cmp_class_f32_e32 vcc, v6, v18
	v_cndmask_b32_e64 v7, 0, v17, s[4:5]
	v_lshl_add_u64 v[4:5], v[4:5], 2, s[10:11]
	v_cndmask_b32_e32 v12, v12, v6, vcc
	v_cmp_lt_f32_e64 vcc, |v9|, s15
	s_nop 1
	v_cndmask_b32_e32 v6, v9, v23, vcc
	v_sub_f32_e32 v6, v6, v7
	v_mul_f32_e32 v7, 0x3f317217, v1
	v_fma_f32 v7, v1, s16, -v7
	v_fmac_f32_e32 v7, 0x3377d1cf, v1
	v_fmac_f32_e32 v7, 0x3f317217, v1
	v_cmp_lt_f32_e64 vcc, |v1|, s15
	s_nop 1
	v_cndmask_b32_e32 v1, v1, v7, vcc
	v_cmp_lt_f32_e32 vcc, s13, v20
	v_cndmask_b32_e64 v7, 0, v17, s[6:7]
	v_sub_f32_e32 v1, v1, v7
	v_cndmask_b32_e32 v6, v6, v20, vcc
	v_mul_f32_e32 v8, 0x4f800000, v6
	v_cmp_gt_f32_e32 vcc, s14, v6
	v_cndmask_b32_e64 v1, v1, v21, s[2:3]
	v_lshlrev_b32_e32 v20, 16, v14
	v_cndmask_b32_e32 v6, v6, v8, vcc
	v_sqrt_f32_e32 v8, v6
	s_nop 0
	v_add_u32_e32 v7, -1, v8
	v_fma_f32 v9, -v7, v8, v6
	v_cmp_ge_f32_e64 s[2:3], 0, v9
	v_add_u32_e32 v9, 1, v8
	s_nop 0
	v_cndmask_b32_e64 v7, v8, v7, s[2:3]
	v_fma_f32 v8, -v9, v8, v6
	v_cmp_lt_f32_e64 s[2:3], 0, v8
	s_nop 1
	v_cndmask_b32_e64 v7, v7, v9, s[2:3]
	v_mul_f32_e32 v9, 0x4f800000, v1
	v_cmp_gt_f32_e64 s[2:3], s14, v1
	v_mul_f32_e32 v8, 0x37800000, v7
	v_cndmask_b32_e32 v7, v7, v8, vcc
	v_cndmask_b32_e64 v1, v1, v9, s[2:3]
	v_sqrt_f32_e32 v9, v1
	v_cmp_class_f32_e32 vcc, v6, v18
	v_add_u32_e32 v19, 1, v9
	s_nop 0
	v_cndmask_b32_e32 v13, v7, v6, vcc
	v_add_u32_e32 v6, -1, v9
	v_fma_f32 v7, -v6, v9, v1
	v_cmp_ge_f32_e32 vcc, 0, v7
	v_mul_f32_e32 v7, 0x3fb8aa3b, v15
	v_exp_f32_e32 v7, v7
	v_cndmask_b32_e32 v8, v9, v6, vcc
	v_mul_f32_e32 v6, 0x3fb8aa3b, v20
	v_exp_f32_e32 v6, v6
	v_fma_f32 v9, -v19, v9, v1
	v_cmp_lt_f32_e32 vcc, 0, v9
	v_pk_add_f32 v[6:7], v[6:7], 1.0 op_sel_hi:[1,0]
	s_nop 0
	v_cndmask_b32_e32 v8, v8, v19, vcc
	v_cmp_gt_f32_e32 vcc, s17, v7
	v_mul_f32_e32 v9, 0x37800000, v8
	v_cndmask_b32_e64 v8, v8, v9, s[2:3]
	v_cndmask_b32_e32 v14, 1.0, v16, vcc
	v_mul_f32_e32 v7, v7, v14
	v_log_f32_e32 v7, v7
	v_cmp_class_f32_e64 s[2:3], v1, v18
	v_cmp_lt_f32_e64 s[4:5], |v7|, s15
	s_nop 0
	v_cndmask_b32_e64 v14, v8, v1, s[2:3]
	v_cmp_gt_f32_e64 s[2:3], s17, v6
	v_mul_f32_e32 v1, 0x3f317217, v7
	v_fma_f32 v1, v7, s16, -v1
	v_cndmask_b32_e64 v8, 1.0, v16, s[2:3]
	v_mul_f32_e32 v6, v6, v8
	v_log_f32_e32 v6, v6
	v_fmac_f32_e32 v1, 0x3377d1cf, v7
	v_fmac_f32_e32 v1, 0x3f317217, v7
	v_cndmask_b32_e64 v1, v7, v1, s[4:5]
	v_cndmask_b32_e32 v7, 0, v17, vcc
	v_sub_f32_e32 v1, v1, v7
	v_mul_f32_e32 v7, 0x3f317217, v6
	v_fma_f32 v7, v6, s16, -v7
	v_fmac_f32_e32 v7, 0x3377d1cf, v6
	v_fmac_f32_e32 v7, 0x3f317217, v6
	v_cmp_lt_f32_e64 vcc, |v6|, s15
	s_nop 1
	v_cndmask_b32_e32 v6, v6, v7, vcc
	v_cmp_lt_f32_e32 vcc, s13, v15
	v_cndmask_b32_e64 v7, 0, v17, s[2:3]
	v_sub_f32_e32 v6, v6, v7
	v_cndmask_b32_e32 v1, v1, v15, vcc
	v_mul_f32_e32 v8, 0x4f800000, v1
	v_cmp_gt_f32_e32 vcc, s14, v1
	v_cmp_lt_f32_e64 s[2:3], s13, v20
	s_nop 0
	v_cndmask_b32_e32 v1, v1, v8, vcc
	v_sqrt_f32_e32 v8, v1
	v_cndmask_b32_e64 v6, v6, v20, s[2:3]
	v_add_u32_e32 v7, -1, v8
	v_fma_f32 v9, -v7, v8, v1
	v_cmp_ge_f32_e64 s[2:3], 0, v9
	v_add_u32_e32 v9, 1, v8
	s_nop 0
	v_cndmask_b32_e64 v7, v8, v7, s[2:3]
	v_fma_f32 v8, -v9, v8, v1
	v_cmp_lt_f32_e64 s[2:3], 0, v8
	s_nop 1
	v_cndmask_b32_e64 v7, v7, v9, s[2:3]
	v_mul_f32_e32 v9, 0x4f800000, v6
	v_cmp_gt_f32_e64 s[2:3], s14, v6
	v_mul_f32_e32 v8, 0x37800000, v7
	v_cndmask_b32_e32 v7, v7, v8, vcc
	v_cndmask_b32_e64 v6, v6, v9, s[2:3]
	v_sqrt_f32_e32 v9, v6
	v_mul_f32_e32 v8, 0x3fb8aa3b, v2
	v_exp_f32_e32 v8, v8
	v_cmp_class_f32_e32 vcc, v1, v18
	v_add_f32_e32 v8, 1.0, v8
	s_nop 0
	v_cndmask_b32_e32 v15, v7, v1, vcc
	v_add_u32_e32 v1, -1, v9
	v_fma_f32 v7, -v1, v9, v6
	v_cmp_ge_f32_e32 vcc, 0, v7
	v_add_u32_e32 v7, 1, v9
	s_nop 0
	v_cndmask_b32_e32 v1, v9, v1, vcc
	v_cmp_gt_f32_e32 vcc, s17, v8
	v_fma_f32 v9, -v7, v9, v6
	v_cmp_lt_f32_e64 s[4:5], 0, v9
	v_cndmask_b32_e32 v16, 1.0, v16, vcc
	v_mul_f32_e32 v8, v8, v16
	v_log_f32_e32 v8, v8
	v_cndmask_b32_e64 v1, v1, v7, s[4:5]
	v_mul_f32_e32 v7, 0x37800000, v1
	v_cndmask_b32_e64 v1, v1, v7, s[2:3]
	v_mul_f32_e32 v9, 0x3f317217, v8
	v_fma_f32 v9, v8, s16, -v9
	v_fmac_f32_e32 v9, 0x3377d1cf, v8
	v_fmac_f32_e32 v9, 0x3f317217, v8
	v_cmp_lt_f32_e64 s[4:5], |v8|, s15
	v_cmp_class_f32_e64 s[2:3], v6, v18
	s_nop 0
	v_cndmask_b32_e64 v8, v8, v9, s[4:5]
	v_cndmask_b32_e32 v9, 0, v17, vcc
	v_sub_f32_e32 v8, v8, v9
	v_cmp_lt_f32_e32 vcc, s13, v2
	v_cndmask_b32_e64 v16, v1, v6, s[2:3]
	s_cselect_b64 s[4:5], -1, 0
	v_cndmask_b32_e32 v2, v8, v2, vcc
	v_mul_f32_e32 v8, 0x4f800000, v2
	v_cmp_gt_f32_e32 vcc, s14, v2
	s_cmp_lt_i32 s28, 1
	s_nop 0
	v_cndmask_b32_e32 v2, v2, v8, vcc
	v_sqrt_f32_e32 v8, v2
	s_nop 0
	v_add_u32_e32 v1, -1, v8
	v_fma_f32 v6, -v1, v8, v2
	v_cmp_ge_f32_e64 s[2:3], 0, v6
	v_add_u32_e32 v6, 1, v8
	v_fma_f32 v7, -v6, v8, v2
	v_cndmask_b32_e64 v1, v8, v1, s[2:3]
	v_cmp_lt_f32_e64 s[2:3], 0, v7
	s_nop 1
	v_cndmask_b32_e64 v1, v1, v6, s[2:3]
	v_mul_f32_e32 v6, 0x37800000, v1
	v_cndmask_b32_e32 v1, v1, v6, vcc
	v_cmp_class_f32_e32 vcc, v2, v18
	s_nop 1
	v_cndmask_b32_e32 v17, v1, v2, vcc
	s_cbranch_scc1 .LBB412_28
; %bb.2:
	s_load_dwordx2 s[6:7], s[0:1], 0x20
	s_cmp_lt_u32 s28, 4
	s_cbranch_scc1 .LBB412_21
; %bb.3:
	s_mov_b32 s9, 0
	s_and_b32 s12, s28, 0x7ffffffc
	v_ashrrev_i32_e32 v1, 31, v0
	v_mov_b32_e32 v3, 0
	s_mov_b32 s8, s9
	s_branch .LBB412_5
.LBB412_4:                              ;   in Loop: Header=BB412_5 Depth=1
	s_or_b64 exec, exec, s[10:11]
	s_add_i32 s8, s8, 4
	s_cmp_eq_u32 s8, s12
	s_cbranch_scc1 .LBB412_21
.LBB412_5:                              ; =>This Loop Header: Depth=1
                                        ;     Child Loop BB412_7 Depth 2
                                        ;     Child Loop BB412_11 Depth 2
	;; [unrolled: 1-line block ×4, first 2 shown]
	v_lshl_add_u64 v[6:7], s[8:9], 2, v[4:5]
	global_load_dword v2, v[6:7], off
	v_add_u32_e32 v8, s8, v0
	v_ashrrev_i32_e32 v9, 31, v8
	s_waitcnt lgkmcnt(0)
	v_lshl_add_u64 v[8:9], v[8:9], 2, s[6:7]
	s_mov_b64 s[10:11], 0
	v_mov_b32_e32 v18, v10
	s_mov_b64 s[14:15], 0
	s_waitcnt vmcnt(0)
	s_branch .LBB412_7
.LBB412_6:                              ;   in Loop: Header=BB412_7 Depth=2
	s_or_b64 exec, exec, s[16:17]
	s_cmp_gt_u32 s14, 5
	s_cselect_b64 s[2:3], -1, 0
	s_xor_b64 s[16:17], vcc, -1
	s_or_b64 s[2:3], s[16:17], s[2:3]
	s_add_u32 s14, s14, 1
	s_addc_u32 s15, s15, 0
	s_and_b64 s[2:3], exec, s[2:3]
	s_or_b64 s[10:11], s[2:3], s[10:11]
	v_add_u32_e32 v18, 64, v18
	s_andn2_b64 exec, exec, s[10:11]
	s_cbranch_execz .LBB412_9
.LBB412_7:                              ;   Parent Loop BB412_5 Depth=1
                                        ; =>  This Inner Loop Header: Depth=2
	v_cmp_ne_u32_e32 vcc, v2, v18
	v_cmp_eq_u32_e64 s[2:3], v2, v18
	s_and_saveexec_b64 s[16:17], s[2:3]
	s_cbranch_execz .LBB412_6
; %bb.8:                                ;   in Loop: Header=BB412_7 Depth=2
	s_cmp_eq_u32 s14, 1
	s_cselect_b64 s[2:3], -1, 0
	s_cmp_eq_u32 s14, 2
	v_cndmask_b32_e64 v19, v12, v11, s[2:3]
	s_cselect_b64 s[2:3], -1, 0
	s_cmp_eq_u32 s14, 3
	v_cndmask_b32_e64 v19, v19, v14, s[2:3]
	;; [unrolled: 3-line block ×5, first 2 shown]
	s_cselect_b64 s[2:3], -1, 0
	v_cndmask_b32_e64 v19, v19, v17, s[2:3]
	v_add_f32_e32 v3, v3, v19
	global_store_dword v[8:9], v2, off
	s_branch .LBB412_6
.LBB412_9:                              ;   in Loop: Header=BB412_5 Depth=1
	s_or_b64 exec, exec, s[10:11]
	global_load_dword v2, v[6:7], off offset:4
	s_ashr_i32 s3, s8, 31
	s_mov_b32 s2, s8
	v_lshl_add_u64 v[8:9], s[2:3], 0, v[0:1]
	v_lshl_add_u64 v[8:9], v[8:9], 2, s[6:7]
	s_mov_b64 s[10:11], 0
	v_mov_b32_e32 v18, v10
	s_mov_b64 s[14:15], 0
	s_waitcnt vmcnt(0)
	s_branch .LBB412_11
.LBB412_10:                             ;   in Loop: Header=BB412_11 Depth=2
	s_or_b64 exec, exec, s[16:17]
	s_cmp_gt_u32 s14, 5
	s_cselect_b64 s[2:3], -1, 0
	s_xor_b64 s[16:17], vcc, -1
	s_or_b64 s[2:3], s[16:17], s[2:3]
	s_add_u32 s14, s14, 1
	s_addc_u32 s15, s15, 0
	s_and_b64 s[2:3], exec, s[2:3]
	s_or_b64 s[10:11], s[2:3], s[10:11]
	v_add_u32_e32 v18, 64, v18
	s_andn2_b64 exec, exec, s[10:11]
	s_cbranch_execz .LBB412_13
.LBB412_11:                             ;   Parent Loop BB412_5 Depth=1
                                        ; =>  This Inner Loop Header: Depth=2
	v_cmp_ne_u32_e32 vcc, v2, v18
	v_cmp_eq_u32_e64 s[2:3], v2, v18
	s_and_saveexec_b64 s[16:17], s[2:3]
	s_cbranch_execz .LBB412_10
; %bb.12:                               ;   in Loop: Header=BB412_11 Depth=2
	s_cmp_eq_u32 s14, 1
	s_cselect_b64 s[2:3], -1, 0
	s_cmp_eq_u32 s14, 2
	v_cndmask_b32_e64 v19, v12, v11, s[2:3]
	s_cselect_b64 s[2:3], -1, 0
	s_cmp_eq_u32 s14, 3
	v_cndmask_b32_e64 v19, v19, v14, s[2:3]
	;; [unrolled: 3-line block ×5, first 2 shown]
	s_cselect_b64 s[2:3], -1, 0
	v_cndmask_b32_e64 v19, v19, v17, s[2:3]
	v_add_f32_e32 v3, v3, v19
	global_store_dword v[8:9], v2, off offset:4
	s_branch .LBB412_10
.LBB412_13:                             ;   in Loop: Header=BB412_5 Depth=1
	s_or_b64 exec, exec, s[10:11]
	global_load_dword v2, v[6:7], off offset:8
	s_mov_b64 s[10:11], 0
	v_mov_b32_e32 v18, v10
	s_mov_b64 s[14:15], 0
	s_waitcnt vmcnt(0)
	s_branch .LBB412_15
.LBB412_14:                             ;   in Loop: Header=BB412_15 Depth=2
	s_or_b64 exec, exec, s[16:17]
	s_cmp_gt_u32 s14, 5
	s_cselect_b64 s[2:3], -1, 0
	s_xor_b64 s[16:17], vcc, -1
	s_or_b64 s[2:3], s[16:17], s[2:3]
	s_add_u32 s14, s14, 1
	s_addc_u32 s15, s15, 0
	s_and_b64 s[2:3], exec, s[2:3]
	s_or_b64 s[10:11], s[2:3], s[10:11]
	v_add_u32_e32 v18, 64, v18
	s_andn2_b64 exec, exec, s[10:11]
	s_cbranch_execz .LBB412_17
.LBB412_15:                             ;   Parent Loop BB412_5 Depth=1
                                        ; =>  This Inner Loop Header: Depth=2
	v_cmp_ne_u32_e32 vcc, v2, v18
	v_cmp_eq_u32_e64 s[2:3], v2, v18
	s_and_saveexec_b64 s[16:17], s[2:3]
	s_cbranch_execz .LBB412_14
; %bb.16:                               ;   in Loop: Header=BB412_15 Depth=2
	s_cmp_eq_u32 s14, 1
	s_cselect_b64 s[2:3], -1, 0
	s_cmp_eq_u32 s14, 2
	v_cndmask_b32_e64 v19, v12, v11, s[2:3]
	s_cselect_b64 s[2:3], -1, 0
	s_cmp_eq_u32 s14, 3
	v_cndmask_b32_e64 v19, v19, v14, s[2:3]
	;; [unrolled: 3-line block ×5, first 2 shown]
	s_cselect_b64 s[2:3], -1, 0
	v_cndmask_b32_e64 v19, v19, v17, s[2:3]
	v_add_f32_e32 v3, v3, v19
	global_store_dword v[8:9], v2, off offset:8
	s_branch .LBB412_14
.LBB412_17:                             ;   in Loop: Header=BB412_5 Depth=1
	s_or_b64 exec, exec, s[10:11]
	global_load_dword v2, v[6:7], off offset:12
	s_mov_b64 s[10:11], 0
	v_mov_b32_e32 v6, v10
	s_mov_b64 s[14:15], 0
	s_waitcnt vmcnt(0)
	s_branch .LBB412_19
.LBB412_18:                             ;   in Loop: Header=BB412_19 Depth=2
	s_or_b64 exec, exec, s[16:17]
	s_cmp_gt_u32 s14, 5
	s_cselect_b64 s[2:3], -1, 0
	s_xor_b64 s[16:17], vcc, -1
	s_or_b64 s[2:3], s[16:17], s[2:3]
	s_add_u32 s14, s14, 1
	s_addc_u32 s15, s15, 0
	s_and_b64 s[2:3], exec, s[2:3]
	s_or_b64 s[10:11], s[2:3], s[10:11]
	v_add_u32_e32 v6, 64, v6
	s_andn2_b64 exec, exec, s[10:11]
	s_cbranch_execz .LBB412_4
.LBB412_19:                             ;   Parent Loop BB412_5 Depth=1
                                        ; =>  This Inner Loop Header: Depth=2
	v_cmp_ne_u32_e32 vcc, v2, v6
	v_cmp_eq_u32_e64 s[2:3], v2, v6
	s_and_saveexec_b64 s[16:17], s[2:3]
	s_cbranch_execz .LBB412_18
; %bb.20:                               ;   in Loop: Header=BB412_19 Depth=2
	s_cmp_eq_u32 s14, 1
	s_cselect_b64 s[2:3], -1, 0
	s_cmp_eq_u32 s14, 2
	v_cndmask_b32_e64 v7, v12, v11, s[2:3]
	s_cselect_b64 s[2:3], -1, 0
	s_cmp_eq_u32 s14, 3
	v_cndmask_b32_e64 v7, v7, v14, s[2:3]
	s_cselect_b64 s[2:3], -1, 0
	s_cmp_eq_u32 s14, 4
	v_cndmask_b32_e64 v7, v7, v13, s[2:3]
	s_cselect_b64 s[2:3], -1, 0
	s_cmp_eq_u32 s14, 5
	v_cndmask_b32_e64 v7, v7, v16, s[2:3]
	s_cselect_b64 s[2:3], -1, 0
	s_cmp_eq_u32 s14, 6
	v_cndmask_b32_e64 v7, v7, v15, s[2:3]
	s_cselect_b64 s[2:3], -1, 0
	v_cndmask_b32_e64 v7, v7, v17, s[2:3]
	v_add_f32_e32 v3, v3, v7
	global_store_dword v[8:9], v2, off offset:12
	s_branch .LBB412_18
.LBB412_21:
	s_and_b32 s16, s28, 3
	s_cmp_eq_u32 s16, 0
	s_mov_b32 s13, 0
	s_cbranch_scc1 .LBB412_28
; %bb.22:
	s_mov_b32 s17, s13
	s_branch .LBB412_24
.LBB412_23:                             ;   in Loop: Header=BB412_24 Depth=1
	s_or_b64 exec, exec, s[8:9]
	s_add_i32 s12, s12, 1
	s_add_i32 s17, s17, 1
	s_cmp_lg_u32 s17, s16
	s_cbranch_scc0 .LBB412_28
.LBB412_24:                             ; =>This Loop Header: Depth=1
                                        ;     Child Loop BB412_26 Depth 2
	v_lshl_add_u64 v[6:7], s[12:13], 2, v[4:5]
	global_load_dword v1, v[6:7], off
	v_add_u32_e32 v6, s12, v0
	v_ashrrev_i32_e32 v7, 31, v6
	s_waitcnt lgkmcnt(0)
	v_lshl_add_u64 v[6:7], v[6:7], 2, s[6:7]
	s_mov_b64 s[8:9], 0
	v_mov_b32_e32 v2, v10
	s_mov_b64 s[10:11], 0
	s_waitcnt vmcnt(0)
	s_branch .LBB412_26
.LBB412_25:                             ;   in Loop: Header=BB412_26 Depth=2
	s_or_b64 exec, exec, s[14:15]
	s_cmp_gt_u32 s10, 5
	s_cselect_b64 s[2:3], -1, 0
	s_xor_b64 s[14:15], vcc, -1
	s_or_b64 s[2:3], s[14:15], s[2:3]
	s_add_u32 s10, s10, 1
	s_addc_u32 s11, s11, 0
	s_and_b64 s[2:3], exec, s[2:3]
	s_or_b64 s[8:9], s[2:3], s[8:9]
	v_add_u32_e32 v2, 64, v2
	s_andn2_b64 exec, exec, s[8:9]
	s_cbranch_execz .LBB412_23
.LBB412_26:                             ;   Parent Loop BB412_24 Depth=1
                                        ; =>  This Inner Loop Header: Depth=2
	v_cmp_ne_u32_e32 vcc, v1, v2
	v_cmp_eq_u32_e64 s[2:3], v1, v2
	s_and_saveexec_b64 s[14:15], s[2:3]
	s_cbranch_execz .LBB412_25
; %bb.27:                               ;   in Loop: Header=BB412_26 Depth=2
	s_cmp_eq_u32 s10, 1
	s_cselect_b64 s[2:3], -1, 0
	s_cmp_eq_u32 s10, 2
	v_cndmask_b32_e64 v8, v12, v11, s[2:3]
	s_cselect_b64 s[2:3], -1, 0
	s_cmp_eq_u32 s10, 3
	v_cndmask_b32_e64 v8, v8, v14, s[2:3]
	;; [unrolled: 3-line block ×5, first 2 shown]
	s_cselect_b64 s[2:3], -1, 0
	v_cndmask_b32_e64 v8, v8, v17, s[2:3]
	v_add_f32_e32 v3, v3, v8
	global_store_dword v[6:7], v1, off
	s_branch .LBB412_25
.LBB412_28:
	s_waitcnt lgkmcnt(0)
	s_load_dword s6, s[0:1], 0x3c
	s_waitcnt lgkmcnt(0)
	s_bitcmp1_b32 s6, 0
	s_cselect_b64 s[2:3], -1, 0
	s_bitcmp0_b32 s6, 0
	s_cbranch_scc0 .LBB412_32
; %bb.29:
	s_load_dwordx2 s[6:7], s[0:1], 0x40
	s_andn2_b64 vcc, exec, s[2:3]
	s_waitcnt lgkmcnt(0)
	v_cvt_f32_f64_e32 v18, s[6:7]
	s_cbranch_vccz .LBB412_33
.LBB412_30:
	s_andn2_b64 vcc, exec, s[4:5]
	s_cbranch_vccz .LBB412_34
.LBB412_31:
	s_endpgm
.LBB412_32:
	v_mbcnt_lo_u32_b32 v1, -1, 0
	v_mbcnt_hi_u32_b32 v1, -1, v1
	v_and_b32_e32 v2, 64, v1
	v_add_u32_e32 v2, 64, v2
	v_xor_b32_e32 v6, 32, v1
	v_cmp_lt_i32_e32 vcc, v6, v2
	v_xor_b32_e32 v7, 16, v1
	s_nop 0
	v_cndmask_b32_e32 v6, v1, v6, vcc
	v_lshlrev_b32_e32 v6, 2, v6
	ds_bpermute_b32 v6, v6, v3
	v_cmp_lt_i32_e32 vcc, v7, v2
	s_waitcnt lgkmcnt(0)
	v_add_f32_e32 v3, v3, v6
	v_cndmask_b32_e32 v6, v1, v7, vcc
	v_lshlrev_b32_e32 v6, 2, v6
	ds_bpermute_b32 v6, v6, v3
	v_xor_b32_e32 v7, 8, v1
	v_cmp_lt_i32_e32 vcc, v7, v2
	s_waitcnt lgkmcnt(0)
	v_add_f32_e32 v3, v3, v6
	v_cndmask_b32_e32 v6, v1, v7, vcc
	v_lshlrev_b32_e32 v6, 2, v6
	ds_bpermute_b32 v6, v6, v3
	v_xor_b32_e32 v7, 4, v1
	;; [unrolled: 7-line block ×4, first 2 shown]
	v_cmp_lt_i32_e32 vcc, v7, v2
	s_waitcnt lgkmcnt(0)
	v_add_f32_e32 v3, v3, v6
	v_cndmask_b32_e32 v1, v1, v7, vcc
	v_lshlrev_b32_e32 v1, 2, v1
	ds_bpermute_b32 v1, v1, v3
	s_waitcnt lgkmcnt(0)
	v_add_f32_e32 v3, v3, v1
	s_load_dwordx2 s[6:7], s[0:1], 0x40
	s_andn2_b64 vcc, exec, s[2:3]
	s_waitcnt lgkmcnt(0)
	v_cvt_f32_f64_e32 v18, s[6:7]
	s_cbranch_vccnz .LBB412_30
.LBB412_33:
	v_cmp_lt_f32_e32 vcc, 0, v3
	s_nop 1
	v_cndmask_b32_e32 v1, 1.0, v3, vcc
	v_div_scale_f32 v2, s[2:3], v1, v1, v18
	v_rcp_f32_e32 v3, v2
	s_nop 0
	v_fma_f32 v6, -v2, v3, 1.0
	v_fmac_f32_e32 v3, v6, v3
	v_div_scale_f32 v6, vcc, v18, v1, v18
	v_mul_f32_e32 v7, v6, v3
	v_fma_f32 v8, -v2, v7, v6
	v_fmac_f32_e32 v7, v8, v3
	v_fma_f32 v2, -v2, v7, v6
	v_div_fmas_f32 v2, v2, v3, v7
	v_div_fixup_f32 v18, v2, v1, v18
	s_andn2_b64 vcc, exec, s[4:5]
	s_cbranch_vccnz .LBB412_31
.LBB412_34:
	s_load_dwordx2 s[10:11], s[0:1], 0x10
	v_or_b32_e32 v24, 64, v10
	v_or_b32_e32 v23, 0x80, v10
	;; [unrolled: 1-line block ×6, first 2 shown]
	s_cmp_eq_u32 s28, 1
	s_mov_b32 s12, 0
	s_cbranch_scc1 .LBB412_65
; %bb.35:
	v_ashrrev_i32_e32 v1, 31, v0
	s_waitcnt lgkmcnt(0)
	v_lshl_add_u64 v[2:3], v[0:1], 2, s[10:11]
	s_and_b32 s12, s28, 0x7ffffffe
	v_lshl_add_u64 v[2:3], v[2:3], 0, 4
	v_lshl_add_u64 v[6:7], v[4:5], 0, 4
	s_mov_b32 s13, 0
	s_branch .LBB412_37
.LBB412_36:                             ;   in Loop: Header=BB412_37 Depth=1
	s_or_b64 exec, exec, s[0:1]
	s_add_i32 s13, s13, 2
	v_lshl_add_u64 v[2:3], v[2:3], 0, 8
	s_cmp_lg_u32 s12, s13
	v_lshl_add_u64 v[6:7], v[6:7], 0, 8
	s_cbranch_scc0 .LBB412_65
.LBB412_37:                             ; =>This Inner Loop Header: Depth=1
	global_load_dword v1, v[6:7], off offset:-4
	v_mov_b64_e32 v[8:9], 0
	s_waitcnt vmcnt(0)
	v_cmp_eq_u32_e32 vcc, v1, v10
	v_cmp_ne_u32_e64 s[0:1], v1, v10
	s_and_saveexec_b64 s[14:15], s[0:1]
	s_cbranch_execz .LBB412_49
; %bb.38:                               ;   in Loop: Header=BB412_37 Depth=1
	v_cmp_eq_u32_e64 s[0:1], v1, v24
	v_cmp_ne_u32_e64 s[2:3], v1, v24
	v_mov_b64_e32 v[8:9], 1
	s_and_saveexec_b64 s[16:17], s[2:3]
	s_cbranch_execz .LBB412_48
; %bb.39:                               ;   in Loop: Header=BB412_37 Depth=1
	v_cmp_eq_u32_e64 s[2:3], v1, v23
	v_cmp_ne_u32_e64 s[4:5], v1, v23
	v_mov_b64_e32 v[8:9], 2
	;; [unrolled: 6-line block ×5, first 2 shown]
	s_and_saveexec_b64 s[26:27], s[8:9]
	s_xor_b64 s[26:27], exec, s[26:27]
; %bb.43:                               ;   in Loop: Header=BB412_37 Depth=1
	v_cmp_eq_u32_e64 s[8:9], v1, v19
	s_andn2_b64 s[24:25], s[24:25], exec
	s_and_b64 s[8:9], s[8:9], exec
	v_mov_b64_e32 v[8:9], 6
	s_or_b64 s[24:25], s[24:25], s[8:9]
; %bb.44:                               ;   in Loop: Header=BB412_37 Depth=1
	s_or_b64 exec, exec, s[26:27]
	s_andn2_b64 s[6:7], s[6:7], exec
	s_and_b64 s[8:9], s[24:25], exec
	s_or_b64 s[6:7], s[6:7], s[8:9]
.LBB412_45:                             ;   in Loop: Header=BB412_37 Depth=1
	s_or_b64 exec, exec, s[22:23]
	s_andn2_b64 s[4:5], s[4:5], exec
	s_and_b64 s[6:7], s[6:7], exec
	s_or_b64 s[4:5], s[4:5], s[6:7]
.LBB412_46:                             ;   in Loop: Header=BB412_37 Depth=1
	s_or_b64 exec, exec, s[20:21]
	s_andn2_b64 s[2:3], s[2:3], exec
	s_and_b64 s[4:5], s[4:5], exec
	s_or_b64 s[2:3], s[2:3], s[4:5]
.LBB412_47:                             ;   in Loop: Header=BB412_37 Depth=1
	s_or_b64 exec, exec, s[18:19]
	s_andn2_b64 s[0:1], s[0:1], exec
	s_and_b64 s[2:3], s[2:3], exec
	s_or_b64 s[0:1], s[0:1], s[2:3]
.LBB412_48:                             ;   in Loop: Header=BB412_37 Depth=1
	s_or_b64 exec, exec, s[16:17]
	s_andn2_b64 s[2:3], vcc, exec
	s_and_b64 s[0:1], s[0:1], exec
	s_or_b64 vcc, s[2:3], s[0:1]
.LBB412_49:                             ;   in Loop: Header=BB412_37 Depth=1
	s_or_b64 exec, exec, s[14:15]
	s_and_saveexec_b64 s[0:1], vcc
	s_cbranch_execz .LBB412_51
; %bb.50:                               ;   in Loop: Header=BB412_37 Depth=1
	v_cmp_eq_u32_e32 vcc, 1, v8
	v_add_u32_e32 v26, s13, v0
	v_ashrrev_i32_e32 v27, 31, v26
	v_cndmask_b32_e32 v1, v12, v11, vcc
	v_cmp_eq_u32_e32 vcc, 2, v8
	s_nop 1
	v_cndmask_b32_e32 v1, v1, v14, vcc
	v_cmp_eq_u32_e32 vcc, 3, v8
	s_nop 1
	;; [unrolled: 3-line block ×4, first 2 shown]
	v_cndmask_b32_e32 v1, v1, v15, vcc
	v_cmp_eq_u32_e32 vcc, 6, v8
	v_lshl_add_u64 v[8:9], v[26:27], 2, s[10:11]
	s_nop 0
	v_cndmask_b32_e32 v1, v1, v17, vcc
	v_mul_f32_e32 v1, v18, v1
	global_store_dword v[8:9], v1, off
.LBB412_51:                             ;   in Loop: Header=BB412_37 Depth=1
	s_or_b64 exec, exec, s[0:1]
	global_load_dword v1, v[6:7], off
	v_mov_b64_e32 v[8:9], 0
	s_waitcnt vmcnt(0)
	v_cmp_eq_u32_e64 s[6:7], v1, v10
	v_cmp_ne_u32_e32 vcc, v1, v10
	s_and_saveexec_b64 s[8:9], vcc
	s_cbranch_execz .LBB412_63
; %bb.52:                               ;   in Loop: Header=BB412_37 Depth=1
	v_cmp_eq_u32_e32 vcc, v1, v24
	v_cmp_ne_u32_e64 s[0:1], v1, v24
	v_mov_b64_e32 v[8:9], 1
	s_and_saveexec_b64 s[14:15], s[0:1]
	s_cbranch_execz .LBB412_62
; %bb.53:                               ;   in Loop: Header=BB412_37 Depth=1
	v_cmp_eq_u32_e64 s[0:1], v1, v23
	v_cmp_ne_u32_e64 s[2:3], v1, v23
	v_mov_b64_e32 v[8:9], 2
	s_and_saveexec_b64 s[16:17], s[2:3]
	s_cbranch_execz .LBB412_61
; %bb.54:                               ;   in Loop: Header=BB412_37 Depth=1
	v_cmp_eq_u32_e64 s[2:3], v1, v22
	;; [unrolled: 6-line block ×4, first 2 shown]
	v_cmp_ne_u32_e64 s[4:5], v1, v20
	v_mov_b64_e32 v[8:9], 5
	s_and_saveexec_b64 s[26:27], s[4:5]
; %bb.57:                               ;   in Loop: Header=BB412_37 Depth=1
	v_cmp_eq_u32_e64 s[4:5], v1, v19
	s_andn2_b64 s[24:25], s[24:25], exec
	s_and_b64 s[4:5], s[4:5], exec
	v_mov_b64_e32 v[8:9], 6
	s_or_b64 s[24:25], s[24:25], s[4:5]
; %bb.58:                               ;   in Loop: Header=BB412_37 Depth=1
	s_or_b64 exec, exec, s[26:27]
	s_andn2_b64 s[4:5], s[20:21], exec
	s_and_b64 s[20:21], s[24:25], exec
	s_or_b64 s[20:21], s[4:5], s[20:21]
.LBB412_59:                             ;   in Loop: Header=BB412_37 Depth=1
	s_or_b64 exec, exec, s[22:23]
	s_andn2_b64 s[2:3], s[2:3], exec
	s_and_b64 s[4:5], s[20:21], exec
	s_or_b64 s[2:3], s[2:3], s[4:5]
.LBB412_60:                             ;   in Loop: Header=BB412_37 Depth=1
	s_or_b64 exec, exec, s[18:19]
	s_andn2_b64 s[0:1], s[0:1], exec
	s_and_b64 s[2:3], s[2:3], exec
	s_or_b64 s[0:1], s[0:1], s[2:3]
.LBB412_61:                             ;   in Loop: Header=BB412_37 Depth=1
	s_or_b64 exec, exec, s[16:17]
	s_andn2_b64 s[2:3], vcc, exec
	s_and_b64 s[0:1], s[0:1], exec
	s_or_b64 vcc, s[2:3], s[0:1]
.LBB412_62:                             ;   in Loop: Header=BB412_37 Depth=1
	s_or_b64 exec, exec, s[14:15]
	s_andn2_b64 s[0:1], s[6:7], exec
	s_and_b64 s[2:3], vcc, exec
	s_or_b64 s[6:7], s[0:1], s[2:3]
.LBB412_63:                             ;   in Loop: Header=BB412_37 Depth=1
	s_or_b64 exec, exec, s[8:9]
	s_and_saveexec_b64 s[0:1], s[6:7]
	s_cbranch_execz .LBB412_36
; %bb.64:                               ;   in Loop: Header=BB412_37 Depth=1
	v_cmp_eq_u32_e32 vcc, 1, v8
	s_nop 1
	v_cndmask_b32_e32 v1, v12, v11, vcc
	v_cmp_eq_u32_e32 vcc, 2, v8
	s_nop 1
	v_cndmask_b32_e32 v1, v1, v14, vcc
	;; [unrolled: 3-line block ×6, first 2 shown]
	v_mul_f32_e32 v1, v18, v1
	global_store_dword v[2:3], v1, off
	s_branch .LBB412_36
.LBB412_65:
	s_bitcmp0_b32 s28, 0
	s_mov_b32 s13, 0
	s_cbranch_scc1 .LBB412_31
; %bb.66:
	v_lshl_add_u64 v[2:3], s[12:13], 2, v[4:5]
	global_load_dword v1, v[2:3], off
	v_mov_b64_e32 v[2:3], 0
	s_waitcnt vmcnt(0)
	v_cmp_eq_u32_e64 s[6:7], v1, v10
	v_cmp_ne_u32_e32 vcc, v1, v10
	s_and_saveexec_b64 s[8:9], vcc
	s_cbranch_execz .LBB412_78
; %bb.67:
	v_cmp_eq_u32_e32 vcc, v1, v24
	v_cmp_ne_u32_e64 s[0:1], v1, v24
	v_mov_b64_e32 v[2:3], 1
	s_and_saveexec_b64 s[14:15], s[0:1]
	s_cbranch_execz .LBB412_77
; %bb.68:
	v_cmp_eq_u32_e64 s[0:1], v1, v23
	v_cmp_ne_u32_e64 s[2:3], v1, v23
	v_mov_b64_e32 v[2:3], 2
	s_and_saveexec_b64 s[16:17], s[2:3]
	s_cbranch_execz .LBB412_76
; %bb.69:
	v_cmp_eq_u32_e64 s[2:3], v1, v22
	;; [unrolled: 6-line block ×4, first 2 shown]
	v_cmp_ne_u32_e64 s[4:5], v1, v20
	v_mov_b64_e32 v[2:3], 5
	s_and_saveexec_b64 s[26:27], s[4:5]
; %bb.72:
	v_cmp_eq_u32_e64 s[4:5], v1, v19
	s_andn2_b64 s[24:25], s[24:25], exec
	s_and_b64 s[4:5], s[4:5], exec
	v_mov_b64_e32 v[2:3], 6
	s_or_b64 s[24:25], s[24:25], s[4:5]
; %bb.73:
	s_or_b64 exec, exec, s[26:27]
	s_andn2_b64 s[4:5], s[20:21], exec
	s_and_b64 s[20:21], s[24:25], exec
	s_or_b64 s[20:21], s[4:5], s[20:21]
.LBB412_74:
	s_or_b64 exec, exec, s[22:23]
	s_andn2_b64 s[2:3], s[2:3], exec
	s_and_b64 s[4:5], s[20:21], exec
	s_or_b64 s[2:3], s[2:3], s[4:5]
.LBB412_75:
	s_or_b64 exec, exec, s[18:19]
	s_andn2_b64 s[0:1], s[0:1], exec
	s_and_b64 s[2:3], s[2:3], exec
	s_or_b64 s[0:1], s[0:1], s[2:3]
.LBB412_76:
	s_or_b64 exec, exec, s[16:17]
	s_andn2_b64 s[2:3], vcc, exec
	s_and_b64 s[0:1], s[0:1], exec
	s_or_b64 vcc, s[2:3], s[0:1]
.LBB412_77:
	s_or_b64 exec, exec, s[14:15]
	s_andn2_b64 s[0:1], s[6:7], exec
	s_and_b64 s[2:3], vcc, exec
	s_or_b64 s[6:7], s[0:1], s[2:3]
.LBB412_78:
	s_or_b64 exec, exec, s[8:9]
	s_and_b64 exec, exec, s[6:7]
	s_cbranch_execz .LBB412_31
; %bb.79:
	v_cmp_eq_u32_e32 vcc, 1, v2
	v_add_u32_e32 v0, s12, v0
	s_nop 0
	v_cndmask_b32_e32 v1, v12, v11, vcc
	v_cmp_eq_u32_e32 vcc, 2, v2
	s_nop 1
	v_cndmask_b32_e32 v1, v1, v14, vcc
	v_cmp_eq_u32_e32 vcc, 3, v2
	;; [unrolled: 3-line block ×5, first 2 shown]
	s_nop 1
	v_cndmask_b32_e32 v1, v1, v17, vcc
	v_mul_f32_e32 v2, v18, v1
	v_ashrrev_i32_e32 v1, 31, v0
	s_waitcnt lgkmcnt(0)
	v_lshl_add_u64 v[0:1], v[0:1], 2, s[10:11]
	global_store_dword v[0:1], v2, off
	s_endpgm
	.section	.rodata,"a",@progbits
	.p2align	6, 0x0
	.amdhsa_kernel _ZN4vllm3moe22topkGatingSoftplusSqrtILi7ELi448ELi4ELi2ELi64ELb1Ei14__hip_bfloat16EEvPKT6_PKbPfiPT5_PiiiibdPKfPKS9_SF_
		.amdhsa_group_segment_fixed_size 0
		.amdhsa_private_segment_fixed_size 0
		.amdhsa_kernarg_size 96
		.amdhsa_user_sgpr_count 2
		.amdhsa_user_sgpr_dispatch_ptr 0
		.amdhsa_user_sgpr_queue_ptr 0
		.amdhsa_user_sgpr_kernarg_segment_ptr 1
		.amdhsa_user_sgpr_dispatch_id 0
		.amdhsa_user_sgpr_kernarg_preload_length 0
		.amdhsa_user_sgpr_kernarg_preload_offset 0
		.amdhsa_user_sgpr_private_segment_size 0
		.amdhsa_uses_dynamic_stack 0
		.amdhsa_enable_private_segment 0
		.amdhsa_system_sgpr_workgroup_id_x 1
		.amdhsa_system_sgpr_workgroup_id_y 0
		.amdhsa_system_sgpr_workgroup_id_z 0
		.amdhsa_system_sgpr_workgroup_info 0
		.amdhsa_system_vgpr_workitem_id 1
		.amdhsa_next_free_vgpr 28
		.amdhsa_next_free_sgpr 29
		.amdhsa_accum_offset 28
		.amdhsa_reserve_vcc 1
		.amdhsa_float_round_mode_32 0
		.amdhsa_float_round_mode_16_64 0
		.amdhsa_float_denorm_mode_32 3
		.amdhsa_float_denorm_mode_16_64 3
		.amdhsa_dx10_clamp 1
		.amdhsa_ieee_mode 1
		.amdhsa_fp16_overflow 0
		.amdhsa_tg_split 0
		.amdhsa_exception_fp_ieee_invalid_op 0
		.amdhsa_exception_fp_denorm_src 0
		.amdhsa_exception_fp_ieee_div_zero 0
		.amdhsa_exception_fp_ieee_overflow 0
		.amdhsa_exception_fp_ieee_underflow 0
		.amdhsa_exception_fp_ieee_inexact 0
		.amdhsa_exception_int_div_zero 0
	.end_amdhsa_kernel
	.section	.text._ZN4vllm3moe22topkGatingSoftplusSqrtILi7ELi448ELi4ELi2ELi64ELb1Ei14__hip_bfloat16EEvPKT6_PKbPfiPT5_PiiiibdPKfPKS9_SF_,"axG",@progbits,_ZN4vllm3moe22topkGatingSoftplusSqrtILi7ELi448ELi4ELi2ELi64ELb1Ei14__hip_bfloat16EEvPKT6_PKbPfiPT5_PiiiibdPKfPKS9_SF_,comdat
.Lfunc_end412:
	.size	_ZN4vllm3moe22topkGatingSoftplusSqrtILi7ELi448ELi4ELi2ELi64ELb1Ei14__hip_bfloat16EEvPKT6_PKbPfiPT5_PiiiibdPKfPKS9_SF_, .Lfunc_end412-_ZN4vllm3moe22topkGatingSoftplusSqrtILi7ELi448ELi4ELi2ELi64ELb1Ei14__hip_bfloat16EEvPKT6_PKbPfiPT5_PiiiibdPKfPKS9_SF_
                                        ; -- End function
	.section	.AMDGPU.csdata,"",@progbits
; Kernel info:
; codeLenInByte = 4840
; NumSgprs: 35
; NumVgprs: 28
; NumAgprs: 0
; TotalNumVgprs: 28
; ScratchSize: 0
; MemoryBound: 0
; FloatMode: 240
; IeeeMode: 1
; LDSByteSize: 0 bytes/workgroup (compile time only)
; SGPRBlocks: 4
; VGPRBlocks: 3
; NumSGPRsForWavesPerEU: 35
; NumVGPRsForWavesPerEU: 28
; AccumOffset: 28
; Occupancy: 8
; WaveLimiterHint : 1
; COMPUTE_PGM_RSRC2:SCRATCH_EN: 0
; COMPUTE_PGM_RSRC2:USER_SGPR: 2
; COMPUTE_PGM_RSRC2:TRAP_HANDLER: 0
; COMPUTE_PGM_RSRC2:TGID_X_EN: 1
; COMPUTE_PGM_RSRC2:TGID_Y_EN: 0
; COMPUTE_PGM_RSRC2:TGID_Z_EN: 0
; COMPUTE_PGM_RSRC2:TIDIG_COMP_CNT: 1
; COMPUTE_PGM_RSRC3_GFX90A:ACCUM_OFFSET: 6
; COMPUTE_PGM_RSRC3_GFX90A:TG_SPLIT: 0
	.section	.text._ZN4vllm3moe22topkGatingSoftplusSqrtILi7ELi448ELi4ELi2ELi64ELb0Ei14__hip_bfloat16EEvPKT6_PKbPfiPT5_PiiiibdPKfPKS9_SF_,"axG",@progbits,_ZN4vllm3moe22topkGatingSoftplusSqrtILi7ELi448ELi4ELi2ELi64ELb0Ei14__hip_bfloat16EEvPKT6_PKbPfiPT5_PiiiibdPKfPKS9_SF_,comdat
	.protected	_ZN4vllm3moe22topkGatingSoftplusSqrtILi7ELi448ELi4ELi2ELi64ELb0Ei14__hip_bfloat16EEvPKT6_PKbPfiPT5_PiiiibdPKfPKS9_SF_ ; -- Begin function _ZN4vllm3moe22topkGatingSoftplusSqrtILi7ELi448ELi4ELi2ELi64ELb0Ei14__hip_bfloat16EEvPKT6_PKbPfiPT5_PiiiibdPKfPKS9_SF_
	.globl	_ZN4vllm3moe22topkGatingSoftplusSqrtILi7ELi448ELi4ELi2ELi64ELb0Ei14__hip_bfloat16EEvPKT6_PKbPfiPT5_PiiiibdPKfPKS9_SF_
	.p2align	8
	.type	_ZN4vllm3moe22topkGatingSoftplusSqrtILi7ELi448ELi4ELi2ELi64ELb0Ei14__hip_bfloat16EEvPKT6_PKbPfiPT5_PiiiibdPKfPKS9_SF_,@function
_ZN4vllm3moe22topkGatingSoftplusSqrtILi7ELi448ELi4ELi2ELi64ELb0Ei14__hip_bfloat16EEvPKT6_PKbPfiPT5_PiiiibdPKfPKS9_SF_: ; @_ZN4vllm3moe22topkGatingSoftplusSqrtILi7ELi448ELi4ELi2ELi64ELb0Ei14__hip_bfloat16EEvPKT6_PKbPfiPT5_PiiiibdPKfPKS9_SF_
; %bb.0:
	s_load_dword s30, s[0:1], 0x18
	v_and_b32_e32 v1, 0x3ff, v0
	s_lshl_b32 s2, s2, 2
	v_lshrrev_b32_e32 v2, 6, v1
	v_bfe_u32 v0, v0, 10, 10
	v_add3_u32 v8, s2, v0, v2
	s_waitcnt lgkmcnt(0)
	v_cmp_gt_i32_e32 vcc, s30, v8
	s_and_saveexec_b64 s[2:3], vcc
	s_cbranch_execz .LBB413_63
; %bb.1:
	s_load_dwordx4 s[4:7], s[0:1], 0x0
	s_load_dwordx2 s[20:21], s[0:1], 0x10
	s_waitcnt lgkmcnt(0)
	s_cmp_eq_u64 s[6:7], 0
	s_cbranch_scc1 .LBB413_3
; %bb.2:
	v_ashrrev_i32_e32 v9, 31, v8
	v_lshl_add_u64 v[2:3], s[6:7], 0, v[8:9]
	global_load_ubyte v0, v[2:3], off
	s_waitcnt vmcnt(0)
	v_and_b32_e32 v0, 1, v0
	v_cmp_eq_u32_e32 vcc, 1, v0
	s_xor_b64 s[2:3], vcc, -1
	s_orn2_b64 s[22:23], s[2:3], exec
	s_branch .LBB413_4
.LBB413_3:
	s_mov_b64 s[22:23], -1
.LBB413_4:
	s_movk_i32 s2, 0x1c0
	v_mul_lo_u32 v4, v8, s2
	v_mov_b32_e32 v2, s4
	v_mov_b32_e32 v3, s5
	v_ashrrev_i32_e32 v5, 31, v4
	v_and_b32_e32 v10, 63, v1
	v_lshl_add_u64 v[2:3], v[4:5], 1, v[2:3]
	v_mov_b32_e32 v1, 0
	v_lshlrev_b32_e32 v0, 1, v10
	v_lshl_add_u64 v[12:13], v[2:3], 0, v[0:1]
	global_load_ushort v0, v[12:13], off
	global_load_ushort v1, v[12:13], off offset:128
	global_load_ushort v2, v[12:13], off offset:256
	;; [unrolled: 1-line block ×6, first 2 shown]
	s_mov_b32 s16, 0x800000
	v_mov_b32_e32 v11, 0x4f800000
	s_mov_b32 s13, 0x3f317217
	s_mov_b32 s14, 0x7f800000
	v_mov_b32_e32 v12, 0x41b17218
	s_mov_b32 s12, 0x41a00000
	s_mov_b32 s15, 0xf800000
	s_load_dwordx4 s[8:11], s[0:1], 0x40
	s_waitcnt lgkmcnt(0)
	s_cmp_lg_u64 s[10:11], 0
	s_cselect_b64 s[6:7], -1, 0
	s_and_b64 s[2:3], exec, s[6:7]
	s_waitcnt vmcnt(6)
	v_lshlrev_b32_e32 v0, 16, v0
	v_mul_f32_e32 v7, 0x3fb8aa3b, v0
	v_exp_f32_e32 v7, v7
	s_nop 0
	v_add_f32_e32 v7, 1.0, v7
	v_cmp_gt_f32_e32 vcc, s16, v7
	s_nop 1
	v_cndmask_b32_e32 v9, 1.0, v11, vcc
	v_mul_f32_e32 v7, v7, v9
	v_log_f32_e32 v13, v7
	v_cndmask_b32_e32 v14, 0, v12, vcc
	v_mov_b32_e32 v9, 0x260
	v_lshlrev_b32_e32 v7, 2, v10
	v_mul_f32_e32 v15, 0x3f317217, v13
	v_fma_f32 v15, v13, s13, -v15
	v_fmac_f32_e32 v15, 0x3377d1cf, v13
	v_fmac_f32_e32 v15, 0x3f317217, v13
	v_cmp_lt_f32_e64 vcc, |v13|, s14
	s_nop 1
	v_cndmask_b32_e32 v13, v13, v15, vcc
	v_sub_f32_e32 v13, v13, v14
	v_cmp_lt_f32_e32 vcc, s12, v0
	s_nop 1
	v_cndmask_b32_e32 v0, v13, v0, vcc
	v_mul_f32_e32 v13, 0x4f800000, v0
	v_cmp_gt_f32_e32 vcc, s15, v0
	s_nop 1
	v_cndmask_b32_e32 v0, v0, v13, vcc
	v_sqrt_f32_e32 v13, v0
	s_nop 0
	v_add_u32_e32 v14, -1, v13
	v_add_u32_e32 v15, 1, v13
	v_fma_f32 v16, -v14, v13, v0
	v_fma_f32 v17, -v15, v13, v0
	v_cmp_ge_f32_e64 s[4:5], 0, v16
	s_nop 1
	v_cndmask_b32_e64 v13, v13, v14, s[4:5]
	v_cmp_lt_f32_e64 s[4:5], 0, v17
	s_nop 1
	v_cndmask_b32_e64 v13, v13, v15, s[4:5]
	v_mul_f32_e32 v14, 0x37800000, v13
	v_cndmask_b32_e32 v13, v13, v14, vcc
	v_cmp_class_f32_e32 vcc, v0, v9
	s_nop 1
	v_cndmask_b32_e32 v0, v13, v0, vcc
	s_mov_b64 vcc, s[2:3]
	s_cbranch_vccz .LBB413_6
; %bb.5:
	global_load_dword v13, v7, s[10:11]
	s_waitcnt vmcnt(0)
	v_add_f32_e32 v0, v0, v13
.LBB413_6:
	s_waitcnt vmcnt(5)
	v_lshlrev_b32_e32 v1, 16, v1
	v_mul_f32_e32 v13, 0x3fb8aa3b, v1
	v_exp_f32_e32 v13, v13
	s_nop 0
	v_add_f32_e32 v13, 1.0, v13
	v_cmp_gt_f32_e32 vcc, s16, v13
	s_nop 1
	v_cndmask_b32_e32 v11, 1.0, v11, vcc
	v_mul_f32_e32 v11, v13, v11
	v_log_f32_e32 v11, v11
	v_cndmask_b32_e32 v12, 0, v12, vcc
	v_mul_f32_e32 v13, 0x3f317217, v11
	v_fma_f32 v13, v11, s13, -v13
	v_fmac_f32_e32 v13, 0x3377d1cf, v11
	v_fmac_f32_e32 v13, 0x3f317217, v11
	v_cmp_lt_f32_e64 vcc, |v11|, s14
	s_nop 1
	v_cndmask_b32_e32 v11, v11, v13, vcc
	v_sub_f32_e32 v11, v11, v12
	v_cmp_lt_f32_e32 vcc, s12, v1
	s_nop 1
	v_cndmask_b32_e32 v1, v11, v1, vcc
	v_mul_f32_e32 v11, 0x4f800000, v1
	v_cmp_gt_f32_e32 vcc, s15, v1
	s_nop 1
	v_cndmask_b32_e32 v1, v1, v11, vcc
	v_sqrt_f32_e32 v11, v1
	v_cmp_class_f32_e64 s[4:5], v1, v9
	v_add_u32_e32 v12, -1, v11
	v_add_u32_e32 v13, 1, v11
	v_fma_f32 v14, -v12, v11, v1
	v_fma_f32 v15, -v13, v11, v1
	v_cmp_ge_f32_e64 s[2:3], 0, v14
	s_nop 1
	v_cndmask_b32_e64 v11, v11, v12, s[2:3]
	v_cmp_lt_f32_e64 s[2:3], 0, v15
	s_nop 1
	v_cndmask_b32_e64 v11, v11, v13, s[2:3]
	v_mul_f32_e32 v12, 0x37800000, v11
	v_cndmask_b32_e32 v11, v11, v12, vcc
	v_cndmask_b32_e64 v12, 0, 1, s[6:7]
	v_cmp_ne_u32_e64 s[2:3], 1, v12
	s_andn2_b64 vcc, exec, s[6:7]
	v_cndmask_b32_e64 v1, v11, v1, s[4:5]
	s_cbranch_vccnz .LBB413_8
; %bb.7:
	global_load_dword v9, v7, s[10:11] offset:256
	s_waitcnt vmcnt(0)
	v_add_f32_e32 v1, v1, v9
.LBB413_8:
	s_waitcnt vmcnt(4)
	v_lshlrev_b32_e32 v2, 16, v2
	v_mul_f32_e32 v9, 0x3fb8aa3b, v2
	v_exp_f32_e32 v9, v9
	s_mov_b32 s14, 0x800000
	v_mov_b32_e32 v11, 0x4f800000
	s_mov_b32 s7, 0x3f317217
	v_add_f32_e32 v9, 1.0, v9
	v_cmp_gt_f32_e32 vcc, s14, v9
	s_mov_b32 s12, 0x7f800000
	s_mov_b32 s6, 0x41a00000
	v_cndmask_b32_e32 v12, 1.0, v11, vcc
	v_mul_f32_e32 v9, v9, v12
	v_log_f32_e32 v9, v9
	s_mov_b32 s13, 0xf800000
	v_mul_f32_e32 v12, 0x3f317217, v9
	v_fma_f32 v12, v9, s7, -v12
	v_fmac_f32_e32 v12, 0x3377d1cf, v9
	v_fmac_f32_e32 v12, 0x3f317217, v9
	v_cmp_lt_f32_e64 s[4:5], |v9|, s12
	s_nop 1
	v_cndmask_b32_e64 v9, v9, v12, s[4:5]
	v_mov_b32_e32 v12, 0x41b17218
	v_cndmask_b32_e32 v13, 0, v12, vcc
	v_sub_f32_e32 v9, v9, v13
	v_cmp_lt_f32_e32 vcc, s6, v2
	s_nop 1
	v_cndmask_b32_e32 v2, v9, v2, vcc
	v_mul_f32_e32 v9, 0x4f800000, v2
	v_cmp_gt_f32_e32 vcc, s13, v2
	s_nop 1
	v_cndmask_b32_e32 v2, v2, v9, vcc
	v_sqrt_f32_e32 v9, v2
	s_nop 0
	v_add_u32_e32 v13, -1, v9
	v_fma_f32 v14, -v13, v9, v2
	v_cmp_ge_f32_e64 s[4:5], 0, v14
	v_add_u32_e32 v14, 1, v9
	s_nop 0
	v_cndmask_b32_e64 v13, v9, v13, s[4:5]
	v_fma_f32 v9, -v14, v9, v2
	v_cmp_lt_f32_e64 s[4:5], 0, v9
	s_nop 1
	v_cndmask_b32_e64 v9, v13, v14, s[4:5]
	v_mul_f32_e32 v13, 0x37800000, v9
	v_cndmask_b32_e32 v13, v9, v13, vcc
	v_mov_b32_e32 v9, 0x260
	v_cmp_class_f32_e64 s[4:5], v2, v9
	s_and_b64 vcc, exec, s[2:3]
	s_nop 0
	v_cndmask_b32_e64 v2, v13, v2, s[4:5]
	s_cbranch_vccnz .LBB413_10
; %bb.9:
	global_load_dword v13, v7, s[10:11] offset:512
	s_waitcnt vmcnt(0)
	v_add_f32_e32 v2, v2, v13
.LBB413_10:
	s_waitcnt vmcnt(3)
	v_lshlrev_b32_e32 v3, 16, v3
	v_mul_f32_e32 v13, 0x3fb8aa3b, v3
	v_exp_f32_e32 v13, v13
	s_nop 0
	v_add_f32_e32 v13, 1.0, v13
	v_cmp_gt_f32_e32 vcc, s14, v13
	s_nop 1
	v_cndmask_b32_e32 v11, 1.0, v11, vcc
	v_mul_f32_e32 v11, v13, v11
	v_log_f32_e32 v11, v11
	v_cndmask_b32_e32 v12, 0, v12, vcc
	v_mul_f32_e32 v13, 0x3f317217, v11
	v_fma_f32 v13, v11, s7, -v13
	v_fmac_f32_e32 v13, 0x3377d1cf, v11
	v_fmac_f32_e32 v13, 0x3f317217, v11
	v_cmp_lt_f32_e64 vcc, |v11|, s12
	s_nop 1
	v_cndmask_b32_e32 v11, v11, v13, vcc
	v_sub_f32_e32 v11, v11, v12
	v_cmp_lt_f32_e32 vcc, s6, v3
	s_nop 1
	v_cndmask_b32_e32 v3, v11, v3, vcc
	v_mul_f32_e32 v11, 0x4f800000, v3
	v_cmp_gt_f32_e32 vcc, s13, v3
	s_nop 1
	v_cndmask_b32_e32 v3, v3, v11, vcc
	v_sqrt_f32_e32 v11, v3
	s_nop 0
	v_add_u32_e32 v12, -1, v11
	v_add_u32_e32 v13, 1, v11
	v_fma_f32 v14, -v12, v11, v3
	v_fma_f32 v15, -v13, v11, v3
	v_cmp_ge_f32_e64 s[4:5], 0, v14
	s_nop 1
	v_cndmask_b32_e64 v11, v11, v12, s[4:5]
	v_cmp_lt_f32_e64 s[4:5], 0, v15
	s_nop 1
	v_cndmask_b32_e64 v11, v11, v13, s[4:5]
	v_mul_f32_e32 v12, 0x37800000, v11
	v_cndmask_b32_e32 v11, v11, v12, vcc
	v_cmp_class_f32_e64 s[4:5], v3, v9
	s_and_b64 vcc, exec, s[2:3]
	s_nop 0
	v_cndmask_b32_e64 v3, v11, v3, s[4:5]
	s_cbranch_vccnz .LBB413_12
; %bb.11:
	global_load_dword v9, v7, s[10:11] offset:768
	s_waitcnt vmcnt(0)
	v_add_f32_e32 v3, v3, v9
.LBB413_12:
	s_waitcnt vmcnt(2)
	v_lshlrev_b32_e32 v4, 16, v4
	v_mul_f32_e32 v9, 0x3fb8aa3b, v4
	v_exp_f32_e32 v9, v9
	v_mov_b32_e32 v11, 0x4f800000
	v_add_f32_e32 v9, 1.0, v9
	v_cmp_gt_f32_e32 vcc, s14, v9
	s_nop 1
	v_cndmask_b32_e32 v12, 1.0, v11, vcc
	v_mul_f32_e32 v9, v9, v12
	v_log_f32_e32 v9, v9
	s_nop 0
	v_mul_f32_e32 v12, 0x3f317217, v9
	v_fma_f32 v12, v9, s7, -v12
	v_fmac_f32_e32 v12, 0x3377d1cf, v9
	v_fmac_f32_e32 v12, 0x3f317217, v9
	v_cmp_lt_f32_e64 s[4:5], |v9|, s12
	s_nop 1
	v_cndmask_b32_e64 v9, v9, v12, s[4:5]
	v_mov_b32_e32 v12, 0x41b17218
	v_cndmask_b32_e32 v13, 0, v12, vcc
	v_sub_f32_e32 v9, v9, v13
	v_cmp_lt_f32_e32 vcc, s6, v4
	s_nop 1
	v_cndmask_b32_e32 v4, v9, v4, vcc
	v_mul_f32_e32 v9, 0x4f800000, v4
	v_cmp_gt_f32_e32 vcc, s13, v4
	s_nop 1
	v_cndmask_b32_e32 v4, v4, v9, vcc
	v_sqrt_f32_e32 v9, v4
	s_nop 0
	v_add_u32_e32 v13, -1, v9
	v_fma_f32 v14, -v13, v9, v4
	v_cmp_ge_f32_e64 s[4:5], 0, v14
	v_add_u32_e32 v14, 1, v9
	s_nop 0
	v_cndmask_b32_e64 v13, v9, v13, s[4:5]
	v_fma_f32 v9, -v14, v9, v4
	v_cmp_lt_f32_e64 s[4:5], 0, v9
	s_nop 1
	v_cndmask_b32_e64 v9, v13, v14, s[4:5]
	v_mul_f32_e32 v13, 0x37800000, v9
	v_cndmask_b32_e32 v13, v9, v13, vcc
	v_mov_b32_e32 v9, 0x260
	v_cmp_class_f32_e64 s[4:5], v4, v9
	s_and_b64 vcc, exec, s[2:3]
	s_nop 0
	v_cndmask_b32_e64 v4, v13, v4, s[4:5]
	s_cbranch_vccnz .LBB413_14
; %bb.13:
	global_load_dword v13, v7, s[10:11] offset:1024
	s_waitcnt vmcnt(0)
	v_add_f32_e32 v4, v4, v13
.LBB413_14:
	s_waitcnt vmcnt(1)
	v_lshlrev_b32_e32 v5, 16, v5
	v_mul_f32_e32 v13, 0x3fb8aa3b, v5
	v_exp_f32_e32 v13, v13
	s_nop 0
	v_add_f32_e32 v13, 1.0, v13
	v_cmp_gt_f32_e32 vcc, s14, v13
	s_nop 1
	v_cndmask_b32_e32 v11, 1.0, v11, vcc
	v_mul_f32_e32 v11, v13, v11
	v_log_f32_e32 v11, v11
	v_cndmask_b32_e32 v12, 0, v12, vcc
	v_mul_f32_e32 v13, 0x3f317217, v11
	v_fma_f32 v13, v11, s7, -v13
	v_fmac_f32_e32 v13, 0x3377d1cf, v11
	v_fmac_f32_e32 v13, 0x3f317217, v11
	v_cmp_lt_f32_e64 vcc, |v11|, s12
	s_nop 1
	v_cndmask_b32_e32 v11, v11, v13, vcc
	v_sub_f32_e32 v11, v11, v12
	v_cmp_lt_f32_e32 vcc, s6, v5
	s_nop 1
	v_cndmask_b32_e32 v5, v11, v5, vcc
	v_mul_f32_e32 v11, 0x4f800000, v5
	v_cmp_gt_f32_e32 vcc, s13, v5
	s_nop 1
	v_cndmask_b32_e32 v5, v5, v11, vcc
	v_sqrt_f32_e32 v11, v5
	s_nop 0
	v_add_u32_e32 v12, -1, v11
	v_add_u32_e32 v13, 1, v11
	v_fma_f32 v14, -v12, v11, v5
	v_fma_f32 v15, -v13, v11, v5
	v_cmp_ge_f32_e64 s[4:5], 0, v14
	s_nop 1
	v_cndmask_b32_e64 v11, v11, v12, s[4:5]
	v_cmp_lt_f32_e64 s[4:5], 0, v15
	s_nop 1
	v_cndmask_b32_e64 v11, v11, v13, s[4:5]
	v_mul_f32_e32 v12, 0x37800000, v11
	v_cndmask_b32_e32 v11, v11, v12, vcc
	v_cmp_class_f32_e64 s[4:5], v5, v9
	s_and_b64 vcc, exec, s[2:3]
	s_nop 0
	v_cndmask_b32_e64 v5, v11, v5, s[4:5]
	s_cbranch_vccnz .LBB413_16
; %bb.15:
	global_load_dword v9, v7, s[10:11] offset:1280
	s_waitcnt vmcnt(0)
	v_add_f32_e32 v5, v5, v9
.LBB413_16:
	s_waitcnt vmcnt(0)
	v_lshlrev_b32_e32 v6, 16, v6
	v_mul_f32_e32 v9, 0x3fb8aa3b, v6
	v_exp_f32_e32 v9, v9
	s_mov_b32 s4, 0x800000
	v_mov_b32_e32 v11, 0x4f800000
	s_mov_b32 s5, 0x7f800000
	v_add_f32_e32 v9, 1.0, v9
	v_cmp_gt_f32_e32 vcc, s4, v9
	s_mov_b32 s4, 0x3f317217
	s_nop 0
	v_cndmask_b32_e32 v11, 1.0, v11, vcc
	v_mul_f32_e32 v9, v9, v11
	v_log_f32_e32 v9, v9
	s_nop 0
	v_mul_f32_e32 v11, 0x3f317217, v9
	v_fma_f32 v11, v9, s4, -v11
	v_fmamk_f32 v11, v9, 0x3377d1cf, v11
	v_fmac_f32_e32 v11, 0x3f317217, v9
	v_cmp_lt_f32_e64 s[4:5], |v9|, s5
	s_nop 1
	v_cndmask_b32_e64 v9, v9, v11, s[4:5]
	v_mov_b32_e32 v11, 0x41b17218
	v_cndmask_b32_e32 v11, 0, v11, vcc
	v_sub_f32_e32 v9, v9, v11
	v_cmp_lt_f32_e32 vcc, s6, v6
	s_mov_b32 s4, 0xf800000
	s_nop 0
	v_cndmask_b32_e32 v6, v9, v6, vcc
	v_mul_f32_e32 v9, 0x4f800000, v6
	v_cmp_gt_f32_e32 vcc, s4, v6
	s_nop 1
	v_cndmask_b32_e32 v6, v6, v9, vcc
	v_sqrt_f32_e32 v9, v6
	s_nop 0
	v_add_u32_e32 v11, -1, v9
	v_fma_f32 v12, -v11, v9, v6
	v_cmp_ge_f32_e64 s[4:5], 0, v12
	v_add_u32_e32 v12, 1, v9
	s_nop 0
	v_cndmask_b32_e64 v11, v9, v11, s[4:5]
	v_fma_f32 v9, -v12, v9, v6
	v_cmp_lt_f32_e64 s[4:5], 0, v9
	s_nop 1
	v_cndmask_b32_e64 v9, v11, v12, s[4:5]
	v_mul_f32_e32 v11, 0x37800000, v9
	v_cndmask_b32_e32 v9, v9, v11, vcc
	v_mov_b32_e32 v11, 0x260
	v_cmp_class_f32_e64 s[4:5], v6, v11
	s_and_b64 vcc, exec, s[2:3]
	s_nop 0
	v_cndmask_b32_e64 v6, v9, v6, s[4:5]
	s_cbranch_vccnz .LBB413_18
; %bb.17:
	global_load_dword v7, v7, s[10:11] offset:1536
	s_waitcnt vmcnt(0)
	v_add_f32_e32 v6, v6, v7
.LBB413_18:
	s_load_dwordx4 s[12:15], s[0:1], 0x30
	v_cmp_eq_u32_e64 s[6:7], 0, v10
	s_waitcnt lgkmcnt(0)
	s_bitcmp1_b32 s15, 0
	s_cselect_b64 s[4:5], -1, 0
	s_cmp_gt_i32 s12, 0
	s_cselect_b64 s[24:25], -1, 0
	s_and_b64 vcc, exec, s[24:25]
	s_cbranch_vccz .LBB413_49
; %bb.19:
	v_mbcnt_lo_u32_b32 v7, -1, 0
	v_mbcnt_hi_u32_b32 v12, -1, v7
	v_and_b32_e32 v7, 64, v12
	v_add_u32_e32 v13, 64, v7
	v_xor_b32_e32 v14, 32, v12
	v_cmp_lt_i32_e32 vcc, v14, v13
	s_load_dwordx4 s[16:19], s[0:1], 0x20
	s_mov_b32 s15, 0
	v_cndmask_b32_e32 v14, v12, v14, vcc
	v_lshlrev_b32_e32 v19, 2, v14
	v_xor_b32_e32 v14, 16, v12
	v_cmp_lt_i32_e32 vcc, v14, v13
	v_mul_lo_u32 v7, v8, s12
	v_or_b32_e32 v9, 64, v10
	v_cndmask_b32_e32 v14, v12, v14, vcc
	v_lshlrev_b32_e32 v20, 2, v14
	v_xor_b32_e32 v14, 8, v12
	v_cmp_lt_i32_e32 vcc, v14, v13
	v_or_b32_e32 v11, 0x80, v10
	v_or_b32_e32 v15, 0xc0, v10
	v_cndmask_b32_e32 v14, v12, v14, vcc
	v_lshlrev_b32_e32 v21, 2, v14
	v_xor_b32_e32 v14, 4, v12
	v_cmp_lt_i32_e32 vcc, v14, v13
	v_or_b32_e32 v16, 0x100, v10
	;; [unrolled: 6-line block ×3, first 2 shown]
	v_mov_b32_e32 v25, 0x1c0
	v_cndmask_b32_e32 v14, v12, v14, vcc
	v_lshlrev_b32_e32 v23, 2, v14
	v_xor_b32_e32 v14, 1, v12
	v_cmp_lt_i32_e32 vcc, v14, v13
	v_mov_b32_e32 v26, 0xc61c4000
	v_mov_b32_e32 v27, v8
	v_cndmask_b32_e32 v12, v12, v14, vcc
	v_lshlrev_b32_e32 v24, 2, v12
	v_mov_b32_e32 v14, 0
	s_branch .LBB413_22
.LBB413_20:                             ;   in Loop: Header=BB413_22 Depth=1
	v_add_u32_e32 v30, s15, v7
	v_cmp_le_i32_e32 vcc, s13, v12
	v_cmp_gt_i32_e64 s[0:1], s14, v12
	v_ashrrev_i32_e32 v31, 31, v30
	s_and_b64 s[0:1], vcc, s[0:1]
	v_lshlrev_b64 v[30:31], 2, v[30:31]
	v_lshl_add_u64 v[32:33], s[20:21], 0, v[30:31]
	v_subrev_u32_e32 v13, s13, v12
	s_and_b64 vcc, s[22:23], s[0:1]
	global_store_dword v[32:33], v28, off
	v_cndmask_b32_e32 v13, v25, v13, vcc
	v_lshl_add_u64 v[32:33], s[16:17], 0, v[30:31]
	global_store_dword v[32:33], v13, off
	v_add_f32_e32 v13, v14, v28
	v_lshl_add_u64 v[30:31], s[18:19], 0, v[30:31]
	v_cndmask_b32_e64 v14, v14, v13, s[4:5]
	global_store_dword v[30:31], v27, off
.LBB413_21:                             ;   in Loop: Header=BB413_22 Depth=1
	s_or_b64 exec, exec, s[26:27]
	v_ashrrev_i32_e32 v13, 31, v12
	v_lshrrev_b32_e32 v13, 26, v13
	v_add_u32_e32 v13, v12, v13
	v_ashrrev_i32_e32 v28, 6, v13
	v_and_b32_e32 v13, 0xffffffc0, v13
	v_sub_u32_e32 v12, v12, v13
	v_cmp_ne_u32_e64 s[0:1], 0, v28
	v_cmp_eq_u32_e32 vcc, v10, v12
	s_add_i32 s15, s15, 1
	v_cndmask_b32_e64 v12, v26, v0, s[0:1]
	v_cmp_ne_u32_e64 s[0:1], 1, v28
	s_cmp_lt_i32 s15, s12
	s_cselect_b64 s[26:27], -1, 0
	v_cndmask_b32_e64 v13, v26, v1, s[0:1]
	v_cmp_ne_u32_e64 s[0:1], 2, v28
	s_and_b64 vcc, s[26:27], vcc
	v_cndmask_b32_e32 v1, v1, v13, vcc
	s_waitcnt lgkmcnt(0)
	v_cndmask_b32_e64 v29, v26, v2, s[0:1]
	v_cmp_ne_u32_e64 s[0:1], 3, v28
	v_cndmask_b32_e32 v2, v2, v29, vcc
	v_cndmask_b32_e32 v0, v0, v12, vcc
	v_cndmask_b32_e64 v30, v26, v3, s[0:1]
	v_cmp_ne_u32_e64 s[0:1], 4, v28
	v_cndmask_b32_e32 v3, v3, v30, vcc
	s_cmp_eq_u32 s12, s15
	v_cndmask_b32_e64 v31, v26, v4, s[0:1]
	v_cmp_ne_u32_e64 s[0:1], 5, v28
	v_cndmask_b32_e32 v4, v4, v31, vcc
	v_add_u32_e32 v27, s30, v27
	v_cndmask_b32_e64 v32, v26, v5, s[0:1]
	v_cmp_ne_u32_e64 s[0:1], 6, v28
	v_cndmask_b32_e32 v5, v5, v32, vcc
	s_nop 0
	v_cndmask_b32_e64 v28, v26, v6, s[0:1]
	v_cndmask_b32_e32 v6, v6, v28, vcc
	s_cbranch_scc1 .LBB413_50
.LBB413_22:                             ; =>This Inner Loop Header: Depth=1
	v_cmp_gt_f32_e32 vcc, v1, v0
	s_nop 1
	v_cndmask_b32_e32 v13, v0, v1, vcc
	v_cndmask_b32_e32 v12, v10, v9, vcc
	v_cmp_gt_f32_e32 vcc, v2, v13
	s_nop 1
	v_cndmask_b32_e32 v13, v13, v2, vcc
	v_cndmask_b32_e32 v12, v12, v11, vcc
	;; [unrolled: 4-line block ×6, first 2 shown]
	ds_bpermute_b32 v13, v19, v28
	ds_bpermute_b32 v29, v19, v12
	s_waitcnt lgkmcnt(0)
	v_cmp_lt_f32_e64 s[26:27], v28, v13
	v_cmp_nlt_f32_e32 vcc, v28, v13
	s_and_saveexec_b64 s[28:29], vcc
; %bb.23:                               ;   in Loop: Header=BB413_22 Depth=1
	v_cmp_eq_f32_e32 vcc, v28, v13
	v_cmp_lt_i32_e64 s[0:1], v29, v12
	s_and_b64 s[0:1], vcc, s[0:1]
	s_andn2_b64 s[26:27], s[26:27], exec
	s_and_b64 s[0:1], s[0:1], exec
	s_or_b64 s[26:27], s[26:27], s[0:1]
; %bb.24:                               ;   in Loop: Header=BB413_22 Depth=1
	s_or_b64 exec, exec, s[28:29]
	s_and_saveexec_b64 s[0:1], s[26:27]
; %bb.25:                               ;   in Loop: Header=BB413_22 Depth=1
	v_mov_b32_e32 v28, v13
	v_mov_b32_e32 v12, v29
; %bb.26:                               ;   in Loop: Header=BB413_22 Depth=1
	s_or_b64 exec, exec, s[0:1]
	ds_bpermute_b32 v13, v20, v28
	ds_bpermute_b32 v29, v20, v12
	s_waitcnt lgkmcnt(1)
	v_cmp_lt_f32_e64 s[26:27], v28, v13
	v_cmp_nlt_f32_e32 vcc, v28, v13
	s_and_saveexec_b64 s[28:29], vcc
	s_cbranch_execz .LBB413_28
; %bb.27:                               ;   in Loop: Header=BB413_22 Depth=1
	v_cmp_eq_f32_e32 vcc, v28, v13
	s_waitcnt lgkmcnt(0)
	v_cmp_lt_i32_e64 s[0:1], v29, v12
	s_and_b64 s[0:1], vcc, s[0:1]
	s_andn2_b64 s[26:27], s[26:27], exec
	s_and_b64 s[0:1], s[0:1], exec
	s_or_b64 s[26:27], s[26:27], s[0:1]
.LBB413_28:                             ;   in Loop: Header=BB413_22 Depth=1
	s_or_b64 exec, exec, s[28:29]
	s_and_saveexec_b64 s[0:1], s[26:27]
	s_cbranch_execz .LBB413_30
; %bb.29:                               ;   in Loop: Header=BB413_22 Depth=1
	v_mov_b32_e32 v28, v13
	s_waitcnt lgkmcnt(0)
	v_mov_b32_e32 v12, v29
.LBB413_30:                             ;   in Loop: Header=BB413_22 Depth=1
	s_or_b64 exec, exec, s[0:1]
	ds_bpermute_b32 v13, v21, v28
	s_waitcnt lgkmcnt(1)
	ds_bpermute_b32 v29, v21, v12
	s_waitcnt lgkmcnt(1)
	v_cmp_lt_f32_e64 s[26:27], v28, v13
	v_cmp_nlt_f32_e32 vcc, v28, v13
	s_and_saveexec_b64 s[28:29], vcc
	s_cbranch_execz .LBB413_32
; %bb.31:                               ;   in Loop: Header=BB413_22 Depth=1
	v_cmp_eq_f32_e32 vcc, v28, v13
	s_waitcnt lgkmcnt(0)
	v_cmp_lt_i32_e64 s[0:1], v29, v12
	s_and_b64 s[0:1], vcc, s[0:1]
	s_andn2_b64 s[26:27], s[26:27], exec
	s_and_b64 s[0:1], s[0:1], exec
	s_or_b64 s[26:27], s[26:27], s[0:1]
.LBB413_32:                             ;   in Loop: Header=BB413_22 Depth=1
	s_or_b64 exec, exec, s[28:29]
	s_and_saveexec_b64 s[0:1], s[26:27]
	s_cbranch_execz .LBB413_34
; %bb.33:                               ;   in Loop: Header=BB413_22 Depth=1
	v_mov_b32_e32 v28, v13
	s_waitcnt lgkmcnt(0)
	v_mov_b32_e32 v12, v29
.LBB413_34:                             ;   in Loop: Header=BB413_22 Depth=1
	s_or_b64 exec, exec, s[0:1]
	ds_bpermute_b32 v13, v22, v28
	s_waitcnt lgkmcnt(1)
	;; [unrolled: 26-line block ×4, first 2 shown]
	ds_bpermute_b32 v29, v24, v12
	s_waitcnt lgkmcnt(1)
	v_cmp_lt_f32_e64 s[26:27], v28, v13
	v_cmp_nlt_f32_e32 vcc, v28, v13
	s_and_saveexec_b64 s[28:29], vcc
	s_cbranch_execnz .LBB413_45
; %bb.43:                               ;   in Loop: Header=BB413_22 Depth=1
	s_or_b64 exec, exec, s[28:29]
	s_and_saveexec_b64 s[0:1], s[26:27]
	s_cbranch_execnz .LBB413_46
.LBB413_44:                             ;   in Loop: Header=BB413_22 Depth=1
	s_or_b64 exec, exec, s[0:1]
	s_and_saveexec_b64 s[26:27], s[6:7]
	s_cbranch_execz .LBB413_21
	s_branch .LBB413_47
.LBB413_45:                             ;   in Loop: Header=BB413_22 Depth=1
	v_cmp_eq_f32_e32 vcc, v28, v13
	s_waitcnt lgkmcnt(0)
	v_cmp_lt_i32_e64 s[0:1], v29, v12
	s_and_b64 s[0:1], vcc, s[0:1]
	s_andn2_b64 s[26:27], s[26:27], exec
	s_and_b64 s[0:1], s[0:1], exec
	s_or_b64 s[26:27], s[26:27], s[0:1]
	s_or_b64 exec, exec, s[28:29]
	s_and_saveexec_b64 s[0:1], s[26:27]
	s_cbranch_execz .LBB413_44
.LBB413_46:                             ;   in Loop: Header=BB413_22 Depth=1
	s_waitcnt lgkmcnt(0)
	v_mov_b32_e32 v12, v29
	v_mov_b32_e32 v28, v13
	s_or_b64 exec, exec, s[0:1]
	s_and_saveexec_b64 s[26:27], s[6:7]
	s_cbranch_execz .LBB413_21
.LBB413_47:                             ;   in Loop: Header=BB413_22 Depth=1
	s_and_b64 vcc, exec, s[2:3]
	s_cbranch_vccnz .LBB413_20
; %bb.48:                               ;   in Loop: Header=BB413_22 Depth=1
	v_ashrrev_i32_e32 v13, 31, v12
	v_lshl_add_u64 v[30:31], v[12:13], 2, s[10:11]
	global_load_dword v13, v[30:31], off
	s_waitcnt vmcnt(0)
	v_sub_f32_e32 v28, v28, v13
	s_branch .LBB413_20
.LBB413_49:
	v_mov_b32_e32 v14, 0
.LBB413_50:
	v_cmp_eq_u32_e32 vcc, 0, v10
	s_and_b64 exec, exec, vcc
	s_cbranch_execz .LBB413_63
; %bb.51:
	s_andn2_b64 vcc, exec, s[4:5]
	v_cvt_f32_f64_e32 v0, s[8:9]
	s_cbranch_vccnz .LBB413_53
; %bb.52:
	v_cmp_lt_f32_e32 vcc, 0, v14
	s_nop 1
	v_cndmask_b32_e32 v1, 1.0, v14, vcc
	v_div_scale_f32 v2, s[0:1], v1, v1, v0
	v_rcp_f32_e32 v3, v2
	s_nop 0
	v_fma_f32 v4, -v2, v3, 1.0
	v_fmac_f32_e32 v3, v4, v3
	v_div_scale_f32 v4, vcc, v0, v1, v0
	v_mul_f32_e32 v5, v4, v3
	v_fma_f32 v6, -v2, v5, v4
	v_fmac_f32_e32 v5, v6, v3
	v_fma_f32 v2, -v2, v5, v4
	v_div_fmas_f32 v2, v2, v3, v5
	v_div_fixup_f32 v0, v2, v1, v0
.LBB413_53:
	s_andn2_b64 vcc, exec, s[24:25]
	s_cbranch_vccnz .LBB413_63
; %bb.54:
	v_mul_lo_u32 v2, v8, s12
	s_cmp_gt_u32 s12, 3
	v_ashrrev_i32_e32 v3, 31, v2
	s_cbranch_scc0 .LBB413_58
; %bb.55:
	s_and_b32 s0, s12, 0x7ffffffc
	v_lshl_add_u64 v[4:5], v[2:3], 2, s[20:21]
	v_mov_b32_e32 v1, v0
	v_lshl_add_u64 v[4:5], v[4:5], 0, 8
	s_mov_b32 s1, s0
.LBB413_56:                             ; =>This Inner Loop Header: Depth=1
	global_load_dwordx4 v[6:9], v[4:5], off offset:-8
	s_add_i32 s1, s1, -4
	s_cmp_lg_u32 s1, 0
	s_waitcnt vmcnt(0)
	v_pk_mul_f32 v[6:7], v[0:1], v[6:7]
	v_pk_mul_f32 v[8:9], v[0:1], v[8:9]
	global_store_dwordx4 v[4:5], v[6:9], off offset:-8
	v_lshl_add_u64 v[4:5], v[4:5], 0, 16
	s_cbranch_scc1 .LBB413_56
; %bb.57:
	s_cmp_lg_u32 s0, s12
	s_cselect_b64 s[2:3], -1, 0
	s_branch .LBB413_60
.LBB413_58:
	s_mov_b64 s[2:3], 0
                                        ; implicit-def: $sgpr0
	s_cbranch_execz .LBB413_60
; %bb.59:
	s_mov_b64 s[2:3], -1
	s_mov_b32 s0, 0
.LBB413_60:
	s_andn2_b64 vcc, exec, s[2:3]
	s_cbranch_vccnz .LBB413_63
; %bb.61:
	s_mov_b32 s1, 0
	v_lshl_add_u64 v[2:3], v[2:3], 0, s[0:1]
	s_sub_i32 s2, s12, s0
	v_lshl_add_u64 v[2:3], v[2:3], 2, s[20:21]
.LBB413_62:                             ; =>This Inner Loop Header: Depth=1
	global_load_dword v1, v[2:3], off
	s_add_i32 s2, s2, -1
	s_cmp_lg_u32 s2, 0
	s_waitcnt vmcnt(0)
	v_mul_f32_e32 v1, v0, v1
	global_store_dword v[2:3], v1, off
	v_lshl_add_u64 v[2:3], v[2:3], 0, 4
	s_cbranch_scc1 .LBB413_62
.LBB413_63:
	s_endpgm
	.section	.rodata,"a",@progbits
	.p2align	6, 0x0
	.amdhsa_kernel _ZN4vllm3moe22topkGatingSoftplusSqrtILi7ELi448ELi4ELi2ELi64ELb0Ei14__hip_bfloat16EEvPKT6_PKbPfiPT5_PiiiibdPKfPKS9_SF_
		.amdhsa_group_segment_fixed_size 0
		.amdhsa_private_segment_fixed_size 0
		.amdhsa_kernarg_size 96
		.amdhsa_user_sgpr_count 2
		.amdhsa_user_sgpr_dispatch_ptr 0
		.amdhsa_user_sgpr_queue_ptr 0
		.amdhsa_user_sgpr_kernarg_segment_ptr 1
		.amdhsa_user_sgpr_dispatch_id 0
		.amdhsa_user_sgpr_kernarg_preload_length 0
		.amdhsa_user_sgpr_kernarg_preload_offset 0
		.amdhsa_user_sgpr_private_segment_size 0
		.amdhsa_uses_dynamic_stack 0
		.amdhsa_enable_private_segment 0
		.amdhsa_system_sgpr_workgroup_id_x 1
		.amdhsa_system_sgpr_workgroup_id_y 0
		.amdhsa_system_sgpr_workgroup_id_z 0
		.amdhsa_system_sgpr_workgroup_info 0
		.amdhsa_system_vgpr_workitem_id 1
		.amdhsa_next_free_vgpr 34
		.amdhsa_next_free_sgpr 31
		.amdhsa_accum_offset 36
		.amdhsa_reserve_vcc 1
		.amdhsa_float_round_mode_32 0
		.amdhsa_float_round_mode_16_64 0
		.amdhsa_float_denorm_mode_32 3
		.amdhsa_float_denorm_mode_16_64 3
		.amdhsa_dx10_clamp 1
		.amdhsa_ieee_mode 1
		.amdhsa_fp16_overflow 0
		.amdhsa_tg_split 0
		.amdhsa_exception_fp_ieee_invalid_op 0
		.amdhsa_exception_fp_denorm_src 0
		.amdhsa_exception_fp_ieee_div_zero 0
		.amdhsa_exception_fp_ieee_overflow 0
		.amdhsa_exception_fp_ieee_underflow 0
		.amdhsa_exception_fp_ieee_inexact 0
		.amdhsa_exception_int_div_zero 0
	.end_amdhsa_kernel
	.section	.text._ZN4vllm3moe22topkGatingSoftplusSqrtILi7ELi448ELi4ELi2ELi64ELb0Ei14__hip_bfloat16EEvPKT6_PKbPfiPT5_PiiiibdPKfPKS9_SF_,"axG",@progbits,_ZN4vllm3moe22topkGatingSoftplusSqrtILi7ELi448ELi4ELi2ELi64ELb0Ei14__hip_bfloat16EEvPKT6_PKbPfiPT5_PiiiibdPKfPKS9_SF_,comdat
.Lfunc_end413:
	.size	_ZN4vllm3moe22topkGatingSoftplusSqrtILi7ELi448ELi4ELi2ELi64ELb0Ei14__hip_bfloat16EEvPKT6_PKbPfiPT5_PiiiibdPKfPKS9_SF_, .Lfunc_end413-_ZN4vllm3moe22topkGatingSoftplusSqrtILi7ELi448ELi4ELi2ELi64ELb0Ei14__hip_bfloat16EEvPKT6_PKbPfiPT5_PiiiibdPKfPKS9_SF_
                                        ; -- End function
	.section	.AMDGPU.csdata,"",@progbits
; Kernel info:
; codeLenInByte = 4012
; NumSgprs: 37
; NumVgprs: 34
; NumAgprs: 0
; TotalNumVgprs: 34
; ScratchSize: 0
; MemoryBound: 0
; FloatMode: 240
; IeeeMode: 1
; LDSByteSize: 0 bytes/workgroup (compile time only)
; SGPRBlocks: 4
; VGPRBlocks: 4
; NumSGPRsForWavesPerEU: 37
; NumVGPRsForWavesPerEU: 34
; AccumOffset: 36
; Occupancy: 8
; WaveLimiterHint : 1
; COMPUTE_PGM_RSRC2:SCRATCH_EN: 0
; COMPUTE_PGM_RSRC2:USER_SGPR: 2
; COMPUTE_PGM_RSRC2:TRAP_HANDLER: 0
; COMPUTE_PGM_RSRC2:TGID_X_EN: 1
; COMPUTE_PGM_RSRC2:TGID_Y_EN: 0
; COMPUTE_PGM_RSRC2:TGID_Z_EN: 0
; COMPUTE_PGM_RSRC2:TIDIG_COMP_CNT: 1
; COMPUTE_PGM_RSRC3_GFX90A:ACCUM_OFFSET: 8
; COMPUTE_PGM_RSRC3_GFX90A:TG_SPLIT: 0
	.section	.text._ZN4vllm3moe22topkGatingSoftplusSqrtILi14ELi448ELi4ELi2ELi32ELb1Ei14__hip_bfloat16EEvPKT6_PKbPfiPT5_PiiiibdPKfPKS9_SF_,"axG",@progbits,_ZN4vllm3moe22topkGatingSoftplusSqrtILi14ELi448ELi4ELi2ELi32ELb1Ei14__hip_bfloat16EEvPKT6_PKbPfiPT5_PiiiibdPKfPKS9_SF_,comdat
	.protected	_ZN4vllm3moe22topkGatingSoftplusSqrtILi14ELi448ELi4ELi2ELi32ELb1Ei14__hip_bfloat16EEvPKT6_PKbPfiPT5_PiiiibdPKfPKS9_SF_ ; -- Begin function _ZN4vllm3moe22topkGatingSoftplusSqrtILi14ELi448ELi4ELi2ELi32ELb1Ei14__hip_bfloat16EEvPKT6_PKbPfiPT5_PiiiibdPKfPKS9_SF_
	.globl	_ZN4vllm3moe22topkGatingSoftplusSqrtILi14ELi448ELi4ELi2ELi32ELb1Ei14__hip_bfloat16EEvPKT6_PKbPfiPT5_PiiiibdPKfPKS9_SF_
	.p2align	8
	.type	_ZN4vllm3moe22topkGatingSoftplusSqrtILi14ELi448ELi4ELi2ELi32ELb1Ei14__hip_bfloat16EEvPKT6_PKbPfiPT5_PiiiibdPKfPKS9_SF_,@function
_ZN4vllm3moe22topkGatingSoftplusSqrtILi14ELi448ELi4ELi2ELi32ELb1Ei14__hip_bfloat16EEvPKT6_PKbPfiPT5_PiiiibdPKfPKS9_SF_: ; @_ZN4vllm3moe22topkGatingSoftplusSqrtILi14ELi448ELi4ELi2ELi32ELb1Ei14__hip_bfloat16EEvPKT6_PKbPfiPT5_PiiiibdPKfPKS9_SF_
; %bb.0:
	s_load_dword s3, s[0:1], 0x18
	v_and_b32_e32 v1, 0x3ff, v0
	s_lshl_b32 s2, s2, 2
	v_lshrrev_b32_e32 v2, 5, v1
	v_bfe_u32 v0, v0, 10, 10
	v_add3_u32 v16, s2, v0, v2
	s_waitcnt lgkmcnt(0)
	v_cmp_gt_i32_e32 vcc, s3, v16
	s_and_saveexec_b64 s[2:3], vcc
	s_cbranch_execz .LBB414_63
; %bb.1:
	s_load_dwordx2 s[2:3], s[0:1], 0x0
	s_load_dword s33, s[0:1], 0x30
	s_movk_i32 s4, 0x1c0
	v_mul_lo_u32 v2, v16, s4
	v_ashrrev_i32_e32 v3, 31, v2
	v_and_b32_e32 v24, 31, v1
	s_waitcnt lgkmcnt(0)
	v_lshl_add_u64 v[2:3], v[2:3], 1, s[2:3]
	v_lshlrev_b32_e32 v14, 1, v24
	v_mov_b32_e32 v15, 0
	v_lshl_add_u64 v[8:9], v[2:3], 0, v[14:15]
	s_load_dwordx4 s[4:7], s[0:1], 0x50
	global_load_ushort v2, v[8:9], off offset:64
	global_load_ushort v3, v[8:9], off
	global_load_ushort v4, v[8:9], off offset:192
	global_load_ushort v5, v[8:9], off offset:128
	v_ashrrev_i32_e32 v17, 31, v16
	s_mov_b32 s13, 0x800000
	v_mov_b32_e32 v14, 0x4f800000
	s_waitcnt lgkmcnt(0)
	v_mov_b32_e32 v0, s4
	v_mov_b32_e32 v1, s5
	v_lshl_add_u64 v[0:1], v[16:17], 2, v[0:1]
	global_load_dword v6, v[0:1], off
	global_load_ushort v7, v[8:9], off offset:256
	global_load_ushort v10, v[8:9], off offset:320
	global_load_ushort v11, v[8:9], off offset:384
	global_load_ushort v17, v[8:9], off offset:448
	s_mov_b32 s12, 0x3f317217
	s_mov_b32 s11, 0x7f800000
	v_mov_b32_e32 v13, 0x41b17218
	s_mov_b32 s10, 0x41a00000
	s_mov_b32 s9, 0xf800000
	v_mov_b32_e32 v18, s6
	v_mov_b32_e32 v19, s7
	;; [unrolled: 1-line block ×3, first 2 shown]
	s_cmp_gt_i32 s33, 0
	s_mov_b32 s8, 0
	s_waitcnt vmcnt(8)
	v_lshlrev_b32_e32 v22, 16, v2
	s_waitcnt vmcnt(7)
	v_lshlrev_b32_e32 v23, 16, v3
	v_mul_f32_e32 v0, 0x3fb8aa3b, v23
	v_mul_f32_e32 v1, 0x3fb8aa3b, v22
	v_exp_f32_e32 v0, v0
	v_exp_f32_e32 v1, v1
	s_waitcnt vmcnt(6)
	v_lshlrev_b32_e32 v4, 16, v4
	s_waitcnt vmcnt(5)
	v_lshlrev_b32_e32 v5, 16, v5
	v_mul_f32_e32 v2, 0x3fb8aa3b, v5
	v_mul_f32_e32 v3, 0x3fb8aa3b, v4
	v_pk_add_f32 v[0:1], v[0:1], 1.0 op_sel_hi:[1,0]
	v_exp_f32_e32 v2, v2
	v_exp_f32_e32 v3, v3
	v_cmp_gt_f32_e32 vcc, s13, v1
	s_waitcnt vmcnt(4)
	v_mul_lo_u32 v20, v6, s33
	v_cmp_gt_f32_e64 s[2:3], s13, v0
	v_cndmask_b32_e32 v6, 1.0, v14, vcc
	v_mul_f32_e32 v1, v1, v6
	v_cndmask_b32_e64 v25, 1.0, v14, s[2:3]
	v_mul_f32_e32 v0, v0, v25
	v_log_f32_e32 v1, v1
	v_pk_add_f32 v[2:3], v[2:3], 1.0 op_sel_hi:[1,0]
	v_log_f32_e32 v0, v0
	v_cmp_gt_f32_e64 s[4:5], s13, v3
	v_cndmask_b32_e32 v6, 0, v13, vcc
	v_cmp_lt_f32_e64 vcc, |v1|, s11
	v_cndmask_b32_e64 v26, 1.0, v14, s[4:5]
	v_mul_f32_e32 v3, v3, v26
	v_mul_f32_e32 v26, 0x3f317217, v1
	;; [unrolled: 1-line block ×3, first 2 shown]
	v_fma_f32 v26, v1, s12, -v26
	v_fma_f32 v27, v0, s12, -v27
	v_fmac_f32_e32 v26, 0x3377d1cf, v1
	v_fmac_f32_e32 v27, 0x3377d1cf, v0
	;; [unrolled: 1-line block ×4, first 2 shown]
	v_cndmask_b32_e32 v1, v1, v26, vcc
	v_cmp_lt_f32_e64 vcc, |v0|, s11
	v_cndmask_b32_e64 v25, 0, v13, s[2:3]
	v_sub_f32_e32 v1, v1, v6
	v_cndmask_b32_e32 v0, v0, v27, vcc
	v_sub_f32_e32 v0, v0, v25
	v_cmp_lt_f32_e32 vcc, s10, v23
	v_log_f32_e32 v3, v3
	s_waitcnt vmcnt(2)
	v_lshlrev_b32_e32 v10, 16, v10
	v_cndmask_b32_e32 v0, v0, v23, vcc
	v_cmp_lt_f32_e32 vcc, s10, v22
	v_cmp_gt_f32_e64 s[2:3], s9, v0
	v_mul_f32_e32 v28, 0x3f317217, v3
	v_cndmask_b32_e32 v1, v1, v22, vcc
	v_mul_f32_e32 v6, 0x4f800000, v1
	v_cmp_gt_f32_e32 vcc, s9, v1
	v_mul_f32_e32 v22, 0x4f800000, v0
	v_cndmask_b32_e64 v0, v0, v22, s[2:3]
	v_cndmask_b32_e32 v1, v1, v6, vcc
	v_sqrt_f32_e32 v6, v1
	v_sqrt_f32_e32 v22, v0
	v_fma_f32 v28, v3, s12, -v28
	v_fmac_f32_e32 v28, 0x3377d1cf, v3
	v_add_u32_e32 v23, -1, v6
	v_add_u32_e32 v26, -1, v22
	v_fma_f32 v29, -v23, v6, v1
	v_add_u32_e32 v25, 1, v6
	v_fma_f32 v31, -v26, v22, v0
	v_cmp_ge_f32_e64 s[6:7], 0, v29
	v_add_u32_e32 v27, 1, v22
	v_fma_f32 v30, -v25, v6, v1
	v_cndmask_b32_e64 v6, v6, v23, s[6:7]
	v_cmp_ge_f32_e64 s[6:7], 0, v31
	v_fma_f32 v32, -v27, v22, v0
	v_fmac_f32_e32 v28, 0x3f317217, v3
	v_cndmask_b32_e64 v22, v22, v26, s[6:7]
	v_cmp_lt_f32_e64 s[6:7], 0, v30
	v_lshlrev_b32_e32 v7, 16, v7
	s_waitcnt vmcnt(0)
	v_lshlrev_b32_e32 v17, 16, v17
	v_cndmask_b32_e64 v6, v6, v25, s[6:7]
	v_cmp_lt_f32_e64 s[6:7], 0, v32
	v_mul_f32_e32 v23, 0x37800000, v6
	v_cndmask_b32_e32 v6, v6, v23, vcc
	v_cndmask_b32_e64 v22, v22, v27, s[6:7]
	v_mul_f32_e32 v25, 0x37800000, v22
	v_cmp_class_f32_e32 vcc, v1, v12
	v_cndmask_b32_e64 v22, v22, v25, s[2:3]
	v_cmp_lt_f32_e64 s[2:3], |v3|, s11
	v_cndmask_b32_e32 v1, v6, v1, vcc
	v_cmp_class_f32_e32 vcc, v0, v12
	v_cndmask_b32_e64 v3, v3, v28, s[2:3]
	v_lshlrev_b32_e32 v11, 16, v11
	v_cndmask_b32_e32 v0, v22, v0, vcc
	v_cmp_gt_f32_e32 vcc, s13, v2
	v_ashrrev_i32_e32 v21, 31, v20
	v_lshl_add_u64 v[18:19], v[20:21], 2, v[18:19]
	v_cndmask_b32_e32 v6, 1.0, v14, vcc
	v_mul_f32_e32 v2, v2, v6
	v_log_f32_e32 v2, v2
	v_cndmask_b32_e64 v6, 0, v13, s[4:5]
	v_sub_f32_e32 v3, v3, v6
	v_mul_f32_e32 v6, 0x3f317217, v2
	v_fma_f32 v6, v2, s12, -v6
	v_fmac_f32_e32 v6, 0x3377d1cf, v2
	v_fmac_f32_e32 v6, 0x3f317217, v2
	v_cmp_lt_f32_e64 s[2:3], |v2|, s11
	s_nop 1
	v_cndmask_b32_e64 v2, v2, v6, s[2:3]
	v_cndmask_b32_e32 v6, 0, v13, vcc
	v_cmp_lt_f32_e32 vcc, s10, v4
	v_sub_f32_e32 v2, v2, v6
	v_cmp_lt_f32_e64 s[2:3], s10, v5
	v_cndmask_b32_e32 v3, v3, v4, vcc
	v_mul_f32_e32 v4, 0x4f800000, v3
	v_cmp_gt_f32_e32 vcc, s9, v3
	v_cndmask_b32_e64 v2, v2, v5, s[2:3]
	s_nop 0
	v_cndmask_b32_e32 v3, v3, v4, vcc
	v_sqrt_f32_e32 v4, v3
	s_nop 0
	v_add_u32_e32 v5, -1, v4
	v_fma_f32 v6, -v5, v4, v3
	v_cmp_ge_f32_e64 s[2:3], 0, v6
	v_add_u32_e32 v6, 1, v4
	s_nop 0
	v_cndmask_b32_e64 v5, v4, v5, s[2:3]
	v_fma_f32 v4, -v6, v4, v3
	v_cmp_lt_f32_e64 s[2:3], 0, v4
	s_nop 1
	v_cndmask_b32_e64 v4, v5, v6, s[2:3]
	v_mul_f32_e32 v6, 0x4f800000, v2
	v_cmp_gt_f32_e64 s[2:3], s9, v2
	v_mul_f32_e32 v5, 0x37800000, v4
	v_cndmask_b32_e32 v4, v4, v5, vcc
	v_cndmask_b32_e64 v2, v2, v6, s[2:3]
	v_sqrt_f32_e32 v6, v2
	v_cmp_class_f32_e32 vcc, v3, v12
	v_add_u32_e32 v23, 1, v6
	s_nop 0
	v_cndmask_b32_e32 v3, v4, v3, vcc
	v_add_u32_e32 v4, -1, v6
	v_fma_f32 v5, -v4, v6, v2
	v_cmp_ge_f32_e32 vcc, 0, v5
	v_mul_f32_e32 v5, 0x3fb8aa3b, v10
	v_exp_f32_e32 v5, v5
	v_cndmask_b32_e32 v22, v6, v4, vcc
	v_mul_f32_e32 v4, 0x3fb8aa3b, v7
	v_exp_f32_e32 v4, v4
	v_fma_f32 v6, -v23, v6, v2
	v_cmp_lt_f32_e32 vcc, 0, v6
	v_pk_add_f32 v[4:5], v[4:5], 1.0 op_sel_hi:[1,0]
	s_nop 0
	v_cndmask_b32_e32 v6, v22, v23, vcc
	v_cmp_gt_f32_e32 vcc, s13, v5
	v_mul_f32_e32 v22, 0x37800000, v6
	v_cndmask_b32_e64 v6, v6, v22, s[2:3]
	v_cndmask_b32_e32 v23, 1.0, v14, vcc
	v_mul_f32_e32 v5, v5, v23
	v_log_f32_e32 v5, v5
	v_cmp_class_f32_e64 s[2:3], v2, v12
	v_cmp_lt_f32_e64 s[4:5], |v5|, s11
	s_nop 0
	v_cndmask_b32_e64 v2, v6, v2, s[2:3]
	v_cmp_gt_f32_e64 s[2:3], s13, v4
	v_mul_f32_e32 v6, 0x3f317217, v5
	v_fma_f32 v6, v5, s12, -v6
	v_cndmask_b32_e64 v22, 1.0, v14, s[2:3]
	v_mul_f32_e32 v4, v4, v22
	v_log_f32_e32 v4, v4
	v_fmac_f32_e32 v6, 0x3377d1cf, v5
	v_fmac_f32_e32 v6, 0x3f317217, v5
	v_cndmask_b32_e64 v5, v5, v6, s[4:5]
	v_cndmask_b32_e32 v6, 0, v13, vcc
	v_sub_f32_e32 v5, v5, v6
	v_mul_f32_e32 v6, 0x3f317217, v4
	v_fma_f32 v6, v4, s12, -v6
	v_fmac_f32_e32 v6, 0x3377d1cf, v4
	v_fmac_f32_e32 v6, 0x3f317217, v4
	v_cmp_lt_f32_e64 vcc, |v4|, s11
	s_nop 1
	v_cndmask_b32_e32 v4, v4, v6, vcc
	v_cmp_lt_f32_e32 vcc, s10, v10
	v_cndmask_b32_e64 v6, 0, v13, s[2:3]
	v_sub_f32_e32 v4, v4, v6
	v_cndmask_b32_e32 v5, v5, v10, vcc
	v_mul_f32_e32 v10, 0x4f800000, v5
	v_cmp_gt_f32_e32 vcc, s9, v5
	v_cmp_lt_f32_e64 s[2:3], s10, v7
	s_nop 0
	v_cndmask_b32_e32 v5, v5, v10, vcc
	v_sqrt_f32_e32 v10, v5
	v_cndmask_b32_e64 v4, v4, v7, s[2:3]
	v_add_u32_e32 v6, -1, v10
	v_fma_f32 v7, -v6, v10, v5
	v_cmp_ge_f32_e64 s[2:3], 0, v7
	v_add_u32_e32 v7, 1, v10
	s_nop 0
	v_cndmask_b32_e64 v6, v10, v6, s[2:3]
	v_fma_f32 v10, -v7, v10, v5
	v_cmp_lt_f32_e64 s[2:3], 0, v10
	global_load_ushort v10, v[8:9], off offset:512
	global_load_ushort v22, v[8:9], off offset:576
	v_cndmask_b32_e64 v6, v6, v7, s[2:3]
	v_mul_f32_e32 v7, 0x37800000, v6
	v_cndmask_b32_e32 v6, v6, v7, vcc
	v_mul_f32_e32 v7, 0x4f800000, v4
	v_cmp_gt_f32_e32 vcc, s9, v4
	v_cmp_class_f32_e64 s[2:3], v5, v12
	s_waitcnt vmcnt(1)
	v_lshlrev_b32_e32 v10, 16, v10
	v_cndmask_b32_e32 v4, v4, v7, vcc
	v_sqrt_f32_e32 v7, v4
	v_cndmask_b32_e64 v5, v6, v5, s[2:3]
	s_waitcnt vmcnt(0)
	v_lshlrev_b32_e32 v22, 16, v22
	v_add_u32_e32 v6, -1, v7
	v_fma_f32 v23, -v6, v7, v4
	v_cmp_ge_f32_e64 s[2:3], 0, v23
	v_add_u32_e32 v25, 1, v7
	v_fma_f32 v26, -v25, v7, v4
	v_cndmask_b32_e64 v23, v7, v6, s[2:3]
	v_mul_f32_e32 v6, 0x3fb8aa3b, v11
	v_mul_f32_e32 v7, 0x3fb8aa3b, v17
	v_exp_f32_e32 v6, v6
	v_exp_f32_e32 v7, v7
	v_cmp_lt_f32_e64 s[2:3], 0, v26
	v_pk_add_f32 v[6:7], v[6:7], 1.0 op_sel_hi:[1,0]
	s_nop 0
	v_cndmask_b32_e64 v23, v23, v25, s[2:3]
	v_cmp_gt_f32_e64 s[2:3], s13, v7
	v_mul_f32_e32 v25, 0x37800000, v23
	v_cndmask_b32_e32 v23, v23, v25, vcc
	v_cndmask_b32_e64 v26, 1.0, v14, s[2:3]
	v_mul_f32_e32 v7, v7, v26
	v_log_f32_e32 v7, v7
	v_cmp_class_f32_e32 vcc, v4, v12
	v_cmp_lt_f32_e64 s[4:5], |v7|, s11
	s_nop 0
	v_cndmask_b32_e32 v4, v23, v4, vcc
	v_cmp_gt_f32_e32 vcc, s13, v6
	v_mul_f32_e32 v23, 0x3f317217, v7
	v_fma_f32 v23, v7, s12, -v23
	v_cndmask_b32_e32 v25, 1.0, v14, vcc
	v_mul_f32_e32 v6, v6, v25
	v_log_f32_e32 v6, v6
	v_fmac_f32_e32 v23, 0x3377d1cf, v7
	v_fmac_f32_e32 v23, 0x3f317217, v7
	v_cndmask_b32_e64 v7, v7, v23, s[4:5]
	v_cndmask_b32_e64 v23, 0, v13, s[2:3]
	v_sub_f32_e32 v7, v7, v23
	v_mul_f32_e32 v23, 0x3f317217, v6
	v_fma_f32 v23, v6, s12, -v23
	v_fmac_f32_e32 v23, 0x3377d1cf, v6
	v_fmac_f32_e32 v23, 0x3f317217, v6
	v_cmp_lt_f32_e64 s[2:3], |v6|, s11
	s_nop 1
	v_cndmask_b32_e64 v6, v6, v23, s[2:3]
	v_cndmask_b32_e32 v23, 0, v13, vcc
	v_cmp_lt_f32_e32 vcc, s10, v17
	v_sub_f32_e32 v6, v6, v23
	s_nop 0
	v_cndmask_b32_e32 v7, v7, v17, vcc
	v_mul_f32_e32 v17, 0x4f800000, v7
	v_cmp_gt_f32_e64 s[2:3], s9, v7
	v_cmp_lt_f32_e32 vcc, s10, v11
	s_nop 0
	v_cndmask_b32_e64 v7, v7, v17, s[2:3]
	v_sqrt_f32_e32 v17, v7
	v_cndmask_b32_e32 v6, v6, v11, vcc
	v_add_u32_e32 v11, -1, v17
	v_fma_f32 v23, -v11, v17, v7
	v_cmp_ge_f32_e32 vcc, 0, v23
	v_add_u32_e32 v23, 1, v17
	s_nop 0
	v_cndmask_b32_e32 v11, v17, v11, vcc
	v_fma_f32 v17, -v23, v17, v7
	v_cmp_lt_f32_e32 vcc, 0, v17
	s_nop 1
	v_cndmask_b32_e32 v11, v11, v23, vcc
	v_mul_f32_e32 v23, 0x4f800000, v6
	v_cmp_gt_f32_e32 vcc, s9, v6
	v_mul_f32_e32 v17, 0x37800000, v11
	v_cndmask_b32_e64 v11, v11, v17, s[2:3]
	v_cndmask_b32_e32 v6, v6, v23, vcc
	global_load_ushort v23, v[8:9], off offset:640
	global_load_ushort v25, v[8:9], off offset:704
	v_sqrt_f32_e32 v26, v6
	v_cmp_class_f32_e64 s[2:3], v7, v12
	global_load_ushort v27, v[8:9], off offset:768
	global_load_ushort v28, v[8:9], off offset:832
	v_mul_f32_e32 v8, 0x3fb8aa3b, v10
	v_mul_f32_e32 v9, 0x3fb8aa3b, v22
	v_cndmask_b32_e64 v7, v11, v7, s[2:3]
	v_add_u32_e32 v11, -1, v26
	v_exp_f32_e32 v8, v8
	v_exp_f32_e32 v9, v9
	v_fma_f32 v17, -v11, v26, v6
	v_cmp_ge_f32_e64 s[2:3], 0, v17
	v_add_u32_e32 v17, 1, v26
	v_pk_add_f32 v[8:9], v[8:9], 1.0 op_sel_hi:[1,0]
	v_cndmask_b32_e64 v11, v26, v11, s[2:3]
	v_fma_f32 v26, -v17, v26, v6
	v_cmp_lt_f32_e64 s[2:3], 0, v26
	s_waitcnt vmcnt(3)
	v_lshlrev_b32_e32 v23, 16, v23
	v_cndmask_b32_e64 v11, v11, v17, s[2:3]
	v_cmp_gt_f32_e64 s[2:3], s13, v9
	v_mul_f32_e32 v17, 0x37800000, v11
	v_cndmask_b32_e32 v11, v11, v17, vcc
	v_cndmask_b32_e64 v26, 1.0, v14, s[2:3]
	v_mul_f32_e32 v9, v9, v26
	v_log_f32_e32 v9, v9
	v_cmp_class_f32_e32 vcc, v6, v12
	s_waitcnt vmcnt(2)
	v_lshlrev_b32_e32 v25, 16, v25
	s_waitcnt vmcnt(0)
	v_lshlrev_b32_e32 v28, 16, v28
	v_cndmask_b32_e32 v6, v11, v6, vcc
	v_cmp_gt_f32_e32 vcc, s13, v8
	v_mul_f32_e32 v11, 0x3f317217, v9
	v_fma_f32 v11, v9, s12, -v11
	v_cndmask_b32_e32 v17, 1.0, v14, vcc
	v_mul_f32_e32 v8, v8, v17
	v_log_f32_e32 v8, v8
	v_fmac_f32_e32 v11, 0x3377d1cf, v9
	v_fmac_f32_e32 v11, 0x3f317217, v9
	v_cmp_lt_f32_e64 s[4:5], |v9|, s11
	v_lshlrev_b32_e32 v27, 16, v27
	s_nop 0
	v_cndmask_b32_e64 v9, v9, v11, s[4:5]
	v_cndmask_b32_e64 v11, 0, v13, s[2:3]
	v_sub_f32_e32 v9, v9, v11
	v_mul_f32_e32 v11, 0x3f317217, v8
	v_fma_f32 v11, v8, s12, -v11
	v_fmac_f32_e32 v11, 0x3377d1cf, v8
	v_fmac_f32_e32 v11, 0x3f317217, v8
	v_cmp_lt_f32_e64 s[2:3], |v8|, s11
	s_nop 1
	v_cndmask_b32_e64 v8, v8, v11, s[2:3]
	v_cndmask_b32_e32 v11, 0, v13, vcc
	v_cmp_lt_f32_e32 vcc, s10, v22
	v_sub_f32_e32 v8, v8, v11
	v_cmp_lt_f32_e64 s[2:3], s10, v10
	v_cndmask_b32_e32 v9, v9, v22, vcc
	v_mul_f32_e32 v17, 0x4f800000, v9
	v_cmp_gt_f32_e32 vcc, s9, v9
	v_cndmask_b32_e64 v8, v8, v10, s[2:3]
	s_nop 0
	v_cndmask_b32_e32 v9, v9, v17, vcc
	v_sqrt_f32_e32 v17, v9
	s_nop 0
	v_add_u32_e32 v10, -1, v17
	v_fma_f32 v11, -v10, v17, v9
	v_cmp_ge_f32_e64 s[2:3], 0, v11
	v_add_u32_e32 v11, 1, v17
	s_nop 0
	v_cndmask_b32_e64 v10, v17, v10, s[2:3]
	v_fma_f32 v17, -v11, v17, v9
	v_cmp_lt_f32_e64 s[2:3], 0, v17
	v_mul_f32_e32 v17, 0x4f800000, v8
	s_nop 0
	v_cndmask_b32_e64 v10, v10, v11, s[2:3]
	v_cmp_gt_f32_e64 s[2:3], s9, v8
	v_mul_f32_e32 v11, 0x37800000, v10
	v_cndmask_b32_e32 v10, v10, v11, vcc
	v_cndmask_b32_e64 v8, v8, v17, s[2:3]
	v_sqrt_f32_e32 v17, v8
	v_cmp_class_f32_e32 vcc, v9, v12
	v_add_u32_e32 v26, 1, v17
	s_nop 0
	v_cndmask_b32_e32 v9, v10, v9, vcc
	v_add_u32_e32 v10, -1, v17
	v_fma_f32 v11, -v10, v17, v8
	v_cmp_ge_f32_e32 vcc, 0, v11
	v_mul_f32_e32 v11, 0x3fb8aa3b, v25
	v_exp_f32_e32 v11, v11
	v_cndmask_b32_e32 v22, v17, v10, vcc
	v_mul_f32_e32 v10, 0x3fb8aa3b, v23
	v_exp_f32_e32 v10, v10
	v_fma_f32 v17, -v26, v17, v8
	v_cmp_lt_f32_e32 vcc, 0, v17
	v_pk_add_f32 v[10:11], v[10:11], 1.0 op_sel_hi:[1,0]
	s_nop 0
	v_cndmask_b32_e32 v17, v22, v26, vcc
	v_cmp_gt_f32_e32 vcc, s13, v11
	v_mul_f32_e32 v22, 0x37800000, v17
	v_cndmask_b32_e64 v17, v17, v22, s[2:3]
	v_cndmask_b32_e32 v26, 1.0, v14, vcc
	v_mul_f32_e32 v11, v11, v26
	v_log_f32_e32 v11, v11
	v_cmp_class_f32_e64 s[2:3], v8, v12
	v_cmp_lt_f32_e64 s[4:5], |v11|, s11
	s_nop 0
	v_cndmask_b32_e64 v8, v17, v8, s[2:3]
	v_cmp_gt_f32_e64 s[2:3], s13, v10
	v_mul_f32_e32 v17, 0x3f317217, v11
	v_fma_f32 v17, v11, s12, -v17
	v_cndmask_b32_e64 v22, 1.0, v14, s[2:3]
	v_mul_f32_e32 v10, v10, v22
	v_log_f32_e32 v10, v10
	v_fmac_f32_e32 v17, 0x3377d1cf, v11
	v_fmac_f32_e32 v17, 0x3f317217, v11
	v_cndmask_b32_e64 v11, v11, v17, s[4:5]
	v_cndmask_b32_e32 v17, 0, v13, vcc
	v_sub_f32_e32 v11, v11, v17
	v_mul_f32_e32 v17, 0x3f317217, v10
	v_fma_f32 v17, v10, s12, -v17
	v_fmac_f32_e32 v17, 0x3377d1cf, v10
	v_fmac_f32_e32 v17, 0x3f317217, v10
	v_cmp_lt_f32_e64 vcc, |v10|, s11
	s_nop 1
	v_cndmask_b32_e32 v10, v10, v17, vcc
	v_cmp_lt_f32_e32 vcc, s10, v25
	v_cndmask_b32_e64 v17, 0, v13, s[2:3]
	v_sub_f32_e32 v10, v10, v17
	v_cndmask_b32_e32 v11, v11, v25, vcc
	v_mul_f32_e32 v22, 0x4f800000, v11
	v_cmp_gt_f32_e32 vcc, s9, v11
	v_cmp_lt_f32_e64 s[2:3], s10, v23
	s_nop 0
	v_cndmask_b32_e32 v11, v11, v22, vcc
	v_sqrt_f32_e32 v22, v11
	v_cndmask_b32_e64 v10, v10, v23, s[2:3]
	v_add_u32_e32 v17, -1, v22
	v_fma_f32 v23, -v17, v22, v11
	v_cmp_ge_f32_e64 s[2:3], 0, v23
	v_add_u32_e32 v23, 1, v22
	s_nop 0
	v_cndmask_b32_e64 v17, v22, v17, s[2:3]
	v_fma_f32 v22, -v23, v22, v11
	v_cmp_lt_f32_e64 s[2:3], 0, v22
	s_nop 1
	v_cndmask_b32_e64 v17, v17, v23, s[2:3]
	v_mul_f32_e32 v23, 0x4f800000, v10
	v_cmp_gt_f32_e64 s[2:3], s9, v10
	v_mul_f32_e32 v22, 0x37800000, v17
	v_cndmask_b32_e32 v17, v17, v22, vcc
	v_cndmask_b32_e64 v10, v10, v23, s[2:3]
	v_sqrt_f32_e32 v23, v10
	v_cmp_class_f32_e32 vcc, v11, v12
	v_add_u32_e32 v25, 1, v23
	s_nop 0
	v_cndmask_b32_e32 v11, v17, v11, vcc
	v_add_u32_e32 v17, -1, v23
	v_fma_f32 v22, -v17, v23, v10
	v_cmp_ge_f32_e32 vcc, 0, v22
	v_fma_f32 v26, -v25, v23, v10
	v_mul_f32_e32 v22, 0x3fb8aa3b, v27
	v_cndmask_b32_e32 v17, v23, v17, vcc
	v_mul_f32_e32 v23, 0x3fb8aa3b, v28
	v_exp_f32_e32 v22, v22
	v_exp_f32_e32 v23, v23
	v_cmp_lt_f32_e32 vcc, 0, v26
	v_pk_add_f32 v[22:23], v[22:23], 1.0 op_sel_hi:[1,0]
	s_nop 0
	v_cndmask_b32_e32 v17, v17, v25, vcc
	v_cmp_gt_f32_e32 vcc, s13, v23
	v_mul_f32_e32 v25, 0x37800000, v17
	v_cndmask_b32_e64 v17, v17, v25, s[2:3]
	v_cndmask_b32_e32 v26, 1.0, v14, vcc
	v_mul_f32_e32 v23, v23, v26
	v_log_f32_e32 v23, v23
	v_cmp_class_f32_e64 s[2:3], v10, v12
	v_cmp_lt_f32_e64 s[4:5], |v23|, s11
	s_nop 0
	v_cndmask_b32_e64 v10, v17, v10, s[2:3]
	v_cmp_gt_f32_e64 s[2:3], s13, v22
	v_mul_f32_e32 v17, 0x3f317217, v23
	v_fma_f32 v17, v23, s12, -v17
	v_cndmask_b32_e64 v14, 1.0, v14, s[2:3]
	v_mul_f32_e32 v14, v22, v14
	v_log_f32_e32 v14, v14
	v_fmac_f32_e32 v17, 0x3377d1cf, v23
	v_fmac_f32_e32 v17, 0x3f317217, v23
	v_cndmask_b32_e64 v17, v23, v17, s[4:5]
	v_cndmask_b32_e32 v22, 0, v13, vcc
	v_sub_f32_e32 v17, v17, v22
	v_mul_f32_e32 v22, 0x3f317217, v14
	v_fma_f32 v22, v14, s12, -v22
	v_fmac_f32_e32 v22, 0x3377d1cf, v14
	v_fmac_f32_e32 v22, 0x3f317217, v14
	v_cmp_lt_f32_e64 vcc, |v14|, s11
	v_cndmask_b32_e64 v13, 0, v13, s[2:3]
	v_cmp_lt_f32_e64 s[2:3], s10, v27
	v_cndmask_b32_e32 v14, v14, v22, vcc
	v_cmp_lt_f32_e32 vcc, s10, v28
	v_sub_f32_e32 v13, v14, v13
	v_cndmask_b32_e64 v13, v13, v27, s[2:3]
	v_cndmask_b32_e32 v17, v17, v28, vcc
	v_mul_f32_e32 v22, 0x4f800000, v17
	v_cmp_gt_f32_e32 vcc, s9, v17
	s_cselect_b64 s[4:5], -1, 0
	s_cmp_lt_i32 s33, 1
	v_cndmask_b32_e32 v17, v17, v22, vcc
	v_sqrt_f32_e32 v22, v17
	s_nop 0
	v_add_u32_e32 v14, -1, v22
	v_fma_f32 v23, -v14, v22, v17
	v_cmp_ge_f32_e64 s[2:3], 0, v23
	v_add_u32_e32 v23, 1, v22
	s_nop 0
	v_cndmask_b32_e64 v14, v22, v14, s[2:3]
	v_fma_f32 v22, -v23, v22, v17
	v_cmp_lt_f32_e64 s[2:3], 0, v22
	s_nop 1
	v_cndmask_b32_e64 v14, v14, v23, s[2:3]
	v_mul_f32_e32 v23, 0x4f800000, v13
	v_cmp_gt_f32_e64 s[2:3], s9, v13
	v_mul_f32_e32 v22, 0x37800000, v14
	s_nop 0
	v_cndmask_b32_e64 v23, v13, v23, s[2:3]
	v_sqrt_f32_e32 v25, v23
	v_cndmask_b32_e32 v13, v14, v22, vcc
	v_cmp_class_f32_e32 vcc, v17, v12
	v_add_u32_e32 v14, -1, v25
	s_nop 0
	v_cndmask_b32_e32 v13, v13, v17, vcc
	v_fma_f32 v17, -v14, v25, v23
	v_cmp_ge_f32_e32 vcc, 0, v17
	v_add_u32_e32 v17, 1, v25
	v_fma_f32 v22, -v17, v25, v23
	v_cndmask_b32_e32 v14, v25, v14, vcc
	v_cmp_lt_f32_e32 vcc, 0, v22
	s_nop 1
	v_cndmask_b32_e32 v14, v14, v17, vcc
	v_mul_f32_e32 v17, 0x37800000, v14
	v_cndmask_b32_e64 v14, v14, v17, s[2:3]
	v_cmp_class_f32_e32 vcc, v23, v12
	s_nop 1
	v_cndmask_b32_e32 v12, v14, v23, vcc
	v_mul_lo_u32 v14, v16, s33
	s_cbranch_scc1 .LBB414_28
; %bb.2:
	s_load_dwordx2 s[6:7], s[0:1], 0x20
	s_cmp_lt_u32 s33, 4
	v_mul_lo_u32 v16, v16, s33
	s_cbranch_scc1 .LBB414_21
; %bb.3:
	s_mov_b32 s11, 0
	s_and_b32 s8, s33, 0x7ffffffc
	v_ashrrev_i32_e32 v17, 31, v16
	v_mov_b32_e32 v15, 0
	s_mov_b32 s10, s11
	s_branch .LBB414_5
.LBB414_4:                              ;   in Loop: Header=BB414_5 Depth=1
	s_or_b64 exec, exec, s[12:13]
	s_add_i32 s10, s10, 4
	s_cmp_eq_u32 s10, s8
	s_cbranch_scc1 .LBB414_21
.LBB414_5:                              ; =>This Loop Header: Depth=1
                                        ;     Child Loop BB414_7 Depth 2
                                        ;     Child Loop BB414_11 Depth 2
	;; [unrolled: 1-line block ×4, first 2 shown]
	v_lshl_add_u64 v[20:21], s[10:11], 2, v[18:19]
	global_load_dword v25, v[20:21], off
	v_add_u32_e32 v22, s10, v16
	v_ashrrev_i32_e32 v23, 31, v22
	s_waitcnt lgkmcnt(0)
	v_lshl_add_u64 v[22:23], v[22:23], 2, s[6:7]
	s_mov_b64 s[12:13], 0
	v_mov_b32_e32 v26, v24
	s_mov_b64 s[14:15], 0
	s_waitcnt vmcnt(0)
	s_branch .LBB414_7
.LBB414_6:                              ;   in Loop: Header=BB414_7 Depth=2
	s_or_b64 exec, exec, s[16:17]
	s_cmp_gt_u32 s14, 12
	s_cselect_b64 s[2:3], -1, 0
	s_xor_b64 s[16:17], vcc, -1
	s_or_b64 s[2:3], s[16:17], s[2:3]
	s_add_u32 s14, s14, 1
	s_addc_u32 s15, s15, 0
	s_and_b64 s[2:3], exec, s[2:3]
	s_or_b64 s[12:13], s[2:3], s[12:13]
	v_add_u32_e32 v26, 32, v26
	s_andn2_b64 exec, exec, s[12:13]
	s_cbranch_execz .LBB414_9
.LBB414_7:                              ;   Parent Loop BB414_5 Depth=1
                                        ; =>  This Inner Loop Header: Depth=2
	v_cmp_ne_u32_e32 vcc, v25, v26
	v_cmp_eq_u32_e64 s[2:3], v25, v26
	s_and_saveexec_b64 s[16:17], s[2:3]
	s_cbranch_execz .LBB414_6
; %bb.8:                                ;   in Loop: Header=BB414_7 Depth=2
	s_set_gpr_idx_on s14, gpr_idx(SRC0)
	v_mov_b32_e32 v27, v0
	s_set_gpr_idx_off
	v_add_f32_e32 v15, v15, v27
	global_store_dword v[22:23], v25, off
	s_branch .LBB414_6
.LBB414_9:                              ;   in Loop: Header=BB414_5 Depth=1
	s_or_b64 exec, exec, s[12:13]
	global_load_dword v25, v[20:21], off offset:4
	s_ashr_i32 s3, s10, 31
	s_mov_b32 s2, s10
	v_lshl_add_u64 v[22:23], s[2:3], 0, v[16:17]
	v_lshl_add_u64 v[22:23], v[22:23], 2, s[6:7]
	s_mov_b64 s[12:13], 0
	v_mov_b32_e32 v26, v24
	s_mov_b64 s[14:15], 0
	s_waitcnt vmcnt(0)
	s_branch .LBB414_11
.LBB414_10:                             ;   in Loop: Header=BB414_11 Depth=2
	s_or_b64 exec, exec, s[16:17]
	s_cmp_gt_u32 s14, 12
	s_cselect_b64 s[2:3], -1, 0
	s_xor_b64 s[16:17], vcc, -1
	s_or_b64 s[2:3], s[16:17], s[2:3]
	s_add_u32 s14, s14, 1
	s_addc_u32 s15, s15, 0
	s_and_b64 s[2:3], exec, s[2:3]
	s_or_b64 s[12:13], s[2:3], s[12:13]
	v_add_u32_e32 v26, 32, v26
	s_andn2_b64 exec, exec, s[12:13]
	s_cbranch_execz .LBB414_13
.LBB414_11:                             ;   Parent Loop BB414_5 Depth=1
                                        ; =>  This Inner Loop Header: Depth=2
	v_cmp_ne_u32_e32 vcc, v25, v26
	v_cmp_eq_u32_e64 s[2:3], v25, v26
	s_and_saveexec_b64 s[16:17], s[2:3]
	s_cbranch_execz .LBB414_10
; %bb.12:                               ;   in Loop: Header=BB414_11 Depth=2
	s_set_gpr_idx_on s14, gpr_idx(SRC0)
	v_mov_b32_e32 v27, v0
	s_set_gpr_idx_off
	v_add_f32_e32 v15, v15, v27
	global_store_dword v[22:23], v25, off offset:4
	s_branch .LBB414_10
.LBB414_13:                             ;   in Loop: Header=BB414_5 Depth=1
	s_or_b64 exec, exec, s[12:13]
	global_load_dword v25, v[20:21], off offset:8
	s_mov_b64 s[12:13], 0
	v_mov_b32_e32 v26, v24
	s_mov_b64 s[14:15], 0
	s_waitcnt vmcnt(0)
	s_branch .LBB414_15
.LBB414_14:                             ;   in Loop: Header=BB414_15 Depth=2
	s_or_b64 exec, exec, s[16:17]
	s_cmp_gt_u32 s14, 12
	s_cselect_b64 s[2:3], -1, 0
	s_xor_b64 s[16:17], vcc, -1
	s_or_b64 s[2:3], s[16:17], s[2:3]
	s_add_u32 s14, s14, 1
	s_addc_u32 s15, s15, 0
	s_and_b64 s[2:3], exec, s[2:3]
	s_or_b64 s[12:13], s[2:3], s[12:13]
	v_add_u32_e32 v26, 32, v26
	s_andn2_b64 exec, exec, s[12:13]
	s_cbranch_execz .LBB414_17
.LBB414_15:                             ;   Parent Loop BB414_5 Depth=1
                                        ; =>  This Inner Loop Header: Depth=2
	v_cmp_ne_u32_e32 vcc, v25, v26
	v_cmp_eq_u32_e64 s[2:3], v25, v26
	s_and_saveexec_b64 s[16:17], s[2:3]
	s_cbranch_execz .LBB414_14
; %bb.16:                               ;   in Loop: Header=BB414_15 Depth=2
	s_set_gpr_idx_on s14, gpr_idx(SRC0)
	v_mov_b32_e32 v27, v0
	s_set_gpr_idx_off
	v_add_f32_e32 v15, v15, v27
	global_store_dword v[22:23], v25, off offset:8
	s_branch .LBB414_14
.LBB414_17:                             ;   in Loop: Header=BB414_5 Depth=1
	s_or_b64 exec, exec, s[12:13]
	global_load_dword v20, v[20:21], off offset:12
	s_mov_b64 s[12:13], 0
	v_mov_b32_e32 v21, v24
	s_mov_b64 s[14:15], 0
	s_waitcnt vmcnt(0)
	s_branch .LBB414_19
.LBB414_18:                             ;   in Loop: Header=BB414_19 Depth=2
	s_or_b64 exec, exec, s[16:17]
	s_cmp_gt_u32 s14, 12
	s_cselect_b64 s[2:3], -1, 0
	s_xor_b64 s[16:17], vcc, -1
	s_or_b64 s[2:3], s[16:17], s[2:3]
	s_add_u32 s14, s14, 1
	s_addc_u32 s15, s15, 0
	s_and_b64 s[2:3], exec, s[2:3]
	s_or_b64 s[12:13], s[2:3], s[12:13]
	v_add_u32_e32 v21, 32, v21
	s_andn2_b64 exec, exec, s[12:13]
	s_cbranch_execz .LBB414_4
.LBB414_19:                             ;   Parent Loop BB414_5 Depth=1
                                        ; =>  This Inner Loop Header: Depth=2
	v_cmp_ne_u32_e32 vcc, v20, v21
	v_cmp_eq_u32_e64 s[2:3], v20, v21
	s_and_saveexec_b64 s[16:17], s[2:3]
	s_cbranch_execz .LBB414_18
; %bb.20:                               ;   in Loop: Header=BB414_19 Depth=2
	s_set_gpr_idx_on s14, gpr_idx(SRC0)
	v_mov_b32_e32 v25, v0
	s_set_gpr_idx_off
	v_add_f32_e32 v15, v15, v25
	global_store_dword v[22:23], v20, off offset:12
	s_branch .LBB414_18
.LBB414_21:
	s_and_b32 s16, s33, 3
	s_cmp_eq_u32 s16, 0
	s_mov_b32 s9, 0
	s_cbranch_scc1 .LBB414_28
; %bb.22:
	s_mov_b32 s17, s9
	s_branch .LBB414_24
.LBB414_23:                             ;   in Loop: Header=BB414_24 Depth=1
	s_or_b64 exec, exec, s[10:11]
	s_add_i32 s8, s8, 1
	s_add_i32 s17, s17, 1
	s_cmp_lg_u32 s17, s16
	s_cbranch_scc0 .LBB414_28
.LBB414_24:                             ; =>This Loop Header: Depth=1
                                        ;     Child Loop BB414_26 Depth 2
	v_lshl_add_u64 v[20:21], s[8:9], 2, v[18:19]
	global_load_dword v17, v[20:21], off
	v_add_u32_e32 v20, s8, v16
	v_ashrrev_i32_e32 v21, 31, v20
	s_waitcnt lgkmcnt(0)
	v_lshl_add_u64 v[20:21], v[20:21], 2, s[6:7]
	s_mov_b64 s[10:11], 0
	v_mov_b32_e32 v22, v24
	s_mov_b64 s[12:13], 0
	s_waitcnt vmcnt(0)
	s_branch .LBB414_26
.LBB414_25:                             ;   in Loop: Header=BB414_26 Depth=2
	s_or_b64 exec, exec, s[14:15]
	s_cmp_gt_u32 s12, 12
	s_cselect_b64 s[2:3], -1, 0
	s_xor_b64 s[14:15], vcc, -1
	s_or_b64 s[2:3], s[14:15], s[2:3]
	s_add_u32 s12, s12, 1
	s_addc_u32 s13, s13, 0
	s_and_b64 s[2:3], exec, s[2:3]
	s_or_b64 s[10:11], s[2:3], s[10:11]
	v_add_u32_e32 v22, 32, v22
	s_andn2_b64 exec, exec, s[10:11]
	s_cbranch_execz .LBB414_23
.LBB414_26:                             ;   Parent Loop BB414_24 Depth=1
                                        ; =>  This Inner Loop Header: Depth=2
	v_cmp_ne_u32_e32 vcc, v17, v22
	v_cmp_eq_u32_e64 s[2:3], v17, v22
	s_and_saveexec_b64 s[14:15], s[2:3]
	s_cbranch_execz .LBB414_25
; %bb.27:                               ;   in Loop: Header=BB414_26 Depth=2
	s_set_gpr_idx_on s12, gpr_idx(SRC0)
	v_mov_b32_e32 v23, v0
	s_set_gpr_idx_off
	v_add_f32_e32 v15, v15, v23
	global_store_dword v[20:21], v17, off
	s_branch .LBB414_25
.LBB414_28:
	s_waitcnt lgkmcnt(0)
	s_load_dword s6, s[0:1], 0x3c
	s_waitcnt lgkmcnt(0)
	s_bitcmp1_b32 s6, 0
	s_cselect_b64 s[2:3], -1, 0
	s_bitcmp0_b32 s6, 0
	s_cbranch_scc0 .LBB414_31
; %bb.29:
	s_load_dwordx2 s[6:7], s[0:1], 0x40
	s_andn2_b64 vcc, exec, s[2:3]
	s_waitcnt lgkmcnt(0)
	v_cvt_f32_f64_e32 v20, s[6:7]
	s_cbranch_vccz .LBB414_32
.LBB414_30:
	s_andn2_b64 vcc, exec, s[4:5]
	s_cbranch_vccz .LBB414_33
	s_branch .LBB414_63
.LBB414_31:
	v_mbcnt_lo_u32_b32 v16, -1, 0
	v_mbcnt_hi_u32_b32 v16, -1, v16
	v_and_b32_e32 v17, 0x60, v16
	v_add_u32_e32 v17, 32, v17
	v_xor_b32_e32 v20, 16, v16
	v_cmp_lt_i32_e32 vcc, v20, v17
	v_xor_b32_e32 v21, 8, v16
	s_nop 0
	v_cndmask_b32_e32 v20, v16, v20, vcc
	v_lshlrev_b32_e32 v20, 2, v20
	ds_bpermute_b32 v20, v20, v15
	v_cmp_lt_i32_e32 vcc, v21, v17
	s_waitcnt lgkmcnt(0)
	v_add_f32_e32 v15, v15, v20
	v_cndmask_b32_e32 v20, v16, v21, vcc
	v_lshlrev_b32_e32 v20, 2, v20
	ds_bpermute_b32 v20, v20, v15
	v_xor_b32_e32 v21, 4, v16
	v_cmp_lt_i32_e32 vcc, v21, v17
	s_waitcnt lgkmcnt(0)
	v_add_f32_e32 v15, v15, v20
	v_cndmask_b32_e32 v20, v16, v21, vcc
	v_lshlrev_b32_e32 v20, 2, v20
	ds_bpermute_b32 v20, v20, v15
	v_xor_b32_e32 v21, 2, v16
	;; [unrolled: 7-line block ×3, first 2 shown]
	v_cmp_lt_i32_e32 vcc, v21, v17
	s_waitcnt lgkmcnt(0)
	v_add_f32_e32 v15, v15, v20
	v_cndmask_b32_e32 v16, v16, v21, vcc
	v_lshlrev_b32_e32 v16, 2, v16
	ds_bpermute_b32 v16, v16, v15
	s_waitcnt lgkmcnt(0)
	v_add_f32_e32 v15, v15, v16
	s_load_dwordx2 s[6:7], s[0:1], 0x40
	s_andn2_b64 vcc, exec, s[2:3]
	s_waitcnt lgkmcnt(0)
	v_cvt_f32_f64_e32 v20, s[6:7]
	s_cbranch_vccnz .LBB414_30
.LBB414_32:
	v_cmp_lt_f32_e32 vcc, 0, v15
	s_nop 1
	v_cndmask_b32_e32 v15, 1.0, v15, vcc
	v_div_scale_f32 v16, s[2:3], v15, v15, v20
	v_rcp_f32_e32 v17, v16
	s_nop 0
	v_fma_f32 v21, -v16, v17, 1.0
	v_fmac_f32_e32 v17, v21, v17
	v_div_scale_f32 v21, vcc, v20, v15, v20
	v_mul_f32_e32 v22, v21, v17
	v_fma_f32 v23, -v16, v22, v21
	v_fmac_f32_e32 v22, v23, v17
	v_fma_f32 v16, -v16, v22, v21
	v_div_fmas_f32 v16, v16, v17, v22
	v_div_fixup_f32 v20, v16, v15, v20
	s_andn2_b64 vcc, exec, s[4:5]
	s_cbranch_vccnz .LBB414_63
.LBB414_33:
	s_load_dwordx2 s[24:25], s[0:1], 0x10
	v_or_b32_e32 v21, 32, v24
	v_or_b32_e32 v22, 64, v24
	;; [unrolled: 1-line block ×13, first 2 shown]
	s_branch .LBB414_35
.LBB414_34:                             ;   in Loop: Header=BB414_35 Depth=1
	s_or_b64 exec, exec, s[0:1]
	s_add_i32 s33, s33, -1
	v_add_u32_e32 v14, 1, v14
	s_cmp_lg_u32 s33, 0
	v_lshl_add_u64 v[18:19], v[18:19], 0, 4
	s_cbranch_scc0 .LBB414_63
.LBB414_35:                             ; =>This Inner Loop Header: Depth=1
	global_load_dword v15, v[18:19], off
	v_mov_b64_e32 v[16:17], 0
	s_waitcnt vmcnt(0)
	v_cmp_eq_u32_e32 vcc, v15, v24
	v_cmp_ne_u32_e64 s[0:1], v15, v24
	s_and_saveexec_b64 s[26:27], s[0:1]
	s_cbranch_execz .LBB414_61
; %bb.36:                               ;   in Loop: Header=BB414_35 Depth=1
	v_cmp_eq_u32_e64 s[0:1], v15, v21
	v_cmp_ne_u32_e64 s[2:3], v15, v21
	v_mov_b64_e32 v[16:17], 1
	s_and_saveexec_b64 s[28:29], s[2:3]
	s_cbranch_execz .LBB414_60
; %bb.37:                               ;   in Loop: Header=BB414_35 Depth=1
	v_cmp_eq_u32_e64 s[2:3], v15, v22
	v_cmp_ne_u32_e64 s[4:5], v15, v22
	v_mov_b64_e32 v[16:17], 2
	;; [unrolled: 6-line block ×12, first 2 shown]
	s_and_saveexec_b64 s[54:55], s[22:23]
	s_xor_b64 s[54:55], exec, s[54:55]
; %bb.48:                               ;   in Loop: Header=BB414_35 Depth=1
	v_cmp_eq_u32_e64 s[22:23], v15, v34
	s_andn2_b64 s[52:53], s[52:53], exec
	s_and_b64 s[22:23], s[22:23], exec
	v_mov_b64_e32 v[16:17], 13
	s_or_b64 s[52:53], s[52:53], s[22:23]
; %bb.49:                               ;   in Loop: Header=BB414_35 Depth=1
	s_or_b64 exec, exec, s[54:55]
	s_andn2_b64 s[20:21], s[20:21], exec
	s_and_b64 s[22:23], s[52:53], exec
	s_or_b64 s[20:21], s[20:21], s[22:23]
.LBB414_50:                             ;   in Loop: Header=BB414_35 Depth=1
	s_or_b64 exec, exec, s[50:51]
	s_andn2_b64 s[18:19], s[18:19], exec
	s_and_b64 s[20:21], s[20:21], exec
	s_or_b64 s[18:19], s[18:19], s[20:21]
.LBB414_51:                             ;   in Loop: Header=BB414_35 Depth=1
	s_or_b64 exec, exec, s[48:49]
	s_andn2_b64 s[16:17], s[16:17], exec
	s_and_b64 s[18:19], s[18:19], exec
	s_or_b64 s[16:17], s[16:17], s[18:19]
.LBB414_52:                             ;   in Loop: Header=BB414_35 Depth=1
	s_or_b64 exec, exec, s[46:47]
	s_andn2_b64 s[14:15], s[14:15], exec
	s_and_b64 s[16:17], s[16:17], exec
	s_or_b64 s[14:15], s[14:15], s[16:17]
.LBB414_53:                             ;   in Loop: Header=BB414_35 Depth=1
	s_or_b64 exec, exec, s[44:45]
	s_andn2_b64 s[12:13], s[12:13], exec
	s_and_b64 s[14:15], s[14:15], exec
	s_or_b64 s[12:13], s[12:13], s[14:15]
.LBB414_54:                             ;   in Loop: Header=BB414_35 Depth=1
	s_or_b64 exec, exec, s[42:43]
	s_andn2_b64 s[10:11], s[10:11], exec
	s_and_b64 s[12:13], s[12:13], exec
	s_or_b64 s[10:11], s[10:11], s[12:13]
.LBB414_55:                             ;   in Loop: Header=BB414_35 Depth=1
	s_or_b64 exec, exec, s[40:41]
	s_andn2_b64 s[8:9], s[8:9], exec
	s_and_b64 s[10:11], s[10:11], exec
	s_or_b64 s[8:9], s[8:9], s[10:11]
.LBB414_56:                             ;   in Loop: Header=BB414_35 Depth=1
	s_or_b64 exec, exec, s[38:39]
	s_andn2_b64 s[6:7], s[6:7], exec
	s_and_b64 s[8:9], s[8:9], exec
	s_or_b64 s[6:7], s[6:7], s[8:9]
.LBB414_57:                             ;   in Loop: Header=BB414_35 Depth=1
	s_or_b64 exec, exec, s[36:37]
	s_andn2_b64 s[4:5], s[4:5], exec
	s_and_b64 s[6:7], s[6:7], exec
	s_or_b64 s[4:5], s[4:5], s[6:7]
.LBB414_58:                             ;   in Loop: Header=BB414_35 Depth=1
	s_or_b64 exec, exec, s[34:35]
	s_andn2_b64 s[2:3], s[2:3], exec
	s_and_b64 s[4:5], s[4:5], exec
	s_or_b64 s[2:3], s[2:3], s[4:5]
.LBB414_59:                             ;   in Loop: Header=BB414_35 Depth=1
	s_or_b64 exec, exec, s[30:31]
	s_andn2_b64 s[0:1], s[0:1], exec
	s_and_b64 s[2:3], s[2:3], exec
	s_or_b64 s[0:1], s[0:1], s[2:3]
.LBB414_60:                             ;   in Loop: Header=BB414_35 Depth=1
	s_or_b64 exec, exec, s[28:29]
	s_andn2_b64 s[2:3], vcc, exec
	s_and_b64 s[0:1], s[0:1], exec
	s_or_b64 vcc, s[2:3], s[0:1]
.LBB414_61:                             ;   in Loop: Header=BB414_35 Depth=1
	s_or_b64 exec, exec, s[26:27]
	s_and_saveexec_b64 s[0:1], vcc
	s_cbranch_execz .LBB414_34
; %bb.62:                               ;   in Loop: Header=BB414_35 Depth=1
	v_cmp_eq_u32_e32 vcc, 1, v16
	s_nop 1
	v_cndmask_b32_e32 v15, v0, v1, vcc
	v_cmp_eq_u32_e32 vcc, 2, v16
	s_nop 1
	v_cndmask_b32_e32 v15, v15, v2, vcc
	;; [unrolled: 3-line block ×13, first 2 shown]
	v_mul_f32_e32 v35, v20, v15
	v_ashrrev_i32_e32 v15, 31, v14
	s_waitcnt lgkmcnt(0)
	v_lshl_add_u64 v[16:17], v[14:15], 2, s[24:25]
	global_store_dword v[16:17], v35, off
	s_branch .LBB414_34
.LBB414_63:
	s_endpgm
	.section	.rodata,"a",@progbits
	.p2align	6, 0x0
	.amdhsa_kernel _ZN4vllm3moe22topkGatingSoftplusSqrtILi14ELi448ELi4ELi2ELi32ELb1Ei14__hip_bfloat16EEvPKT6_PKbPfiPT5_PiiiibdPKfPKS9_SF_
		.amdhsa_group_segment_fixed_size 0
		.amdhsa_private_segment_fixed_size 0
		.amdhsa_kernarg_size 96
		.amdhsa_user_sgpr_count 2
		.amdhsa_user_sgpr_dispatch_ptr 0
		.amdhsa_user_sgpr_queue_ptr 0
		.amdhsa_user_sgpr_kernarg_segment_ptr 1
		.amdhsa_user_sgpr_dispatch_id 0
		.amdhsa_user_sgpr_kernarg_preload_length 0
		.amdhsa_user_sgpr_kernarg_preload_offset 0
		.amdhsa_user_sgpr_private_segment_size 0
		.amdhsa_uses_dynamic_stack 0
		.amdhsa_enable_private_segment 0
		.amdhsa_system_sgpr_workgroup_id_x 1
		.amdhsa_system_sgpr_workgroup_id_y 0
		.amdhsa_system_sgpr_workgroup_id_z 0
		.amdhsa_system_sgpr_workgroup_info 0
		.amdhsa_system_vgpr_workitem_id 1
		.amdhsa_next_free_vgpr 36
		.amdhsa_next_free_sgpr 56
		.amdhsa_accum_offset 36
		.amdhsa_reserve_vcc 1
		.amdhsa_float_round_mode_32 0
		.amdhsa_float_round_mode_16_64 0
		.amdhsa_float_denorm_mode_32 3
		.amdhsa_float_denorm_mode_16_64 3
		.amdhsa_dx10_clamp 1
		.amdhsa_ieee_mode 1
		.amdhsa_fp16_overflow 0
		.amdhsa_tg_split 0
		.amdhsa_exception_fp_ieee_invalid_op 0
		.amdhsa_exception_fp_denorm_src 0
		.amdhsa_exception_fp_ieee_div_zero 0
		.amdhsa_exception_fp_ieee_overflow 0
		.amdhsa_exception_fp_ieee_underflow 0
		.amdhsa_exception_fp_ieee_inexact 0
		.amdhsa_exception_int_div_zero 0
	.end_amdhsa_kernel
	.section	.text._ZN4vllm3moe22topkGatingSoftplusSqrtILi14ELi448ELi4ELi2ELi32ELb1Ei14__hip_bfloat16EEvPKT6_PKbPfiPT5_PiiiibdPKfPKS9_SF_,"axG",@progbits,_ZN4vllm3moe22topkGatingSoftplusSqrtILi14ELi448ELi4ELi2ELi32ELb1Ei14__hip_bfloat16EEvPKT6_PKbPfiPT5_PiiiibdPKfPKS9_SF_,comdat
.Lfunc_end414:
	.size	_ZN4vllm3moe22topkGatingSoftplusSqrtILi14ELi448ELi4ELi2ELi32ELb1Ei14__hip_bfloat16EEvPKT6_PKbPfiPT5_PiiiibdPKfPKS9_SF_, .Lfunc_end414-_ZN4vllm3moe22topkGatingSoftplusSqrtILi14ELi448ELi4ELi2ELi32ELb1Ei14__hip_bfloat16EEvPKT6_PKbPfiPT5_PiiiibdPKfPKS9_SF_
                                        ; -- End function
	.section	.AMDGPU.csdata,"",@progbits
; Kernel info:
; codeLenInByte = 5616
; NumSgprs: 62
; NumVgprs: 36
; NumAgprs: 0
; TotalNumVgprs: 36
; ScratchSize: 0
; MemoryBound: 0
; FloatMode: 240
; IeeeMode: 1
; LDSByteSize: 0 bytes/workgroup (compile time only)
; SGPRBlocks: 7
; VGPRBlocks: 4
; NumSGPRsForWavesPerEU: 62
; NumVGPRsForWavesPerEU: 36
; AccumOffset: 36
; Occupancy: 8
; WaveLimiterHint : 1
; COMPUTE_PGM_RSRC2:SCRATCH_EN: 0
; COMPUTE_PGM_RSRC2:USER_SGPR: 2
; COMPUTE_PGM_RSRC2:TRAP_HANDLER: 0
; COMPUTE_PGM_RSRC2:TGID_X_EN: 1
; COMPUTE_PGM_RSRC2:TGID_Y_EN: 0
; COMPUTE_PGM_RSRC2:TGID_Z_EN: 0
; COMPUTE_PGM_RSRC2:TIDIG_COMP_CNT: 1
; COMPUTE_PGM_RSRC3_GFX90A:ACCUM_OFFSET: 8
; COMPUTE_PGM_RSRC3_GFX90A:TG_SPLIT: 0
	.section	.text._ZN4vllm3moe22topkGatingSoftplusSqrtILi14ELi448ELi4ELi2ELi32ELb0Ei14__hip_bfloat16EEvPKT6_PKbPfiPT5_PiiiibdPKfPKS9_SF_,"axG",@progbits,_ZN4vllm3moe22topkGatingSoftplusSqrtILi14ELi448ELi4ELi2ELi32ELb0Ei14__hip_bfloat16EEvPKT6_PKbPfiPT5_PiiiibdPKfPKS9_SF_,comdat
	.protected	_ZN4vllm3moe22topkGatingSoftplusSqrtILi14ELi448ELi4ELi2ELi32ELb0Ei14__hip_bfloat16EEvPKT6_PKbPfiPT5_PiiiibdPKfPKS9_SF_ ; -- Begin function _ZN4vllm3moe22topkGatingSoftplusSqrtILi14ELi448ELi4ELi2ELi32ELb0Ei14__hip_bfloat16EEvPKT6_PKbPfiPT5_PiiiibdPKfPKS9_SF_
	.globl	_ZN4vllm3moe22topkGatingSoftplusSqrtILi14ELi448ELi4ELi2ELi32ELb0Ei14__hip_bfloat16EEvPKT6_PKbPfiPT5_PiiiibdPKfPKS9_SF_
	.p2align	8
	.type	_ZN4vllm3moe22topkGatingSoftplusSqrtILi14ELi448ELi4ELi2ELi32ELb0Ei14__hip_bfloat16EEvPKT6_PKbPfiPT5_PiiiibdPKfPKS9_SF_,@function
_ZN4vllm3moe22topkGatingSoftplusSqrtILi14ELi448ELi4ELi2ELi32ELb0Ei14__hip_bfloat16EEvPKT6_PKbPfiPT5_PiiiibdPKfPKS9_SF_: ; @_ZN4vllm3moe22topkGatingSoftplusSqrtILi14ELi448ELi4ELi2ELi32ELb0Ei14__hip_bfloat16EEvPKT6_PKbPfiPT5_PiiiibdPKfPKS9_SF_
; %bb.0:
	s_load_dword s30, s[0:1], 0x18
	v_and_b32_e32 v1, 0x3ff, v0
	s_lshl_b32 s2, s2, 2
	v_lshrrev_b32_e32 v2, 5, v1
	v_bfe_u32 v0, v0, 10, 10
	v_add3_u32 v14, s2, v0, v2
	s_waitcnt lgkmcnt(0)
	v_cmp_gt_i32_e32 vcc, s30, v14
	s_and_saveexec_b64 s[2:3], vcc
	s_cbranch_execz .LBB415_73
; %bb.1:
	s_load_dwordx4 s[4:7], s[0:1], 0x0
	s_load_dwordx2 s[20:21], s[0:1], 0x10
	s_waitcnt lgkmcnt(0)
	s_cmp_eq_u64 s[6:7], 0
	s_cbranch_scc1 .LBB415_3
; %bb.2:
	v_ashrrev_i32_e32 v15, 31, v14
	v_lshl_add_u64 v[2:3], s[6:7], 0, v[14:15]
	global_load_ubyte v0, v[2:3], off
	s_waitcnt vmcnt(0)
	v_and_b32_e32 v0, 1, v0
	v_cmp_eq_u32_e32 vcc, 1, v0
	s_xor_b64 s[2:3], vcc, -1
	s_orn2_b64 s[22:23], s[2:3], exec
	s_branch .LBB415_4
.LBB415_3:
	s_mov_b64 s[22:23], -1
.LBB415_4:
	s_movk_i32 s2, 0x1c0
	v_mul_lo_u32 v4, v14, s2
	v_mov_b32_e32 v2, s4
	v_mov_b32_e32 v3, s5
	v_ashrrev_i32_e32 v5, 31, v4
	v_and_b32_e32 v16, 31, v1
	v_lshl_add_u64 v[2:3], v[4:5], 1, v[2:3]
	v_mov_b32_e32 v1, 0
	v_lshlrev_b32_e32 v0, 1, v16
	v_lshl_add_u64 v[18:19], v[2:3], 0, v[0:1]
	global_load_ushort v0, v[18:19], off
	global_load_ushort v1, v[18:19], off offset:64
	global_load_ushort v2, v[18:19], off offset:128
	;; [unrolled: 1-line block ×13, first 2 shown]
	s_mov_b32 s16, 0x800000
	v_mov_b32_e32 v18, 0x4f800000
	s_mov_b32 s13, 0x3f317217
	s_mov_b32 s14, 0x7f800000
	v_mov_b32_e32 v19, 0x41b17218
	s_mov_b32 s12, 0x41a00000
	s_mov_b32 s15, 0xf800000
	s_load_dwordx4 s[8:11], s[0:1], 0x40
	s_waitcnt lgkmcnt(0)
	s_cmp_lg_u64 s[10:11], 0
	s_cselect_b64 s[6:7], -1, 0
	s_and_b64 s[2:3], exec, s[6:7]
	s_waitcnt vmcnt(13)
	v_lshlrev_b32_e32 v0, 16, v0
	v_mul_f32_e32 v15, 0x3fb8aa3b, v0
	v_exp_f32_e32 v15, v15
	s_nop 0
	v_add_f32_e32 v15, 1.0, v15
	v_cmp_gt_f32_e32 vcc, s16, v15
	s_nop 1
	v_cndmask_b32_e32 v17, 1.0, v18, vcc
	v_mul_f32_e32 v15, v15, v17
	v_log_f32_e32 v20, v15
	v_cndmask_b32_e32 v21, 0, v19, vcc
	v_mov_b32_e32 v17, 0x260
	v_lshlrev_b32_e32 v15, 2, v16
	v_mul_f32_e32 v22, 0x3f317217, v20
	v_fma_f32 v22, v20, s13, -v22
	v_fmac_f32_e32 v22, 0x3377d1cf, v20
	v_fmac_f32_e32 v22, 0x3f317217, v20
	v_cmp_lt_f32_e64 vcc, |v20|, s14
	s_nop 1
	v_cndmask_b32_e32 v20, v20, v22, vcc
	v_sub_f32_e32 v20, v20, v21
	v_cmp_lt_f32_e32 vcc, s12, v0
	s_nop 1
	v_cndmask_b32_e32 v0, v20, v0, vcc
	v_mul_f32_e32 v20, 0x4f800000, v0
	v_cmp_gt_f32_e32 vcc, s15, v0
	s_nop 1
	v_cndmask_b32_e32 v0, v0, v20, vcc
	v_sqrt_f32_e32 v20, v0
	s_nop 0
	v_add_u32_e32 v21, -1, v20
	v_add_u32_e32 v22, 1, v20
	v_fma_f32 v23, -v21, v20, v0
	v_fma_f32 v24, -v22, v20, v0
	v_cmp_ge_f32_e64 s[4:5], 0, v23
	s_nop 1
	v_cndmask_b32_e64 v20, v20, v21, s[4:5]
	v_cmp_lt_f32_e64 s[4:5], 0, v24
	s_nop 1
	v_cndmask_b32_e64 v20, v20, v22, s[4:5]
	v_mul_f32_e32 v21, 0x37800000, v20
	v_cndmask_b32_e32 v20, v20, v21, vcc
	v_cmp_class_f32_e32 vcc, v0, v17
	s_nop 1
	v_cndmask_b32_e32 v0, v20, v0, vcc
	s_mov_b64 vcc, s[2:3]
	s_cbranch_vccz .LBB415_6
; %bb.5:
	global_load_dword v20, v15, s[10:11]
	s_waitcnt vmcnt(0)
	v_add_f32_e32 v0, v0, v20
.LBB415_6:
	s_waitcnt vmcnt(12)
	v_lshlrev_b32_e32 v1, 16, v1
	v_mul_f32_e32 v20, 0x3fb8aa3b, v1
	v_exp_f32_e32 v20, v20
	s_nop 0
	v_add_f32_e32 v20, 1.0, v20
	v_cmp_gt_f32_e32 vcc, s16, v20
	s_nop 1
	v_cndmask_b32_e32 v18, 1.0, v18, vcc
	v_mul_f32_e32 v18, v20, v18
	v_log_f32_e32 v18, v18
	v_cndmask_b32_e32 v19, 0, v19, vcc
	v_mul_f32_e32 v20, 0x3f317217, v18
	v_fma_f32 v20, v18, s13, -v20
	v_fmac_f32_e32 v20, 0x3377d1cf, v18
	v_fmac_f32_e32 v20, 0x3f317217, v18
	v_cmp_lt_f32_e64 vcc, |v18|, s14
	s_nop 1
	v_cndmask_b32_e32 v18, v18, v20, vcc
	v_sub_f32_e32 v18, v18, v19
	v_cmp_lt_f32_e32 vcc, s12, v1
	s_nop 1
	v_cndmask_b32_e32 v1, v18, v1, vcc
	v_mul_f32_e32 v18, 0x4f800000, v1
	v_cmp_gt_f32_e32 vcc, s15, v1
	s_nop 1
	v_cndmask_b32_e32 v1, v1, v18, vcc
	v_sqrt_f32_e32 v18, v1
	v_cmp_class_f32_e64 s[4:5], v1, v17
	v_add_u32_e32 v19, -1, v18
	v_add_u32_e32 v20, 1, v18
	v_fma_f32 v21, -v19, v18, v1
	v_fma_f32 v22, -v20, v18, v1
	v_cmp_ge_f32_e64 s[2:3], 0, v21
	s_nop 1
	v_cndmask_b32_e64 v18, v18, v19, s[2:3]
	v_cmp_lt_f32_e64 s[2:3], 0, v22
	s_nop 1
	v_cndmask_b32_e64 v18, v18, v20, s[2:3]
	v_mul_f32_e32 v19, 0x37800000, v18
	v_cndmask_b32_e32 v18, v18, v19, vcc
	v_cndmask_b32_e64 v19, 0, 1, s[6:7]
	v_cmp_ne_u32_e64 s[2:3], 1, v19
	s_andn2_b64 vcc, exec, s[6:7]
	v_cndmask_b32_e64 v1, v18, v1, s[4:5]
	s_cbranch_vccnz .LBB415_8
; %bb.7:
	global_load_dword v17, v15, s[10:11] offset:128
	s_waitcnt vmcnt(0)
	v_add_f32_e32 v1, v1, v17
.LBB415_8:
	s_waitcnt vmcnt(11)
	v_lshlrev_b32_e32 v2, 16, v2
	v_mul_f32_e32 v17, 0x3fb8aa3b, v2
	v_exp_f32_e32 v17, v17
	s_mov_b32 s14, 0x800000
	v_mov_b32_e32 v18, 0x4f800000
	s_mov_b32 s7, 0x3f317217
	v_add_f32_e32 v17, 1.0, v17
	v_cmp_gt_f32_e32 vcc, s14, v17
	s_mov_b32 s12, 0x7f800000
	s_mov_b32 s6, 0x41a00000
	v_cndmask_b32_e32 v19, 1.0, v18, vcc
	v_mul_f32_e32 v17, v17, v19
	v_log_f32_e32 v17, v17
	s_mov_b32 s13, 0xf800000
	v_mul_f32_e32 v19, 0x3f317217, v17
	v_fma_f32 v19, v17, s7, -v19
	v_fmac_f32_e32 v19, 0x3377d1cf, v17
	v_fmac_f32_e32 v19, 0x3f317217, v17
	v_cmp_lt_f32_e64 s[4:5], |v17|, s12
	s_nop 1
	v_cndmask_b32_e64 v17, v17, v19, s[4:5]
	v_mov_b32_e32 v19, 0x41b17218
	v_cndmask_b32_e32 v20, 0, v19, vcc
	v_sub_f32_e32 v17, v17, v20
	v_cmp_lt_f32_e32 vcc, s6, v2
	s_nop 1
	v_cndmask_b32_e32 v2, v17, v2, vcc
	v_mul_f32_e32 v17, 0x4f800000, v2
	v_cmp_gt_f32_e32 vcc, s13, v2
	s_nop 1
	v_cndmask_b32_e32 v2, v2, v17, vcc
	v_sqrt_f32_e32 v17, v2
	s_nop 0
	v_add_u32_e32 v20, -1, v17
	v_fma_f32 v21, -v20, v17, v2
	v_cmp_ge_f32_e64 s[4:5], 0, v21
	v_add_u32_e32 v21, 1, v17
	s_nop 0
	v_cndmask_b32_e64 v20, v17, v20, s[4:5]
	v_fma_f32 v17, -v21, v17, v2
	v_cmp_lt_f32_e64 s[4:5], 0, v17
	s_nop 1
	v_cndmask_b32_e64 v17, v20, v21, s[4:5]
	v_mul_f32_e32 v20, 0x37800000, v17
	v_cndmask_b32_e32 v20, v17, v20, vcc
	v_mov_b32_e32 v17, 0x260
	v_cmp_class_f32_e64 s[4:5], v2, v17
	s_and_b64 vcc, exec, s[2:3]
	s_nop 0
	v_cndmask_b32_e64 v2, v20, v2, s[4:5]
	s_cbranch_vccnz .LBB415_10
; %bb.9:
	global_load_dword v20, v15, s[10:11] offset:256
	s_waitcnt vmcnt(0)
	v_add_f32_e32 v2, v2, v20
.LBB415_10:
	s_waitcnt vmcnt(10)
	v_lshlrev_b32_e32 v3, 16, v3
	v_mul_f32_e32 v20, 0x3fb8aa3b, v3
	v_exp_f32_e32 v20, v20
	s_nop 0
	v_add_f32_e32 v20, 1.0, v20
	v_cmp_gt_f32_e32 vcc, s14, v20
	s_nop 1
	v_cndmask_b32_e32 v18, 1.0, v18, vcc
	v_mul_f32_e32 v18, v20, v18
	v_log_f32_e32 v18, v18
	v_cndmask_b32_e32 v19, 0, v19, vcc
	v_mul_f32_e32 v20, 0x3f317217, v18
	v_fma_f32 v20, v18, s7, -v20
	v_fmac_f32_e32 v20, 0x3377d1cf, v18
	v_fmac_f32_e32 v20, 0x3f317217, v18
	v_cmp_lt_f32_e64 vcc, |v18|, s12
	s_nop 1
	v_cndmask_b32_e32 v18, v18, v20, vcc
	v_sub_f32_e32 v18, v18, v19
	v_cmp_lt_f32_e32 vcc, s6, v3
	s_nop 1
	v_cndmask_b32_e32 v3, v18, v3, vcc
	v_mul_f32_e32 v18, 0x4f800000, v3
	v_cmp_gt_f32_e32 vcc, s13, v3
	s_nop 1
	v_cndmask_b32_e32 v3, v3, v18, vcc
	v_sqrt_f32_e32 v18, v3
	s_nop 0
	v_add_u32_e32 v19, -1, v18
	v_add_u32_e32 v20, 1, v18
	v_fma_f32 v21, -v19, v18, v3
	v_fma_f32 v22, -v20, v18, v3
	v_cmp_ge_f32_e64 s[4:5], 0, v21
	s_nop 1
	v_cndmask_b32_e64 v18, v18, v19, s[4:5]
	v_cmp_lt_f32_e64 s[4:5], 0, v22
	s_nop 1
	v_cndmask_b32_e64 v18, v18, v20, s[4:5]
	v_mul_f32_e32 v19, 0x37800000, v18
	v_cndmask_b32_e32 v18, v18, v19, vcc
	v_cmp_class_f32_e64 s[4:5], v3, v17
	s_and_b64 vcc, exec, s[2:3]
	s_nop 0
	v_cndmask_b32_e64 v3, v18, v3, s[4:5]
	s_cbranch_vccnz .LBB415_12
; %bb.11:
	global_load_dword v17, v15, s[10:11] offset:384
	s_waitcnt vmcnt(0)
	v_add_f32_e32 v3, v3, v17
.LBB415_12:
	s_waitcnt vmcnt(9)
	v_lshlrev_b32_e32 v4, 16, v4
	v_mul_f32_e32 v17, 0x3fb8aa3b, v4
	v_exp_f32_e32 v17, v17
	v_mov_b32_e32 v18, 0x4f800000
	v_add_f32_e32 v17, 1.0, v17
	v_cmp_gt_f32_e32 vcc, s14, v17
	s_nop 1
	v_cndmask_b32_e32 v19, 1.0, v18, vcc
	v_mul_f32_e32 v17, v17, v19
	v_log_f32_e32 v17, v17
	s_nop 0
	v_mul_f32_e32 v19, 0x3f317217, v17
	v_fma_f32 v19, v17, s7, -v19
	v_fmac_f32_e32 v19, 0x3377d1cf, v17
	v_fmac_f32_e32 v19, 0x3f317217, v17
	v_cmp_lt_f32_e64 s[4:5], |v17|, s12
	s_nop 1
	v_cndmask_b32_e64 v17, v17, v19, s[4:5]
	v_mov_b32_e32 v19, 0x41b17218
	v_cndmask_b32_e32 v20, 0, v19, vcc
	v_sub_f32_e32 v17, v17, v20
	v_cmp_lt_f32_e32 vcc, s6, v4
	s_nop 1
	v_cndmask_b32_e32 v4, v17, v4, vcc
	v_mul_f32_e32 v17, 0x4f800000, v4
	v_cmp_gt_f32_e32 vcc, s13, v4
	s_nop 1
	v_cndmask_b32_e32 v4, v4, v17, vcc
	v_sqrt_f32_e32 v17, v4
	s_nop 0
	v_add_u32_e32 v20, -1, v17
	v_fma_f32 v21, -v20, v17, v4
	v_cmp_ge_f32_e64 s[4:5], 0, v21
	v_add_u32_e32 v21, 1, v17
	s_nop 0
	v_cndmask_b32_e64 v20, v17, v20, s[4:5]
	v_fma_f32 v17, -v21, v17, v4
	v_cmp_lt_f32_e64 s[4:5], 0, v17
	s_nop 1
	v_cndmask_b32_e64 v17, v20, v21, s[4:5]
	v_mul_f32_e32 v20, 0x37800000, v17
	v_cndmask_b32_e32 v20, v17, v20, vcc
	v_mov_b32_e32 v17, 0x260
	v_cmp_class_f32_e64 s[4:5], v4, v17
	s_and_b64 vcc, exec, s[2:3]
	s_nop 0
	v_cndmask_b32_e64 v4, v20, v4, s[4:5]
	s_cbranch_vccnz .LBB415_14
; %bb.13:
	global_load_dword v20, v15, s[10:11] offset:512
	s_waitcnt vmcnt(0)
	v_add_f32_e32 v4, v4, v20
.LBB415_14:
	s_waitcnt vmcnt(8)
	v_lshlrev_b32_e32 v5, 16, v5
	v_mul_f32_e32 v20, 0x3fb8aa3b, v5
	v_exp_f32_e32 v20, v20
	s_nop 0
	v_add_f32_e32 v20, 1.0, v20
	v_cmp_gt_f32_e32 vcc, s14, v20
	s_nop 1
	v_cndmask_b32_e32 v18, 1.0, v18, vcc
	v_mul_f32_e32 v18, v20, v18
	v_log_f32_e32 v18, v18
	v_cndmask_b32_e32 v19, 0, v19, vcc
	v_mul_f32_e32 v20, 0x3f317217, v18
	v_fma_f32 v20, v18, s7, -v20
	v_fmac_f32_e32 v20, 0x3377d1cf, v18
	v_fmac_f32_e32 v20, 0x3f317217, v18
	v_cmp_lt_f32_e64 vcc, |v18|, s12
	s_nop 1
	v_cndmask_b32_e32 v18, v18, v20, vcc
	v_sub_f32_e32 v18, v18, v19
	v_cmp_lt_f32_e32 vcc, s6, v5
	s_nop 1
	v_cndmask_b32_e32 v5, v18, v5, vcc
	v_mul_f32_e32 v18, 0x4f800000, v5
	v_cmp_gt_f32_e32 vcc, s13, v5
	s_nop 1
	v_cndmask_b32_e32 v5, v5, v18, vcc
	v_sqrt_f32_e32 v18, v5
	s_nop 0
	v_add_u32_e32 v19, -1, v18
	v_add_u32_e32 v20, 1, v18
	v_fma_f32 v21, -v19, v18, v5
	v_fma_f32 v22, -v20, v18, v5
	v_cmp_ge_f32_e64 s[4:5], 0, v21
	s_nop 1
	v_cndmask_b32_e64 v18, v18, v19, s[4:5]
	v_cmp_lt_f32_e64 s[4:5], 0, v22
	s_nop 1
	v_cndmask_b32_e64 v18, v18, v20, s[4:5]
	v_mul_f32_e32 v19, 0x37800000, v18
	v_cndmask_b32_e32 v18, v18, v19, vcc
	v_cmp_class_f32_e64 s[4:5], v5, v17
	s_and_b64 vcc, exec, s[2:3]
	s_nop 0
	v_cndmask_b32_e64 v5, v18, v5, s[4:5]
	s_cbranch_vccnz .LBB415_16
; %bb.15:
	global_load_dword v17, v15, s[10:11] offset:640
	s_waitcnt vmcnt(0)
	v_add_f32_e32 v5, v5, v17
.LBB415_16:
	s_waitcnt vmcnt(7)
	v_lshlrev_b32_e32 v6, 16, v6
	v_mul_f32_e32 v17, 0x3fb8aa3b, v6
	v_exp_f32_e32 v17, v17
	v_mov_b32_e32 v18, 0x4f800000
	v_add_f32_e32 v17, 1.0, v17
	v_cmp_gt_f32_e32 vcc, s14, v17
	s_nop 1
	v_cndmask_b32_e32 v19, 1.0, v18, vcc
	v_mul_f32_e32 v17, v17, v19
	v_log_f32_e32 v17, v17
	s_nop 0
	v_mul_f32_e32 v19, 0x3f317217, v17
	v_fma_f32 v19, v17, s7, -v19
	v_fmac_f32_e32 v19, 0x3377d1cf, v17
	v_fmac_f32_e32 v19, 0x3f317217, v17
	v_cmp_lt_f32_e64 s[4:5], |v17|, s12
	s_nop 1
	v_cndmask_b32_e64 v17, v17, v19, s[4:5]
	v_mov_b32_e32 v19, 0x41b17218
	v_cndmask_b32_e32 v20, 0, v19, vcc
	v_sub_f32_e32 v17, v17, v20
	v_cmp_lt_f32_e32 vcc, s6, v6
	s_nop 1
	v_cndmask_b32_e32 v6, v17, v6, vcc
	v_mul_f32_e32 v17, 0x4f800000, v6
	v_cmp_gt_f32_e32 vcc, s13, v6
	s_nop 1
	v_cndmask_b32_e32 v6, v6, v17, vcc
	v_sqrt_f32_e32 v17, v6
	s_nop 0
	v_add_u32_e32 v20, -1, v17
	v_fma_f32 v21, -v20, v17, v6
	v_cmp_ge_f32_e64 s[4:5], 0, v21
	v_add_u32_e32 v21, 1, v17
	s_nop 0
	v_cndmask_b32_e64 v20, v17, v20, s[4:5]
	v_fma_f32 v17, -v21, v17, v6
	v_cmp_lt_f32_e64 s[4:5], 0, v17
	s_nop 1
	v_cndmask_b32_e64 v17, v20, v21, s[4:5]
	v_mul_f32_e32 v20, 0x37800000, v17
	v_cndmask_b32_e32 v20, v17, v20, vcc
	v_mov_b32_e32 v17, 0x260
	v_cmp_class_f32_e64 s[4:5], v6, v17
	s_and_b64 vcc, exec, s[2:3]
	s_nop 0
	v_cndmask_b32_e64 v6, v20, v6, s[4:5]
	s_cbranch_vccnz .LBB415_18
; %bb.17:
	global_load_dword v20, v15, s[10:11] offset:768
	s_waitcnt vmcnt(0)
	v_add_f32_e32 v6, v6, v20
.LBB415_18:
	s_waitcnt vmcnt(6)
	v_lshlrev_b32_e32 v7, 16, v7
	v_mul_f32_e32 v20, 0x3fb8aa3b, v7
	v_exp_f32_e32 v20, v20
	s_nop 0
	v_add_f32_e32 v20, 1.0, v20
	v_cmp_gt_f32_e32 vcc, s14, v20
	s_nop 1
	v_cndmask_b32_e32 v18, 1.0, v18, vcc
	v_mul_f32_e32 v18, v20, v18
	v_log_f32_e32 v18, v18
	v_cndmask_b32_e32 v19, 0, v19, vcc
	v_mul_f32_e32 v20, 0x3f317217, v18
	v_fma_f32 v20, v18, s7, -v20
	v_fmac_f32_e32 v20, 0x3377d1cf, v18
	v_fmac_f32_e32 v20, 0x3f317217, v18
	v_cmp_lt_f32_e64 vcc, |v18|, s12
	s_nop 1
	v_cndmask_b32_e32 v18, v18, v20, vcc
	v_sub_f32_e32 v18, v18, v19
	v_cmp_lt_f32_e32 vcc, s6, v7
	s_nop 1
	v_cndmask_b32_e32 v7, v18, v7, vcc
	v_mul_f32_e32 v18, 0x4f800000, v7
	v_cmp_gt_f32_e32 vcc, s13, v7
	s_nop 1
	v_cndmask_b32_e32 v7, v7, v18, vcc
	v_sqrt_f32_e32 v18, v7
	s_nop 0
	v_add_u32_e32 v19, -1, v18
	v_add_u32_e32 v20, 1, v18
	v_fma_f32 v21, -v19, v18, v7
	v_fma_f32 v22, -v20, v18, v7
	v_cmp_ge_f32_e64 s[4:5], 0, v21
	s_nop 1
	v_cndmask_b32_e64 v18, v18, v19, s[4:5]
	v_cmp_lt_f32_e64 s[4:5], 0, v22
	s_nop 1
	v_cndmask_b32_e64 v18, v18, v20, s[4:5]
	v_mul_f32_e32 v19, 0x37800000, v18
	v_cndmask_b32_e32 v18, v18, v19, vcc
	v_cmp_class_f32_e64 s[4:5], v7, v17
	s_and_b64 vcc, exec, s[2:3]
	s_nop 0
	v_cndmask_b32_e64 v7, v18, v7, s[4:5]
	s_cbranch_vccnz .LBB415_20
; %bb.19:
	global_load_dword v17, v15, s[10:11] offset:896
	s_waitcnt vmcnt(0)
	v_add_f32_e32 v7, v7, v17
.LBB415_20:
	s_waitcnt vmcnt(5)
	v_lshlrev_b32_e32 v8, 16, v8
	v_mul_f32_e32 v17, 0x3fb8aa3b, v8
	v_exp_f32_e32 v17, v17
	v_mov_b32_e32 v18, 0x4f800000
	v_add_f32_e32 v17, 1.0, v17
	v_cmp_gt_f32_e32 vcc, s14, v17
	s_nop 1
	v_cndmask_b32_e32 v19, 1.0, v18, vcc
	v_mul_f32_e32 v17, v17, v19
	v_log_f32_e32 v17, v17
	s_nop 0
	v_mul_f32_e32 v19, 0x3f317217, v17
	v_fma_f32 v19, v17, s7, -v19
	v_fmac_f32_e32 v19, 0x3377d1cf, v17
	v_fmac_f32_e32 v19, 0x3f317217, v17
	v_cmp_lt_f32_e64 s[4:5], |v17|, s12
	s_nop 1
	v_cndmask_b32_e64 v17, v17, v19, s[4:5]
	v_mov_b32_e32 v19, 0x41b17218
	v_cndmask_b32_e32 v20, 0, v19, vcc
	v_sub_f32_e32 v17, v17, v20
	v_cmp_lt_f32_e32 vcc, s6, v8
	s_nop 1
	v_cndmask_b32_e32 v8, v17, v8, vcc
	v_mul_f32_e32 v17, 0x4f800000, v8
	v_cmp_gt_f32_e32 vcc, s13, v8
	s_nop 1
	v_cndmask_b32_e32 v8, v8, v17, vcc
	v_sqrt_f32_e32 v17, v8
	s_nop 0
	v_add_u32_e32 v20, -1, v17
	v_fma_f32 v21, -v20, v17, v8
	v_cmp_ge_f32_e64 s[4:5], 0, v21
	v_add_u32_e32 v21, 1, v17
	s_nop 0
	v_cndmask_b32_e64 v20, v17, v20, s[4:5]
	v_fma_f32 v17, -v21, v17, v8
	v_cmp_lt_f32_e64 s[4:5], 0, v17
	s_nop 1
	v_cndmask_b32_e64 v17, v20, v21, s[4:5]
	v_mul_f32_e32 v20, 0x37800000, v17
	v_cndmask_b32_e32 v20, v17, v20, vcc
	v_mov_b32_e32 v17, 0x260
	v_cmp_class_f32_e64 s[4:5], v8, v17
	s_and_b64 vcc, exec, s[2:3]
	s_nop 0
	v_cndmask_b32_e64 v8, v20, v8, s[4:5]
	s_cbranch_vccnz .LBB415_22
; %bb.21:
	global_load_dword v20, v15, s[10:11] offset:1024
	s_waitcnt vmcnt(0)
	v_add_f32_e32 v8, v8, v20
.LBB415_22:
	s_waitcnt vmcnt(4)
	v_lshlrev_b32_e32 v9, 16, v9
	v_mul_f32_e32 v20, 0x3fb8aa3b, v9
	v_exp_f32_e32 v20, v20
	s_nop 0
	v_add_f32_e32 v20, 1.0, v20
	v_cmp_gt_f32_e32 vcc, s14, v20
	s_nop 1
	v_cndmask_b32_e32 v18, 1.0, v18, vcc
	v_mul_f32_e32 v18, v20, v18
	v_log_f32_e32 v18, v18
	v_cndmask_b32_e32 v19, 0, v19, vcc
	v_mul_f32_e32 v20, 0x3f317217, v18
	v_fma_f32 v20, v18, s7, -v20
	v_fmac_f32_e32 v20, 0x3377d1cf, v18
	v_fmac_f32_e32 v20, 0x3f317217, v18
	v_cmp_lt_f32_e64 vcc, |v18|, s12
	s_nop 1
	v_cndmask_b32_e32 v18, v18, v20, vcc
	v_sub_f32_e32 v18, v18, v19
	v_cmp_lt_f32_e32 vcc, s6, v9
	s_nop 1
	v_cndmask_b32_e32 v9, v18, v9, vcc
	v_mul_f32_e32 v18, 0x4f800000, v9
	v_cmp_gt_f32_e32 vcc, s13, v9
	s_nop 1
	v_cndmask_b32_e32 v9, v9, v18, vcc
	v_sqrt_f32_e32 v18, v9
	s_nop 0
	v_add_u32_e32 v19, -1, v18
	v_add_u32_e32 v20, 1, v18
	v_fma_f32 v21, -v19, v18, v9
	v_fma_f32 v22, -v20, v18, v9
	v_cmp_ge_f32_e64 s[4:5], 0, v21
	s_nop 1
	v_cndmask_b32_e64 v18, v18, v19, s[4:5]
	v_cmp_lt_f32_e64 s[4:5], 0, v22
	s_nop 1
	v_cndmask_b32_e64 v18, v18, v20, s[4:5]
	v_mul_f32_e32 v19, 0x37800000, v18
	v_cndmask_b32_e32 v18, v18, v19, vcc
	v_cmp_class_f32_e64 s[4:5], v9, v17
	s_and_b64 vcc, exec, s[2:3]
	s_nop 0
	v_cndmask_b32_e64 v9, v18, v9, s[4:5]
	s_cbranch_vccnz .LBB415_24
; %bb.23:
	global_load_dword v17, v15, s[10:11] offset:1152
	s_waitcnt vmcnt(0)
	v_add_f32_e32 v9, v9, v17
.LBB415_24:
	s_waitcnt vmcnt(3)
	v_lshlrev_b32_e32 v10, 16, v10
	v_mul_f32_e32 v17, 0x3fb8aa3b, v10
	v_exp_f32_e32 v17, v17
	v_mov_b32_e32 v18, 0x4f800000
	v_add_f32_e32 v17, 1.0, v17
	v_cmp_gt_f32_e32 vcc, s14, v17
	s_nop 1
	v_cndmask_b32_e32 v19, 1.0, v18, vcc
	v_mul_f32_e32 v17, v17, v19
	v_log_f32_e32 v17, v17
	s_nop 0
	v_mul_f32_e32 v19, 0x3f317217, v17
	v_fma_f32 v19, v17, s7, -v19
	v_fmac_f32_e32 v19, 0x3377d1cf, v17
	v_fmac_f32_e32 v19, 0x3f317217, v17
	v_cmp_lt_f32_e64 s[4:5], |v17|, s12
	s_nop 1
	v_cndmask_b32_e64 v17, v17, v19, s[4:5]
	v_mov_b32_e32 v19, 0x41b17218
	v_cndmask_b32_e32 v20, 0, v19, vcc
	v_sub_f32_e32 v17, v17, v20
	v_cmp_lt_f32_e32 vcc, s6, v10
	s_nop 1
	v_cndmask_b32_e32 v10, v17, v10, vcc
	v_mul_f32_e32 v17, 0x4f800000, v10
	v_cmp_gt_f32_e32 vcc, s13, v10
	s_nop 1
	v_cndmask_b32_e32 v10, v10, v17, vcc
	v_sqrt_f32_e32 v17, v10
	s_nop 0
	v_add_u32_e32 v20, -1, v17
	v_fma_f32 v21, -v20, v17, v10
	v_cmp_ge_f32_e64 s[4:5], 0, v21
	v_add_u32_e32 v21, 1, v17
	s_nop 0
	v_cndmask_b32_e64 v20, v17, v20, s[4:5]
	v_fma_f32 v17, -v21, v17, v10
	v_cmp_lt_f32_e64 s[4:5], 0, v17
	s_nop 1
	v_cndmask_b32_e64 v17, v20, v21, s[4:5]
	v_mul_f32_e32 v20, 0x37800000, v17
	v_cndmask_b32_e32 v20, v17, v20, vcc
	v_mov_b32_e32 v17, 0x260
	v_cmp_class_f32_e64 s[4:5], v10, v17
	s_and_b64 vcc, exec, s[2:3]
	s_nop 0
	v_cndmask_b32_e64 v10, v20, v10, s[4:5]
	s_cbranch_vccnz .LBB415_26
; %bb.25:
	global_load_dword v20, v15, s[10:11] offset:1280
	s_waitcnt vmcnt(0)
	v_add_f32_e32 v10, v10, v20
.LBB415_26:
	s_waitcnt vmcnt(2)
	v_lshlrev_b32_e32 v11, 16, v11
	v_mul_f32_e32 v20, 0x3fb8aa3b, v11
	v_exp_f32_e32 v20, v20
	s_nop 0
	v_add_f32_e32 v20, 1.0, v20
	v_cmp_gt_f32_e32 vcc, s14, v20
	s_nop 1
	v_cndmask_b32_e32 v18, 1.0, v18, vcc
	v_mul_f32_e32 v18, v20, v18
	v_log_f32_e32 v18, v18
	v_cndmask_b32_e32 v19, 0, v19, vcc
	v_mul_f32_e32 v20, 0x3f317217, v18
	v_fma_f32 v20, v18, s7, -v20
	v_fmac_f32_e32 v20, 0x3377d1cf, v18
	v_fmac_f32_e32 v20, 0x3f317217, v18
	v_cmp_lt_f32_e64 vcc, |v18|, s12
	s_nop 1
	v_cndmask_b32_e32 v18, v18, v20, vcc
	v_sub_f32_e32 v18, v18, v19
	v_cmp_lt_f32_e32 vcc, s6, v11
	s_nop 1
	v_cndmask_b32_e32 v11, v18, v11, vcc
	v_mul_f32_e32 v18, 0x4f800000, v11
	v_cmp_gt_f32_e32 vcc, s13, v11
	s_nop 1
	v_cndmask_b32_e32 v11, v11, v18, vcc
	v_sqrt_f32_e32 v18, v11
	s_nop 0
	v_add_u32_e32 v19, -1, v18
	v_add_u32_e32 v20, 1, v18
	v_fma_f32 v21, -v19, v18, v11
	v_fma_f32 v22, -v20, v18, v11
	v_cmp_ge_f32_e64 s[4:5], 0, v21
	s_nop 1
	v_cndmask_b32_e64 v18, v18, v19, s[4:5]
	v_cmp_lt_f32_e64 s[4:5], 0, v22
	s_nop 1
	v_cndmask_b32_e64 v18, v18, v20, s[4:5]
	v_mul_f32_e32 v19, 0x37800000, v18
	v_cndmask_b32_e32 v18, v18, v19, vcc
	v_cmp_class_f32_e64 s[4:5], v11, v17
	s_and_b64 vcc, exec, s[2:3]
	s_nop 0
	v_cndmask_b32_e64 v11, v18, v11, s[4:5]
	s_cbranch_vccnz .LBB415_28
; %bb.27:
	global_load_dword v17, v15, s[10:11] offset:1408
	s_waitcnt vmcnt(0)
	v_add_f32_e32 v11, v11, v17
.LBB415_28:
	s_waitcnt vmcnt(1)
	v_lshlrev_b32_e32 v12, 16, v12
	v_mul_f32_e32 v17, 0x3fb8aa3b, v12
	v_exp_f32_e32 v17, v17
	v_mov_b32_e32 v18, 0x4f800000
	v_add_f32_e32 v17, 1.0, v17
	v_cmp_gt_f32_e32 vcc, s14, v17
	s_nop 1
	v_cndmask_b32_e32 v19, 1.0, v18, vcc
	v_mul_f32_e32 v17, v17, v19
	v_log_f32_e32 v17, v17
	s_nop 0
	v_mul_f32_e32 v19, 0x3f317217, v17
	v_fma_f32 v19, v17, s7, -v19
	v_fmac_f32_e32 v19, 0x3377d1cf, v17
	v_fmac_f32_e32 v19, 0x3f317217, v17
	v_cmp_lt_f32_e64 s[4:5], |v17|, s12
	s_nop 1
	v_cndmask_b32_e64 v17, v17, v19, s[4:5]
	v_mov_b32_e32 v19, 0x41b17218
	v_cndmask_b32_e32 v20, 0, v19, vcc
	v_sub_f32_e32 v17, v17, v20
	v_cmp_lt_f32_e32 vcc, s6, v12
	s_nop 1
	v_cndmask_b32_e32 v12, v17, v12, vcc
	v_mul_f32_e32 v17, 0x4f800000, v12
	v_cmp_gt_f32_e32 vcc, s13, v12
	s_nop 1
	v_cndmask_b32_e32 v12, v12, v17, vcc
	v_sqrt_f32_e32 v17, v12
	s_nop 0
	v_add_u32_e32 v20, -1, v17
	v_fma_f32 v21, -v20, v17, v12
	v_cmp_ge_f32_e64 s[4:5], 0, v21
	v_add_u32_e32 v21, 1, v17
	s_nop 0
	v_cndmask_b32_e64 v20, v17, v20, s[4:5]
	v_fma_f32 v17, -v21, v17, v12
	v_cmp_lt_f32_e64 s[4:5], 0, v17
	s_nop 1
	v_cndmask_b32_e64 v17, v20, v21, s[4:5]
	v_mul_f32_e32 v20, 0x37800000, v17
	v_cndmask_b32_e32 v20, v17, v20, vcc
	v_mov_b32_e32 v17, 0x260
	v_cmp_class_f32_e64 s[4:5], v12, v17
	s_and_b64 vcc, exec, s[2:3]
	s_nop 0
	v_cndmask_b32_e64 v12, v20, v12, s[4:5]
	s_cbranch_vccnz .LBB415_30
; %bb.29:
	global_load_dword v20, v15, s[10:11] offset:1536
	s_waitcnt vmcnt(0)
	v_add_f32_e32 v12, v12, v20
.LBB415_30:
	s_waitcnt vmcnt(0)
	v_lshlrev_b32_e32 v13, 16, v13
	v_mul_f32_e32 v20, 0x3fb8aa3b, v13
	v_exp_f32_e32 v20, v20
	s_nop 0
	v_add_f32_e32 v20, 1.0, v20
	v_cmp_gt_f32_e32 vcc, s14, v20
	s_nop 1
	v_cndmask_b32_e32 v18, 1.0, v18, vcc
	v_mul_f32_e32 v18, v20, v18
	v_log_f32_e32 v18, v18
	v_cndmask_b32_e32 v19, 0, v19, vcc
	v_mul_f32_e32 v20, 0x3f317217, v18
	v_fma_f32 v20, v18, s7, -v20
	v_fmac_f32_e32 v20, 0x3377d1cf, v18
	v_fmac_f32_e32 v20, 0x3f317217, v18
	v_cmp_lt_f32_e64 vcc, |v18|, s12
	s_nop 1
	v_cndmask_b32_e32 v18, v18, v20, vcc
	v_sub_f32_e32 v18, v18, v19
	v_cmp_lt_f32_e32 vcc, s6, v13
	s_nop 1
	v_cndmask_b32_e32 v13, v18, v13, vcc
	v_mul_f32_e32 v18, 0x4f800000, v13
	v_cmp_gt_f32_e32 vcc, s13, v13
	s_nop 1
	v_cndmask_b32_e32 v13, v13, v18, vcc
	v_sqrt_f32_e32 v18, v13
	s_nop 0
	v_add_u32_e32 v19, -1, v18
	v_add_u32_e32 v20, 1, v18
	v_fma_f32 v21, -v19, v18, v13
	v_fma_f32 v22, -v20, v18, v13
	v_cmp_ge_f32_e64 s[4:5], 0, v21
	s_nop 1
	v_cndmask_b32_e64 v18, v18, v19, s[4:5]
	v_cmp_lt_f32_e64 s[4:5], 0, v22
	s_nop 1
	v_cndmask_b32_e64 v18, v18, v20, s[4:5]
	v_mul_f32_e32 v19, 0x37800000, v18
	v_cndmask_b32_e32 v18, v18, v19, vcc
	v_cmp_class_f32_e64 s[4:5], v13, v17
	s_and_b64 vcc, exec, s[2:3]
	s_nop 0
	v_cndmask_b32_e64 v13, v18, v13, s[4:5]
	s_cbranch_vccnz .LBB415_32
; %bb.31:
	global_load_dword v15, v15, s[10:11] offset:1664
	s_waitcnt vmcnt(0)
	v_add_f32_e32 v13, v13, v15
.LBB415_32:
	s_load_dwordx4 s[12:15], s[0:1], 0x30
	s_mov_b32 s31, 0
	v_cmp_eq_u32_e64 s[6:7], 0, v16
	s_waitcnt lgkmcnt(0)
	s_bitcmp1_b32 s15, 0
	s_cselect_b64 s[4:5], -1, 0
	s_cmp_gt_i32 s12, 0
	s_cselect_b64 s[24:25], -1, 0
	s_and_b64 vcc, exec, s[24:25]
	s_cbranch_vccz .LBB415_59
; %bb.33:
	v_mbcnt_lo_u32_b32 v15, -1, 0
	v_mbcnt_hi_u32_b32 v18, -1, v15
	v_and_b32_e32 v15, 0x60, v18
	v_add_u32_e32 v19, 32, v15
	v_xor_b32_e32 v24, 16, v18
	v_cmp_lt_i32_e32 vcc, v24, v19
	s_load_dwordx4 s[16:19], s[0:1], 0x20
	v_mul_lo_u32 v15, v14, s12
	v_cndmask_b32_e32 v24, v18, v24, vcc
	v_lshlrev_b32_e32 v33, 2, v24
	v_xor_b32_e32 v24, 8, v18
	v_cmp_lt_i32_e32 vcc, v24, v19
	v_or_b32_e32 v17, 32, v16
	v_or_b32_e32 v20, 64, v16
	v_cndmask_b32_e32 v24, v18, v24, vcc
	v_lshlrev_b32_e32 v34, 2, v24
	v_xor_b32_e32 v24, 4, v18
	v_cmp_lt_i32_e32 vcc, v24, v19
	v_or_b32_e32 v21, 0x60, v16
	v_or_b32_e32 v22, 0x80, v16
	;; [unrolled: 6-line block ×4, first 2 shown]
	v_cndmask_b32_e32 v18, v18, v24, vcc
	v_or_b32_e32 v28, 0x120, v16
	v_or_b32_e32 v29, 0x140, v16
	;; [unrolled: 1-line block ×5, first 2 shown]
	v_lshlrev_b32_e32 v37, 2, v18
	v_mov_b32_e32 v24, 0
	v_mov_b32_e32 v38, 0x1c0
	;; [unrolled: 1-line block ×4, first 2 shown]
	s_branch .LBB415_36
.LBB415_34:                             ;   in Loop: Header=BB415_36 Depth=1
	s_waitcnt lgkmcnt(0)
	v_add_u32_e32 v42, s31, v15
	v_cmp_le_i32_e32 vcc, s13, v18
	v_cmp_gt_i32_e64 s[0:1], s14, v18
	v_ashrrev_i32_e32 v43, 31, v42
	s_and_b64 s[0:1], vcc, s[0:1]
	v_lshlrev_b64 v[42:43], 2, v[42:43]
	v_lshl_add_u64 v[44:45], s[20:21], 0, v[42:43]
	v_subrev_u32_e32 v19, s13, v18
	s_and_b64 vcc, s[22:23], s[0:1]
	global_store_dword v[44:45], v41, off
	v_cndmask_b32_e32 v19, v38, v19, vcc
	v_lshl_add_u64 v[44:45], s[16:17], 0, v[42:43]
	global_store_dword v[44:45], v19, off
	v_add_f32_e32 v19, v24, v41
	v_lshl_add_u64 v[42:43], s[18:19], 0, v[42:43]
	v_cndmask_b32_e64 v24, v24, v19, s[4:5]
	global_store_dword v[42:43], v40, off
.LBB415_35:                             ;   in Loop: Header=BB415_36 Depth=1
	s_or_b64 exec, exec, s[26:27]
	v_ashrrev_i32_e32 v19, 31, v18
	v_lshrrev_b32_e32 v19, 27, v19
	v_add_u32_e32 v19, v18, v19
	v_and_b32_e32 v41, 0xffffffe0, v19
	v_sub_u32_e32 v18, v18, v41
	s_add_i32 s31, s31, 1
	v_cmp_eq_u32_e32 vcc, v16, v18
	s_cmp_lt_i32 s31, s12
	v_ashrrev_i32_e32 v18, 5, v19
	s_cselect_b64 s[26:27], -1, 0
	v_cmp_ne_u32_e64 s[0:1], 13, v18
	s_and_b64 vcc, s[26:27], vcc
	s_cmp_eq_u32 s12, s31
	v_cndmask_b32_e64 v19, v39, v13, s[0:1]
	v_cmp_ne_u32_e64 s[0:1], 12, v18
	v_cndmask_b32_e32 v13, v13, v19, vcc
	v_add_u32_e32 v40, s30, v40
	v_cndmask_b32_e64 v19, v39, v12, s[0:1]
	v_cmp_ne_u32_e64 s[0:1], 11, v18
	v_cndmask_b32_e32 v12, v12, v19, vcc
	s_nop 0
	v_cndmask_b32_e64 v19, v39, v11, s[0:1]
	v_cmp_ne_u32_e64 s[0:1], 10, v18
	v_cndmask_b32_e32 v11, v11, v19, vcc
	s_nop 0
	;; [unrolled: 4-line block ×12, first 2 shown]
	v_cndmask_b32_e64 v18, v39, v0, s[0:1]
	v_cndmask_b32_e32 v0, v0, v18, vcc
	s_cbranch_scc1 .LBB415_60
.LBB415_36:                             ; =>This Inner Loop Header: Depth=1
	v_cmp_gt_f32_e32 vcc, v1, v0
	s_nop 1
	v_cndmask_b32_e32 v19, v0, v1, vcc
	v_cndmask_b32_e32 v18, v16, v17, vcc
	v_cmp_gt_f32_e32 vcc, v2, v19
	s_nop 1
	v_cndmask_b32_e32 v19, v19, v2, vcc
	v_cndmask_b32_e32 v18, v18, v20, vcc
	;; [unrolled: 4-line block ×13, first 2 shown]
	ds_bpermute_b32 v19, v33, v41
	s_waitcnt lgkmcnt(0)
	ds_bpermute_b32 v42, v33, v18
	s_waitcnt lgkmcnt(0)
	v_cmp_lt_f32_e64 s[26:27], v41, v19
	v_cmp_nlt_f32_e32 vcc, v41, v19
	s_and_saveexec_b64 s[28:29], vcc
; %bb.37:                               ;   in Loop: Header=BB415_36 Depth=1
	v_cmp_eq_f32_e32 vcc, v41, v19
	v_cmp_lt_i32_e64 s[0:1], v42, v18
	s_and_b64 s[0:1], vcc, s[0:1]
	s_andn2_b64 s[26:27], s[26:27], exec
	s_and_b64 s[0:1], s[0:1], exec
	s_or_b64 s[26:27], s[26:27], s[0:1]
; %bb.38:                               ;   in Loop: Header=BB415_36 Depth=1
	s_or_b64 exec, exec, s[28:29]
	s_and_saveexec_b64 s[0:1], s[26:27]
; %bb.39:                               ;   in Loop: Header=BB415_36 Depth=1
	v_mov_b32_e32 v41, v19
	v_mov_b32_e32 v18, v42
; %bb.40:                               ;   in Loop: Header=BB415_36 Depth=1
	s_or_b64 exec, exec, s[0:1]
	ds_bpermute_b32 v19, v34, v41
	ds_bpermute_b32 v42, v34, v18
	s_waitcnt lgkmcnt(1)
	v_cmp_lt_f32_e64 s[26:27], v41, v19
	v_cmp_nlt_f32_e32 vcc, v41, v19
	s_and_saveexec_b64 s[28:29], vcc
	s_cbranch_execz .LBB415_42
; %bb.41:                               ;   in Loop: Header=BB415_36 Depth=1
	v_cmp_eq_f32_e32 vcc, v41, v19
	s_waitcnt lgkmcnt(0)
	v_cmp_lt_i32_e64 s[0:1], v42, v18
	s_and_b64 s[0:1], vcc, s[0:1]
	s_andn2_b64 s[26:27], s[26:27], exec
	s_and_b64 s[0:1], s[0:1], exec
	s_or_b64 s[26:27], s[26:27], s[0:1]
.LBB415_42:                             ;   in Loop: Header=BB415_36 Depth=1
	s_or_b64 exec, exec, s[28:29]
	s_and_saveexec_b64 s[0:1], s[26:27]
	s_cbranch_execz .LBB415_44
; %bb.43:                               ;   in Loop: Header=BB415_36 Depth=1
	v_mov_b32_e32 v41, v19
	s_waitcnt lgkmcnt(0)
	v_mov_b32_e32 v18, v42
.LBB415_44:                             ;   in Loop: Header=BB415_36 Depth=1
	s_or_b64 exec, exec, s[0:1]
	ds_bpermute_b32 v19, v35, v41
	s_waitcnt lgkmcnt(1)
	ds_bpermute_b32 v42, v35, v18
	s_waitcnt lgkmcnt(1)
	v_cmp_lt_f32_e64 s[26:27], v41, v19
	v_cmp_nlt_f32_e32 vcc, v41, v19
	s_and_saveexec_b64 s[28:29], vcc
	s_cbranch_execz .LBB415_46
; %bb.45:                               ;   in Loop: Header=BB415_36 Depth=1
	v_cmp_eq_f32_e32 vcc, v41, v19
	s_waitcnt lgkmcnt(0)
	v_cmp_lt_i32_e64 s[0:1], v42, v18
	s_and_b64 s[0:1], vcc, s[0:1]
	s_andn2_b64 s[26:27], s[26:27], exec
	s_and_b64 s[0:1], s[0:1], exec
	s_or_b64 s[26:27], s[26:27], s[0:1]
.LBB415_46:                             ;   in Loop: Header=BB415_36 Depth=1
	s_or_b64 exec, exec, s[28:29]
	s_and_saveexec_b64 s[0:1], s[26:27]
	s_cbranch_execz .LBB415_48
; %bb.47:                               ;   in Loop: Header=BB415_36 Depth=1
	v_mov_b32_e32 v41, v19
	s_waitcnt lgkmcnt(0)
	v_mov_b32_e32 v18, v42
.LBB415_48:                             ;   in Loop: Header=BB415_36 Depth=1
	s_or_b64 exec, exec, s[0:1]
	ds_bpermute_b32 v19, v36, v41
	s_waitcnt lgkmcnt(1)
	;; [unrolled: 26-line block ×3, first 2 shown]
	ds_bpermute_b32 v42, v37, v18
	s_waitcnt lgkmcnt(1)
	v_cmp_lt_f32_e64 s[26:27], v41, v19
	v_cmp_nlt_f32_e32 vcc, v41, v19
	s_and_saveexec_b64 s[28:29], vcc
	s_cbranch_execnz .LBB415_55
; %bb.53:                               ;   in Loop: Header=BB415_36 Depth=1
	s_or_b64 exec, exec, s[28:29]
	s_and_saveexec_b64 s[0:1], s[26:27]
	s_cbranch_execnz .LBB415_56
.LBB415_54:                             ;   in Loop: Header=BB415_36 Depth=1
	s_or_b64 exec, exec, s[0:1]
	s_and_saveexec_b64 s[26:27], s[6:7]
	s_cbranch_execz .LBB415_35
	s_branch .LBB415_57
.LBB415_55:                             ;   in Loop: Header=BB415_36 Depth=1
	v_cmp_eq_f32_e32 vcc, v41, v19
	s_waitcnt lgkmcnt(0)
	v_cmp_lt_i32_e64 s[0:1], v42, v18
	s_and_b64 s[0:1], vcc, s[0:1]
	s_andn2_b64 s[26:27], s[26:27], exec
	s_and_b64 s[0:1], s[0:1], exec
	s_or_b64 s[26:27], s[26:27], s[0:1]
	s_or_b64 exec, exec, s[28:29]
	s_and_saveexec_b64 s[0:1], s[26:27]
	s_cbranch_execz .LBB415_54
.LBB415_56:                             ;   in Loop: Header=BB415_36 Depth=1
	s_waitcnt lgkmcnt(0)
	v_mov_b32_e32 v18, v42
	v_mov_b32_e32 v41, v19
	s_or_b64 exec, exec, s[0:1]
	s_and_saveexec_b64 s[26:27], s[6:7]
	s_cbranch_execz .LBB415_35
.LBB415_57:                             ;   in Loop: Header=BB415_36 Depth=1
	s_and_b64 vcc, exec, s[2:3]
	s_cbranch_vccnz .LBB415_34
; %bb.58:                               ;   in Loop: Header=BB415_36 Depth=1
	v_ashrrev_i32_e32 v19, 31, v18
	s_waitcnt lgkmcnt(0)
	v_lshl_add_u64 v[42:43], v[18:19], 2, s[10:11]
	global_load_dword v19, v[42:43], off
	s_waitcnt vmcnt(0)
	v_sub_f32_e32 v41, v41, v19
	s_branch .LBB415_34
.LBB415_59:
	v_mov_b32_e32 v24, 0
.LBB415_60:
	v_cmp_eq_u32_e32 vcc, 0, v16
	s_and_b64 exec, exec, vcc
	s_cbranch_execz .LBB415_73
; %bb.61:
	s_andn2_b64 vcc, exec, s[4:5]
	v_cvt_f32_f64_e32 v0, s[8:9]
	s_cbranch_vccnz .LBB415_63
; %bb.62:
	v_cmp_lt_f32_e32 vcc, 0, v24
	s_nop 1
	v_cndmask_b32_e32 v1, 1.0, v24, vcc
	v_div_scale_f32 v2, s[0:1], v1, v1, v0
	v_rcp_f32_e32 v3, v2
	s_nop 0
	v_fma_f32 v4, -v2, v3, 1.0
	v_fmac_f32_e32 v3, v4, v3
	v_div_scale_f32 v4, vcc, v0, v1, v0
	v_mul_f32_e32 v5, v4, v3
	v_fma_f32 v6, -v2, v5, v4
	v_fmac_f32_e32 v5, v6, v3
	v_fma_f32 v2, -v2, v5, v4
	v_div_fmas_f32 v2, v2, v3, v5
	v_div_fixup_f32 v0, v2, v1, v0
.LBB415_63:
	s_andn2_b64 vcc, exec, s[24:25]
	s_cbranch_vccnz .LBB415_73
; %bb.64:
	v_mul_lo_u32 v2, v14, s12
	s_cmp_gt_u32 s12, 3
	v_ashrrev_i32_e32 v3, 31, v2
	s_cbranch_scc0 .LBB415_68
; %bb.65:
	s_and_b32 s0, s12, 0x7ffffffc
	v_lshl_add_u64 v[4:5], v[2:3], 2, s[20:21]
	v_mov_b32_e32 v1, v0
	v_lshl_add_u64 v[4:5], v[4:5], 0, 8
	s_mov_b32 s1, s0
.LBB415_66:                             ; =>This Inner Loop Header: Depth=1
	global_load_dwordx4 v[6:9], v[4:5], off offset:-8
	s_add_i32 s1, s1, -4
	s_cmp_lg_u32 s1, 0
	s_waitcnt vmcnt(0)
	v_pk_mul_f32 v[6:7], v[0:1], v[6:7]
	v_pk_mul_f32 v[8:9], v[0:1], v[8:9]
	global_store_dwordx4 v[4:5], v[6:9], off offset:-8
	v_lshl_add_u64 v[4:5], v[4:5], 0, 16
	s_cbranch_scc1 .LBB415_66
; %bb.67:
	s_cmp_lg_u32 s0, s12
	s_cselect_b64 s[2:3], -1, 0
	s_branch .LBB415_70
.LBB415_68:
	s_mov_b64 s[2:3], 0
                                        ; implicit-def: $sgpr0
	s_cbranch_execz .LBB415_70
; %bb.69:
	s_mov_b64 s[2:3], -1
	s_mov_b32 s0, 0
.LBB415_70:
	s_andn2_b64 vcc, exec, s[2:3]
	s_cbranch_vccnz .LBB415_73
; %bb.71:
	s_mov_b32 s1, 0
	v_lshl_add_u64 v[2:3], v[2:3], 0, s[0:1]
	s_sub_i32 s2, s12, s0
	v_lshl_add_u64 v[2:3], v[2:3], 2, s[20:21]
.LBB415_72:                             ; =>This Inner Loop Header: Depth=1
	global_load_dword v1, v[2:3], off
	s_add_i32 s2, s2, -1
	s_cmp_lg_u32 s2, 0
	s_waitcnt vmcnt(0)
	v_mul_f32_e32 v1, v0, v1
	global_store_dword v[2:3], v1, off
	v_lshl_add_u64 v[2:3], v[2:3], 0, 4
	s_cbranch_scc1 .LBB415_72
.LBB415_73:
	s_endpgm
	.section	.rodata,"a",@progbits
	.p2align	6, 0x0
	.amdhsa_kernel _ZN4vllm3moe22topkGatingSoftplusSqrtILi14ELi448ELi4ELi2ELi32ELb0Ei14__hip_bfloat16EEvPKT6_PKbPfiPT5_PiiiibdPKfPKS9_SF_
		.amdhsa_group_segment_fixed_size 0
		.amdhsa_private_segment_fixed_size 0
		.amdhsa_kernarg_size 96
		.amdhsa_user_sgpr_count 2
		.amdhsa_user_sgpr_dispatch_ptr 0
		.amdhsa_user_sgpr_queue_ptr 0
		.amdhsa_user_sgpr_kernarg_segment_ptr 1
		.amdhsa_user_sgpr_dispatch_id 0
		.amdhsa_user_sgpr_kernarg_preload_length 0
		.amdhsa_user_sgpr_kernarg_preload_offset 0
		.amdhsa_user_sgpr_private_segment_size 0
		.amdhsa_uses_dynamic_stack 0
		.amdhsa_enable_private_segment 0
		.amdhsa_system_sgpr_workgroup_id_x 1
		.amdhsa_system_sgpr_workgroup_id_y 0
		.amdhsa_system_sgpr_workgroup_id_z 0
		.amdhsa_system_sgpr_workgroup_info 0
		.amdhsa_system_vgpr_workitem_id 1
		.amdhsa_next_free_vgpr 46
		.amdhsa_next_free_sgpr 32
		.amdhsa_accum_offset 48
		.amdhsa_reserve_vcc 1
		.amdhsa_float_round_mode_32 0
		.amdhsa_float_round_mode_16_64 0
		.amdhsa_float_denorm_mode_32 3
		.amdhsa_float_denorm_mode_16_64 3
		.amdhsa_dx10_clamp 1
		.amdhsa_ieee_mode 1
		.amdhsa_fp16_overflow 0
		.amdhsa_tg_split 0
		.amdhsa_exception_fp_ieee_invalid_op 0
		.amdhsa_exception_fp_denorm_src 0
		.amdhsa_exception_fp_ieee_div_zero 0
		.amdhsa_exception_fp_ieee_overflow 0
		.amdhsa_exception_fp_ieee_underflow 0
		.amdhsa_exception_fp_ieee_inexact 0
		.amdhsa_exception_int_div_zero 0
	.end_amdhsa_kernel
	.section	.text._ZN4vllm3moe22topkGatingSoftplusSqrtILi14ELi448ELi4ELi2ELi32ELb0Ei14__hip_bfloat16EEvPKT6_PKbPfiPT5_PiiiibdPKfPKS9_SF_,"axG",@progbits,_ZN4vllm3moe22topkGatingSoftplusSqrtILi14ELi448ELi4ELi2ELi32ELb0Ei14__hip_bfloat16EEvPKT6_PKbPfiPT5_PiiiibdPKfPKS9_SF_,comdat
.Lfunc_end415:
	.size	_ZN4vllm3moe22topkGatingSoftplusSqrtILi14ELi448ELi4ELi2ELi32ELb0Ei14__hip_bfloat16EEvPKT6_PKbPfiPT5_PiiiibdPKfPKS9_SF_, .Lfunc_end415-_ZN4vllm3moe22topkGatingSoftplusSqrtILi14ELi448ELi4ELi2ELi32ELb0Ei14__hip_bfloat16EEvPKT6_PKbPfiPT5_PiiiibdPKfPKS9_SF_
                                        ; -- End function
	.section	.AMDGPU.csdata,"",@progbits
; Kernel info:
; codeLenInByte = 6208
; NumSgprs: 38
; NumVgprs: 46
; NumAgprs: 0
; TotalNumVgprs: 46
; ScratchSize: 0
; MemoryBound: 0
; FloatMode: 240
; IeeeMode: 1
; LDSByteSize: 0 bytes/workgroup (compile time only)
; SGPRBlocks: 4
; VGPRBlocks: 5
; NumSGPRsForWavesPerEU: 38
; NumVGPRsForWavesPerEU: 46
; AccumOffset: 48
; Occupancy: 8
; WaveLimiterHint : 0
; COMPUTE_PGM_RSRC2:SCRATCH_EN: 0
; COMPUTE_PGM_RSRC2:USER_SGPR: 2
; COMPUTE_PGM_RSRC2:TRAP_HANDLER: 0
; COMPUTE_PGM_RSRC2:TGID_X_EN: 1
; COMPUTE_PGM_RSRC2:TGID_Y_EN: 0
; COMPUTE_PGM_RSRC2:TGID_Z_EN: 0
; COMPUTE_PGM_RSRC2:TIDIG_COMP_CNT: 1
; COMPUTE_PGM_RSRC3_GFX90A:ACCUM_OFFSET: 11
; COMPUTE_PGM_RSRC3_GFX90A:TG_SPLIT: 0
	.section	.text._ZN4vllm3moe22topkGatingSoftplusSqrtILi9ELi576ELi4ELi2ELi64ELb1Ei14__hip_bfloat16EEvPKT6_PKbPfiPT5_PiiiibdPKfPKS9_SF_,"axG",@progbits,_ZN4vllm3moe22topkGatingSoftplusSqrtILi9ELi576ELi4ELi2ELi64ELb1Ei14__hip_bfloat16EEvPKT6_PKbPfiPT5_PiiiibdPKfPKS9_SF_,comdat
	.protected	_ZN4vllm3moe22topkGatingSoftplusSqrtILi9ELi576ELi4ELi2ELi64ELb1Ei14__hip_bfloat16EEvPKT6_PKbPfiPT5_PiiiibdPKfPKS9_SF_ ; -- Begin function _ZN4vllm3moe22topkGatingSoftplusSqrtILi9ELi576ELi4ELi2ELi64ELb1Ei14__hip_bfloat16EEvPKT6_PKbPfiPT5_PiiiibdPKfPKS9_SF_
	.globl	_ZN4vllm3moe22topkGatingSoftplusSqrtILi9ELi576ELi4ELi2ELi64ELb1Ei14__hip_bfloat16EEvPKT6_PKbPfiPT5_PiiiibdPKfPKS9_SF_
	.p2align	8
	.type	_ZN4vllm3moe22topkGatingSoftplusSqrtILi9ELi576ELi4ELi2ELi64ELb1Ei14__hip_bfloat16EEvPKT6_PKbPfiPT5_PiiiibdPKfPKS9_SF_,@function
_ZN4vllm3moe22topkGatingSoftplusSqrtILi9ELi576ELi4ELi2ELi64ELb1Ei14__hip_bfloat16EEvPKT6_PKbPfiPT5_PiiiibdPKfPKS9_SF_: ; @_ZN4vllm3moe22topkGatingSoftplusSqrtILi9ELi576ELi4ELi2ELi64ELb1Ei14__hip_bfloat16EEvPKT6_PKbPfiPT5_PiiiibdPKfPKS9_SF_
; %bb.0:
	s_load_dword s3, s[0:1], 0x18
	v_and_b32_e32 v1, 0x3ff, v0
	s_lshl_b32 s2, s2, 2
	v_lshrrev_b32_e32 v2, 6, v1
	v_bfe_u32 v0, v0, 10, 10
	v_add3_u32 v10, s2, v0, v2
	s_waitcnt lgkmcnt(0)
	v_cmp_gt_i32_e32 vcc, s3, v10
	s_and_saveexec_b64 s[2:3], vcc
	s_cbranch_execz .LBB416_31
; %bb.1:
	s_load_dwordx2 s[2:3], s[0:1], 0x0
	s_load_dword s33, s[0:1], 0x30
	s_movk_i32 s4, 0x240
	v_mul_lo_u32 v2, v10, s4
	v_ashrrev_i32_e32 v3, 31, v2
	v_and_b32_e32 v20, 63, v1
	s_waitcnt lgkmcnt(0)
	v_lshl_add_u64 v[2:3], v[2:3], 1, s[2:3]
	v_lshlrev_b32_e32 v8, 1, v20
	v_mov_b32_e32 v9, 0
	v_lshl_add_u64 v[0:1], v[2:3], 0, v[8:9]
	global_load_ushort v4, v[0:1], off offset:1024
	global_load_ushort v5, v[0:1], off offset:128
	global_load_ushort v6, v[0:1], off
	global_load_ushort v7, v[0:1], off offset:384
	global_load_ushort v8, v[0:1], off offset:256
	s_load_dwordx4 s[8:11], s[0:1], 0x50
	v_ashrrev_i32_e32 v11, 31, v10
	s_mov_b32 s15, 0x800000
	v_mov_b32_e32 v14, 0x4f800000
	s_mov_b32 s14, 0x3f317217
	s_waitcnt lgkmcnt(0)
	v_mov_b32_e32 v2, s8
	v_mov_b32_e32 v3, s9
	v_lshl_add_u64 v[2:3], v[10:11], 2, v[2:3]
	global_load_dword v11, v[2:3], off
	global_load_ushort v17, v[0:1], off offset:512
	global_load_ushort v18, v[0:1], off offset:640
	;; [unrolled: 1-line block ×4, first 2 shown]
	s_mov_b32 s13, 0x7f800000
	v_mov_b32_e32 v15, 0x41b17218
	s_mov_b32 s9, 0x41a00000
	s_mov_b32 s12, 0xf800000
	v_mov_b32_e32 v16, 0x260
	s_cmp_gt_i32 s33, 0
	s_mov_b32 s8, 0
	v_mul_lo_u32 v10, v10, s33
	s_waitcnt vmcnt(9)
	v_lshlrev_b32_e32 v22, 16, v4
	s_waitcnt vmcnt(8)
	v_lshlrev_b32_e32 v4, 16, v5
	s_waitcnt vmcnt(7)
	v_lshlrev_b32_e32 v5, 16, v6
	v_mul_f32_e32 v0, 0x3fb8aa3b, v5
	v_mul_f32_e32 v1, 0x3fb8aa3b, v4
	v_exp_f32_e32 v0, v0
	v_exp_f32_e32 v1, v1
	s_waitcnt vmcnt(6)
	v_lshlrev_b32_e32 v6, 16, v7
	s_waitcnt vmcnt(5)
	v_lshlrev_b32_e32 v7, 16, v8
	v_mul_f32_e32 v2, 0x3fb8aa3b, v7
	v_mul_f32_e32 v3, 0x3fb8aa3b, v6
	v_pk_add_f32 v[0:1], v[0:1], 1.0 op_sel_hi:[1,0]
	v_exp_f32_e32 v2, v2
	v_exp_f32_e32 v3, v3
	v_cmp_gt_f32_e32 vcc, s15, v1
	v_cmp_gt_f32_e64 s[2:3], s15, v0
	s_waitcnt vmcnt(4)
	v_mul_lo_u32 v12, v11, s33
	v_cndmask_b32_e32 v8, 1.0, v14, vcc
	v_cndmask_b32_e64 v11, 1.0, v14, s[2:3]
	v_mul_f32_e32 v1, v1, v8
	v_mul_f32_e32 v0, v0, v11
	v_log_f32_e32 v1, v1
	v_pk_add_f32 v[2:3], v[2:3], 1.0 op_sel_hi:[1,0]
	v_log_f32_e32 v0, v0
	v_cmp_gt_f32_e64 s[4:5], s15, v3
	v_cndmask_b32_e32 v8, 0, v15, vcc
	v_cmp_lt_f32_e64 vcc, |v1|, s13
	v_cndmask_b32_e64 v23, 1.0, v14, s[4:5]
	v_mul_f32_e32 v3, v3, v23
	v_mul_f32_e32 v23, 0x3f317217, v1
	;; [unrolled: 1-line block ×3, first 2 shown]
	v_fma_f32 v23, v1, s14, -v23
	v_fma_f32 v24, v0, s14, -v24
	v_fmac_f32_e32 v23, 0x3377d1cf, v1
	v_fmac_f32_e32 v24, 0x3377d1cf, v0
	;; [unrolled: 1-line block ×4, first 2 shown]
	v_cndmask_b32_e32 v1, v1, v23, vcc
	v_cmp_lt_f32_e64 vcc, |v0|, s13
	v_cndmask_b32_e64 v11, 0, v15, s[2:3]
	v_sub_f32_e32 v1, v1, v8
	v_cndmask_b32_e32 v0, v0, v24, vcc
	v_sub_f32_e32 v0, v0, v11
	v_cmp_lt_f32_e32 vcc, s9, v5
	v_log_f32_e32 v3, v3
	s_waitcnt vmcnt(3)
	v_lshlrev_b32_e32 v17, 16, v17
	v_cndmask_b32_e32 v0, v0, v5, vcc
	v_cmp_lt_f32_e32 vcc, s9, v4
	v_mul_f32_e32 v5, 0x4f800000, v0
	v_cmp_gt_f32_e64 s[2:3], s12, v0
	v_cndmask_b32_e32 v1, v1, v4, vcc
	v_mul_f32_e32 v4, 0x4f800000, v1
	v_cmp_gt_f32_e32 vcc, s12, v1
	v_cndmask_b32_e64 v0, v0, v5, s[2:3]
	v_sqrt_f32_e32 v5, v0
	v_cndmask_b32_e32 v1, v1, v4, vcc
	v_sqrt_f32_e32 v4, v1
	v_mul_f32_e32 v25, 0x3f317217, v3
	v_add_u32_e32 v23, -1, v5
	v_fma_f32 v28, -v23, v5, v0
	v_add_u32_e32 v8, -1, v4
	v_fma_f32 v26, -v8, v4, v1
	v_add_u32_e32 v11, 1, v4
	v_cmp_ge_f32_e64 s[6:7], 0, v26
	v_add_u32_e32 v24, 1, v5
	v_fma_f32 v27, -v11, v4, v1
	v_cndmask_b32_e64 v4, v4, v8, s[6:7]
	v_cmp_ge_f32_e64 s[6:7], 0, v28
	v_fma_f32 v29, -v24, v5, v0
	v_fma_f32 v25, v3, s14, -v25
	v_cndmask_b32_e64 v5, v5, v23, s[6:7]
	v_cmp_lt_f32_e64 s[6:7], 0, v27
	v_fmac_f32_e32 v25, 0x3377d1cf, v3
	v_fmac_f32_e32 v25, 0x3f317217, v3
	v_cndmask_b32_e64 v4, v4, v11, s[6:7]
	v_cmp_lt_f32_e64 s[6:7], 0, v29
	v_mul_f32_e32 v8, 0x37800000, v4
	v_cndmask_b32_e32 v4, v4, v8, vcc
	v_cndmask_b32_e64 v5, v5, v24, s[6:7]
	v_mul_f32_e32 v11, 0x37800000, v5
	v_cmp_class_f32_e32 vcc, v1, v16
	v_cndmask_b32_e64 v5, v5, v11, s[2:3]
	v_cmp_lt_f32_e64 s[2:3], |v3|, s13
	v_cndmask_b32_e32 v1, v4, v1, vcc
	v_cmp_class_f32_e32 vcc, v0, v16
	v_cndmask_b32_e64 v3, v3, v25, s[2:3]
	s_waitcnt vmcnt(2)
	v_lshlrev_b32_e32 v11, 16, v18
	v_cndmask_b32_e32 v0, v5, v0, vcc
	v_cmp_gt_f32_e32 vcc, s15, v2
	s_waitcnt vmcnt(0)
	v_lshlrev_b32_e32 v18, 16, v21
	v_lshlrev_b32_e32 v19, 16, v19
	v_cndmask_b32_e32 v4, 1.0, v14, vcc
	v_mul_f32_e32 v2, v2, v4
	v_log_f32_e32 v2, v2
	v_cndmask_b32_e64 v4, 0, v15, s[4:5]
	v_sub_f32_e32 v3, v3, v4
	v_ashrrev_i32_e32 v13, 31, v12
	v_mul_f32_e32 v4, 0x3f317217, v2
	v_fma_f32 v4, v2, s14, -v4
	v_fmac_f32_e32 v4, 0x3377d1cf, v2
	v_fmac_f32_e32 v4, 0x3f317217, v2
	v_cmp_lt_f32_e64 s[2:3], |v2|, s13
	v_lshl_add_u64 v[12:13], v[12:13], 2, s[10:11]
	s_nop 0
	v_cndmask_b32_e64 v2, v2, v4, s[2:3]
	v_cndmask_b32_e32 v4, 0, v15, vcc
	v_cmp_lt_f32_e32 vcc, s9, v6
	v_sub_f32_e32 v2, v2, v4
	v_cmp_lt_f32_e64 s[2:3], s9, v7
	v_cndmask_b32_e32 v3, v3, v6, vcc
	v_mul_f32_e32 v5, 0x4f800000, v3
	v_cmp_gt_f32_e32 vcc, s12, v3
	v_cndmask_b32_e64 v2, v2, v7, s[2:3]
	s_nop 0
	v_cndmask_b32_e32 v3, v3, v5, vcc
	v_sqrt_f32_e32 v5, v3
	s_nop 0
	v_add_u32_e32 v4, -1, v5
	v_fma_f32 v6, -v4, v5, v3
	v_cmp_ge_f32_e64 s[2:3], 0, v6
	v_add_u32_e32 v6, 1, v5
	s_nop 0
	v_cndmask_b32_e64 v4, v5, v4, s[2:3]
	v_fma_f32 v5, -v6, v5, v3
	v_cmp_lt_f32_e64 s[2:3], 0, v5
	s_nop 1
	v_cndmask_b32_e64 v4, v4, v6, s[2:3]
	v_mul_f32_e32 v6, 0x4f800000, v2
	v_cmp_gt_f32_e64 s[2:3], s12, v2
	v_mul_f32_e32 v5, 0x37800000, v4
	v_cndmask_b32_e32 v4, v4, v5, vcc
	v_cndmask_b32_e64 v2, v2, v6, s[2:3]
	v_sqrt_f32_e32 v6, v2
	v_cmp_class_f32_e32 vcc, v3, v16
	v_add_u32_e32 v8, 1, v6
	s_nop 0
	v_cndmask_b32_e32 v3, v4, v3, vcc
	v_add_u32_e32 v4, -1, v6
	v_fma_f32 v5, -v4, v6, v2
	v_cmp_ge_f32_e32 vcc, 0, v5
	v_mul_f32_e32 v5, 0x3fb8aa3b, v11
	v_exp_f32_e32 v5, v5
	v_cndmask_b32_e32 v7, v6, v4, vcc
	v_mul_f32_e32 v4, 0x3fb8aa3b, v17
	v_exp_f32_e32 v4, v4
	v_fma_f32 v6, -v8, v6, v2
	v_cmp_lt_f32_e32 vcc, 0, v6
	v_pk_add_f32 v[4:5], v[4:5], 1.0 op_sel_hi:[1,0]
	s_nop 0
	v_cndmask_b32_e32 v6, v7, v8, vcc
	v_cmp_gt_f32_e32 vcc, s15, v5
	v_mul_f32_e32 v7, 0x37800000, v6
	v_cndmask_b32_e64 v6, v6, v7, s[2:3]
	v_cndmask_b32_e32 v8, 1.0, v14, vcc
	v_mul_f32_e32 v5, v5, v8
	v_log_f32_e32 v5, v5
	v_cmp_class_f32_e64 s[2:3], v2, v16
	v_cmp_lt_f32_e64 s[4:5], |v5|, s13
	s_nop 0
	v_cndmask_b32_e64 v2, v6, v2, s[2:3]
	v_cmp_gt_f32_e64 s[2:3], s15, v4
	v_mul_f32_e32 v6, 0x3f317217, v5
	v_fma_f32 v6, v5, s14, -v6
	v_cndmask_b32_e64 v7, 1.0, v14, s[2:3]
	v_mul_f32_e32 v4, v4, v7
	v_log_f32_e32 v4, v4
	v_fmac_f32_e32 v6, 0x3377d1cf, v5
	v_fmac_f32_e32 v6, 0x3f317217, v5
	v_cndmask_b32_e64 v5, v5, v6, s[4:5]
	v_cndmask_b32_e32 v6, 0, v15, vcc
	v_sub_f32_e32 v5, v5, v6
	v_mul_f32_e32 v6, 0x3f317217, v4
	v_fma_f32 v6, v4, s14, -v6
	v_fmac_f32_e32 v6, 0x3377d1cf, v4
	v_fmac_f32_e32 v6, 0x3f317217, v4
	v_cmp_lt_f32_e64 vcc, |v4|, s13
	s_nop 1
	v_cndmask_b32_e32 v4, v4, v6, vcc
	v_cmp_lt_f32_e32 vcc, s9, v11
	v_cndmask_b32_e64 v6, 0, v15, s[2:3]
	v_sub_f32_e32 v4, v4, v6
	v_cndmask_b32_e32 v5, v5, v11, vcc
	v_mul_f32_e32 v7, 0x4f800000, v5
	v_cmp_gt_f32_e32 vcc, s12, v5
	v_cmp_lt_f32_e64 s[2:3], s9, v17
	s_nop 0
	v_cndmask_b32_e32 v5, v5, v7, vcc
	v_sqrt_f32_e32 v7, v5
	v_cndmask_b32_e64 v4, v4, v17, s[2:3]
	v_add_u32_e32 v6, -1, v7
	v_fma_f32 v8, -v6, v7, v5
	v_cmp_ge_f32_e64 s[2:3], 0, v8
	v_add_u32_e32 v8, 1, v7
	s_nop 0
	v_cndmask_b32_e64 v6, v7, v6, s[2:3]
	v_fma_f32 v7, -v8, v7, v5
	v_cmp_lt_f32_e64 s[2:3], 0, v7
	s_nop 1
	v_cndmask_b32_e64 v6, v6, v8, s[2:3]
	v_mul_f32_e32 v8, 0x4f800000, v4
	v_cmp_gt_f32_e64 s[2:3], s12, v4
	v_mul_f32_e32 v7, 0x37800000, v6
	v_cndmask_b32_e32 v6, v6, v7, vcc
	v_cndmask_b32_e64 v4, v4, v8, s[2:3]
	v_sqrt_f32_e32 v8, v4
	v_cmp_class_f32_e32 vcc, v5, v16
	v_add_u32_e32 v17, 1, v8
	s_nop 0
	v_cndmask_b32_e32 v5, v6, v5, vcc
	v_add_u32_e32 v6, -1, v8
	v_fma_f32 v7, -v6, v8, v4
	v_cmp_ge_f32_e32 vcc, 0, v7
	v_mul_f32_e32 v7, 0x3fb8aa3b, v18
	v_exp_f32_e32 v7, v7
	v_cndmask_b32_e32 v11, v8, v6, vcc
	v_mul_f32_e32 v6, 0x3fb8aa3b, v19
	v_exp_f32_e32 v6, v6
	v_fma_f32 v8, -v17, v8, v4
	v_cmp_lt_f32_e32 vcc, 0, v8
	v_pk_add_f32 v[6:7], v[6:7], 1.0 op_sel_hi:[1,0]
	s_nop 0
	v_cndmask_b32_e32 v8, v11, v17, vcc
	v_cmp_gt_f32_e32 vcc, s15, v7
	v_mul_f32_e32 v11, 0x37800000, v8
	v_cndmask_b32_e64 v8, v8, v11, s[2:3]
	v_cndmask_b32_e32 v17, 1.0, v14, vcc
	v_mul_f32_e32 v7, v7, v17
	v_log_f32_e32 v7, v7
	v_cmp_class_f32_e64 s[2:3], v4, v16
	v_cmp_lt_f32_e64 s[4:5], |v7|, s13
	s_nop 0
	v_cndmask_b32_e64 v4, v8, v4, s[2:3]
	v_cmp_gt_f32_e64 s[2:3], s15, v6
	v_mul_f32_e32 v8, 0x3f317217, v7
	v_fma_f32 v8, v7, s14, -v8
	v_cndmask_b32_e64 v11, 1.0, v14, s[2:3]
	v_mul_f32_e32 v6, v6, v11
	v_log_f32_e32 v6, v6
	v_fmac_f32_e32 v8, 0x3377d1cf, v7
	v_fmac_f32_e32 v8, 0x3f317217, v7
	v_cndmask_b32_e64 v7, v7, v8, s[4:5]
	v_cndmask_b32_e32 v8, 0, v15, vcc
	v_sub_f32_e32 v7, v7, v8
	v_mul_f32_e32 v8, 0x3f317217, v6
	v_fma_f32 v8, v6, s14, -v8
	v_fmac_f32_e32 v8, 0x3377d1cf, v6
	v_fmac_f32_e32 v8, 0x3f317217, v6
	v_cmp_lt_f32_e64 vcc, |v6|, s13
	s_nop 1
	v_cndmask_b32_e32 v6, v6, v8, vcc
	v_cmp_lt_f32_e32 vcc, s9, v18
	v_cndmask_b32_e64 v8, 0, v15, s[2:3]
	v_sub_f32_e32 v6, v6, v8
	v_cndmask_b32_e32 v7, v7, v18, vcc
	v_mul_f32_e32 v11, 0x4f800000, v7
	v_cmp_gt_f32_e32 vcc, s12, v7
	v_cmp_lt_f32_e64 s[2:3], s9, v19
	v_mul_f32_e32 v18, 0x3fb8aa3b, v22
	v_cndmask_b32_e32 v7, v7, v11, vcc
	v_sqrt_f32_e32 v11, v7
	v_cndmask_b32_e64 v6, v6, v19, s[2:3]
	v_exp_f32_e32 v18, v18
	v_add_u32_e32 v8, -1, v11
	v_fma_f32 v17, -v8, v11, v7
	v_cmp_ge_f32_e64 s[2:3], 0, v17
	v_add_u32_e32 v17, 1, v11
	v_add_f32_e32 v18, 1.0, v18
	v_cndmask_b32_e64 v8, v11, v8, s[2:3]
	v_fma_f32 v11, -v17, v11, v7
	v_cmp_lt_f32_e64 s[2:3], 0, v11
	s_nop 1
	v_cndmask_b32_e64 v8, v8, v17, s[2:3]
	v_mul_f32_e32 v17, 0x4f800000, v6
	v_cmp_gt_f32_e64 s[2:3], s12, v6
	v_mul_f32_e32 v11, 0x37800000, v8
	v_cndmask_b32_e32 v8, v8, v11, vcc
	v_cndmask_b32_e64 v6, v6, v17, s[2:3]
	v_sqrt_f32_e32 v17, v6
	v_cmp_class_f32_e32 vcc, v7, v16
	s_nop 1
	v_cndmask_b32_e32 v7, v8, v7, vcc
	v_add_u32_e32 v8, -1, v17
	v_fma_f32 v11, -v8, v17, v6
	v_cmp_ge_f32_e32 vcc, 0, v11
	v_add_u32_e32 v11, 1, v17
	s_nop 0
	v_cndmask_b32_e32 v8, v17, v8, vcc
	v_cmp_gt_f32_e32 vcc, s15, v18
	v_fma_f32 v17, -v11, v17, v6
	v_cmp_lt_f32_e64 s[4:5], 0, v17
	v_cndmask_b32_e32 v14, 1.0, v14, vcc
	v_mul_f32_e32 v14, v18, v14
	v_log_f32_e32 v14, v14
	v_cndmask_b32_e64 v8, v8, v11, s[4:5]
	v_cndmask_b32_e32 v15, 0, v15, vcc
	v_cmp_lt_f32_e32 vcc, s9, v22
	v_mul_f32_e32 v17, 0x3f317217, v14
	v_fma_f32 v17, v14, s14, -v17
	v_fmac_f32_e32 v17, 0x3377d1cf, v14
	v_fmac_f32_e32 v17, 0x3f317217, v14
	v_cmp_lt_f32_e64 s[4:5], |v14|, s13
	v_mul_f32_e32 v11, 0x37800000, v8
	v_cndmask_b32_e64 v8, v8, v11, s[2:3]
	v_cndmask_b32_e64 v14, v14, v17, s[4:5]
	v_sub_f32_e32 v14, v14, v15
	v_cndmask_b32_e32 v14, v14, v22, vcc
	v_mul_f32_e32 v15, 0x4f800000, v14
	v_cmp_gt_f32_e32 vcc, s12, v14
	v_cmp_class_f32_e64 s[2:3], v6, v16
	s_cselect_b64 s[4:5], -1, 0
	v_cndmask_b32_e32 v14, v14, v15, vcc
	v_sqrt_f32_e32 v15, v14
	v_cndmask_b32_e64 v6, v8, v6, s[2:3]
	s_cmp_lt_i32 s33, 1
	v_add_u32_e32 v8, -1, v15
	v_fma_f32 v11, -v8, v15, v14
	v_cmp_ge_f32_e64 s[2:3], 0, v11
	v_add_u32_e32 v11, 1, v15
	s_nop 0
	v_cndmask_b32_e64 v8, v15, v8, s[2:3]
	v_fma_f32 v15, -v11, v15, v14
	v_cmp_lt_f32_e64 s[2:3], 0, v15
	s_nop 1
	v_cndmask_b32_e64 v8, v8, v11, s[2:3]
	v_mul_f32_e32 v11, 0x37800000, v8
	v_cndmask_b32_e32 v8, v8, v11, vcc
	v_cmp_class_f32_e32 vcc, v14, v16
	s_nop 1
	v_cndmask_b32_e32 v8, v8, v14, vcc
	s_cbranch_scc1 .LBB416_28
; %bb.2:
	s_load_dwordx2 s[6:7], s[0:1], 0x20
	s_cmp_lt_u32 s33, 4
	s_cbranch_scc1 .LBB416_21
; %bb.3:
	s_mov_b32 s11, 0
	s_and_b32 s8, s33, 0x7ffffffc
	v_ashrrev_i32_e32 v11, 31, v10
	v_mov_b32_e32 v9, 0
	s_mov_b32 s10, s11
	s_branch .LBB416_5
.LBB416_4:                              ;   in Loop: Header=BB416_5 Depth=1
	s_or_b64 exec, exec, s[12:13]
	s_add_i32 s10, s10, 4
	s_cmp_eq_u32 s10, s8
	s_cbranch_scc1 .LBB416_21
.LBB416_5:                              ; =>This Loop Header: Depth=1
                                        ;     Child Loop BB416_7 Depth 2
                                        ;     Child Loop BB416_11 Depth 2
	;; [unrolled: 1-line block ×4, first 2 shown]
	v_lshl_add_u64 v[14:15], s[10:11], 2, v[12:13]
	global_load_dword v18, v[14:15], off
	v_add_u32_e32 v16, s10, v10
	v_ashrrev_i32_e32 v17, 31, v16
	s_waitcnt lgkmcnt(0)
	v_lshl_add_u64 v[16:17], v[16:17], 2, s[6:7]
	s_mov_b64 s[12:13], 0
	v_mov_b32_e32 v19, v20
	s_mov_b64 s[14:15], 0
	s_waitcnt vmcnt(0)
	s_branch .LBB416_7
.LBB416_6:                              ;   in Loop: Header=BB416_7 Depth=2
	s_or_b64 exec, exec, s[16:17]
	s_cmp_gt_u32 s14, 7
	s_cselect_b64 s[2:3], -1, 0
	s_xor_b64 s[16:17], vcc, -1
	s_or_b64 s[2:3], s[16:17], s[2:3]
	s_add_u32 s14, s14, 1
	s_addc_u32 s15, s15, 0
	s_and_b64 s[2:3], exec, s[2:3]
	s_or_b64 s[12:13], s[2:3], s[12:13]
	v_add_u32_e32 v19, 64, v19
	s_andn2_b64 exec, exec, s[12:13]
	s_cbranch_execz .LBB416_9
.LBB416_7:                              ;   Parent Loop BB416_5 Depth=1
                                        ; =>  This Inner Loop Header: Depth=2
	v_cmp_ne_u32_e32 vcc, v18, v19
	v_cmp_eq_u32_e64 s[2:3], v18, v19
	s_and_saveexec_b64 s[16:17], s[2:3]
	s_cbranch_execz .LBB416_6
; %bb.8:                                ;   in Loop: Header=BB416_7 Depth=2
	s_set_gpr_idx_on s14, gpr_idx(SRC0)
	v_mov_b32_e32 v21, v0
	s_set_gpr_idx_off
	v_add_f32_e32 v9, v9, v21
	global_store_dword v[16:17], v18, off
	s_branch .LBB416_6
.LBB416_9:                              ;   in Loop: Header=BB416_5 Depth=1
	s_or_b64 exec, exec, s[12:13]
	global_load_dword v18, v[14:15], off offset:4
	s_ashr_i32 s3, s10, 31
	s_mov_b32 s2, s10
	v_lshl_add_u64 v[16:17], s[2:3], 0, v[10:11]
	v_lshl_add_u64 v[16:17], v[16:17], 2, s[6:7]
	s_mov_b64 s[12:13], 0
	v_mov_b32_e32 v19, v20
	s_mov_b64 s[14:15], 0
	s_waitcnt vmcnt(0)
	s_branch .LBB416_11
.LBB416_10:                             ;   in Loop: Header=BB416_11 Depth=2
	s_or_b64 exec, exec, s[16:17]
	s_cmp_gt_u32 s14, 7
	s_cselect_b64 s[2:3], -1, 0
	s_xor_b64 s[16:17], vcc, -1
	s_or_b64 s[2:3], s[16:17], s[2:3]
	s_add_u32 s14, s14, 1
	s_addc_u32 s15, s15, 0
	s_and_b64 s[2:3], exec, s[2:3]
	s_or_b64 s[12:13], s[2:3], s[12:13]
	v_add_u32_e32 v19, 64, v19
	s_andn2_b64 exec, exec, s[12:13]
	s_cbranch_execz .LBB416_13
.LBB416_11:                             ;   Parent Loop BB416_5 Depth=1
                                        ; =>  This Inner Loop Header: Depth=2
	v_cmp_ne_u32_e32 vcc, v18, v19
	v_cmp_eq_u32_e64 s[2:3], v18, v19
	s_and_saveexec_b64 s[16:17], s[2:3]
	s_cbranch_execz .LBB416_10
; %bb.12:                               ;   in Loop: Header=BB416_11 Depth=2
	s_set_gpr_idx_on s14, gpr_idx(SRC0)
	v_mov_b32_e32 v21, v0
	s_set_gpr_idx_off
	v_add_f32_e32 v9, v9, v21
	global_store_dword v[16:17], v18, off offset:4
	s_branch .LBB416_10
.LBB416_13:                             ;   in Loop: Header=BB416_5 Depth=1
	s_or_b64 exec, exec, s[12:13]
	global_load_dword v18, v[14:15], off offset:8
	s_mov_b64 s[12:13], 0
	v_mov_b32_e32 v19, v20
	s_mov_b64 s[14:15], 0
	s_waitcnt vmcnt(0)
	s_branch .LBB416_15
.LBB416_14:                             ;   in Loop: Header=BB416_15 Depth=2
	s_or_b64 exec, exec, s[16:17]
	s_cmp_gt_u32 s14, 7
	s_cselect_b64 s[2:3], -1, 0
	s_xor_b64 s[16:17], vcc, -1
	s_or_b64 s[2:3], s[16:17], s[2:3]
	s_add_u32 s14, s14, 1
	s_addc_u32 s15, s15, 0
	s_and_b64 s[2:3], exec, s[2:3]
	s_or_b64 s[12:13], s[2:3], s[12:13]
	v_add_u32_e32 v19, 64, v19
	s_andn2_b64 exec, exec, s[12:13]
	s_cbranch_execz .LBB416_17
.LBB416_15:                             ;   Parent Loop BB416_5 Depth=1
                                        ; =>  This Inner Loop Header: Depth=2
	v_cmp_ne_u32_e32 vcc, v18, v19
	v_cmp_eq_u32_e64 s[2:3], v18, v19
	s_and_saveexec_b64 s[16:17], s[2:3]
	s_cbranch_execz .LBB416_14
; %bb.16:                               ;   in Loop: Header=BB416_15 Depth=2
	s_set_gpr_idx_on s14, gpr_idx(SRC0)
	v_mov_b32_e32 v21, v0
	s_set_gpr_idx_off
	v_add_f32_e32 v9, v9, v21
	global_store_dword v[16:17], v18, off offset:8
	s_branch .LBB416_14
.LBB416_17:                             ;   in Loop: Header=BB416_5 Depth=1
	s_or_b64 exec, exec, s[12:13]
	global_load_dword v14, v[14:15], off offset:12
	s_mov_b64 s[12:13], 0
	v_mov_b32_e32 v15, v20
	s_mov_b64 s[14:15], 0
	s_waitcnt vmcnt(0)
	s_branch .LBB416_19
.LBB416_18:                             ;   in Loop: Header=BB416_19 Depth=2
	s_or_b64 exec, exec, s[16:17]
	s_cmp_gt_u32 s14, 7
	s_cselect_b64 s[2:3], -1, 0
	s_xor_b64 s[16:17], vcc, -1
	s_or_b64 s[2:3], s[16:17], s[2:3]
	s_add_u32 s14, s14, 1
	s_addc_u32 s15, s15, 0
	s_and_b64 s[2:3], exec, s[2:3]
	s_or_b64 s[12:13], s[2:3], s[12:13]
	v_add_u32_e32 v15, 64, v15
	s_andn2_b64 exec, exec, s[12:13]
	s_cbranch_execz .LBB416_4
.LBB416_19:                             ;   Parent Loop BB416_5 Depth=1
                                        ; =>  This Inner Loop Header: Depth=2
	v_cmp_ne_u32_e32 vcc, v14, v15
	v_cmp_eq_u32_e64 s[2:3], v14, v15
	s_and_saveexec_b64 s[16:17], s[2:3]
	s_cbranch_execz .LBB416_18
; %bb.20:                               ;   in Loop: Header=BB416_19 Depth=2
	s_set_gpr_idx_on s14, gpr_idx(SRC0)
	v_mov_b32_e32 v18, v0
	s_set_gpr_idx_off
	v_add_f32_e32 v9, v9, v18
	global_store_dword v[16:17], v14, off offset:12
	s_branch .LBB416_18
.LBB416_21:
	s_and_b32 s16, s33, 3
	s_cmp_eq_u32 s16, 0
	s_mov_b32 s9, 0
	s_cbranch_scc1 .LBB416_28
; %bb.22:
	s_mov_b32 s17, s9
	s_branch .LBB416_24
.LBB416_23:                             ;   in Loop: Header=BB416_24 Depth=1
	s_or_b64 exec, exec, s[10:11]
	s_add_i32 s8, s8, 1
	s_add_i32 s17, s17, 1
	s_cmp_lg_u32 s17, s16
	s_cbranch_scc0 .LBB416_28
.LBB416_24:                             ; =>This Loop Header: Depth=1
                                        ;     Child Loop BB416_26 Depth 2
	v_lshl_add_u64 v[14:15], s[8:9], 2, v[12:13]
	global_load_dword v11, v[14:15], off
	v_add_u32_e32 v14, s8, v10
	v_ashrrev_i32_e32 v15, 31, v14
	s_waitcnt lgkmcnt(0)
	v_lshl_add_u64 v[14:15], v[14:15], 2, s[6:7]
	s_mov_b64 s[10:11], 0
	v_mov_b32_e32 v16, v20
	s_mov_b64 s[12:13], 0
	s_waitcnt vmcnt(0)
	s_branch .LBB416_26
.LBB416_25:                             ;   in Loop: Header=BB416_26 Depth=2
	s_or_b64 exec, exec, s[14:15]
	s_cmp_gt_u32 s12, 7
	s_cselect_b64 s[2:3], -1, 0
	s_xor_b64 s[14:15], vcc, -1
	s_or_b64 s[2:3], s[14:15], s[2:3]
	s_add_u32 s12, s12, 1
	s_addc_u32 s13, s13, 0
	s_and_b64 s[2:3], exec, s[2:3]
	s_or_b64 s[10:11], s[2:3], s[10:11]
	v_add_u32_e32 v16, 64, v16
	s_andn2_b64 exec, exec, s[10:11]
	s_cbranch_execz .LBB416_23
.LBB416_26:                             ;   Parent Loop BB416_24 Depth=1
                                        ; =>  This Inner Loop Header: Depth=2
	v_cmp_ne_u32_e32 vcc, v11, v16
	v_cmp_eq_u32_e64 s[2:3], v11, v16
	s_and_saveexec_b64 s[14:15], s[2:3]
	s_cbranch_execz .LBB416_25
; %bb.27:                               ;   in Loop: Header=BB416_26 Depth=2
	s_set_gpr_idx_on s12, gpr_idx(SRC0)
	v_mov_b32_e32 v17, v0
	s_set_gpr_idx_off
	v_add_f32_e32 v9, v9, v17
	global_store_dword v[14:15], v11, off
	s_branch .LBB416_25
.LBB416_28:
	s_waitcnt lgkmcnt(0)
	s_load_dword s6, s[0:1], 0x3c
	s_waitcnt lgkmcnt(0)
	s_bitcmp1_b32 s6, 0
	s_cselect_b64 s[2:3], -1, 0
	s_bitcmp0_b32 s6, 0
	s_cbranch_scc0 .LBB416_32
; %bb.29:
	s_load_dwordx2 s[6:7], s[0:1], 0x40
	s_andn2_b64 vcc, exec, s[2:3]
	s_waitcnt lgkmcnt(0)
	v_cvt_f32_f64_e32 v21, s[6:7]
	s_cbranch_vccz .LBB416_33
.LBB416_30:
	s_andn2_b64 vcc, exec, s[4:5]
	s_cbranch_vccz .LBB416_34
.LBB416_31:
	s_endpgm
.LBB416_32:
	v_mbcnt_lo_u32_b32 v11, -1, 0
	v_mbcnt_hi_u32_b32 v11, -1, v11
	v_and_b32_e32 v14, 64, v11
	v_add_u32_e32 v14, 64, v14
	v_xor_b32_e32 v15, 32, v11
	v_cmp_lt_i32_e32 vcc, v15, v14
	v_xor_b32_e32 v16, 16, v11
	s_nop 0
	v_cndmask_b32_e32 v15, v11, v15, vcc
	v_lshlrev_b32_e32 v15, 2, v15
	ds_bpermute_b32 v15, v15, v9
	v_cmp_lt_i32_e32 vcc, v16, v14
	s_waitcnt lgkmcnt(0)
	v_add_f32_e32 v9, v9, v15
	v_cndmask_b32_e32 v15, v11, v16, vcc
	v_lshlrev_b32_e32 v15, 2, v15
	ds_bpermute_b32 v15, v15, v9
	v_xor_b32_e32 v16, 8, v11
	v_cmp_lt_i32_e32 vcc, v16, v14
	s_waitcnt lgkmcnt(0)
	v_add_f32_e32 v9, v9, v15
	v_cndmask_b32_e32 v15, v11, v16, vcc
	v_lshlrev_b32_e32 v15, 2, v15
	ds_bpermute_b32 v15, v15, v9
	v_xor_b32_e32 v16, 4, v11
	;; [unrolled: 7-line block ×4, first 2 shown]
	v_cmp_lt_i32_e32 vcc, v16, v14
	s_waitcnt lgkmcnt(0)
	v_add_f32_e32 v9, v9, v15
	v_cndmask_b32_e32 v11, v11, v16, vcc
	v_lshlrev_b32_e32 v11, 2, v11
	ds_bpermute_b32 v11, v11, v9
	s_waitcnt lgkmcnt(0)
	v_add_f32_e32 v9, v9, v11
	s_load_dwordx2 s[6:7], s[0:1], 0x40
	s_andn2_b64 vcc, exec, s[2:3]
	s_waitcnt lgkmcnt(0)
	v_cvt_f32_f64_e32 v21, s[6:7]
	s_cbranch_vccnz .LBB416_30
.LBB416_33:
	v_cmp_lt_f32_e32 vcc, 0, v9
	s_nop 1
	v_cndmask_b32_e32 v9, 1.0, v9, vcc
	v_div_scale_f32 v11, s[2:3], v9, v9, v21
	v_rcp_f32_e32 v14, v11
	s_nop 0
	v_fma_f32 v15, -v11, v14, 1.0
	v_fmac_f32_e32 v14, v15, v14
	v_div_scale_f32 v15, vcc, v21, v9, v21
	v_mul_f32_e32 v16, v15, v14
	v_fma_f32 v17, -v11, v16, v15
	v_fmac_f32_e32 v16, v17, v14
	v_fma_f32 v11, -v11, v16, v15
	v_div_fmas_f32 v11, v11, v14, v16
	v_div_fixup_f32 v21, v11, v9, v21
	s_andn2_b64 vcc, exec, s[4:5]
	s_cbranch_vccnz .LBB416_31
.LBB416_34:
	s_load_dwordx2 s[14:15], s[0:1], 0x10
	v_or_b32_e32 v28, 64, v20
	v_or_b32_e32 v27, 0x80, v20
	;; [unrolled: 1-line block ×8, first 2 shown]
	s_cmp_eq_u32 s33, 1
	s_mov_b32 s16, 0
	s_cbranch_scc1 .LBB416_73
; %bb.35:
	v_ashrrev_i32_e32 v11, 31, v10
	s_waitcnt lgkmcnt(0)
	v_lshl_add_u64 v[14:15], v[10:11], 2, s[14:15]
	s_and_b32 s16, s33, 0x7ffffffe
	v_lshl_add_u64 v[14:15], v[14:15], 0, 4
	v_lshl_add_u64 v[16:17], v[12:13], 0, 4
	s_mov_b32 s17, 0
	s_branch .LBB416_37
.LBB416_36:                             ;   in Loop: Header=BB416_37 Depth=1
	s_or_b64 exec, exec, s[0:1]
	s_add_i32 s17, s17, 2
	v_lshl_add_u64 v[14:15], v[14:15], 0, 8
	s_cmp_lg_u32 s16, s17
	v_lshl_add_u64 v[16:17], v[16:17], 0, 8
	s_cbranch_scc0 .LBB416_73
.LBB416_37:                             ; =>This Inner Loop Header: Depth=1
	global_load_dword v11, v[16:17], off offset:-4
	v_mov_b64_e32 v[18:19], 0
	s_waitcnt vmcnt(0)
	v_cmp_eq_u32_e32 vcc, v11, v20
	v_cmp_ne_u32_e64 s[0:1], v11, v20
	s_and_saveexec_b64 s[18:19], s[0:1]
	s_cbranch_execz .LBB416_53
; %bb.38:                               ;   in Loop: Header=BB416_37 Depth=1
	v_cmp_eq_u32_e64 s[0:1], v11, v28
	v_cmp_ne_u32_e64 s[2:3], v11, v28
	v_mov_b64_e32 v[18:19], 1
	s_and_saveexec_b64 s[20:21], s[2:3]
	s_cbranch_execz .LBB416_52
; %bb.39:                               ;   in Loop: Header=BB416_37 Depth=1
	v_cmp_eq_u32_e64 s[2:3], v11, v27
	v_cmp_ne_u32_e64 s[4:5], v11, v27
	v_mov_b64_e32 v[18:19], 2
	;; [unrolled: 6-line block ×7, first 2 shown]
	s_and_saveexec_b64 s[36:37], s[12:13]
	s_xor_b64 s[36:37], exec, s[36:37]
; %bb.45:                               ;   in Loop: Header=BB416_37 Depth=1
	v_cmp_eq_u32_e64 s[12:13], v11, v9
	s_andn2_b64 s[34:35], s[34:35], exec
	s_and_b64 s[12:13], s[12:13], exec
	v_mov_b64_e32 v[18:19], 8
	s_or_b64 s[34:35], s[34:35], s[12:13]
; %bb.46:                               ;   in Loop: Header=BB416_37 Depth=1
	s_or_b64 exec, exec, s[36:37]
	s_andn2_b64 s[10:11], s[10:11], exec
	s_and_b64 s[12:13], s[34:35], exec
	s_or_b64 s[10:11], s[10:11], s[12:13]
.LBB416_47:                             ;   in Loop: Header=BB416_37 Depth=1
	s_or_b64 exec, exec, s[30:31]
	s_andn2_b64 s[8:9], s[8:9], exec
	s_and_b64 s[10:11], s[10:11], exec
	s_or_b64 s[8:9], s[8:9], s[10:11]
.LBB416_48:                             ;   in Loop: Header=BB416_37 Depth=1
	s_or_b64 exec, exec, s[28:29]
	s_andn2_b64 s[6:7], s[6:7], exec
	s_and_b64 s[8:9], s[8:9], exec
	s_or_b64 s[6:7], s[6:7], s[8:9]
.LBB416_49:                             ;   in Loop: Header=BB416_37 Depth=1
	s_or_b64 exec, exec, s[26:27]
	s_andn2_b64 s[4:5], s[4:5], exec
	s_and_b64 s[6:7], s[6:7], exec
	s_or_b64 s[4:5], s[4:5], s[6:7]
.LBB416_50:                             ;   in Loop: Header=BB416_37 Depth=1
	s_or_b64 exec, exec, s[24:25]
	s_andn2_b64 s[2:3], s[2:3], exec
	s_and_b64 s[4:5], s[4:5], exec
	s_or_b64 s[2:3], s[2:3], s[4:5]
.LBB416_51:                             ;   in Loop: Header=BB416_37 Depth=1
	s_or_b64 exec, exec, s[22:23]
	s_andn2_b64 s[0:1], s[0:1], exec
	s_and_b64 s[2:3], s[2:3], exec
	s_or_b64 s[0:1], s[0:1], s[2:3]
.LBB416_52:                             ;   in Loop: Header=BB416_37 Depth=1
	s_or_b64 exec, exec, s[20:21]
	s_andn2_b64 s[2:3], vcc, exec
	s_and_b64 s[0:1], s[0:1], exec
	s_or_b64 vcc, s[2:3], s[0:1]
.LBB416_53:                             ;   in Loop: Header=BB416_37 Depth=1
	s_or_b64 exec, exec, s[18:19]
	s_and_saveexec_b64 s[0:1], vcc
	s_cbranch_execz .LBB416_55
; %bb.54:                               ;   in Loop: Header=BB416_37 Depth=1
	v_cmp_eq_u32_e32 vcc, 1, v18
	v_add_u32_e32 v30, s17, v10
	v_ashrrev_i32_e32 v31, 31, v30
	v_cndmask_b32_e32 v11, v0, v1, vcc
	v_cmp_eq_u32_e32 vcc, 2, v18
	s_nop 1
	v_cndmask_b32_e32 v11, v11, v2, vcc
	v_cmp_eq_u32_e32 vcc, 3, v18
	s_nop 1
	;; [unrolled: 3-line block ×6, first 2 shown]
	v_cndmask_b32_e32 v11, v11, v7, vcc
	v_cmp_eq_u32_e32 vcc, 8, v18
	v_lshl_add_u64 v[18:19], v[30:31], 2, s[14:15]
	s_nop 0
	v_cndmask_b32_e32 v11, v11, v8, vcc
	v_mul_f32_e32 v11, v21, v11
	global_store_dword v[18:19], v11, off
.LBB416_55:                             ;   in Loop: Header=BB416_37 Depth=1
	s_or_b64 exec, exec, s[0:1]
	global_load_dword v11, v[16:17], off
	v_mov_b64_e32 v[18:19], 0
	s_waitcnt vmcnt(0)
	v_cmp_eq_u32_e64 s[10:11], v11, v20
	v_cmp_ne_u32_e32 vcc, v11, v20
	s_and_saveexec_b64 s[12:13], vcc
	s_cbranch_execz .LBB416_71
; %bb.56:                               ;   in Loop: Header=BB416_37 Depth=1
	v_cmp_eq_u32_e32 vcc, v11, v28
	v_cmp_ne_u32_e64 s[0:1], v11, v28
	v_mov_b64_e32 v[18:19], 1
	s_and_saveexec_b64 s[18:19], s[0:1]
	s_cbranch_execz .LBB416_70
; %bb.57:                               ;   in Loop: Header=BB416_37 Depth=1
	v_cmp_eq_u32_e64 s[0:1], v11, v27
	v_cmp_ne_u32_e64 s[2:3], v11, v27
	v_mov_b64_e32 v[18:19], 2
	s_and_saveexec_b64 s[20:21], s[2:3]
	s_cbranch_execz .LBB416_69
; %bb.58:                               ;   in Loop: Header=BB416_37 Depth=1
	v_cmp_eq_u32_e64 s[2:3], v11, v26
	;; [unrolled: 6-line block ×6, first 2 shown]
	v_cmp_ne_u32_e64 s[8:9], v11, v22
	v_mov_b64_e32 v[18:19], 7
	s_and_saveexec_b64 s[36:37], s[8:9]
; %bb.63:                               ;   in Loop: Header=BB416_37 Depth=1
	v_cmp_eq_u32_e64 s[8:9], v11, v9
	s_andn2_b64 s[34:35], s[34:35], exec
	s_and_b64 s[8:9], s[8:9], exec
	v_mov_b64_e32 v[18:19], 8
	s_or_b64 s[34:35], s[34:35], s[8:9]
; %bb.64:                               ;   in Loop: Header=BB416_37 Depth=1
	s_or_b64 exec, exec, s[36:37]
	s_andn2_b64 s[8:9], s[28:29], exec
	s_and_b64 s[28:29], s[34:35], exec
	s_or_b64 s[28:29], s[8:9], s[28:29]
.LBB416_65:                             ;   in Loop: Header=BB416_37 Depth=1
	s_or_b64 exec, exec, s[30:31]
	s_andn2_b64 s[6:7], s[6:7], exec
	s_and_b64 s[8:9], s[28:29], exec
	s_or_b64 s[6:7], s[6:7], s[8:9]
.LBB416_66:                             ;   in Loop: Header=BB416_37 Depth=1
	s_or_b64 exec, exec, s[26:27]
	s_andn2_b64 s[4:5], s[4:5], exec
	s_and_b64 s[6:7], s[6:7], exec
	s_or_b64 s[4:5], s[4:5], s[6:7]
.LBB416_67:                             ;   in Loop: Header=BB416_37 Depth=1
	s_or_b64 exec, exec, s[24:25]
	s_andn2_b64 s[2:3], s[2:3], exec
	s_and_b64 s[4:5], s[4:5], exec
	s_or_b64 s[2:3], s[2:3], s[4:5]
.LBB416_68:                             ;   in Loop: Header=BB416_37 Depth=1
	s_or_b64 exec, exec, s[22:23]
	s_andn2_b64 s[0:1], s[0:1], exec
	s_and_b64 s[2:3], s[2:3], exec
	s_or_b64 s[0:1], s[0:1], s[2:3]
.LBB416_69:                             ;   in Loop: Header=BB416_37 Depth=1
	s_or_b64 exec, exec, s[20:21]
	s_andn2_b64 s[2:3], vcc, exec
	s_and_b64 s[0:1], s[0:1], exec
	s_or_b64 vcc, s[2:3], s[0:1]
.LBB416_70:                             ;   in Loop: Header=BB416_37 Depth=1
	s_or_b64 exec, exec, s[18:19]
	s_andn2_b64 s[0:1], s[10:11], exec
	s_and_b64 s[2:3], vcc, exec
	s_or_b64 s[10:11], s[0:1], s[2:3]
.LBB416_71:                             ;   in Loop: Header=BB416_37 Depth=1
	s_or_b64 exec, exec, s[12:13]
	s_and_saveexec_b64 s[0:1], s[10:11]
	s_cbranch_execz .LBB416_36
; %bb.72:                               ;   in Loop: Header=BB416_37 Depth=1
	v_cmp_eq_u32_e32 vcc, 1, v18
	s_nop 1
	v_cndmask_b32_e32 v11, v0, v1, vcc
	v_cmp_eq_u32_e32 vcc, 2, v18
	s_nop 1
	v_cndmask_b32_e32 v11, v11, v2, vcc
	;; [unrolled: 3-line block ×8, first 2 shown]
	v_mul_f32_e32 v11, v21, v11
	global_store_dword v[14:15], v11, off
	s_branch .LBB416_36
.LBB416_73:
	s_bitcmp0_b32 s33, 0
	s_mov_b32 s17, 0
	s_cbranch_scc1 .LBB416_31
; %bb.74:
	v_lshl_add_u64 v[12:13], s[16:17], 2, v[12:13]
	global_load_dword v11, v[12:13], off
	v_mov_b64_e32 v[12:13], 0
	s_waitcnt vmcnt(0)
	v_cmp_eq_u32_e64 s[10:11], v11, v20
	v_cmp_ne_u32_e32 vcc, v11, v20
	s_and_saveexec_b64 s[12:13], vcc
	s_cbranch_execz .LBB416_90
; %bb.75:
	v_cmp_eq_u32_e32 vcc, v11, v28
	v_cmp_ne_u32_e64 s[0:1], v11, v28
	v_mov_b64_e32 v[12:13], 1
	s_and_saveexec_b64 s[18:19], s[0:1]
	s_cbranch_execz .LBB416_89
; %bb.76:
	v_cmp_eq_u32_e64 s[0:1], v11, v27
	v_cmp_ne_u32_e64 s[2:3], v11, v27
	v_mov_b64_e32 v[12:13], 2
	s_and_saveexec_b64 s[20:21], s[2:3]
	s_cbranch_execz .LBB416_88
; %bb.77:
	v_cmp_eq_u32_e64 s[2:3], v11, v26
	;; [unrolled: 6-line block ×6, first 2 shown]
	v_cmp_ne_u32_e64 s[8:9], v11, v22
	v_mov_b64_e32 v[12:13], 7
	s_and_saveexec_b64 s[36:37], s[8:9]
; %bb.82:
	v_cmp_eq_u32_e64 s[8:9], v11, v9
	s_andn2_b64 s[34:35], s[34:35], exec
	s_and_b64 s[8:9], s[8:9], exec
	v_mov_b64_e32 v[12:13], 8
	s_or_b64 s[34:35], s[34:35], s[8:9]
; %bb.83:
	s_or_b64 exec, exec, s[36:37]
	s_andn2_b64 s[8:9], s[28:29], exec
	s_and_b64 s[28:29], s[34:35], exec
	s_or_b64 s[28:29], s[8:9], s[28:29]
.LBB416_84:
	s_or_b64 exec, exec, s[30:31]
	s_andn2_b64 s[6:7], s[6:7], exec
	s_and_b64 s[8:9], s[28:29], exec
	s_or_b64 s[6:7], s[6:7], s[8:9]
.LBB416_85:
	s_or_b64 exec, exec, s[26:27]
	s_andn2_b64 s[4:5], s[4:5], exec
	s_and_b64 s[6:7], s[6:7], exec
	s_or_b64 s[4:5], s[4:5], s[6:7]
.LBB416_86:
	s_or_b64 exec, exec, s[24:25]
	s_andn2_b64 s[2:3], s[2:3], exec
	s_and_b64 s[4:5], s[4:5], exec
	s_or_b64 s[2:3], s[2:3], s[4:5]
.LBB416_87:
	s_or_b64 exec, exec, s[22:23]
	s_andn2_b64 s[0:1], s[0:1], exec
	s_and_b64 s[2:3], s[2:3], exec
	s_or_b64 s[0:1], s[0:1], s[2:3]
.LBB416_88:
	s_or_b64 exec, exec, s[20:21]
	s_andn2_b64 s[2:3], vcc, exec
	s_and_b64 s[0:1], s[0:1], exec
	s_or_b64 vcc, s[2:3], s[0:1]
.LBB416_89:
	s_or_b64 exec, exec, s[18:19]
	s_andn2_b64 s[0:1], s[10:11], exec
	s_and_b64 s[2:3], vcc, exec
	s_or_b64 s[10:11], s[0:1], s[2:3]
.LBB416_90:
	s_or_b64 exec, exec, s[12:13]
	s_and_b64 exec, exec, s[10:11]
	s_cbranch_execz .LBB416_31
; %bb.91:
	v_cmp_eq_u32_e32 vcc, 1, v12
	v_add_u32_e32 v10, s16, v10
	v_ashrrev_i32_e32 v11, 31, v10
	v_cndmask_b32_e32 v0, v0, v1, vcc
	v_cmp_eq_u32_e32 vcc, 2, v12
	s_nop 1
	v_cndmask_b32_e32 v0, v0, v2, vcc
	v_cmp_eq_u32_e32 vcc, 3, v12
	s_nop 1
	;; [unrolled: 3-line block ×7, first 2 shown]
	v_cndmask_b32_e32 v0, v0, v8, vcc
	v_mul_f32_e32 v2, v21, v0
	s_waitcnt lgkmcnt(0)
	v_lshl_add_u64 v[0:1], v[10:11], 2, s[14:15]
	global_store_dword v[0:1], v2, off
	s_endpgm
	.section	.rodata,"a",@progbits
	.p2align	6, 0x0
	.amdhsa_kernel _ZN4vllm3moe22topkGatingSoftplusSqrtILi9ELi576ELi4ELi2ELi64ELb1Ei14__hip_bfloat16EEvPKT6_PKbPfiPT5_PiiiibdPKfPKS9_SF_
		.amdhsa_group_segment_fixed_size 0
		.amdhsa_private_segment_fixed_size 0
		.amdhsa_kernarg_size 96
		.amdhsa_user_sgpr_count 2
		.amdhsa_user_sgpr_dispatch_ptr 0
		.amdhsa_user_sgpr_queue_ptr 0
		.amdhsa_user_sgpr_kernarg_segment_ptr 1
		.amdhsa_user_sgpr_dispatch_id 0
		.amdhsa_user_sgpr_kernarg_preload_length 0
		.amdhsa_user_sgpr_kernarg_preload_offset 0
		.amdhsa_user_sgpr_private_segment_size 0
		.amdhsa_uses_dynamic_stack 0
		.amdhsa_enable_private_segment 0
		.amdhsa_system_sgpr_workgroup_id_x 1
		.amdhsa_system_sgpr_workgroup_id_y 0
		.amdhsa_system_sgpr_workgroup_id_z 0
		.amdhsa_system_sgpr_workgroup_info 0
		.amdhsa_system_vgpr_workitem_id 1
		.amdhsa_next_free_vgpr 32
		.amdhsa_next_free_sgpr 38
		.amdhsa_accum_offset 32
		.amdhsa_reserve_vcc 1
		.amdhsa_float_round_mode_32 0
		.amdhsa_float_round_mode_16_64 0
		.amdhsa_float_denorm_mode_32 3
		.amdhsa_float_denorm_mode_16_64 3
		.amdhsa_dx10_clamp 1
		.amdhsa_ieee_mode 1
		.amdhsa_fp16_overflow 0
		.amdhsa_tg_split 0
		.amdhsa_exception_fp_ieee_invalid_op 0
		.amdhsa_exception_fp_denorm_src 0
		.amdhsa_exception_fp_ieee_div_zero 0
		.amdhsa_exception_fp_ieee_overflow 0
		.amdhsa_exception_fp_ieee_underflow 0
		.amdhsa_exception_fp_ieee_inexact 0
		.amdhsa_exception_int_div_zero 0
	.end_amdhsa_kernel
	.section	.text._ZN4vllm3moe22topkGatingSoftplusSqrtILi9ELi576ELi4ELi2ELi64ELb1Ei14__hip_bfloat16EEvPKT6_PKbPfiPT5_PiiiibdPKfPKS9_SF_,"axG",@progbits,_ZN4vllm3moe22topkGatingSoftplusSqrtILi9ELi576ELi4ELi2ELi64ELb1Ei14__hip_bfloat16EEvPKT6_PKbPfiPT5_PiiiibdPKfPKS9_SF_,comdat
.Lfunc_end416:
	.size	_ZN4vllm3moe22topkGatingSoftplusSqrtILi9ELi576ELi4ELi2ELi64ELb1Ei14__hip_bfloat16EEvPKT6_PKbPfiPT5_PiiiibdPKfPKS9_SF_, .Lfunc_end416-_ZN4vllm3moe22topkGatingSoftplusSqrtILi9ELi576ELi4ELi2ELi64ELb1Ei14__hip_bfloat16EEvPKT6_PKbPfiPT5_PiiiibdPKfPKS9_SF_
                                        ; -- End function
	.section	.AMDGPU.csdata,"",@progbits
; Kernel info:
; codeLenInByte = 5212
; NumSgprs: 44
; NumVgprs: 32
; NumAgprs: 0
; TotalNumVgprs: 32
; ScratchSize: 0
; MemoryBound: 0
; FloatMode: 240
; IeeeMode: 1
; LDSByteSize: 0 bytes/workgroup (compile time only)
; SGPRBlocks: 5
; VGPRBlocks: 3
; NumSGPRsForWavesPerEU: 44
; NumVGPRsForWavesPerEU: 32
; AccumOffset: 32
; Occupancy: 8
; WaveLimiterHint : 1
; COMPUTE_PGM_RSRC2:SCRATCH_EN: 0
; COMPUTE_PGM_RSRC2:USER_SGPR: 2
; COMPUTE_PGM_RSRC2:TRAP_HANDLER: 0
; COMPUTE_PGM_RSRC2:TGID_X_EN: 1
; COMPUTE_PGM_RSRC2:TGID_Y_EN: 0
; COMPUTE_PGM_RSRC2:TGID_Z_EN: 0
; COMPUTE_PGM_RSRC2:TIDIG_COMP_CNT: 1
; COMPUTE_PGM_RSRC3_GFX90A:ACCUM_OFFSET: 7
; COMPUTE_PGM_RSRC3_GFX90A:TG_SPLIT: 0
	.section	.text._ZN4vllm3moe22topkGatingSoftplusSqrtILi9ELi576ELi4ELi2ELi64ELb0Ei14__hip_bfloat16EEvPKT6_PKbPfiPT5_PiiiibdPKfPKS9_SF_,"axG",@progbits,_ZN4vllm3moe22topkGatingSoftplusSqrtILi9ELi576ELi4ELi2ELi64ELb0Ei14__hip_bfloat16EEvPKT6_PKbPfiPT5_PiiiibdPKfPKS9_SF_,comdat
	.protected	_ZN4vllm3moe22topkGatingSoftplusSqrtILi9ELi576ELi4ELi2ELi64ELb0Ei14__hip_bfloat16EEvPKT6_PKbPfiPT5_PiiiibdPKfPKS9_SF_ ; -- Begin function _ZN4vllm3moe22topkGatingSoftplusSqrtILi9ELi576ELi4ELi2ELi64ELb0Ei14__hip_bfloat16EEvPKT6_PKbPfiPT5_PiiiibdPKfPKS9_SF_
	.globl	_ZN4vllm3moe22topkGatingSoftplusSqrtILi9ELi576ELi4ELi2ELi64ELb0Ei14__hip_bfloat16EEvPKT6_PKbPfiPT5_PiiiibdPKfPKS9_SF_
	.p2align	8
	.type	_ZN4vllm3moe22topkGatingSoftplusSqrtILi9ELi576ELi4ELi2ELi64ELb0Ei14__hip_bfloat16EEvPKT6_PKbPfiPT5_PiiiibdPKfPKS9_SF_,@function
_ZN4vllm3moe22topkGatingSoftplusSqrtILi9ELi576ELi4ELi2ELi64ELb0Ei14__hip_bfloat16EEvPKT6_PKbPfiPT5_PiiiibdPKfPKS9_SF_: ; @_ZN4vllm3moe22topkGatingSoftplusSqrtILi9ELi576ELi4ELi2ELi64ELb0Ei14__hip_bfloat16EEvPKT6_PKbPfiPT5_PiiiibdPKfPKS9_SF_
; %bb.0:
	s_load_dword s30, s[0:1], 0x18
	v_and_b32_e32 v1, 0x3ff, v0
	s_lshl_b32 s2, s2, 2
	v_lshrrev_b32_e32 v2, 6, v1
	v_bfe_u32 v0, v0, 10, 10
	v_add3_u32 v10, s2, v0, v2
	s_waitcnt lgkmcnt(0)
	v_cmp_gt_i32_e32 vcc, s30, v10
	s_and_saveexec_b64 s[2:3], vcc
	s_cbranch_execz .LBB417_67
; %bb.1:
	s_load_dwordx4 s[4:7], s[0:1], 0x0
	s_load_dwordx2 s[20:21], s[0:1], 0x10
	s_waitcnt lgkmcnt(0)
	s_cmp_eq_u64 s[6:7], 0
	s_cbranch_scc1 .LBB417_3
; %bb.2:
	v_ashrrev_i32_e32 v11, 31, v10
	v_lshl_add_u64 v[2:3], s[6:7], 0, v[10:11]
	global_load_ubyte v0, v[2:3], off
	s_waitcnt vmcnt(0)
	v_and_b32_e32 v0, 1, v0
	v_cmp_eq_u32_e32 vcc, 1, v0
	s_xor_b64 s[2:3], vcc, -1
	s_orn2_b64 s[22:23], s[2:3], exec
	s_branch .LBB417_4
.LBB417_3:
	s_mov_b64 s[22:23], -1
.LBB417_4:
	s_movk_i32 s2, 0x240
	v_mul_lo_u32 v4, v10, s2
	v_mov_b32_e32 v2, s4
	v_mov_b32_e32 v3, s5
	v_ashrrev_i32_e32 v5, 31, v4
	v_and_b32_e32 v12, 63, v1
	v_lshl_add_u64 v[2:3], v[4:5], 1, v[2:3]
	v_mov_b32_e32 v1, 0
	v_lshlrev_b32_e32 v0, 1, v12
	v_lshl_add_u64 v[14:15], v[2:3], 0, v[0:1]
	global_load_ushort v0, v[14:15], off
	global_load_ushort v1, v[14:15], off offset:128
	global_load_ushort v2, v[14:15], off offset:256
	;; [unrolled: 1-line block ×8, first 2 shown]
	s_mov_b32 s16, 0x800000
	v_mov_b32_e32 v13, 0x4f800000
	s_mov_b32 s13, 0x3f317217
	s_mov_b32 s14, 0x7f800000
	v_mov_b32_e32 v14, 0x41b17218
	s_mov_b32 s12, 0x41a00000
	s_mov_b32 s15, 0xf800000
	s_load_dwordx4 s[8:11], s[0:1], 0x40
	s_waitcnt lgkmcnt(0)
	s_cmp_lg_u64 s[10:11], 0
	s_cselect_b64 s[6:7], -1, 0
	s_and_b64 s[2:3], exec, s[6:7]
	s_waitcnt vmcnt(8)
	v_lshlrev_b32_e32 v0, 16, v0
	v_mul_f32_e32 v9, 0x3fb8aa3b, v0
	v_exp_f32_e32 v9, v9
	s_nop 0
	v_add_f32_e32 v9, 1.0, v9
	v_cmp_gt_f32_e32 vcc, s16, v9
	s_nop 1
	v_cndmask_b32_e32 v11, 1.0, v13, vcc
	v_mul_f32_e32 v9, v9, v11
	v_log_f32_e32 v15, v9
	v_cndmask_b32_e32 v16, 0, v14, vcc
	v_mov_b32_e32 v11, 0x260
	v_lshlrev_b32_e32 v9, 2, v12
	v_mul_f32_e32 v17, 0x3f317217, v15
	v_fma_f32 v17, v15, s13, -v17
	v_fmac_f32_e32 v17, 0x3377d1cf, v15
	v_fmac_f32_e32 v17, 0x3f317217, v15
	v_cmp_lt_f32_e64 vcc, |v15|, s14
	s_nop 1
	v_cndmask_b32_e32 v15, v15, v17, vcc
	v_sub_f32_e32 v15, v15, v16
	v_cmp_lt_f32_e32 vcc, s12, v0
	s_nop 1
	v_cndmask_b32_e32 v0, v15, v0, vcc
	v_mul_f32_e32 v15, 0x4f800000, v0
	v_cmp_gt_f32_e32 vcc, s15, v0
	s_nop 1
	v_cndmask_b32_e32 v0, v0, v15, vcc
	v_sqrt_f32_e32 v15, v0
	s_nop 0
	v_add_u32_e32 v16, -1, v15
	v_add_u32_e32 v17, 1, v15
	v_fma_f32 v18, -v16, v15, v0
	v_fma_f32 v19, -v17, v15, v0
	v_cmp_ge_f32_e64 s[4:5], 0, v18
	s_nop 1
	v_cndmask_b32_e64 v15, v15, v16, s[4:5]
	v_cmp_lt_f32_e64 s[4:5], 0, v19
	s_nop 1
	v_cndmask_b32_e64 v15, v15, v17, s[4:5]
	v_mul_f32_e32 v16, 0x37800000, v15
	v_cndmask_b32_e32 v15, v15, v16, vcc
	v_cmp_class_f32_e32 vcc, v0, v11
	s_nop 1
	v_cndmask_b32_e32 v0, v15, v0, vcc
	s_mov_b64 vcc, s[2:3]
	s_cbranch_vccz .LBB417_6
; %bb.5:
	global_load_dword v15, v9, s[10:11]
	s_waitcnt vmcnt(0)
	v_add_f32_e32 v0, v0, v15
.LBB417_6:
	s_waitcnt vmcnt(7)
	v_lshlrev_b32_e32 v1, 16, v1
	v_mul_f32_e32 v15, 0x3fb8aa3b, v1
	v_exp_f32_e32 v15, v15
	s_nop 0
	v_add_f32_e32 v15, 1.0, v15
	v_cmp_gt_f32_e32 vcc, s16, v15
	s_nop 1
	v_cndmask_b32_e32 v13, 1.0, v13, vcc
	v_mul_f32_e32 v13, v15, v13
	v_log_f32_e32 v13, v13
	v_cndmask_b32_e32 v14, 0, v14, vcc
	v_mul_f32_e32 v15, 0x3f317217, v13
	v_fma_f32 v15, v13, s13, -v15
	v_fmac_f32_e32 v15, 0x3377d1cf, v13
	v_fmac_f32_e32 v15, 0x3f317217, v13
	v_cmp_lt_f32_e64 vcc, |v13|, s14
	s_nop 1
	v_cndmask_b32_e32 v13, v13, v15, vcc
	v_sub_f32_e32 v13, v13, v14
	v_cmp_lt_f32_e32 vcc, s12, v1
	s_nop 1
	v_cndmask_b32_e32 v1, v13, v1, vcc
	v_mul_f32_e32 v13, 0x4f800000, v1
	v_cmp_gt_f32_e32 vcc, s15, v1
	s_nop 1
	v_cndmask_b32_e32 v1, v1, v13, vcc
	v_sqrt_f32_e32 v13, v1
	v_cmp_class_f32_e64 s[4:5], v1, v11
	v_add_u32_e32 v14, -1, v13
	v_add_u32_e32 v15, 1, v13
	v_fma_f32 v16, -v14, v13, v1
	v_fma_f32 v17, -v15, v13, v1
	v_cmp_ge_f32_e64 s[2:3], 0, v16
	s_nop 1
	v_cndmask_b32_e64 v13, v13, v14, s[2:3]
	v_cmp_lt_f32_e64 s[2:3], 0, v17
	s_nop 1
	v_cndmask_b32_e64 v13, v13, v15, s[2:3]
	v_mul_f32_e32 v14, 0x37800000, v13
	v_cndmask_b32_e32 v13, v13, v14, vcc
	v_cndmask_b32_e64 v14, 0, 1, s[6:7]
	v_cmp_ne_u32_e64 s[2:3], 1, v14
	s_andn2_b64 vcc, exec, s[6:7]
	v_cndmask_b32_e64 v1, v13, v1, s[4:5]
	s_cbranch_vccnz .LBB417_8
; %bb.7:
	global_load_dword v11, v9, s[10:11] offset:256
	s_waitcnt vmcnt(0)
	v_add_f32_e32 v1, v1, v11
.LBB417_8:
	s_waitcnt vmcnt(6)
	v_lshlrev_b32_e32 v2, 16, v2
	v_mul_f32_e32 v11, 0x3fb8aa3b, v2
	v_exp_f32_e32 v11, v11
	s_mov_b32 s14, 0x800000
	v_mov_b32_e32 v13, 0x4f800000
	s_mov_b32 s7, 0x3f317217
	v_add_f32_e32 v11, 1.0, v11
	v_cmp_gt_f32_e32 vcc, s14, v11
	s_mov_b32 s12, 0x7f800000
	s_mov_b32 s6, 0x41a00000
	v_cndmask_b32_e32 v14, 1.0, v13, vcc
	v_mul_f32_e32 v11, v11, v14
	v_log_f32_e32 v11, v11
	s_mov_b32 s13, 0xf800000
	v_mul_f32_e32 v14, 0x3f317217, v11
	v_fma_f32 v14, v11, s7, -v14
	v_fmac_f32_e32 v14, 0x3377d1cf, v11
	v_fmac_f32_e32 v14, 0x3f317217, v11
	v_cmp_lt_f32_e64 s[4:5], |v11|, s12
	s_nop 1
	v_cndmask_b32_e64 v11, v11, v14, s[4:5]
	v_mov_b32_e32 v14, 0x41b17218
	v_cndmask_b32_e32 v15, 0, v14, vcc
	v_sub_f32_e32 v11, v11, v15
	v_cmp_lt_f32_e32 vcc, s6, v2
	s_nop 1
	v_cndmask_b32_e32 v2, v11, v2, vcc
	v_mul_f32_e32 v11, 0x4f800000, v2
	v_cmp_gt_f32_e32 vcc, s13, v2
	s_nop 1
	v_cndmask_b32_e32 v2, v2, v11, vcc
	v_sqrt_f32_e32 v11, v2
	s_nop 0
	v_add_u32_e32 v15, -1, v11
	v_fma_f32 v16, -v15, v11, v2
	v_cmp_ge_f32_e64 s[4:5], 0, v16
	v_add_u32_e32 v16, 1, v11
	s_nop 0
	v_cndmask_b32_e64 v15, v11, v15, s[4:5]
	v_fma_f32 v11, -v16, v11, v2
	v_cmp_lt_f32_e64 s[4:5], 0, v11
	s_nop 1
	v_cndmask_b32_e64 v11, v15, v16, s[4:5]
	v_mul_f32_e32 v15, 0x37800000, v11
	v_cndmask_b32_e32 v15, v11, v15, vcc
	v_mov_b32_e32 v11, 0x260
	v_cmp_class_f32_e64 s[4:5], v2, v11
	s_and_b64 vcc, exec, s[2:3]
	s_nop 0
	v_cndmask_b32_e64 v2, v15, v2, s[4:5]
	s_cbranch_vccnz .LBB417_10
; %bb.9:
	global_load_dword v15, v9, s[10:11] offset:512
	s_waitcnt vmcnt(0)
	v_add_f32_e32 v2, v2, v15
.LBB417_10:
	s_waitcnt vmcnt(5)
	v_lshlrev_b32_e32 v3, 16, v3
	v_mul_f32_e32 v15, 0x3fb8aa3b, v3
	v_exp_f32_e32 v15, v15
	s_nop 0
	v_add_f32_e32 v15, 1.0, v15
	v_cmp_gt_f32_e32 vcc, s14, v15
	s_nop 1
	v_cndmask_b32_e32 v13, 1.0, v13, vcc
	v_mul_f32_e32 v13, v15, v13
	v_log_f32_e32 v13, v13
	v_cndmask_b32_e32 v14, 0, v14, vcc
	v_mul_f32_e32 v15, 0x3f317217, v13
	v_fma_f32 v15, v13, s7, -v15
	v_fmac_f32_e32 v15, 0x3377d1cf, v13
	v_fmac_f32_e32 v15, 0x3f317217, v13
	v_cmp_lt_f32_e64 vcc, |v13|, s12
	s_nop 1
	v_cndmask_b32_e32 v13, v13, v15, vcc
	v_sub_f32_e32 v13, v13, v14
	v_cmp_lt_f32_e32 vcc, s6, v3
	s_nop 1
	v_cndmask_b32_e32 v3, v13, v3, vcc
	v_mul_f32_e32 v13, 0x4f800000, v3
	v_cmp_gt_f32_e32 vcc, s13, v3
	s_nop 1
	v_cndmask_b32_e32 v3, v3, v13, vcc
	v_sqrt_f32_e32 v13, v3
	s_nop 0
	v_add_u32_e32 v14, -1, v13
	v_add_u32_e32 v15, 1, v13
	v_fma_f32 v16, -v14, v13, v3
	v_fma_f32 v17, -v15, v13, v3
	v_cmp_ge_f32_e64 s[4:5], 0, v16
	s_nop 1
	v_cndmask_b32_e64 v13, v13, v14, s[4:5]
	v_cmp_lt_f32_e64 s[4:5], 0, v17
	s_nop 1
	v_cndmask_b32_e64 v13, v13, v15, s[4:5]
	v_mul_f32_e32 v14, 0x37800000, v13
	v_cndmask_b32_e32 v13, v13, v14, vcc
	v_cmp_class_f32_e64 s[4:5], v3, v11
	s_and_b64 vcc, exec, s[2:3]
	s_nop 0
	v_cndmask_b32_e64 v3, v13, v3, s[4:5]
	s_cbranch_vccnz .LBB417_12
; %bb.11:
	global_load_dword v11, v9, s[10:11] offset:768
	s_waitcnt vmcnt(0)
	v_add_f32_e32 v3, v3, v11
.LBB417_12:
	s_waitcnt vmcnt(4)
	v_lshlrev_b32_e32 v4, 16, v4
	v_mul_f32_e32 v11, 0x3fb8aa3b, v4
	v_exp_f32_e32 v11, v11
	v_mov_b32_e32 v13, 0x4f800000
	v_add_f32_e32 v11, 1.0, v11
	v_cmp_gt_f32_e32 vcc, s14, v11
	s_nop 1
	v_cndmask_b32_e32 v14, 1.0, v13, vcc
	v_mul_f32_e32 v11, v11, v14
	v_log_f32_e32 v11, v11
	s_nop 0
	v_mul_f32_e32 v14, 0x3f317217, v11
	v_fma_f32 v14, v11, s7, -v14
	v_fmac_f32_e32 v14, 0x3377d1cf, v11
	v_fmac_f32_e32 v14, 0x3f317217, v11
	v_cmp_lt_f32_e64 s[4:5], |v11|, s12
	s_nop 1
	v_cndmask_b32_e64 v11, v11, v14, s[4:5]
	v_mov_b32_e32 v14, 0x41b17218
	v_cndmask_b32_e32 v15, 0, v14, vcc
	v_sub_f32_e32 v11, v11, v15
	v_cmp_lt_f32_e32 vcc, s6, v4
	s_nop 1
	v_cndmask_b32_e32 v4, v11, v4, vcc
	v_mul_f32_e32 v11, 0x4f800000, v4
	v_cmp_gt_f32_e32 vcc, s13, v4
	s_nop 1
	v_cndmask_b32_e32 v4, v4, v11, vcc
	v_sqrt_f32_e32 v11, v4
	s_nop 0
	v_add_u32_e32 v15, -1, v11
	v_fma_f32 v16, -v15, v11, v4
	v_cmp_ge_f32_e64 s[4:5], 0, v16
	v_add_u32_e32 v16, 1, v11
	s_nop 0
	v_cndmask_b32_e64 v15, v11, v15, s[4:5]
	v_fma_f32 v11, -v16, v11, v4
	v_cmp_lt_f32_e64 s[4:5], 0, v11
	s_nop 1
	v_cndmask_b32_e64 v11, v15, v16, s[4:5]
	v_mul_f32_e32 v15, 0x37800000, v11
	v_cndmask_b32_e32 v15, v11, v15, vcc
	v_mov_b32_e32 v11, 0x260
	v_cmp_class_f32_e64 s[4:5], v4, v11
	s_and_b64 vcc, exec, s[2:3]
	s_nop 0
	v_cndmask_b32_e64 v4, v15, v4, s[4:5]
	s_cbranch_vccnz .LBB417_14
; %bb.13:
	global_load_dword v15, v9, s[10:11] offset:1024
	s_waitcnt vmcnt(0)
	v_add_f32_e32 v4, v4, v15
.LBB417_14:
	s_waitcnt vmcnt(3)
	v_lshlrev_b32_e32 v5, 16, v5
	v_mul_f32_e32 v15, 0x3fb8aa3b, v5
	v_exp_f32_e32 v15, v15
	s_nop 0
	v_add_f32_e32 v15, 1.0, v15
	v_cmp_gt_f32_e32 vcc, s14, v15
	s_nop 1
	v_cndmask_b32_e32 v13, 1.0, v13, vcc
	v_mul_f32_e32 v13, v15, v13
	v_log_f32_e32 v13, v13
	v_cndmask_b32_e32 v14, 0, v14, vcc
	v_mul_f32_e32 v15, 0x3f317217, v13
	v_fma_f32 v15, v13, s7, -v15
	v_fmac_f32_e32 v15, 0x3377d1cf, v13
	v_fmac_f32_e32 v15, 0x3f317217, v13
	v_cmp_lt_f32_e64 vcc, |v13|, s12
	s_nop 1
	v_cndmask_b32_e32 v13, v13, v15, vcc
	v_sub_f32_e32 v13, v13, v14
	v_cmp_lt_f32_e32 vcc, s6, v5
	s_nop 1
	v_cndmask_b32_e32 v5, v13, v5, vcc
	v_mul_f32_e32 v13, 0x4f800000, v5
	v_cmp_gt_f32_e32 vcc, s13, v5
	s_nop 1
	v_cndmask_b32_e32 v5, v5, v13, vcc
	v_sqrt_f32_e32 v13, v5
	s_nop 0
	v_add_u32_e32 v14, -1, v13
	v_add_u32_e32 v15, 1, v13
	v_fma_f32 v16, -v14, v13, v5
	v_fma_f32 v17, -v15, v13, v5
	v_cmp_ge_f32_e64 s[4:5], 0, v16
	s_nop 1
	v_cndmask_b32_e64 v13, v13, v14, s[4:5]
	v_cmp_lt_f32_e64 s[4:5], 0, v17
	s_nop 1
	v_cndmask_b32_e64 v13, v13, v15, s[4:5]
	v_mul_f32_e32 v14, 0x37800000, v13
	v_cndmask_b32_e32 v13, v13, v14, vcc
	v_cmp_class_f32_e64 s[4:5], v5, v11
	s_and_b64 vcc, exec, s[2:3]
	s_nop 0
	v_cndmask_b32_e64 v5, v13, v5, s[4:5]
	s_cbranch_vccnz .LBB417_16
; %bb.15:
	global_load_dword v11, v9, s[10:11] offset:1280
	s_waitcnt vmcnt(0)
	v_add_f32_e32 v5, v5, v11
.LBB417_16:
	s_waitcnt vmcnt(2)
	v_lshlrev_b32_e32 v6, 16, v6
	v_mul_f32_e32 v11, 0x3fb8aa3b, v6
	v_exp_f32_e32 v11, v11
	v_mov_b32_e32 v13, 0x4f800000
	v_add_f32_e32 v11, 1.0, v11
	v_cmp_gt_f32_e32 vcc, s14, v11
	s_nop 1
	v_cndmask_b32_e32 v14, 1.0, v13, vcc
	v_mul_f32_e32 v11, v11, v14
	v_log_f32_e32 v11, v11
	s_nop 0
	v_mul_f32_e32 v14, 0x3f317217, v11
	v_fma_f32 v14, v11, s7, -v14
	v_fmac_f32_e32 v14, 0x3377d1cf, v11
	v_fmac_f32_e32 v14, 0x3f317217, v11
	v_cmp_lt_f32_e64 s[4:5], |v11|, s12
	s_nop 1
	v_cndmask_b32_e64 v11, v11, v14, s[4:5]
	v_mov_b32_e32 v14, 0x41b17218
	v_cndmask_b32_e32 v15, 0, v14, vcc
	v_sub_f32_e32 v11, v11, v15
	v_cmp_lt_f32_e32 vcc, s6, v6
	s_nop 1
	v_cndmask_b32_e32 v6, v11, v6, vcc
	v_mul_f32_e32 v11, 0x4f800000, v6
	v_cmp_gt_f32_e32 vcc, s13, v6
	s_nop 1
	v_cndmask_b32_e32 v6, v6, v11, vcc
	v_sqrt_f32_e32 v11, v6
	s_nop 0
	v_add_u32_e32 v15, -1, v11
	v_fma_f32 v16, -v15, v11, v6
	v_cmp_ge_f32_e64 s[4:5], 0, v16
	v_add_u32_e32 v16, 1, v11
	s_nop 0
	v_cndmask_b32_e64 v15, v11, v15, s[4:5]
	v_fma_f32 v11, -v16, v11, v6
	v_cmp_lt_f32_e64 s[4:5], 0, v11
	s_nop 1
	v_cndmask_b32_e64 v11, v15, v16, s[4:5]
	v_mul_f32_e32 v15, 0x37800000, v11
	v_cndmask_b32_e32 v15, v11, v15, vcc
	v_mov_b32_e32 v11, 0x260
	v_cmp_class_f32_e64 s[4:5], v6, v11
	s_and_b64 vcc, exec, s[2:3]
	s_nop 0
	v_cndmask_b32_e64 v6, v15, v6, s[4:5]
	s_cbranch_vccnz .LBB417_18
; %bb.17:
	global_load_dword v15, v9, s[10:11] offset:1536
	s_waitcnt vmcnt(0)
	v_add_f32_e32 v6, v6, v15
.LBB417_18:
	s_waitcnt vmcnt(1)
	v_lshlrev_b32_e32 v7, 16, v7
	v_mul_f32_e32 v15, 0x3fb8aa3b, v7
	v_exp_f32_e32 v15, v15
	s_nop 0
	v_add_f32_e32 v15, 1.0, v15
	v_cmp_gt_f32_e32 vcc, s14, v15
	s_nop 1
	v_cndmask_b32_e32 v13, 1.0, v13, vcc
	v_mul_f32_e32 v13, v15, v13
	v_log_f32_e32 v13, v13
	v_cndmask_b32_e32 v14, 0, v14, vcc
	v_mul_f32_e32 v15, 0x3f317217, v13
	v_fma_f32 v15, v13, s7, -v15
	v_fmac_f32_e32 v15, 0x3377d1cf, v13
	v_fmac_f32_e32 v15, 0x3f317217, v13
	v_cmp_lt_f32_e64 vcc, |v13|, s12
	s_nop 1
	v_cndmask_b32_e32 v13, v13, v15, vcc
	v_sub_f32_e32 v13, v13, v14
	v_cmp_lt_f32_e32 vcc, s6, v7
	s_nop 1
	v_cndmask_b32_e32 v7, v13, v7, vcc
	v_mul_f32_e32 v13, 0x4f800000, v7
	v_cmp_gt_f32_e32 vcc, s13, v7
	s_nop 1
	v_cndmask_b32_e32 v7, v7, v13, vcc
	v_sqrt_f32_e32 v13, v7
	s_nop 0
	v_add_u32_e32 v14, -1, v13
	v_add_u32_e32 v15, 1, v13
	v_fma_f32 v16, -v14, v13, v7
	v_fma_f32 v17, -v15, v13, v7
	v_cmp_ge_f32_e64 s[4:5], 0, v16
	s_nop 1
	v_cndmask_b32_e64 v13, v13, v14, s[4:5]
	v_cmp_lt_f32_e64 s[4:5], 0, v17
	s_nop 1
	v_cndmask_b32_e64 v13, v13, v15, s[4:5]
	v_mul_f32_e32 v14, 0x37800000, v13
	v_cndmask_b32_e32 v13, v13, v14, vcc
	v_cmp_class_f32_e64 s[4:5], v7, v11
	s_and_b64 vcc, exec, s[2:3]
	s_nop 0
	v_cndmask_b32_e64 v7, v13, v7, s[4:5]
	s_cbranch_vccnz .LBB417_20
; %bb.19:
	global_load_dword v11, v9, s[10:11] offset:1792
	s_waitcnt vmcnt(0)
	v_add_f32_e32 v7, v7, v11
.LBB417_20:
	s_waitcnt vmcnt(0)
	v_lshlrev_b32_e32 v8, 16, v8
	v_mul_f32_e32 v11, 0x3fb8aa3b, v8
	v_exp_f32_e32 v11, v11
	s_mov_b32 s4, 0x800000
	v_mov_b32_e32 v13, 0x4f800000
	s_mov_b32 s5, 0x7f800000
	v_add_f32_e32 v11, 1.0, v11
	v_cmp_gt_f32_e32 vcc, s4, v11
	s_mov_b32 s4, 0x3f317217
	s_nop 0
	v_cndmask_b32_e32 v13, 1.0, v13, vcc
	v_mul_f32_e32 v11, v11, v13
	v_log_f32_e32 v11, v11
	s_nop 0
	v_mul_f32_e32 v13, 0x3f317217, v11
	v_fma_f32 v13, v11, s4, -v13
	v_fmamk_f32 v13, v11, 0x3377d1cf, v13
	v_fmac_f32_e32 v13, 0x3f317217, v11
	v_cmp_lt_f32_e64 s[4:5], |v11|, s5
	s_nop 1
	v_cndmask_b32_e64 v11, v11, v13, s[4:5]
	v_mov_b32_e32 v13, 0x41b17218
	v_cndmask_b32_e32 v13, 0, v13, vcc
	v_sub_f32_e32 v11, v11, v13
	v_cmp_lt_f32_e32 vcc, s6, v8
	s_mov_b32 s4, 0xf800000
	s_nop 0
	v_cndmask_b32_e32 v8, v11, v8, vcc
	v_mul_f32_e32 v11, 0x4f800000, v8
	v_cmp_gt_f32_e32 vcc, s4, v8
	s_nop 1
	v_cndmask_b32_e32 v8, v8, v11, vcc
	v_sqrt_f32_e32 v11, v8
	s_nop 0
	v_add_u32_e32 v13, -1, v11
	v_fma_f32 v14, -v13, v11, v8
	v_cmp_ge_f32_e64 s[4:5], 0, v14
	v_add_u32_e32 v14, 1, v11
	s_nop 0
	v_cndmask_b32_e64 v13, v11, v13, s[4:5]
	v_fma_f32 v11, -v14, v11, v8
	v_cmp_lt_f32_e64 s[4:5], 0, v11
	s_nop 1
	v_cndmask_b32_e64 v11, v13, v14, s[4:5]
	v_mul_f32_e32 v13, 0x37800000, v11
	v_cndmask_b32_e32 v11, v11, v13, vcc
	v_mov_b32_e32 v13, 0x260
	v_cmp_class_f32_e64 s[4:5], v8, v13
	s_and_b64 vcc, exec, s[2:3]
	s_nop 0
	v_cndmask_b32_e64 v8, v11, v8, s[4:5]
	s_cbranch_vccnz .LBB417_22
; %bb.21:
	global_load_dword v9, v9, s[10:11] offset:2048
	s_waitcnt vmcnt(0)
	v_add_f32_e32 v8, v8, v9
.LBB417_22:
	s_load_dwordx4 s[12:15], s[0:1], 0x30
	v_cmp_eq_u32_e64 s[6:7], 0, v12
	s_waitcnt lgkmcnt(0)
	s_bitcmp1_b32 s15, 0
	s_cselect_b64 s[4:5], -1, 0
	s_cmp_gt_i32 s12, 0
	s_cselect_b64 s[24:25], -1, 0
	s_and_b64 vcc, exec, s[24:25]
	s_cbranch_vccz .LBB417_53
; %bb.23:
	v_mbcnt_lo_u32_b32 v9, -1, 0
	v_mbcnt_hi_u32_b32 v14, -1, v9
	v_and_b32_e32 v9, 64, v14
	v_add_u32_e32 v15, 64, v9
	v_xor_b32_e32 v18, 32, v14
	v_cmp_lt_i32_e32 vcc, v18, v15
	s_load_dwordx4 s[16:19], s[0:1], 0x20
	s_mov_b32 s15, 0
	v_cndmask_b32_e32 v18, v14, v18, vcc
	v_lshlrev_b32_e32 v23, 2, v18
	v_xor_b32_e32 v18, 16, v14
	v_cmp_lt_i32_e32 vcc, v18, v15
	v_mul_lo_u32 v9, v10, s12
	v_or_b32_e32 v11, 64, v12
	v_cndmask_b32_e32 v18, v14, v18, vcc
	v_lshlrev_b32_e32 v24, 2, v18
	v_xor_b32_e32 v18, 8, v14
	v_cmp_lt_i32_e32 vcc, v18, v15
	v_or_b32_e32 v13, 0x80, v12
	v_or_b32_e32 v16, 0xc0, v12
	v_cndmask_b32_e32 v18, v14, v18, vcc
	v_lshlrev_b32_e32 v25, 2, v18
	v_xor_b32_e32 v18, 4, v14
	v_cmp_lt_i32_e32 vcc, v18, v15
	v_or_b32_e32 v17, 0x100, v12
	;; [unrolled: 6-line block ×4, first 2 shown]
	v_mov_b32_e32 v29, 0x240
	v_cndmask_b32_e32 v14, v14, v18, vcc
	v_lshlrev_b32_e32 v28, 2, v14
	v_mov_b32_e32 v18, 0
	v_mov_b32_e32 v30, 0xc61c4000
	;; [unrolled: 1-line block ×3, first 2 shown]
	s_branch .LBB417_26
.LBB417_24:                             ;   in Loop: Header=BB417_26 Depth=1
	v_add_u32_e32 v34, s15, v9
	v_cmp_le_i32_e32 vcc, s13, v14
	v_cmp_gt_i32_e64 s[0:1], s14, v14
	v_ashrrev_i32_e32 v35, 31, v34
	s_and_b64 s[0:1], vcc, s[0:1]
	v_lshlrev_b64 v[34:35], 2, v[34:35]
	v_lshl_add_u64 v[36:37], s[20:21], 0, v[34:35]
	v_subrev_u32_e32 v15, s13, v14
	s_and_b64 vcc, s[22:23], s[0:1]
	global_store_dword v[36:37], v32, off
	v_cndmask_b32_e32 v15, v29, v15, vcc
	v_lshl_add_u64 v[36:37], s[16:17], 0, v[34:35]
	global_store_dword v[36:37], v15, off
	v_add_f32_e32 v15, v18, v32
	v_lshl_add_u64 v[34:35], s[18:19], 0, v[34:35]
	v_cndmask_b32_e64 v18, v18, v15, s[4:5]
	global_store_dword v[34:35], v31, off
.LBB417_25:                             ;   in Loop: Header=BB417_26 Depth=1
	s_or_b64 exec, exec, s[26:27]
	v_ashrrev_i32_e32 v15, 31, v14
	v_lshrrev_b32_e32 v15, 26, v15
	v_add_u32_e32 v15, v14, v15
	v_and_b32_e32 v32, 0xffffffc0, v15
	v_sub_u32_e32 v14, v14, v32
	s_add_i32 s15, s15, 1
	v_cmp_eq_u32_e32 vcc, v12, v14
	s_cmp_lt_i32 s15, s12
	v_ashrrev_i32_e32 v14, 6, v15
	s_cselect_b64 s[26:27], -1, 0
	v_cmp_ne_u32_e64 s[0:1], 8, v14
	s_and_b64 vcc, s[26:27], vcc
	s_cmp_eq_u32 s12, s15
	v_cndmask_b32_e64 v15, v30, v8, s[0:1]
	v_cmp_ne_u32_e64 s[0:1], 7, v14
	v_cndmask_b32_e32 v8, v8, v15, vcc
	v_add_u32_e32 v31, s30, v31
	v_cndmask_b32_e64 v15, v30, v7, s[0:1]
	v_cmp_ne_u32_e64 s[0:1], 6, v14
	v_cndmask_b32_e32 v7, v7, v15, vcc
	s_nop 0
	v_cndmask_b32_e64 v15, v30, v6, s[0:1]
	v_cmp_ne_u32_e64 s[0:1], 5, v14
	v_cndmask_b32_e32 v6, v6, v15, vcc
	s_nop 0
	;; [unrolled: 4-line block ×7, first 2 shown]
	v_cndmask_b32_e64 v14, v30, v0, s[0:1]
	v_cndmask_b32_e32 v0, v0, v14, vcc
	s_cbranch_scc1 .LBB417_54
.LBB417_26:                             ; =>This Inner Loop Header: Depth=1
	v_cmp_gt_f32_e32 vcc, v1, v0
	s_nop 1
	v_cndmask_b32_e32 v15, v0, v1, vcc
	v_cndmask_b32_e32 v14, v12, v11, vcc
	v_cmp_gt_f32_e32 vcc, v2, v15
	s_nop 1
	v_cndmask_b32_e32 v15, v15, v2, vcc
	v_cndmask_b32_e32 v14, v14, v13, vcc
	;; [unrolled: 4-line block ×8, first 2 shown]
	ds_bpermute_b32 v15, v23, v32
	s_waitcnt lgkmcnt(0)
	ds_bpermute_b32 v33, v23, v14
	s_waitcnt lgkmcnt(0)
	v_cmp_lt_f32_e64 s[26:27], v32, v15
	v_cmp_nlt_f32_e32 vcc, v32, v15
	s_and_saveexec_b64 s[28:29], vcc
; %bb.27:                               ;   in Loop: Header=BB417_26 Depth=1
	v_cmp_eq_f32_e32 vcc, v32, v15
	v_cmp_lt_i32_e64 s[0:1], v33, v14
	s_and_b64 s[0:1], vcc, s[0:1]
	s_andn2_b64 s[26:27], s[26:27], exec
	s_and_b64 s[0:1], s[0:1], exec
	s_or_b64 s[26:27], s[26:27], s[0:1]
; %bb.28:                               ;   in Loop: Header=BB417_26 Depth=1
	s_or_b64 exec, exec, s[28:29]
	s_and_saveexec_b64 s[0:1], s[26:27]
; %bb.29:                               ;   in Loop: Header=BB417_26 Depth=1
	v_mov_b32_e32 v32, v15
	v_mov_b32_e32 v14, v33
; %bb.30:                               ;   in Loop: Header=BB417_26 Depth=1
	s_or_b64 exec, exec, s[0:1]
	ds_bpermute_b32 v15, v24, v32
	ds_bpermute_b32 v33, v24, v14
	s_waitcnt lgkmcnt(1)
	v_cmp_lt_f32_e64 s[26:27], v32, v15
	v_cmp_nlt_f32_e32 vcc, v32, v15
	s_and_saveexec_b64 s[28:29], vcc
	s_cbranch_execz .LBB417_32
; %bb.31:                               ;   in Loop: Header=BB417_26 Depth=1
	v_cmp_eq_f32_e32 vcc, v32, v15
	s_waitcnt lgkmcnt(0)
	v_cmp_lt_i32_e64 s[0:1], v33, v14
	s_and_b64 s[0:1], vcc, s[0:1]
	s_andn2_b64 s[26:27], s[26:27], exec
	s_and_b64 s[0:1], s[0:1], exec
	s_or_b64 s[26:27], s[26:27], s[0:1]
.LBB417_32:                             ;   in Loop: Header=BB417_26 Depth=1
	s_or_b64 exec, exec, s[28:29]
	s_and_saveexec_b64 s[0:1], s[26:27]
	s_cbranch_execz .LBB417_34
; %bb.33:                               ;   in Loop: Header=BB417_26 Depth=1
	v_mov_b32_e32 v32, v15
	s_waitcnt lgkmcnt(0)
	v_mov_b32_e32 v14, v33
.LBB417_34:                             ;   in Loop: Header=BB417_26 Depth=1
	s_or_b64 exec, exec, s[0:1]
	ds_bpermute_b32 v15, v25, v32
	s_waitcnt lgkmcnt(1)
	ds_bpermute_b32 v33, v25, v14
	s_waitcnt lgkmcnt(1)
	v_cmp_lt_f32_e64 s[26:27], v32, v15
	v_cmp_nlt_f32_e32 vcc, v32, v15
	s_and_saveexec_b64 s[28:29], vcc
	s_cbranch_execz .LBB417_36
; %bb.35:                               ;   in Loop: Header=BB417_26 Depth=1
	v_cmp_eq_f32_e32 vcc, v32, v15
	s_waitcnt lgkmcnt(0)
	v_cmp_lt_i32_e64 s[0:1], v33, v14
	s_and_b64 s[0:1], vcc, s[0:1]
	s_andn2_b64 s[26:27], s[26:27], exec
	s_and_b64 s[0:1], s[0:1], exec
	s_or_b64 s[26:27], s[26:27], s[0:1]
.LBB417_36:                             ;   in Loop: Header=BB417_26 Depth=1
	s_or_b64 exec, exec, s[28:29]
	s_and_saveexec_b64 s[0:1], s[26:27]
	s_cbranch_execz .LBB417_38
; %bb.37:                               ;   in Loop: Header=BB417_26 Depth=1
	v_mov_b32_e32 v32, v15
	s_waitcnt lgkmcnt(0)
	v_mov_b32_e32 v14, v33
.LBB417_38:                             ;   in Loop: Header=BB417_26 Depth=1
	s_or_b64 exec, exec, s[0:1]
	ds_bpermute_b32 v15, v26, v32
	s_waitcnt lgkmcnt(1)
	;; [unrolled: 26-line block ×4, first 2 shown]
	ds_bpermute_b32 v33, v28, v14
	s_waitcnt lgkmcnt(1)
	v_cmp_lt_f32_e64 s[26:27], v32, v15
	v_cmp_nlt_f32_e32 vcc, v32, v15
	s_and_saveexec_b64 s[28:29], vcc
	s_cbranch_execnz .LBB417_49
; %bb.47:                               ;   in Loop: Header=BB417_26 Depth=1
	s_or_b64 exec, exec, s[28:29]
	s_and_saveexec_b64 s[0:1], s[26:27]
	s_cbranch_execnz .LBB417_50
.LBB417_48:                             ;   in Loop: Header=BB417_26 Depth=1
	s_or_b64 exec, exec, s[0:1]
	s_and_saveexec_b64 s[26:27], s[6:7]
	s_cbranch_execz .LBB417_25
	s_branch .LBB417_51
.LBB417_49:                             ;   in Loop: Header=BB417_26 Depth=1
	v_cmp_eq_f32_e32 vcc, v32, v15
	s_waitcnt lgkmcnt(0)
	v_cmp_lt_i32_e64 s[0:1], v33, v14
	s_and_b64 s[0:1], vcc, s[0:1]
	s_andn2_b64 s[26:27], s[26:27], exec
	s_and_b64 s[0:1], s[0:1], exec
	s_or_b64 s[26:27], s[26:27], s[0:1]
	s_or_b64 exec, exec, s[28:29]
	s_and_saveexec_b64 s[0:1], s[26:27]
	s_cbranch_execz .LBB417_48
.LBB417_50:                             ;   in Loop: Header=BB417_26 Depth=1
	s_waitcnt lgkmcnt(0)
	v_mov_b32_e32 v14, v33
	v_mov_b32_e32 v32, v15
	s_or_b64 exec, exec, s[0:1]
	s_and_saveexec_b64 s[26:27], s[6:7]
	s_cbranch_execz .LBB417_25
.LBB417_51:                             ;   in Loop: Header=BB417_26 Depth=1
	s_and_b64 vcc, exec, s[2:3]
	s_cbranch_vccnz .LBB417_24
; %bb.52:                               ;   in Loop: Header=BB417_26 Depth=1
	v_ashrrev_i32_e32 v15, 31, v14
	v_lshl_add_u64 v[34:35], v[14:15], 2, s[10:11]
	global_load_dword v15, v[34:35], off
	s_waitcnt vmcnt(0)
	v_sub_f32_e32 v32, v32, v15
	s_branch .LBB417_24
.LBB417_53:
	v_mov_b32_e32 v18, 0
.LBB417_54:
	v_cmp_eq_u32_e32 vcc, 0, v12
	s_and_b64 exec, exec, vcc
	s_cbranch_execz .LBB417_67
; %bb.55:
	s_andn2_b64 vcc, exec, s[4:5]
	v_cvt_f32_f64_e32 v0, s[8:9]
	s_cbranch_vccnz .LBB417_57
; %bb.56:
	v_cmp_lt_f32_e32 vcc, 0, v18
	s_nop 1
	v_cndmask_b32_e32 v1, 1.0, v18, vcc
	v_div_scale_f32 v2, s[0:1], v1, v1, v0
	v_rcp_f32_e32 v3, v2
	s_nop 0
	v_fma_f32 v4, -v2, v3, 1.0
	v_fmac_f32_e32 v3, v4, v3
	v_div_scale_f32 v4, vcc, v0, v1, v0
	v_mul_f32_e32 v5, v4, v3
	v_fma_f32 v6, -v2, v5, v4
	v_fmac_f32_e32 v5, v6, v3
	v_fma_f32 v2, -v2, v5, v4
	v_div_fmas_f32 v2, v2, v3, v5
	v_div_fixup_f32 v0, v2, v1, v0
.LBB417_57:
	s_andn2_b64 vcc, exec, s[24:25]
	s_cbranch_vccnz .LBB417_67
; %bb.58:
	v_mul_lo_u32 v2, v10, s12
	s_cmp_gt_u32 s12, 3
	v_ashrrev_i32_e32 v3, 31, v2
	s_cbranch_scc0 .LBB417_62
; %bb.59:
	s_and_b32 s0, s12, 0x7ffffffc
	v_lshl_add_u64 v[4:5], v[2:3], 2, s[20:21]
	v_mov_b32_e32 v1, v0
	v_lshl_add_u64 v[4:5], v[4:5], 0, 8
	s_mov_b32 s1, s0
.LBB417_60:                             ; =>This Inner Loop Header: Depth=1
	global_load_dwordx4 v[6:9], v[4:5], off offset:-8
	s_add_i32 s1, s1, -4
	s_cmp_lg_u32 s1, 0
	s_waitcnt vmcnt(0)
	v_pk_mul_f32 v[6:7], v[0:1], v[6:7]
	v_pk_mul_f32 v[8:9], v[0:1], v[8:9]
	global_store_dwordx4 v[4:5], v[6:9], off offset:-8
	v_lshl_add_u64 v[4:5], v[4:5], 0, 16
	s_cbranch_scc1 .LBB417_60
; %bb.61:
	s_cmp_lg_u32 s0, s12
	s_cselect_b64 s[2:3], -1, 0
	s_branch .LBB417_64
.LBB417_62:
	s_mov_b64 s[2:3], 0
                                        ; implicit-def: $sgpr0
	s_cbranch_execz .LBB417_64
; %bb.63:
	s_mov_b64 s[2:3], -1
	s_mov_b32 s0, 0
.LBB417_64:
	s_andn2_b64 vcc, exec, s[2:3]
	s_cbranch_vccnz .LBB417_67
; %bb.65:
	s_mov_b32 s1, 0
	v_lshl_add_u64 v[2:3], v[2:3], 0, s[0:1]
	s_sub_i32 s2, s12, s0
	v_lshl_add_u64 v[2:3], v[2:3], 2, s[20:21]
.LBB417_66:                             ; =>This Inner Loop Header: Depth=1
	global_load_dword v1, v[2:3], off
	s_add_i32 s2, s2, -1
	s_cmp_lg_u32 s2, 0
	s_waitcnt vmcnt(0)
	v_mul_f32_e32 v1, v0, v1
	global_store_dword v[2:3], v1, off
	v_lshl_add_u64 v[2:3], v[2:3], 0, 4
	s_cbranch_scc1 .LBB417_66
.LBB417_67:
	s_endpgm
	.section	.rodata,"a",@progbits
	.p2align	6, 0x0
	.amdhsa_kernel _ZN4vllm3moe22topkGatingSoftplusSqrtILi9ELi576ELi4ELi2ELi64ELb0Ei14__hip_bfloat16EEvPKT6_PKbPfiPT5_PiiiibdPKfPKS9_SF_
		.amdhsa_group_segment_fixed_size 0
		.amdhsa_private_segment_fixed_size 0
		.amdhsa_kernarg_size 96
		.amdhsa_user_sgpr_count 2
		.amdhsa_user_sgpr_dispatch_ptr 0
		.amdhsa_user_sgpr_queue_ptr 0
		.amdhsa_user_sgpr_kernarg_segment_ptr 1
		.amdhsa_user_sgpr_dispatch_id 0
		.amdhsa_user_sgpr_kernarg_preload_length 0
		.amdhsa_user_sgpr_kernarg_preload_offset 0
		.amdhsa_user_sgpr_private_segment_size 0
		.amdhsa_uses_dynamic_stack 0
		.amdhsa_enable_private_segment 0
		.amdhsa_system_sgpr_workgroup_id_x 1
		.amdhsa_system_sgpr_workgroup_id_y 0
		.amdhsa_system_sgpr_workgroup_id_z 0
		.amdhsa_system_sgpr_workgroup_info 0
		.amdhsa_system_vgpr_workitem_id 1
		.amdhsa_next_free_vgpr 38
		.amdhsa_next_free_sgpr 31
		.amdhsa_accum_offset 40
		.amdhsa_reserve_vcc 1
		.amdhsa_float_round_mode_32 0
		.amdhsa_float_round_mode_16_64 0
		.amdhsa_float_denorm_mode_32 3
		.amdhsa_float_denorm_mode_16_64 3
		.amdhsa_dx10_clamp 1
		.amdhsa_ieee_mode 1
		.amdhsa_fp16_overflow 0
		.amdhsa_tg_split 0
		.amdhsa_exception_fp_ieee_invalid_op 0
		.amdhsa_exception_fp_denorm_src 0
		.amdhsa_exception_fp_ieee_div_zero 0
		.amdhsa_exception_fp_ieee_overflow 0
		.amdhsa_exception_fp_ieee_underflow 0
		.amdhsa_exception_fp_ieee_inexact 0
		.amdhsa_exception_int_div_zero 0
	.end_amdhsa_kernel
	.section	.text._ZN4vllm3moe22topkGatingSoftplusSqrtILi9ELi576ELi4ELi2ELi64ELb0Ei14__hip_bfloat16EEvPKT6_PKbPfiPT5_PiiiibdPKfPKS9_SF_,"axG",@progbits,_ZN4vllm3moe22topkGatingSoftplusSqrtILi9ELi576ELi4ELi2ELi64ELb0Ei14__hip_bfloat16EEvPKT6_PKbPfiPT5_PiiiibdPKfPKS9_SF_,comdat
.Lfunc_end417:
	.size	_ZN4vllm3moe22topkGatingSoftplusSqrtILi9ELi576ELi4ELi2ELi64ELb0Ei14__hip_bfloat16EEvPKT6_PKbPfiPT5_PiiiibdPKfPKS9_SF_, .Lfunc_end417-_ZN4vllm3moe22topkGatingSoftplusSqrtILi9ELi576ELi4ELi2ELi64ELb0Ei14__hip_bfloat16EEvPKT6_PKbPfiPT5_PiiiibdPKfPKS9_SF_
                                        ; -- End function
	.section	.AMDGPU.csdata,"",@progbits
; Kernel info:
; codeLenInByte = 4696
; NumSgprs: 37
; NumVgprs: 38
; NumAgprs: 0
; TotalNumVgprs: 38
; ScratchSize: 0
; MemoryBound: 0
; FloatMode: 240
; IeeeMode: 1
; LDSByteSize: 0 bytes/workgroup (compile time only)
; SGPRBlocks: 4
; VGPRBlocks: 4
; NumSGPRsForWavesPerEU: 37
; NumVGPRsForWavesPerEU: 38
; AccumOffset: 40
; Occupancy: 8
; WaveLimiterHint : 1
; COMPUTE_PGM_RSRC2:SCRATCH_EN: 0
; COMPUTE_PGM_RSRC2:USER_SGPR: 2
; COMPUTE_PGM_RSRC2:TRAP_HANDLER: 0
; COMPUTE_PGM_RSRC2:TGID_X_EN: 1
; COMPUTE_PGM_RSRC2:TGID_Y_EN: 0
; COMPUTE_PGM_RSRC2:TGID_Z_EN: 0
; COMPUTE_PGM_RSRC2:TIDIG_COMP_CNT: 1
; COMPUTE_PGM_RSRC3_GFX90A:ACCUM_OFFSET: 9
; COMPUTE_PGM_RSRC3_GFX90A:TG_SPLIT: 0
	.section	.text._ZN4vllm3moe22topkGatingSoftplusSqrtILi18ELi576ELi4ELi2ELi32ELb1Ei14__hip_bfloat16EEvPKT6_PKbPfiPT5_PiiiibdPKfPKS9_SF_,"axG",@progbits,_ZN4vllm3moe22topkGatingSoftplusSqrtILi18ELi576ELi4ELi2ELi32ELb1Ei14__hip_bfloat16EEvPKT6_PKbPfiPT5_PiiiibdPKfPKS9_SF_,comdat
	.protected	_ZN4vllm3moe22topkGatingSoftplusSqrtILi18ELi576ELi4ELi2ELi32ELb1Ei14__hip_bfloat16EEvPKT6_PKbPfiPT5_PiiiibdPKfPKS9_SF_ ; -- Begin function _ZN4vllm3moe22topkGatingSoftplusSqrtILi18ELi576ELi4ELi2ELi32ELb1Ei14__hip_bfloat16EEvPKT6_PKbPfiPT5_PiiiibdPKfPKS9_SF_
	.globl	_ZN4vllm3moe22topkGatingSoftplusSqrtILi18ELi576ELi4ELi2ELi32ELb1Ei14__hip_bfloat16EEvPKT6_PKbPfiPT5_PiiiibdPKfPKS9_SF_
	.p2align	8
	.type	_ZN4vllm3moe22topkGatingSoftplusSqrtILi18ELi576ELi4ELi2ELi32ELb1Ei14__hip_bfloat16EEvPKT6_PKbPfiPT5_PiiiibdPKfPKS9_SF_,@function
_ZN4vllm3moe22topkGatingSoftplusSqrtILi18ELi576ELi4ELi2ELi32ELb1Ei14__hip_bfloat16EEvPKT6_PKbPfiPT5_PiiiibdPKfPKS9_SF_: ; @_ZN4vllm3moe22topkGatingSoftplusSqrtILi18ELi576ELi4ELi2ELi32ELb1Ei14__hip_bfloat16EEvPKT6_PKbPfiPT5_PiiiibdPKfPKS9_SF_
; %bb.0:
	s_load_dword s3, s[0:1], 0x18
	v_and_b32_e32 v1, 0x3ff, v0
	s_lshl_b32 s2, s2, 2
	v_lshrrev_b32_e32 v2, 5, v1
	v_bfe_u32 v0, v0, 10, 10
	v_add3_u32 v10, s2, v0, v2
	s_waitcnt lgkmcnt(0)
	v_cmp_gt_i32_e32 vcc, s3, v10
	s_and_saveexec_b64 s[2:3], vcc
	s_cbranch_execz .LBB418_71
; %bb.1:
	s_load_dwordx4 s[4:7], s[0:1], 0x50
	s_load_dwordx2 s[2:3], s[0:1], 0x0
	s_load_dword s33, s[0:1], 0x30
	s_movk_i32 s8, 0x240
	v_mul_lo_u32 v4, v10, s8
	v_ashrrev_i32_e32 v5, 31, v4
	v_and_b32_e32 v16, 31, v1
	s_waitcnt lgkmcnt(0)
	v_mov_b32_e32 v2, s4
	v_mov_b32_e32 v3, s5
	v_lshl_add_u64 v[4:5], v[4:5], 1, s[2:3]
	v_lshlrev_b32_e32 v8, 1, v16
	v_mov_b32_e32 v9, 0
	v_ashrrev_i32_e32 v11, 31, v10
	v_lshl_add_u64 v[0:1], v[4:5], 0, v[8:9]
	v_lshl_add_u64 v[2:3], v[10:11], 2, v[2:3]
	global_load_ushort v4, v[0:1], off offset:128
	global_load_ushort v5, v[0:1], off offset:192
	;; [unrolled: 1-line block ×16, first 2 shown]
	global_load_dword v27, v[2:3], off
	global_load_ushort v28, v[0:1], off offset:64
	global_load_ushort v29, v[0:1], off
	s_mov_b32 s13, 0x800000
	v_mov_b32_e32 v8, 0x4f800000
	s_mov_b32 s11, 0x3f317217
	s_mov_b32 s12, 0x7f800000
	v_mov_b32_e32 v11, 0x41b17218
	s_mov_b32 s9, 0x41a00000
	s_mov_b32 s10, 0xf800000
	v_mov_b32_e32 v12, s6
	v_mov_b32_e32 v13, s7
	s_cmp_gt_i32 s33, 0
	s_mov_b32 s8, 0
	s_waitcnt vmcnt(18)
	v_lshlrev_b32_e32 v30, 16, v4
	s_waitcnt vmcnt(17)
	v_lshlrev_b32_e32 v4, 16, v5
	;; [unrolled: 2-line block ×13, first 2 shown]
	scratch_store_dwordx4 off, v[4:7], off offset:12
	scratch_store_dwordx4 off, v[0:3], off offset:28
	;; [unrolled: 1-line block ×3, first 2 shown]
	s_waitcnt vmcnt(7)
	v_lshlrev_b32_e32 v23, 16, v25
	s_waitcnt vmcnt(4)
	v_lshlrev_b32_e32 v17, 16, v28
	;; [unrolled: 2-line block ×3, first 2 shown]
	v_mul_f32_e32 v0, 0x3fb8aa3b, v25
	v_mul_f32_e32 v1, 0x3fb8aa3b, v17
	v_exp_f32_e32 v6, v0
	v_exp_f32_e32 v7, v1
	scratch_load_dwordx4 v[0:3], off, off offset:16
	v_lshlrev_b32_e32 v22, 16, v24
	v_lshlrev_b32_e32 v24, 16, v26
	v_pk_add_f32 v[6:7], v[6:7], 1.0 op_sel_hi:[1,0]
	scratch_store_dwordx3 off, v[22:24], off offset:60
	v_cmp_gt_f32_e32 vcc, s13, v7
	v_cmp_gt_f32_e64 s[2:3], s13, v6
	v_mul_lo_u32 v14, v27, s33
	v_cndmask_b32_e32 v5, 1.0, v8, vcc
	v_cndmask_b32_e64 v18, 1.0, v8, s[2:3]
	v_mul_f32_e32 v5, v7, v5
	v_mul_f32_e32 v6, v6, v18
	v_log_f32_e32 v5, v5
	v_log_f32_e32 v6, v6
	v_cndmask_b32_e32 v7, 0, v11, vcc
	v_cndmask_b32_e64 v18, 0, v11, s[2:3]
	v_mul_f32_e32 v19, 0x3f317217, v5
	v_mul_f32_e32 v20, 0x3f317217, v6
	v_fma_f32 v19, v5, s11, -v19
	v_fma_f32 v20, v6, s11, -v20
	v_fmac_f32_e32 v19, 0x3377d1cf, v5
	v_fmac_f32_e32 v20, 0x3377d1cf, v6
	;; [unrolled: 1-line block ×3, first 2 shown]
	v_cmp_lt_f32_e64 vcc, |v5|, s12
	v_fmac_f32_e32 v20, 0x3f317217, v6
	v_ashrrev_i32_e32 v15, 31, v14
	v_cndmask_b32_e32 v5, v5, v19, vcc
	v_cmp_lt_f32_e64 vcc, |v6|, s12
	v_sub_f32_e32 v5, v5, v7
	s_nop 0
	v_cndmask_b32_e32 v6, v6, v20, vcc
	v_sub_f32_e32 v6, v6, v18
	v_cmp_lt_f32_e32 vcc, s9, v25
	s_nop 1
	v_cndmask_b32_e32 v6, v6, v25, vcc
	v_cmp_lt_f32_e32 vcc, s9, v17
	v_cmp_gt_f32_e64 s[2:3], s10, v6
	s_nop 0
	v_cndmask_b32_e32 v5, v5, v17, vcc
	v_mul_f32_e32 v7, 0x4f800000, v5
	v_cmp_gt_f32_e32 vcc, s10, v5
	v_mul_f32_e32 v17, 0x4f800000, v6
	v_cndmask_b32_e64 v18, v6, v17, s[2:3]
	v_cndmask_b32_e32 v5, v5, v7, vcc
	v_sqrt_f32_e32 v7, v5
	s_nop 0
	v_add_u32_e32 v6, -1, v7
	v_add_u32_e32 v17, 1, v7
	v_fma_f32 v19, -v6, v7, v5
	v_fma_f32 v20, -v17, v7, v5
	v_cmp_ge_f32_e64 s[4:5], 0, v19
	s_nop 1
	v_cndmask_b32_e64 v6, v7, v6, s[4:5]
	v_cmp_lt_f32_e64 s[4:5], 0, v20
	s_nop 1
	v_cndmask_b32_e64 v6, v6, v17, s[4:5]
	v_mul_f32_e32 v7, 0x37800000, v6
	v_cndmask_b32_e32 v6, v6, v7, vcc
	v_sqrt_f32_e32 v7, v18
	v_mov_b32_e32 v17, 0x260
	v_cmp_class_f32_e32 vcc, v5, v17
	v_add_u32_e32 v20, 1, v7
	s_nop 0
	v_cndmask_b32_e32 v19, v6, v5, vcc
	v_add_u32_e32 v5, -1, v7
	v_fma_f32 v6, -v5, v7, v18
	v_cmp_ge_f32_e32 vcc, 0, v6
	v_fma_f32 v21, -v20, v7, v18
	v_mul_f32_e32 v6, 0x3fb8aa3b, v30
	v_cndmask_b32_e32 v5, v7, v5, vcc
	v_mul_f32_e32 v7, 0x3fb8aa3b, v4
	v_exp_f32_e32 v6, v6
	v_exp_f32_e32 v7, v7
	v_cmp_lt_f32_e32 vcc, 0, v21
	v_pk_add_f32 v[6:7], v[6:7], 1.0 op_sel_hi:[1,0]
	s_nop 0
	v_cndmask_b32_e32 v5, v5, v20, vcc
	v_cmp_gt_f32_e32 vcc, s13, v7
	v_mul_f32_e32 v20, 0x37800000, v5
	v_cndmask_b32_e64 v5, v5, v20, s[2:3]
	v_cndmask_b32_e32 v21, 1.0, v8, vcc
	v_mul_f32_e32 v7, v7, v21
	v_log_f32_e32 v7, v7
	v_cmp_class_f32_e64 s[2:3], v18, v17
	v_cmp_lt_f32_e64 s[4:5], |v7|, s12
	s_nop 0
	v_cndmask_b32_e64 v18, v5, v18, s[2:3]
	v_cmp_gt_f32_e64 s[2:3], s13, v6
	v_mul_f32_e32 v5, 0x3f317217, v7
	v_fma_f32 v5, v7, s11, -v5
	v_cndmask_b32_e64 v20, 1.0, v8, s[2:3]
	v_mul_f32_e32 v6, v6, v20
	v_log_f32_e32 v6, v6
	v_fmac_f32_e32 v5, 0x3377d1cf, v7
	v_fmac_f32_e32 v5, 0x3f317217, v7
	v_cndmask_b32_e64 v5, v7, v5, s[4:5]
	v_cndmask_b32_e32 v7, 0, v11, vcc
	v_sub_f32_e32 v5, v5, v7
	v_mul_f32_e32 v7, 0x3f317217, v6
	v_fma_f32 v7, v6, s11, -v7
	v_fmac_f32_e32 v7, 0x3377d1cf, v6
	v_fmac_f32_e32 v7, 0x3f317217, v6
	v_cmp_lt_f32_e64 vcc, |v6|, s12
	s_nop 1
	v_cndmask_b32_e32 v6, v6, v7, vcc
	v_cmp_lt_f32_e32 vcc, s9, v4
	v_cndmask_b32_e64 v7, 0, v11, s[2:3]
	v_sub_f32_e32 v6, v6, v7
	v_cndmask_b32_e32 v4, v5, v4, vcc
	v_mul_f32_e32 v5, 0x4f800000, v4
	v_cmp_gt_f32_e64 s[2:3], s10, v4
	v_cmp_lt_f32_e32 vcc, s9, v30
	s_nop 0
	v_cndmask_b32_e64 v4, v4, v5, s[2:3]
	v_sqrt_f32_e32 v5, v4
	v_cndmask_b32_e32 v6, v6, v30, vcc
	v_add_u32_e32 v7, -1, v5
	v_fma_f32 v20, -v7, v5, v4
	v_cmp_ge_f32_e32 vcc, 0, v20
	v_add_u32_e32 v20, 1, v5
	s_nop 0
	v_cndmask_b32_e32 v7, v5, v7, vcc
	v_fma_f32 v5, -v20, v5, v4
	v_cmp_lt_f32_e32 vcc, 0, v5
	s_nop 1
	v_cndmask_b32_e32 v5, v7, v20, vcc
	v_mul_f32_e32 v20, 0x4f800000, v6
	v_cmp_gt_f32_e32 vcc, s10, v6
	v_mul_f32_e32 v7, 0x37800000, v5
	v_cndmask_b32_e64 v5, v5, v7, s[2:3]
	v_cndmask_b32_e32 v20, v6, v20, vcc
	v_sqrt_f32_e32 v6, v20
	v_cmp_class_f32_e64 s[2:3], v4, v17
	v_add_u32_e32 v25, 1, v6
	s_nop 0
	v_cndmask_b32_e64 v21, v5, v4, s[2:3]
	v_add_u32_e32 v4, -1, v6
	v_fma_f32 v5, -v4, v6, v20
	v_cmp_ge_f32_e64 s[2:3], 0, v5
	v_fma_f32 v26, -v25, v6, v20
	s_nop 0
	v_cndmask_b32_e64 v24, v6, v4, s[2:3]
	scratch_load_dwordx4 v[4:7], off, off offset:32
	s_waitcnt vmcnt(2)
	v_mul_f32_e32 v22, 0x3fb8aa3b, v0
	v_mul_f32_e32 v23, 0x3fb8aa3b, v1
	v_exp_f32_e32 v22, v22
	v_exp_f32_e32 v23, v23
	v_cmp_lt_f32_e64 s[2:3], 0, v26
	v_pk_add_f32 v[22:23], v[22:23], 1.0 op_sel_hi:[1,0]
	s_nop 0
	v_cndmask_b32_e64 v24, v24, v25, s[2:3]
	v_mul_f32_e32 v25, 0x37800000, v24
	v_cndmask_b32_e32 v24, v24, v25, vcc
	v_cmp_gt_f32_e32 vcc, s13, v23
	v_cmp_class_f32_e64 s[2:3], v20, v17
	s_nop 0
	v_cndmask_b32_e32 v25, 1.0, v8, vcc
	v_mul_f32_e32 v23, v23, v25
	v_log_f32_e32 v23, v23
	v_cndmask_b32_e64 v20, v24, v20, s[2:3]
	v_cmp_gt_f32_e64 s[2:3], s13, v22
	scratch_store_dwordx4 off, v[18:21], off
	v_cmp_lt_f32_e64 s[4:5], |v23|, s12
	s_nop 0
	v_cndmask_b32_e64 v19, 1.0, v8, s[2:3]
	v_mul_f32_e32 v18, 0x3f317217, v23
	v_mul_f32_e32 v19, v22, v19
	v_fma_f32 v18, v23, s11, -v18
	v_log_f32_e32 v19, v19
	v_fmac_f32_e32 v18, 0x3377d1cf, v23
	v_fmac_f32_e32 v18, 0x3f317217, v23
	v_cndmask_b32_e64 v18, v23, v18, s[4:5]
	v_cndmask_b32_e32 v20, 0, v11, vcc
	v_sub_f32_e32 v18, v18, v20
	v_mul_f32_e32 v20, 0x3f317217, v19
	v_fma_f32 v20, v19, s11, -v20
	v_fmac_f32_e32 v20, 0x3377d1cf, v19
	v_fmac_f32_e32 v20, 0x3f317217, v19
	v_cmp_lt_f32_e64 vcc, |v19|, s12
	s_nop 1
	v_cndmask_b32_e32 v19, v19, v20, vcc
	v_cmp_lt_f32_e32 vcc, s9, v1
	v_cndmask_b32_e64 v20, 0, v11, s[2:3]
	v_sub_f32_e32 v19, v19, v20
	v_cndmask_b32_e32 v1, v18, v1, vcc
	v_mul_f32_e32 v18, 0x4f800000, v1
	v_cmp_gt_f32_e32 vcc, s10, v1
	v_cmp_lt_f32_e64 s[2:3], s9, v0
	s_nop 0
	v_cndmask_b32_e32 v1, v1, v18, vcc
	v_sqrt_f32_e32 v18, v1
	v_cndmask_b32_e64 v0, v19, v0, s[2:3]
	v_add_u32_e32 v19, -1, v18
	v_fma_f32 v20, -v19, v18, v1
	v_cmp_ge_f32_e64 s[2:3], 0, v20
	v_add_u32_e32 v20, 1, v18
	s_nop 0
	v_cndmask_b32_e64 v19, v18, v19, s[2:3]
	v_fma_f32 v18, -v20, v18, v1
	v_cmp_lt_f32_e64 s[2:3], 0, v18
	s_nop 1
	v_cndmask_b32_e64 v18, v19, v20, s[2:3]
	v_mul_f32_e32 v20, 0x4f800000, v0
	v_cmp_gt_f32_e64 s[2:3], s10, v0
	v_mul_f32_e32 v19, 0x37800000, v18
	v_cndmask_b32_e32 v18, v18, v19, vcc
	v_cndmask_b32_e64 v0, v0, v20, s[2:3]
	v_sqrt_f32_e32 v20, v0
	v_cmp_class_f32_e32 vcc, v1, v17
	v_add_u32_e32 v22, 1, v20
	s_nop 0
	v_cndmask_b32_e32 v1, v18, v1, vcc
	v_add_u32_e32 v18, -1, v20
	v_fma_f32 v19, -v18, v20, v0
	v_cmp_ge_f32_e32 vcc, 0, v19
	v_mul_f32_e32 v19, 0x3fb8aa3b, v3
	v_exp_f32_e32 v19, v19
	v_cndmask_b32_e32 v21, v20, v18, vcc
	v_mul_f32_e32 v18, 0x3fb8aa3b, v2
	v_exp_f32_e32 v18, v18
	v_fma_f32 v20, -v22, v20, v0
	v_cmp_lt_f32_e32 vcc, 0, v20
	v_pk_add_f32 v[18:19], v[18:19], 1.0 op_sel_hi:[1,0]
	s_nop 0
	v_cndmask_b32_e32 v20, v21, v22, vcc
	v_cmp_gt_f32_e32 vcc, s13, v19
	v_mul_f32_e32 v21, 0x37800000, v20
	v_cndmask_b32_e64 v20, v20, v21, s[2:3]
	v_cndmask_b32_e32 v22, 1.0, v8, vcc
	v_mul_f32_e32 v19, v19, v22
	v_log_f32_e32 v19, v19
	v_cmp_class_f32_e64 s[2:3], v0, v17
	v_cmp_lt_f32_e64 s[4:5], |v19|, s12
	s_nop 0
	v_cndmask_b32_e64 v0, v20, v0, s[2:3]
	v_cmp_gt_f32_e64 s[2:3], s13, v18
	v_mul_f32_e32 v20, 0x3f317217, v19
	v_fma_f32 v20, v19, s11, -v20
	v_cndmask_b32_e64 v21, 1.0, v8, s[2:3]
	v_mul_f32_e32 v18, v18, v21
	v_log_f32_e32 v18, v18
	v_fmac_f32_e32 v20, 0x3377d1cf, v19
	v_fmac_f32_e32 v20, 0x3f317217, v19
	v_cndmask_b32_e64 v19, v19, v20, s[4:5]
	v_cndmask_b32_e32 v20, 0, v11, vcc
	v_sub_f32_e32 v19, v19, v20
	v_mul_f32_e32 v20, 0x3f317217, v18
	v_fma_f32 v20, v18, s11, -v20
	v_fmac_f32_e32 v20, 0x3377d1cf, v18
	v_fmac_f32_e32 v20, 0x3f317217, v18
	v_cmp_lt_f32_e64 vcc, |v18|, s12
	s_nop 1
	v_cndmask_b32_e32 v18, v18, v20, vcc
	v_cmp_lt_f32_e32 vcc, s9, v3
	v_cndmask_b32_e64 v20, 0, v11, s[2:3]
	v_sub_f32_e32 v18, v18, v20
	v_cndmask_b32_e32 v3, v19, v3, vcc
	v_mul_f32_e32 v19, 0x4f800000, v3
	v_cmp_gt_f32_e32 vcc, s10, v3
	v_cmp_lt_f32_e64 s[2:3], s9, v2
	s_nop 0
	v_cndmask_b32_e32 v3, v3, v19, vcc
	v_sqrt_f32_e32 v19, v3
	v_cndmask_b32_e64 v2, v18, v2, s[2:3]
	v_add_u32_e32 v18, -1, v19
	v_fma_f32 v20, -v18, v19, v3
	v_cmp_ge_f32_e64 s[2:3], 0, v20
	v_add_u32_e32 v20, 1, v19
	s_nop 0
	v_cndmask_b32_e64 v18, v19, v18, s[2:3]
	v_fma_f32 v19, -v20, v19, v3
	v_cmp_lt_f32_e64 s[2:3], 0, v19
	s_nop 1
	v_cndmask_b32_e64 v18, v18, v20, s[2:3]
	v_mul_f32_e32 v20, 0x4f800000, v2
	v_cmp_gt_f32_e64 s[2:3], s10, v2
	v_mul_f32_e32 v19, 0x37800000, v18
	v_cndmask_b32_e32 v18, v18, v19, vcc
	v_cndmask_b32_e64 v2, v2, v20, s[2:3]
	v_sqrt_f32_e32 v20, v2
	v_cmp_class_f32_e32 vcc, v3, v17
	v_add_u32_e32 v22, 1, v20
	s_nop 0
	v_cndmask_b32_e32 v3, v18, v3, vcc
	v_add_u32_e32 v18, -1, v20
	v_fma_f32 v19, -v18, v20, v2
	v_cmp_ge_f32_e32 vcc, 0, v19
	s_waitcnt vmcnt(1)
	v_mul_f32_e32 v19, 0x3fb8aa3b, v5
	v_exp_f32_e32 v19, v19
	v_cndmask_b32_e32 v21, v20, v18, vcc
	v_mul_f32_e32 v18, 0x3fb8aa3b, v4
	v_exp_f32_e32 v18, v18
	v_fma_f32 v20, -v22, v20, v2
	v_cmp_lt_f32_e32 vcc, 0, v20
	v_pk_add_f32 v[18:19], v[18:19], 1.0 op_sel_hi:[1,0]
	s_nop 0
	v_cndmask_b32_e32 v20, v21, v22, vcc
	v_mul_f32_e32 v21, 0x37800000, v20
	v_cmp_gt_f32_e32 vcc, s13, v19
	v_cndmask_b32_e64 v20, v20, v21, s[2:3]
	v_cmp_class_f32_e64 s[2:3], v2, v17
	v_cndmask_b32_e32 v21, 1.0, v8, vcc
	v_mul_f32_e32 v19, v19, v21
	v_log_f32_e32 v19, v19
	v_cndmask_b32_e64 v2, v20, v2, s[2:3]
	v_cmp_gt_f32_e64 s[2:3], s13, v18
	scratch_store_dwordx4 off, v[0:3], off offset:16
	v_cmp_lt_f32_e64 s[4:5], |v19|, s12
	s_nop 0
	v_cndmask_b32_e64 v1, 1.0, v8, s[2:3]
	v_mul_f32_e32 v0, 0x3f317217, v19
	v_mul_f32_e32 v1, v18, v1
	v_fma_f32 v0, v19, s11, -v0
	v_log_f32_e32 v1, v1
	v_fmac_f32_e32 v0, 0x3377d1cf, v19
	v_fmac_f32_e32 v0, 0x3f317217, v19
	v_cndmask_b32_e64 v0, v19, v0, s[4:5]
	v_cndmask_b32_e32 v2, 0, v11, vcc
	v_sub_f32_e32 v0, v0, v2
	v_mul_f32_e32 v2, 0x3f317217, v1
	v_fma_f32 v2, v1, s11, -v2
	v_fmac_f32_e32 v2, 0x3377d1cf, v1
	v_fmac_f32_e32 v2, 0x3f317217, v1
	v_cmp_lt_f32_e64 vcc, |v1|, s12
	s_nop 1
	v_cndmask_b32_e32 v1, v1, v2, vcc
	v_cmp_lt_f32_e32 vcc, s9, v5
	v_cndmask_b32_e64 v2, 0, v11, s[2:3]
	v_sub_f32_e32 v1, v1, v2
	v_cndmask_b32_e32 v0, v0, v5, vcc
	v_mul_f32_e32 v3, 0x4f800000, v0
	v_cmp_gt_f32_e32 vcc, s10, v0
	v_cmp_lt_f32_e64 s[2:3], s9, v4
	s_nop 0
	v_cndmask_b32_e32 v5, v0, v3, vcc
	v_sqrt_f32_e32 v0, v5
	v_cndmask_b32_e64 v4, v1, v4, s[2:3]
	v_mul_f32_e32 v20, 0x4f800000, v4
	v_add_u32_e32 v1, -1, v0
	v_fma_f32 v2, -v1, v0, v5
	v_cmp_ge_f32_e64 s[2:3], 0, v2
	v_add_u32_e32 v2, 1, v0
	s_nop 0
	v_cndmask_b32_e64 v1, v0, v1, s[2:3]
	v_fma_f32 v0, -v2, v0, v5
	v_cmp_lt_f32_e64 s[2:3], 0, v0
	s_nop 1
	v_cndmask_b32_e64 v18, v1, v2, s[2:3]
	scratch_load_dwordx4 v[0:3], off, off offset:48
	v_cmp_gt_f32_e64 s[2:3], s10, v4
	v_mul_f32_e32 v19, 0x37800000, v18
	v_cndmask_b32_e32 v18, v18, v19, vcc
	v_cndmask_b32_e64 v4, v4, v20, s[2:3]
	v_sqrt_f32_e32 v20, v4
	v_cmp_class_f32_e32 vcc, v5, v17
	v_add_u32_e32 v22, 1, v20
	s_nop 0
	v_cndmask_b32_e32 v5, v18, v5, vcc
	v_add_u32_e32 v18, -1, v20
	v_fma_f32 v19, -v18, v20, v4
	v_cmp_ge_f32_e32 vcc, 0, v19
	v_mul_f32_e32 v19, 0x3fb8aa3b, v7
	v_exp_f32_e32 v19, v19
	v_cndmask_b32_e32 v21, v20, v18, vcc
	v_mul_f32_e32 v18, 0x3fb8aa3b, v6
	v_exp_f32_e32 v18, v18
	v_fma_f32 v20, -v22, v20, v4
	v_cmp_lt_f32_e32 vcc, 0, v20
	v_pk_add_f32 v[18:19], v[18:19], 1.0 op_sel_hi:[1,0]
	s_nop 0
	v_cndmask_b32_e32 v20, v21, v22, vcc
	v_cmp_gt_f32_e32 vcc, s13, v19
	v_mul_f32_e32 v21, 0x37800000, v20
	v_cndmask_b32_e64 v20, v20, v21, s[2:3]
	v_cndmask_b32_e32 v22, 1.0, v8, vcc
	v_mul_f32_e32 v19, v19, v22
	v_log_f32_e32 v19, v19
	v_cmp_class_f32_e64 s[2:3], v4, v17
	v_cmp_lt_f32_e64 s[4:5], |v19|, s12
	s_nop 0
	v_cndmask_b32_e64 v4, v20, v4, s[2:3]
	v_cmp_gt_f32_e64 s[2:3], s13, v18
	v_mul_f32_e32 v20, 0x3f317217, v19
	v_fma_f32 v20, v19, s11, -v20
	v_cndmask_b32_e64 v21, 1.0, v8, s[2:3]
	v_mul_f32_e32 v18, v18, v21
	v_log_f32_e32 v18, v18
	v_fmac_f32_e32 v20, 0x3377d1cf, v19
	v_fmac_f32_e32 v20, 0x3f317217, v19
	v_cndmask_b32_e64 v19, v19, v20, s[4:5]
	v_cndmask_b32_e32 v20, 0, v11, vcc
	v_sub_f32_e32 v19, v19, v20
	v_mul_f32_e32 v20, 0x3f317217, v18
	v_fma_f32 v20, v18, s11, -v20
	v_fmac_f32_e32 v20, 0x3377d1cf, v18
	v_fmac_f32_e32 v20, 0x3f317217, v18
	v_cmp_lt_f32_e64 vcc, |v18|, s12
	s_nop 1
	v_cndmask_b32_e32 v18, v18, v20, vcc
	v_cmp_lt_f32_e32 vcc, s9, v7
	v_cndmask_b32_e64 v20, 0, v11, s[2:3]
	v_sub_f32_e32 v18, v18, v20
	v_cndmask_b32_e32 v7, v19, v7, vcc
	v_mul_f32_e32 v19, 0x4f800000, v7
	v_cmp_gt_f32_e64 s[2:3], s10, v7
	v_cmp_lt_f32_e32 vcc, s9, v6
	s_nop 0
	v_cndmask_b32_e64 v7, v7, v19, s[2:3]
	v_sqrt_f32_e32 v19, v7
	v_cndmask_b32_e32 v6, v18, v6, vcc
	v_add_u32_e32 v18, -1, v19
	v_fma_f32 v20, -v18, v19, v7
	v_cmp_ge_f32_e32 vcc, 0, v20
	v_add_u32_e32 v20, 1, v19
	s_nop 0
	v_cndmask_b32_e32 v18, v19, v18, vcc
	v_fma_f32 v19, -v20, v19, v7
	v_cmp_lt_f32_e32 vcc, 0, v19
	s_nop 1
	v_cndmask_b32_e32 v18, v18, v20, vcc
	v_mul_f32_e32 v20, 0x4f800000, v6
	v_cmp_gt_f32_e32 vcc, s10, v6
	v_mul_f32_e32 v19, 0x37800000, v18
	v_cndmask_b32_e64 v18, v18, v19, s[2:3]
	v_cndmask_b32_e32 v6, v6, v20, vcc
	v_sqrt_f32_e32 v20, v6
	v_cmp_class_f32_e64 s[2:3], v7, v17
	v_add_u32_e32 v23, 1, v20
	s_nop 0
	v_cndmask_b32_e64 v7, v18, v7, s[2:3]
	v_add_u32_e32 v18, -1, v20
	v_fma_f32 v19, -v18, v20, v6
	v_cmp_ge_f32_e64 s[2:3], 0, v19
	v_fma_f32 v24, -v23, v20, v6
	s_nop 0
	v_cndmask_b32_e64 v22, v20, v18, s[2:3]
	scratch_load_dwordx2 v[18:19], off, off offset:64
	s_waitcnt vmcnt(1)
	v_mul_f32_e32 v20, 0x3fb8aa3b, v0
	v_mul_f32_e32 v21, 0x3fb8aa3b, v1
	v_exp_f32_e32 v20, v20
	v_exp_f32_e32 v21, v21
	v_cmp_lt_f32_e64 s[2:3], 0, v24
	v_pk_add_f32 v[20:21], v[20:21], 1.0 op_sel_hi:[1,0]
	s_nop 0
	v_cndmask_b32_e64 v22, v22, v23, s[2:3]
	v_mul_f32_e32 v23, 0x37800000, v22
	v_cndmask_b32_e32 v22, v22, v23, vcc
	v_cmp_gt_f32_e32 vcc, s13, v21
	v_cmp_class_f32_e64 s[2:3], v6, v17
	s_nop 0
	v_cndmask_b32_e32 v23, 1.0, v8, vcc
	v_mul_f32_e32 v21, v21, v23
	v_log_f32_e32 v21, v21
	v_cndmask_b32_e64 v6, v22, v6, s[2:3]
	v_cmp_gt_f32_e64 s[2:3], s13, v20
	scratch_store_dwordx4 off, v[4:7], off offset:32
	v_cmp_lt_f32_e64 s[4:5], |v21|, s12
	s_nop 0
	v_cndmask_b32_e64 v5, 1.0, v8, s[2:3]
	v_mul_f32_e32 v4, 0x3f317217, v21
	v_mul_f32_e32 v5, v20, v5
	v_fma_f32 v4, v21, s11, -v4
	v_log_f32_e32 v5, v5
	v_fmac_f32_e32 v4, 0x3377d1cf, v21
	v_fmac_f32_e32 v4, 0x3f317217, v21
	v_cndmask_b32_e64 v4, v21, v4, s[4:5]
	v_cndmask_b32_e32 v6, 0, v11, vcc
	v_sub_f32_e32 v4, v4, v6
	v_mul_f32_e32 v6, 0x3f317217, v5
	v_fma_f32 v6, v5, s11, -v6
	v_fmac_f32_e32 v6, 0x3377d1cf, v5
	v_fmac_f32_e32 v6, 0x3f317217, v5
	v_cmp_lt_f32_e64 vcc, |v5|, s12
	s_nop 1
	v_cndmask_b32_e32 v5, v5, v6, vcc
	v_cmp_lt_f32_e32 vcc, s9, v1
	v_cndmask_b32_e64 v6, 0, v11, s[2:3]
	v_sub_f32_e32 v5, v5, v6
	v_cndmask_b32_e32 v1, v4, v1, vcc
	v_mul_f32_e32 v4, 0x4f800000, v1
	v_cmp_gt_f32_e32 vcc, s10, v1
	v_cmp_lt_f32_e64 s[2:3], s9, v0
	s_nop 0
	v_cndmask_b32_e32 v1, v1, v4, vcc
	v_sqrt_f32_e32 v4, v1
	v_cndmask_b32_e64 v0, v5, v0, s[2:3]
	v_add_u32_e32 v5, -1, v4
	v_fma_f32 v6, -v5, v4, v1
	v_cmp_ge_f32_e64 s[2:3], 0, v6
	v_add_u32_e32 v6, 1, v4
	s_nop 0
	v_cndmask_b32_e64 v5, v4, v5, s[2:3]
	v_fma_f32 v4, -v6, v4, v1
	v_cmp_lt_f32_e64 s[2:3], 0, v4
	s_nop 1
	v_cndmask_b32_e64 v4, v5, v6, s[2:3]
	v_mul_f32_e32 v6, 0x4f800000, v0
	v_cmp_gt_f32_e64 s[2:3], s10, v0
	v_mul_f32_e32 v5, 0x37800000, v4
	v_cndmask_b32_e32 v4, v4, v5, vcc
	v_cndmask_b32_e64 v0, v0, v6, s[2:3]
	v_sqrt_f32_e32 v6, v0
	v_cmp_class_f32_e32 vcc, v1, v17
	v_add_u32_e32 v20, 1, v6
	s_nop 0
	v_cndmask_b32_e32 v1, v4, v1, vcc
	v_add_u32_e32 v4, -1, v6
	v_fma_f32 v5, -v4, v6, v0
	v_cmp_ge_f32_e32 vcc, 0, v5
	v_mul_f32_e32 v5, 0x3fb8aa3b, v3
	v_exp_f32_e32 v5, v5
	v_cndmask_b32_e32 v7, v6, v4, vcc
	v_mul_f32_e32 v4, 0x3fb8aa3b, v2
	v_exp_f32_e32 v4, v4
	v_fma_f32 v6, -v20, v6, v0
	v_cmp_lt_f32_e32 vcc, 0, v6
	v_pk_add_f32 v[4:5], v[4:5], 1.0 op_sel_hi:[1,0]
	s_nop 0
	v_cndmask_b32_e32 v6, v7, v20, vcc
	v_cmp_gt_f32_e32 vcc, s13, v5
	v_mul_f32_e32 v7, 0x37800000, v6
	v_cndmask_b32_e64 v6, v6, v7, s[2:3]
	v_cndmask_b32_e32 v20, 1.0, v8, vcc
	v_mul_f32_e32 v5, v5, v20
	v_log_f32_e32 v5, v5
	v_cmp_class_f32_e64 s[2:3], v0, v17
	v_cmp_lt_f32_e64 s[4:5], |v5|, s12
	s_nop 0
	v_cndmask_b32_e64 v0, v6, v0, s[2:3]
	v_cmp_gt_f32_e64 s[2:3], s13, v4
	v_mul_f32_e32 v6, 0x3f317217, v5
	v_fma_f32 v6, v5, s11, -v6
	v_cndmask_b32_e64 v7, 1.0, v8, s[2:3]
	v_mul_f32_e32 v4, v4, v7
	v_log_f32_e32 v4, v4
	v_fmac_f32_e32 v6, 0x3377d1cf, v5
	v_fmac_f32_e32 v6, 0x3f317217, v5
	v_cndmask_b32_e64 v5, v5, v6, s[4:5]
	v_cndmask_b32_e32 v6, 0, v11, vcc
	v_sub_f32_e32 v5, v5, v6
	v_mul_f32_e32 v6, 0x3f317217, v4
	v_fma_f32 v6, v4, s11, -v6
	v_fmac_f32_e32 v6, 0x3377d1cf, v4
	v_fmac_f32_e32 v6, 0x3f317217, v4
	v_cmp_lt_f32_e64 vcc, |v4|, s12
	s_nop 1
	v_cndmask_b32_e32 v4, v4, v6, vcc
	v_cmp_lt_f32_e32 vcc, s9, v3
	v_cndmask_b32_e64 v6, 0, v11, s[2:3]
	v_sub_f32_e32 v4, v4, v6
	v_cndmask_b32_e32 v3, v5, v3, vcc
	v_mul_f32_e32 v5, 0x4f800000, v3
	v_cmp_gt_f32_e32 vcc, s10, v3
	v_cmp_lt_f32_e64 s[2:3], s9, v2
	s_nop 0
	v_cndmask_b32_e32 v3, v3, v5, vcc
	v_sqrt_f32_e32 v5, v3
	v_cndmask_b32_e64 v2, v4, v2, s[2:3]
	v_add_u32_e32 v4, -1, v5
	v_fma_f32 v6, -v4, v5, v3
	v_cmp_ge_f32_e64 s[2:3], 0, v6
	v_add_u32_e32 v6, 1, v5
	s_nop 0
	v_cndmask_b32_e64 v4, v5, v4, s[2:3]
	v_fma_f32 v5, -v6, v5, v3
	v_cmp_lt_f32_e64 s[2:3], 0, v5
	s_nop 1
	v_cndmask_b32_e64 v4, v4, v6, s[2:3]
	v_mul_f32_e32 v6, 0x4f800000, v2
	v_cmp_gt_f32_e64 s[2:3], s10, v2
	v_mul_f32_e32 v5, 0x37800000, v4
	v_cndmask_b32_e32 v4, v4, v5, vcc
	v_cndmask_b32_e64 v2, v2, v6, s[2:3]
	v_sqrt_f32_e32 v6, v2
	v_cmp_class_f32_e32 vcc, v3, v17
	v_add_u32_e32 v20, 1, v6
	s_nop 0
	v_cndmask_b32_e32 v3, v4, v3, vcc
	v_add_u32_e32 v4, -1, v6
	v_fma_f32 v5, -v4, v6, v2
	v_cmp_ge_f32_e32 vcc, 0, v5
	s_waitcnt vmcnt(1)
	v_mul_f32_e32 v5, 0x3fb8aa3b, v19
	v_exp_f32_e32 v5, v5
	v_cndmask_b32_e32 v7, v6, v4, vcc
	v_mul_f32_e32 v4, 0x3fb8aa3b, v18
	v_exp_f32_e32 v4, v4
	v_fma_f32 v6, -v20, v6, v2
	v_cmp_lt_f32_e32 vcc, 0, v6
	v_pk_add_f32 v[4:5], v[4:5], 1.0 op_sel_hi:[1,0]
	s_nop 0
	v_cndmask_b32_e32 v6, v7, v20, vcc
	v_mul_f32_e32 v7, 0x37800000, v6
	v_cmp_gt_f32_e32 vcc, s13, v5
	v_cndmask_b32_e64 v6, v6, v7, s[2:3]
	v_cmp_class_f32_e64 s[2:3], v2, v17
	v_cndmask_b32_e32 v7, 1.0, v8, vcc
	v_mul_f32_e32 v5, v5, v7
	v_log_f32_e32 v5, v5
	v_cndmask_b32_e64 v2, v6, v2, s[2:3]
	v_cmp_gt_f32_e64 s[2:3], s13, v4
	scratch_store_dwordx4 off, v[0:3], off offset:48
	v_cmp_lt_f32_e64 s[4:5], |v5|, s12
	s_nop 0
	v_cndmask_b32_e64 v1, 1.0, v8, s[2:3]
	v_mul_f32_e32 v0, 0x3f317217, v5
	v_mul_f32_e32 v1, v4, v1
	v_fma_f32 v0, v5, s11, -v0
	v_log_f32_e32 v1, v1
	v_fmac_f32_e32 v0, 0x3377d1cf, v5
	v_fmac_f32_e32 v0, 0x3f317217, v5
	v_cndmask_b32_e64 v0, v5, v0, s[4:5]
	v_cndmask_b32_e32 v2, 0, v11, vcc
	v_sub_f32_e32 v0, v0, v2
	v_mul_f32_e32 v2, 0x3f317217, v1
	v_fma_f32 v2, v1, s11, -v2
	v_fmac_f32_e32 v2, 0x3377d1cf, v1
	v_fmac_f32_e32 v2, 0x3f317217, v1
	v_cmp_lt_f32_e64 vcc, |v1|, s12
	s_cselect_b64 s[4:5], -1, 0
	s_cmp_lt_i32 s33, 1
	v_cndmask_b32_e32 v1, v1, v2, vcc
	v_cmp_lt_f32_e32 vcc, s9, v19
	v_cndmask_b32_e64 v2, 0, v11, s[2:3]
	v_sub_f32_e32 v1, v1, v2
	v_cndmask_b32_e32 v0, v0, v19, vcc
	v_mul_f32_e32 v3, 0x4f800000, v0
	v_cmp_gt_f32_e32 vcc, s10, v0
	v_cmp_lt_f32_e64 s[2:3], s9, v18
	s_nop 0
	v_cndmask_b32_e32 v0, v0, v3, vcc
	v_sqrt_f32_e32 v3, v0
	v_cndmask_b32_e64 v1, v1, v18, s[2:3]
	v_add_u32_e32 v2, -1, v3
	v_fma_f32 v4, -v2, v3, v0
	v_cmp_ge_f32_e64 s[2:3], 0, v4
	v_add_u32_e32 v4, 1, v3
	s_nop 0
	v_cndmask_b32_e64 v2, v3, v2, s[2:3]
	v_fma_f32 v3, -v4, v3, v0
	v_cmp_lt_f32_e64 s[2:3], 0, v3
	s_nop 1
	v_cndmask_b32_e64 v2, v2, v4, s[2:3]
	v_mul_f32_e32 v4, 0x4f800000, v1
	v_cmp_gt_f32_e64 s[2:3], s10, v1
	v_mul_f32_e32 v3, 0x37800000, v2
	s_nop 0
	v_cndmask_b32_e64 v4, v1, v4, s[2:3]
	v_sqrt_f32_e32 v5, v4
	v_cndmask_b32_e32 v1, v2, v3, vcc
	v_cmp_class_f32_e32 vcc, v0, v17
	s_nop 1
	v_cndmask_b32_e32 v1, v1, v0, vcc
	v_add_u32_e32 v0, -1, v5
	v_fma_f32 v2, -v0, v5, v4
	v_cmp_ge_f32_e32 vcc, 0, v2
	v_add_u32_e32 v2, 1, v5
	v_fma_f32 v3, -v2, v5, v4
	v_cndmask_b32_e32 v0, v5, v0, vcc
	v_cmp_lt_f32_e32 vcc, 0, v3
	s_nop 1
	v_cndmask_b32_e32 v0, v0, v2, vcc
	v_mul_f32_e32 v2, 0x37800000, v0
	v_cndmask_b32_e64 v0, v0, v2, s[2:3]
	v_cmp_class_f32_e32 vcc, v4, v17
	v_mul_lo_u32 v2, v10, s33
	s_nop 0
	v_cndmask_b32_e32 v0, v0, v4, vcc
	scratch_store_dwordx2 off, v[0:1], off offset:64
	v_lshl_add_u64 v[0:1], v[14:15], 2, v[12:13]
	s_cbranch_scc1 .LBB418_28
; %bb.2:
	s_load_dwordx2 s[6:7], s[0:1], 0x20
	s_cmp_lt_u32 s33, 4
	v_mul_lo_u32 v4, v10, s33
	s_cbranch_scc1 .LBB418_21
; %bb.3:
	s_mov_b32 s11, 0
	s_and_b32 s8, s33, 0x7ffffffc
	v_ashrrev_i32_e32 v5, 31, v4
	v_mov_b32_e32 v9, 0
	s_mov_b32 s10, s11
	s_branch .LBB418_5
.LBB418_4:                              ;   in Loop: Header=BB418_5 Depth=1
	s_or_b64 exec, exec, s[12:13]
	s_add_i32 s10, s10, 4
	s_cmp_eq_u32 s10, s8
	s_cbranch_scc1 .LBB418_21
.LBB418_5:                              ; =>This Loop Header: Depth=1
                                        ;     Child Loop BB418_7 Depth 2
                                        ;     Child Loop BB418_11 Depth 2
	;; [unrolled: 1-line block ×4, first 2 shown]
	v_lshl_add_u64 v[6:7], s[10:11], 2, v[0:1]
	global_load_dword v3, v[6:7], off
	v_add_u32_e32 v10, s10, v4
	v_ashrrev_i32_e32 v11, 31, v10
	s_waitcnt lgkmcnt(0)
	v_lshl_add_u64 v[10:11], v[10:11], 2, s[6:7]
	v_mov_b32_e32 v8, 0
	s_mov_b64 s[12:13], 0
	v_mov_b32_e32 v12, v16
	s_mov_b32 s9, 0
	s_branch .LBB418_7
.LBB418_6:                              ;   in Loop: Header=BB418_7 Depth=2
	s_or_b64 exec, exec, s[14:15]
	s_add_i32 s16, s9, 1
	s_cmp_gt_u32 s9, 16
	s_cselect_b64 s[2:3], -1, 0
	s_xor_b64 s[14:15], vcc, -1
	s_or_b64 s[2:3], s[14:15], s[2:3]
	s_and_b64 s[2:3], exec, s[2:3]
	v_add_u32_e32 v12, 32, v12
	v_add_u32_e32 v8, 4, v8
	s_or_b64 s[12:13], s[2:3], s[12:13]
	s_mov_b32 s9, s16
	s_andn2_b64 exec, exec, s[12:13]
	s_cbranch_execz .LBB418_9
.LBB418_7:                              ;   Parent Loop BB418_5 Depth=1
                                        ; =>  This Inner Loop Header: Depth=2
	s_waitcnt vmcnt(0)
	v_cmp_ne_u32_e32 vcc, v3, v12
	v_cmp_eq_u32_e64 s[2:3], v3, v12
	s_and_saveexec_b64 s[14:15], s[2:3]
	s_cbranch_execz .LBB418_6
; %bb.8:                                ;   in Loop: Header=BB418_7 Depth=2
	scratch_load_dword v13, v8, off
	s_waitcnt vmcnt(0)
	v_add_f32_e32 v9, v9, v13
	global_store_dword v[10:11], v3, off
	s_branch .LBB418_6
.LBB418_9:                              ;   in Loop: Header=BB418_5 Depth=1
	s_or_b64 exec, exec, s[12:13]
	global_load_dword v3, v[6:7], off offset:4
	s_ashr_i32 s3, s10, 31
	s_mov_b32 s2, s10
	v_lshl_add_u64 v[10:11], s[2:3], 0, v[4:5]
	v_lshl_add_u64 v[10:11], v[10:11], 2, s[6:7]
	v_mov_b32_e32 v8, 0
	s_mov_b32 s9, 0
	s_mov_b64 s[12:13], 0
	v_mov_b32_e32 v12, v16
	s_branch .LBB418_11
.LBB418_10:                             ;   in Loop: Header=BB418_11 Depth=2
	s_or_b64 exec, exec, s[14:15]
	s_add_i32 s16, s9, 1
	s_cmp_gt_u32 s9, 16
	s_cselect_b64 s[2:3], -1, 0
	s_xor_b64 s[14:15], vcc, -1
	s_or_b64 s[2:3], s[14:15], s[2:3]
	s_and_b64 s[2:3], exec, s[2:3]
	v_add_u32_e32 v8, 4, v8
	v_add_u32_e32 v12, 32, v12
	s_or_b64 s[12:13], s[2:3], s[12:13]
	s_mov_b32 s9, s16
	s_andn2_b64 exec, exec, s[12:13]
	s_cbranch_execz .LBB418_13
.LBB418_11:                             ;   Parent Loop BB418_5 Depth=1
                                        ; =>  This Inner Loop Header: Depth=2
	s_waitcnt vmcnt(0)
	v_cmp_ne_u32_e32 vcc, v3, v12
	v_cmp_eq_u32_e64 s[2:3], v3, v12
	s_and_saveexec_b64 s[14:15], s[2:3]
	s_cbranch_execz .LBB418_10
; %bb.12:                               ;   in Loop: Header=BB418_11 Depth=2
	scratch_load_dword v13, v8, off
	s_waitcnt vmcnt(0)
	v_add_f32_e32 v9, v9, v13
	global_store_dword v[10:11], v3, off offset:4
	s_branch .LBB418_10
.LBB418_13:                             ;   in Loop: Header=BB418_5 Depth=1
	s_or_b64 exec, exec, s[12:13]
	global_load_dword v3, v[6:7], off offset:8
	v_mov_b32_e32 v8, 0
	s_mov_b32 s9, 0
	s_mov_b64 s[12:13], 0
	v_mov_b32_e32 v12, v16
	s_branch .LBB418_15
.LBB418_14:                             ;   in Loop: Header=BB418_15 Depth=2
	s_or_b64 exec, exec, s[14:15]
	s_add_i32 s16, s9, 1
	s_cmp_gt_u32 s9, 16
	s_cselect_b64 s[2:3], -1, 0
	s_xor_b64 s[14:15], vcc, -1
	s_or_b64 s[2:3], s[14:15], s[2:3]
	s_and_b64 s[2:3], exec, s[2:3]
	v_add_u32_e32 v8, 4, v8
	v_add_u32_e32 v12, 32, v12
	s_or_b64 s[12:13], s[2:3], s[12:13]
	s_mov_b32 s9, s16
	s_andn2_b64 exec, exec, s[12:13]
	s_cbranch_execz .LBB418_17
.LBB418_15:                             ;   Parent Loop BB418_5 Depth=1
                                        ; =>  This Inner Loop Header: Depth=2
	s_waitcnt vmcnt(0)
	v_cmp_ne_u32_e32 vcc, v3, v12
	v_cmp_eq_u32_e64 s[2:3], v3, v12
	s_and_saveexec_b64 s[14:15], s[2:3]
	s_cbranch_execz .LBB418_14
; %bb.16:                               ;   in Loop: Header=BB418_15 Depth=2
	scratch_load_dword v13, v8, off
	s_waitcnt vmcnt(0)
	v_add_f32_e32 v9, v9, v13
	global_store_dword v[10:11], v3, off offset:8
	s_branch .LBB418_14
.LBB418_17:                             ;   in Loop: Header=BB418_5 Depth=1
	s_or_b64 exec, exec, s[12:13]
	global_load_dword v3, v[6:7], off offset:12
	v_mov_b32_e32 v6, 0
	s_mov_b32 s9, 0
	s_mov_b64 s[12:13], 0
	v_mov_b32_e32 v7, v16
	s_branch .LBB418_19
.LBB418_18:                             ;   in Loop: Header=BB418_19 Depth=2
	s_or_b64 exec, exec, s[14:15]
	s_add_i32 s16, s9, 1
	s_cmp_gt_u32 s9, 16
	s_cselect_b64 s[2:3], -1, 0
	s_xor_b64 s[14:15], vcc, -1
	s_or_b64 s[2:3], s[14:15], s[2:3]
	s_and_b64 s[2:3], exec, s[2:3]
	v_add_u32_e32 v6, 4, v6
	v_add_u32_e32 v7, 32, v7
	s_or_b64 s[12:13], s[2:3], s[12:13]
	s_mov_b32 s9, s16
	s_andn2_b64 exec, exec, s[12:13]
	s_cbranch_execz .LBB418_4
.LBB418_19:                             ;   Parent Loop BB418_5 Depth=1
                                        ; =>  This Inner Loop Header: Depth=2
	s_waitcnt vmcnt(0)
	v_cmp_ne_u32_e32 vcc, v3, v7
	v_cmp_eq_u32_e64 s[2:3], v3, v7
	s_and_saveexec_b64 s[14:15], s[2:3]
	s_cbranch_execz .LBB418_18
; %bb.20:                               ;   in Loop: Header=BB418_19 Depth=2
	scratch_load_dword v8, v6, off
	s_waitcnt vmcnt(0)
	v_add_f32_e32 v9, v9, v8
	global_store_dword v[10:11], v3, off offset:12
	s_branch .LBB418_18
.LBB418_21:
	s_and_b32 s14, s33, 3
	s_cmp_eq_u32 s14, 0
	s_mov_b32 s9, 0
	s_cbranch_scc1 .LBB418_28
; %bb.22:
	s_mov_b32 s15, s9
	s_branch .LBB418_24
.LBB418_23:                             ;   in Loop: Header=BB418_24 Depth=1
	s_or_b64 exec, exec, s[10:11]
	s_add_i32 s8, s8, 1
	s_add_i32 s15, s15, 1
	s_cmp_lg_u32 s15, s14
	s_cbranch_scc0 .LBB418_28
.LBB418_24:                             ; =>This Loop Header: Depth=1
                                        ;     Child Loop BB418_26 Depth 2
	v_lshl_add_u64 v[6:7], s[8:9], 2, v[0:1]
	global_load_dword v3, v[6:7], off
	v_add_u32_e32 v6, s8, v4
	v_ashrrev_i32_e32 v7, 31, v6
	s_waitcnt lgkmcnt(0)
	v_lshl_add_u64 v[6:7], v[6:7], 2, s[6:7]
	v_mov_b32_e32 v5, 0
	s_mov_b32 s16, 0
	s_mov_b64 s[10:11], 0
	v_mov_b32_e32 v8, v16
	s_branch .LBB418_26
.LBB418_25:                             ;   in Loop: Header=BB418_26 Depth=2
	s_or_b64 exec, exec, s[12:13]
	s_add_i32 s17, s16, 1
	s_cmp_gt_u32 s16, 16
	s_cselect_b64 s[2:3], -1, 0
	s_xor_b64 s[12:13], vcc, -1
	s_or_b64 s[2:3], s[12:13], s[2:3]
	s_and_b64 s[2:3], exec, s[2:3]
	v_add_u32_e32 v5, 4, v5
	v_add_u32_e32 v8, 32, v8
	s_or_b64 s[10:11], s[2:3], s[10:11]
	s_mov_b32 s16, s17
	s_andn2_b64 exec, exec, s[10:11]
	s_cbranch_execz .LBB418_23
.LBB418_26:                             ;   Parent Loop BB418_24 Depth=1
                                        ; =>  This Inner Loop Header: Depth=2
	s_waitcnt vmcnt(0)
	v_cmp_ne_u32_e32 vcc, v3, v8
	v_cmp_eq_u32_e64 s[2:3], v3, v8
	s_and_saveexec_b64 s[12:13], s[2:3]
	s_cbranch_execz .LBB418_25
; %bb.27:                               ;   in Loop: Header=BB418_26 Depth=2
	scratch_load_dword v10, v5, off
	s_waitcnt vmcnt(0)
	v_add_f32_e32 v9, v9, v10
	global_store_dword v[6:7], v3, off
	s_branch .LBB418_25
.LBB418_28:
	s_waitcnt lgkmcnt(0)
	s_load_dword s6, s[0:1], 0x3c
	s_waitcnt lgkmcnt(0)
	s_bitcmp1_b32 s6, 0
	s_cselect_b64 s[2:3], -1, 0
	s_bitcmp0_b32 s6, 0
	s_cbranch_scc0 .LBB418_31
; %bb.29:
	s_load_dwordx2 s[6:7], s[0:1], 0x40
	s_andn2_b64 vcc, exec, s[2:3]
	s_waitcnt lgkmcnt(0)
	v_cvt_f32_f64_e32 v4, s[6:7]
	s_cbranch_vccz .LBB418_32
.LBB418_30:
	s_andn2_b64 vcc, exec, s[4:5]
	s_cbranch_vccz .LBB418_33
	s_branch .LBB418_71
.LBB418_31:
	v_mbcnt_lo_u32_b32 v3, -1, 0
	v_mbcnt_hi_u32_b32 v3, -1, v3
	v_and_b32_e32 v4, 0x60, v3
	v_add_u32_e32 v4, 32, v4
	v_xor_b32_e32 v5, 16, v3
	v_cmp_lt_i32_e32 vcc, v5, v4
	v_xor_b32_e32 v6, 8, v3
	v_xor_b32_e32 v7, 4, v3
	v_cndmask_b32_e32 v5, v3, v5, vcc
	v_lshlrev_b32_e32 v5, 2, v5
	ds_bpermute_b32 v5, v5, v9
	v_cmp_lt_i32_e32 vcc, v6, v4
	s_waitcnt lgkmcnt(0)
	v_add_f32_e32 v5, v9, v5
	v_cndmask_b32_e32 v6, v3, v6, vcc
	v_lshlrev_b32_e32 v6, 2, v6
	ds_bpermute_b32 v6, v6, v5
	v_cmp_lt_i32_e32 vcc, v7, v4
	s_waitcnt lgkmcnt(0)
	v_add_f32_e32 v5, v5, v6
	v_cndmask_b32_e32 v6, v3, v7, vcc
	v_lshlrev_b32_e32 v6, 2, v6
	ds_bpermute_b32 v6, v6, v5
	v_xor_b32_e32 v7, 2, v3
	v_cmp_lt_i32_e32 vcc, v7, v4
	s_waitcnt lgkmcnt(0)
	v_add_f32_e32 v5, v5, v6
	v_cndmask_b32_e32 v6, v3, v7, vcc
	v_lshlrev_b32_e32 v6, 2, v6
	ds_bpermute_b32 v6, v6, v5
	v_xor_b32_e32 v7, 1, v3
	v_cmp_lt_i32_e32 vcc, v7, v4
	s_waitcnt lgkmcnt(0)
	v_add_f32_e32 v5, v5, v6
	v_cndmask_b32_e32 v3, v3, v7, vcc
	v_lshlrev_b32_e32 v3, 2, v3
	ds_bpermute_b32 v3, v3, v5
	s_waitcnt lgkmcnt(0)
	v_add_f32_e32 v9, v5, v3
	s_load_dwordx2 s[6:7], s[0:1], 0x40
	s_andn2_b64 vcc, exec, s[2:3]
	s_waitcnt lgkmcnt(0)
	v_cvt_f32_f64_e32 v4, s[6:7]
	s_cbranch_vccnz .LBB418_30
.LBB418_32:
	v_cmp_lt_f32_e32 vcc, 0, v9
	s_nop 1
	v_cndmask_b32_e32 v3, 1.0, v9, vcc
	v_div_scale_f32 v5, s[2:3], v3, v3, v4
	v_rcp_f32_e32 v6, v5
	s_nop 0
	v_fma_f32 v7, -v5, v6, 1.0
	v_fmac_f32_e32 v6, v7, v6
	v_div_scale_f32 v7, vcc, v4, v3, v4
	v_mul_f32_e32 v8, v7, v6
	v_fma_f32 v9, -v5, v8, v7
	v_fmac_f32_e32 v8, v9, v6
	v_fma_f32 v5, -v5, v8, v7
	v_div_fmas_f32 v5, v5, v6, v8
	v_div_fixup_f32 v4, v5, v3, v4
	s_andn2_b64 vcc, exec, s[4:5]
	s_cbranch_vccnz .LBB418_71
.LBB418_33:
	s_load_dwordx2 s[34:35], s[0:1], 0x10
	v_mov_b32_e32 v3, 0
	v_or_b32_e32 v5, 4, v3
	v_or_b32_e32 v6, 8, v3
	v_or_b32_e32 v7, 12, v3
	v_add_u32_e32 v8, 16, v3
	v_add_u32_e32 v9, 20, v3
	v_add_u32_e32 v10, 24, v3
	v_add_u32_e32 v11, 28, v3
	v_add_u32_e32 v12, 32, v3
	v_add_u32_e32 v13, 36, v3
	v_add_u32_e32 v14, 40, v3
	v_add_u32_e32 v15, 44, v3
	v_add_u32_e32 v17, 48, v3
	v_add_u32_e32 v18, 52, v3
	v_add_u32_e32 v19, 56, v3
	v_add_u32_e32 v20, 60, v3
	v_add_u32_e32 v21, 64, v3
	v_add_u32_e32 v22, 0x44, v3
	v_or_b32_e32 v23, 32, v16
	v_or_b32_e32 v24, 64, v16
	;; [unrolled: 1-line block ×17, first 2 shown]
	s_branch .LBB418_35
.LBB418_34:                             ;   in Loop: Header=BB418_35 Depth=1
	s_or_b64 exec, exec, s[0:1]
	s_add_i32 s33, s33, -1
	v_add_u32_e32 v2, 1, v2
	s_cmp_eq_u32 s33, 0
	v_lshl_add_u64 v[0:1], v[0:1], 0, 4
	s_cbranch_scc1 .LBB418_71
.LBB418_35:                             ; =>This Inner Loop Header: Depth=1
	global_load_dword v40, v[0:1], off
	v_mov_b32_e32 v3, 0
	s_waitcnt vmcnt(0)
	v_cmp_eq_u32_e32 vcc, v40, v16
	v_cmp_ne_u32_e64 s[0:1], v40, v16
	s_and_saveexec_b64 s[36:37], s[0:1]
	s_cbranch_execz .LBB418_69
; %bb.36:                               ;   in Loop: Header=BB418_35 Depth=1
	v_cmp_eq_u32_e64 s[0:1], v40, v23
	v_cmp_ne_u32_e64 s[2:3], v40, v23
	v_mov_b32_e32 v3, v5
	s_and_saveexec_b64 s[38:39], s[2:3]
	s_cbranch_execz .LBB418_68
; %bb.37:                               ;   in Loop: Header=BB418_35 Depth=1
	v_cmp_eq_u32_e64 s[2:3], v40, v24
	v_cmp_ne_u32_e64 s[4:5], v40, v24
	v_mov_b32_e32 v3, v6
	s_and_saveexec_b64 s[40:41], s[4:5]
	s_cbranch_execz .LBB418_67
; %bb.38:                               ;   in Loop: Header=BB418_35 Depth=1
	v_cmp_eq_u32_e64 s[4:5], v40, v25
	v_cmp_ne_u32_e64 s[6:7], v40, v25
	v_mov_b32_e32 v3, v7
	s_and_saveexec_b64 s[42:43], s[6:7]
	s_cbranch_execz .LBB418_66
; %bb.39:                               ;   in Loop: Header=BB418_35 Depth=1
	v_cmp_eq_u32_e64 s[6:7], v40, v26
	v_cmp_ne_u32_e64 s[8:9], v40, v26
	v_mov_b32_e32 v3, v8
	s_and_saveexec_b64 s[44:45], s[8:9]
	s_cbranch_execz .LBB418_65
; %bb.40:                               ;   in Loop: Header=BB418_35 Depth=1
	v_cmp_eq_u32_e64 s[8:9], v40, v27
	v_cmp_ne_u32_e64 s[10:11], v40, v27
	v_mov_b32_e32 v3, v9
	s_and_saveexec_b64 s[46:47], s[10:11]
	s_cbranch_execz .LBB418_64
; %bb.41:                               ;   in Loop: Header=BB418_35 Depth=1
	v_cmp_eq_u32_e64 s[10:11], v40, v28
	v_cmp_ne_u32_e64 s[12:13], v40, v28
	v_mov_b32_e32 v3, v10
	s_and_saveexec_b64 s[48:49], s[12:13]
	s_cbranch_execz .LBB418_63
; %bb.42:                               ;   in Loop: Header=BB418_35 Depth=1
	v_cmp_eq_u32_e64 s[12:13], v40, v29
	v_cmp_ne_u32_e64 s[14:15], v40, v29
	v_mov_b32_e32 v3, v11
	s_and_saveexec_b64 s[50:51], s[14:15]
	s_cbranch_execz .LBB418_62
; %bb.43:                               ;   in Loop: Header=BB418_35 Depth=1
	v_cmp_eq_u32_e64 s[14:15], v40, v30
	v_cmp_ne_u32_e64 s[16:17], v40, v30
	v_mov_b32_e32 v3, v12
	s_and_saveexec_b64 s[52:53], s[16:17]
	s_cbranch_execz .LBB418_61
; %bb.44:                               ;   in Loop: Header=BB418_35 Depth=1
	v_cmp_eq_u32_e64 s[16:17], v40, v31
	v_cmp_ne_u32_e64 s[18:19], v40, v31
	v_mov_b32_e32 v3, v13
	s_and_saveexec_b64 s[54:55], s[18:19]
	s_cbranch_execz .LBB418_60
; %bb.45:                               ;   in Loop: Header=BB418_35 Depth=1
	v_cmp_eq_u32_e64 s[18:19], v40, v32
	v_cmp_ne_u32_e64 s[20:21], v40, v32
	v_mov_b32_e32 v3, v14
	s_and_saveexec_b64 s[56:57], s[20:21]
	s_cbranch_execz .LBB418_59
; %bb.46:                               ;   in Loop: Header=BB418_35 Depth=1
	v_cmp_eq_u32_e64 s[20:21], v40, v33
	v_cmp_ne_u32_e64 s[22:23], v40, v33
	v_mov_b32_e32 v3, v15
	s_and_saveexec_b64 s[58:59], s[22:23]
	s_cbranch_execz .LBB418_58
; %bb.47:                               ;   in Loop: Header=BB418_35 Depth=1
	v_cmp_eq_u32_e64 s[22:23], v40, v34
	v_cmp_ne_u32_e64 s[24:25], v40, v34
	v_mov_b32_e32 v3, v17
	s_and_saveexec_b64 s[60:61], s[24:25]
	s_cbranch_execz .LBB418_57
; %bb.48:                               ;   in Loop: Header=BB418_35 Depth=1
	v_cmp_eq_u32_e64 s[24:25], v40, v35
	v_cmp_ne_u32_e64 s[26:27], v40, v35
	v_mov_b32_e32 v3, v18
	s_and_saveexec_b64 s[62:63], s[26:27]
	s_cbranch_execz .LBB418_56
; %bb.49:                               ;   in Loop: Header=BB418_35 Depth=1
	v_cmp_eq_u32_e64 s[26:27], v40, v36
	v_cmp_ne_u32_e64 s[28:29], v40, v36
	v_mov_b32_e32 v3, v19
	s_and_saveexec_b64 s[64:65], s[28:29]
	s_cbranch_execz .LBB418_55
; %bb.50:                               ;   in Loop: Header=BB418_35 Depth=1
	v_cmp_eq_u32_e64 s[28:29], v40, v37
	v_cmp_ne_u32_e64 s[30:31], v40, v37
	v_mov_b32_e32 v3, v20
	s_and_saveexec_b64 s[66:67], s[30:31]
	s_cbranch_execz .LBB418_54
; %bb.51:                               ;   in Loop: Header=BB418_35 Depth=1
	v_cmp_eq_u32_e64 s[68:69], v40, v38
	v_cmp_ne_u32_e64 s[30:31], v40, v38
	v_mov_b32_e32 v3, v21
	s_and_saveexec_b64 s[70:71], s[30:31]
	s_xor_b64 s[70:71], exec, s[70:71]
; %bb.52:                               ;   in Loop: Header=BB418_35 Depth=1
	v_cmp_eq_u32_e64 s[30:31], v40, v39
	s_andn2_b64 s[68:69], s[68:69], exec
	s_and_b64 s[30:31], s[30:31], exec
	s_or_b64 s[68:69], s[68:69], s[30:31]
	v_mov_b32_e32 v3, v22
; %bb.53:                               ;   in Loop: Header=BB418_35 Depth=1
	s_or_b64 exec, exec, s[70:71]
	s_andn2_b64 s[28:29], s[28:29], exec
	s_and_b64 s[30:31], s[68:69], exec
	s_or_b64 s[28:29], s[28:29], s[30:31]
.LBB418_54:                             ;   in Loop: Header=BB418_35 Depth=1
	s_or_b64 exec, exec, s[66:67]
	s_andn2_b64 s[26:27], s[26:27], exec
	s_and_b64 s[28:29], s[28:29], exec
	s_or_b64 s[26:27], s[26:27], s[28:29]
.LBB418_55:                             ;   in Loop: Header=BB418_35 Depth=1
	s_or_b64 exec, exec, s[64:65]
	s_andn2_b64 s[24:25], s[24:25], exec
	s_and_b64 s[26:27], s[26:27], exec
	s_or_b64 s[24:25], s[24:25], s[26:27]
.LBB418_56:                             ;   in Loop: Header=BB418_35 Depth=1
	s_or_b64 exec, exec, s[62:63]
	s_andn2_b64 s[22:23], s[22:23], exec
	s_and_b64 s[24:25], s[24:25], exec
	s_or_b64 s[22:23], s[22:23], s[24:25]
.LBB418_57:                             ;   in Loop: Header=BB418_35 Depth=1
	s_or_b64 exec, exec, s[60:61]
	s_andn2_b64 s[20:21], s[20:21], exec
	s_and_b64 s[22:23], s[22:23], exec
	s_or_b64 s[20:21], s[20:21], s[22:23]
.LBB418_58:                             ;   in Loop: Header=BB418_35 Depth=1
	s_or_b64 exec, exec, s[58:59]
	s_andn2_b64 s[18:19], s[18:19], exec
	s_and_b64 s[20:21], s[20:21], exec
	s_or_b64 s[18:19], s[18:19], s[20:21]
.LBB418_59:                             ;   in Loop: Header=BB418_35 Depth=1
	s_or_b64 exec, exec, s[56:57]
	s_andn2_b64 s[16:17], s[16:17], exec
	s_and_b64 s[18:19], s[18:19], exec
	s_or_b64 s[16:17], s[16:17], s[18:19]
.LBB418_60:                             ;   in Loop: Header=BB418_35 Depth=1
	s_or_b64 exec, exec, s[54:55]
	s_andn2_b64 s[14:15], s[14:15], exec
	s_and_b64 s[16:17], s[16:17], exec
	s_or_b64 s[14:15], s[14:15], s[16:17]
.LBB418_61:                             ;   in Loop: Header=BB418_35 Depth=1
	s_or_b64 exec, exec, s[52:53]
	s_andn2_b64 s[12:13], s[12:13], exec
	s_and_b64 s[14:15], s[14:15], exec
	s_or_b64 s[12:13], s[12:13], s[14:15]
.LBB418_62:                             ;   in Loop: Header=BB418_35 Depth=1
	s_or_b64 exec, exec, s[50:51]
	s_andn2_b64 s[10:11], s[10:11], exec
	s_and_b64 s[12:13], s[12:13], exec
	s_or_b64 s[10:11], s[10:11], s[12:13]
.LBB418_63:                             ;   in Loop: Header=BB418_35 Depth=1
	s_or_b64 exec, exec, s[48:49]
	s_andn2_b64 s[8:9], s[8:9], exec
	s_and_b64 s[10:11], s[10:11], exec
	s_or_b64 s[8:9], s[8:9], s[10:11]
.LBB418_64:                             ;   in Loop: Header=BB418_35 Depth=1
	s_or_b64 exec, exec, s[46:47]
	s_andn2_b64 s[6:7], s[6:7], exec
	s_and_b64 s[8:9], s[8:9], exec
	s_or_b64 s[6:7], s[6:7], s[8:9]
.LBB418_65:                             ;   in Loop: Header=BB418_35 Depth=1
	s_or_b64 exec, exec, s[44:45]
	s_andn2_b64 s[4:5], s[4:5], exec
	s_and_b64 s[6:7], s[6:7], exec
	s_or_b64 s[4:5], s[4:5], s[6:7]
.LBB418_66:                             ;   in Loop: Header=BB418_35 Depth=1
	s_or_b64 exec, exec, s[42:43]
	s_andn2_b64 s[2:3], s[2:3], exec
	s_and_b64 s[4:5], s[4:5], exec
	s_or_b64 s[2:3], s[2:3], s[4:5]
.LBB418_67:                             ;   in Loop: Header=BB418_35 Depth=1
	s_or_b64 exec, exec, s[40:41]
	s_andn2_b64 s[0:1], s[0:1], exec
	s_and_b64 s[2:3], s[2:3], exec
	s_or_b64 s[0:1], s[0:1], s[2:3]
.LBB418_68:                             ;   in Loop: Header=BB418_35 Depth=1
	s_or_b64 exec, exec, s[38:39]
	s_andn2_b64 s[2:3], vcc, exec
	s_and_b64 s[0:1], s[0:1], exec
	s_or_b64 vcc, s[2:3], s[0:1]
.LBB418_69:                             ;   in Loop: Header=BB418_35 Depth=1
	s_or_b64 exec, exec, s[36:37]
	s_and_saveexec_b64 s[0:1], vcc
	s_cbranch_execz .LBB418_34
; %bb.70:                               ;   in Loop: Header=BB418_35 Depth=1
	scratch_load_dword v40, v3, off
	v_ashrrev_i32_e32 v3, 31, v2
	s_waitcnt vmcnt(0)
	v_mul_f32_e32 v42, v4, v40
	s_waitcnt lgkmcnt(0)
	v_lshl_add_u64 v[40:41], v[2:3], 2, s[34:35]
	global_store_dword v[40:41], v42, off
	s_branch .LBB418_34
.LBB418_71:
	s_endpgm
	.section	.rodata,"a",@progbits
	.p2align	6, 0x0
	.amdhsa_kernel _ZN4vllm3moe22topkGatingSoftplusSqrtILi18ELi576ELi4ELi2ELi32ELb1Ei14__hip_bfloat16EEvPKT6_PKbPfiPT5_PiiiibdPKfPKS9_SF_
		.amdhsa_group_segment_fixed_size 0
		.amdhsa_private_segment_fixed_size 80
		.amdhsa_kernarg_size 96
		.amdhsa_user_sgpr_count 2
		.amdhsa_user_sgpr_dispatch_ptr 0
		.amdhsa_user_sgpr_queue_ptr 0
		.amdhsa_user_sgpr_kernarg_segment_ptr 1
		.amdhsa_user_sgpr_dispatch_id 0
		.amdhsa_user_sgpr_kernarg_preload_length 0
		.amdhsa_user_sgpr_kernarg_preload_offset 0
		.amdhsa_user_sgpr_private_segment_size 0
		.amdhsa_uses_dynamic_stack 0
		.amdhsa_enable_private_segment 1
		.amdhsa_system_sgpr_workgroup_id_x 1
		.amdhsa_system_sgpr_workgroup_id_y 0
		.amdhsa_system_sgpr_workgroup_id_z 0
		.amdhsa_system_sgpr_workgroup_info 0
		.amdhsa_system_vgpr_workitem_id 1
		.amdhsa_next_free_vgpr 43
		.amdhsa_next_free_sgpr 72
		.amdhsa_accum_offset 44
		.amdhsa_reserve_vcc 1
		.amdhsa_float_round_mode_32 0
		.amdhsa_float_round_mode_16_64 0
		.amdhsa_float_denorm_mode_32 3
		.amdhsa_float_denorm_mode_16_64 3
		.amdhsa_dx10_clamp 1
		.amdhsa_ieee_mode 1
		.amdhsa_fp16_overflow 0
		.amdhsa_tg_split 0
		.amdhsa_exception_fp_ieee_invalid_op 0
		.amdhsa_exception_fp_denorm_src 0
		.amdhsa_exception_fp_ieee_div_zero 0
		.amdhsa_exception_fp_ieee_overflow 0
		.amdhsa_exception_fp_ieee_underflow 0
		.amdhsa_exception_fp_ieee_inexact 0
		.amdhsa_exception_int_div_zero 0
	.end_amdhsa_kernel
	.section	.text._ZN4vllm3moe22topkGatingSoftplusSqrtILi18ELi576ELi4ELi2ELi32ELb1Ei14__hip_bfloat16EEvPKT6_PKbPfiPT5_PiiiibdPKfPKS9_SF_,"axG",@progbits,_ZN4vllm3moe22topkGatingSoftplusSqrtILi18ELi576ELi4ELi2ELi32ELb1Ei14__hip_bfloat16EEvPKT6_PKbPfiPT5_PiiiibdPKfPKS9_SF_,comdat
.Lfunc_end418:
	.size	_ZN4vllm3moe22topkGatingSoftplusSqrtILi18ELi576ELi4ELi2ELi32ELb1Ei14__hip_bfloat16EEvPKT6_PKbPfiPT5_PiiiibdPKfPKS9_SF_, .Lfunc_end418-_ZN4vllm3moe22topkGatingSoftplusSqrtILi18ELi576ELi4ELi2ELi32ELb1Ei14__hip_bfloat16EEvPKT6_PKbPfiPT5_PiiiibdPKfPKS9_SF_
                                        ; -- End function
	.section	.AMDGPU.csdata,"",@progbits
; Kernel info:
; codeLenInByte = 6876
; NumSgprs: 78
; NumVgprs: 43
; NumAgprs: 0
; TotalNumVgprs: 43
; ScratchSize: 80
; MemoryBound: 0
; FloatMode: 240
; IeeeMode: 1
; LDSByteSize: 0 bytes/workgroup (compile time only)
; SGPRBlocks: 9
; VGPRBlocks: 5
; NumSGPRsForWavesPerEU: 78
; NumVGPRsForWavesPerEU: 43
; AccumOffset: 44
; Occupancy: 8
; WaveLimiterHint : 1
; COMPUTE_PGM_RSRC2:SCRATCH_EN: 1
; COMPUTE_PGM_RSRC2:USER_SGPR: 2
; COMPUTE_PGM_RSRC2:TRAP_HANDLER: 0
; COMPUTE_PGM_RSRC2:TGID_X_EN: 1
; COMPUTE_PGM_RSRC2:TGID_Y_EN: 0
; COMPUTE_PGM_RSRC2:TGID_Z_EN: 0
; COMPUTE_PGM_RSRC2:TIDIG_COMP_CNT: 1
; COMPUTE_PGM_RSRC3_GFX90A:ACCUM_OFFSET: 10
; COMPUTE_PGM_RSRC3_GFX90A:TG_SPLIT: 0
	.section	.text._ZN4vllm3moe22topkGatingSoftplusSqrtILi18ELi576ELi4ELi2ELi32ELb0Ei14__hip_bfloat16EEvPKT6_PKbPfiPT5_PiiiibdPKfPKS9_SF_,"axG",@progbits,_ZN4vllm3moe22topkGatingSoftplusSqrtILi18ELi576ELi4ELi2ELi32ELb0Ei14__hip_bfloat16EEvPKT6_PKbPfiPT5_PiiiibdPKfPKS9_SF_,comdat
	.protected	_ZN4vllm3moe22topkGatingSoftplusSqrtILi18ELi576ELi4ELi2ELi32ELb0Ei14__hip_bfloat16EEvPKT6_PKbPfiPT5_PiiiibdPKfPKS9_SF_ ; -- Begin function _ZN4vllm3moe22topkGatingSoftplusSqrtILi18ELi576ELi4ELi2ELi32ELb0Ei14__hip_bfloat16EEvPKT6_PKbPfiPT5_PiiiibdPKfPKS9_SF_
	.globl	_ZN4vllm3moe22topkGatingSoftplusSqrtILi18ELi576ELi4ELi2ELi32ELb0Ei14__hip_bfloat16EEvPKT6_PKbPfiPT5_PiiiibdPKfPKS9_SF_
	.p2align	8
	.type	_ZN4vllm3moe22topkGatingSoftplusSqrtILi18ELi576ELi4ELi2ELi32ELb0Ei14__hip_bfloat16EEvPKT6_PKbPfiPT5_PiiiibdPKfPKS9_SF_,@function
_ZN4vllm3moe22topkGatingSoftplusSqrtILi18ELi576ELi4ELi2ELi32ELb0Ei14__hip_bfloat16EEvPKT6_PKbPfiPT5_PiiiibdPKfPKS9_SF_: ; @_ZN4vllm3moe22topkGatingSoftplusSqrtILi18ELi576ELi4ELi2ELi32ELb0Ei14__hip_bfloat16EEvPKT6_PKbPfiPT5_PiiiibdPKfPKS9_SF_
; %bb.0:
	s_load_dword s30, s[0:1], 0x18
	v_and_b32_e32 v1, 0x3ff, v0
	s_lshl_b32 s2, s2, 2
	v_lshrrev_b32_e32 v2, 5, v1
	v_bfe_u32 v0, v0, 10, 10
	v_add3_u32 v14, s2, v0, v2
	s_waitcnt lgkmcnt(0)
	v_cmp_gt_i32_e32 vcc, s30, v14
	s_and_saveexec_b64 s[2:3], vcc
	s_cbranch_execz .LBB419_83
; %bb.1:
	s_load_dwordx4 s[4:7], s[0:1], 0x0
	s_load_dwordx2 s[20:21], s[0:1], 0x10
	s_waitcnt lgkmcnt(0)
	s_cmp_eq_u64 s[6:7], 0
	s_cbranch_scc1 .LBB419_3
; %bb.2:
	v_ashrrev_i32_e32 v15, 31, v14
	v_lshl_add_u64 v[2:3], s[6:7], 0, v[14:15]
	global_load_ubyte v0, v[2:3], off
	s_waitcnt vmcnt(0)
	v_and_b32_e32 v0, 1, v0
	v_cmp_eq_u32_e32 vcc, 1, v0
	s_xor_b64 s[2:3], vcc, -1
	s_orn2_b64 s[22:23], s[2:3], exec
	s_branch .LBB419_4
.LBB419_3:
	s_mov_b64 s[22:23], -1
.LBB419_4:
	s_movk_i32 s2, 0x240
	v_mul_lo_u32 v4, v14, s2
	v_mov_b32_e32 v2, s4
	v_mov_b32_e32 v3, s5
	v_ashrrev_i32_e32 v5, 31, v4
	v_and_b32_e32 v16, 31, v1
	v_lshl_add_u64 v[2:3], v[4:5], 1, v[2:3]
	v_mov_b32_e32 v1, 0
	v_lshlrev_b32_e32 v0, 1, v16
	v_lshl_add_u64 v[0:1], v[2:3], 0, v[0:1]
	global_load_ushort v2, v[0:1], off
	global_load_ushort v3, v[0:1], off offset:64
	global_load_ushort v4, v[0:1], off offset:128
	;; [unrolled: 1-line block ×7, first 2 shown]
	s_mov_b32 s16, 0x800000
	v_mov_b32_e32 v17, 0x4f800000
	s_mov_b32 s13, 0x3f317217
	s_mov_b32 s14, 0x7f800000
	v_mov_b32_e32 v20, 0x41b17218
	s_mov_b32 s12, 0x41a00000
	s_mov_b32 s15, 0xf800000
	s_load_dwordx4 s[8:11], s[0:1], 0x40
	v_mov_b32_e32 v15, 0x260
	s_waitcnt lgkmcnt(0)
	s_cmp_lg_u64 s[10:11], 0
	s_cselect_b64 s[6:7], -1, 0
	s_and_b64 vcc, exec, s[6:7]
	s_waitcnt vmcnt(7)
	v_lshlrev_b32_e32 v10, 16, v2
	s_waitcnt vmcnt(6)
	v_lshlrev_b32_e32 v11, 16, v3
	;; [unrolled: 2-line block ×4, first 2 shown]
	scratch_store_dwordx4 off, v[10:13], off
	global_load_ushort v2, v[0:1], off offset:512
	global_load_ushort v3, v[0:1], off offset:576
	;; [unrolled: 1-line block ×6, first 2 shown]
	scratch_load_dword v25, off, off
	global_load_ushort v26, v[0:1], off offset:896
	global_load_ushort v27, v[0:1], off offset:960
	;; [unrolled: 1-line block ×4, first 2 shown]
	s_waitcnt vmcnt(15)
	v_lshlrev_b32_e32 v8, 16, v6
	s_waitcnt vmcnt(12)
	v_lshlrev_b32_e32 v11, 16, v19
	v_lshlrev_b32_e32 v9, 16, v7
	;; [unrolled: 1-line block ×4, first 2 shown]
	scratch_store_dwordx4 off, v[8:11], off offset:16
	s_waitcnt vmcnt(11)
	v_lshlrev_b32_e32 v4, 16, v2
	s_waitcnt vmcnt(10)
	v_lshlrev_b32_e32 v5, 16, v3
	;; [unrolled: 2-line block ×6, first 2 shown]
	s_waitcnt vmcnt(5)
	v_mul_f32_e32 v2, 0x3fb8aa3b, v25
	v_exp_f32_e32 v19, v2
	s_waitcnt vmcnt(4)
	v_lshlrev_b32_e32 v2, 16, v26
	s_waitcnt vmcnt(3)
	v_lshlrev_b32_e32 v3, 16, v27
	;; [unrolled: 2-line block ×3, first 2 shown]
	v_add_f32_e32 v19, 1.0, v19
	v_cmp_gt_f32_e64 s[2:3], s16, v19
	s_nop 1
	v_cndmask_b32_e64 v21, 1.0, v17, s[2:3]
	v_mul_f32_e32 v19, v19, v21
	v_log_f32_e32 v21, v19
	v_cndmask_b32_e64 v22, 0, v20, s[2:3]
	s_waitcnt vmcnt(1)
	v_lshlrev_b32_e32 v19, 16, v29
	scratch_store_dwordx4 off, v[4:7], off offset:32
	scratch_store_dwordx4 off, v[0:3], off offset:48
	scratch_store_dwordx2 off, v[18:19], off offset:64
	v_mul_f32_e32 v23, 0x3f317217, v21
	v_fma_f32 v23, v21, s13, -v23
	v_fmac_f32_e32 v23, 0x3377d1cf, v21
	v_fmac_f32_e32 v23, 0x3f317217, v21
	v_cmp_lt_f32_e64 s[2:3], |v21|, s14
	s_nop 1
	v_cndmask_b32_e64 v21, v21, v23, s[2:3]
	v_sub_f32_e32 v21, v21, v22
	v_cmp_lt_f32_e64 s[2:3], s12, v25
	s_nop 1
	v_cndmask_b32_e64 v21, v21, v25, s[2:3]
	v_mul_f32_e32 v22, 0x4f800000, v21
	v_cmp_gt_f32_e64 s[2:3], s15, v21
	s_nop 1
	v_cndmask_b32_e64 v21, v21, v22, s[2:3]
	v_sqrt_f32_e32 v22, v21
	s_nop 0
	v_add_u32_e32 v23, -1, v22
	v_add_u32_e32 v24, 1, v22
	v_fma_f32 v25, -v23, v22, v21
	v_fma_f32 v26, -v24, v22, v21
	v_cmp_ge_f32_e64 s[4:5], 0, v25
	s_nop 1
	v_cndmask_b32_e64 v22, v22, v23, s[4:5]
	v_cmp_lt_f32_e64 s[4:5], 0, v26
	s_nop 1
	v_cndmask_b32_e64 v22, v22, v24, s[4:5]
	v_mul_f32_e32 v23, 0x37800000, v22
	v_cndmask_b32_e64 v22, v22, v23, s[2:3]
	v_cmp_class_f32_e64 s[2:3], v21, v15
	s_nop 1
	v_cndmask_b32_e64 v21, v22, v21, s[2:3]
	s_cbranch_vccz .LBB419_6
; %bb.5:
	global_load_dword v22, v12, s[10:11]
	s_waitcnt vmcnt(0)
	v_add_f32_e32 v21, v21, v22
.LBB419_6:
	scratch_load_dword v22, off, off offset:4
	s_waitcnt vmcnt(0)
	v_mul_f32_e32 v23, 0x3fb8aa3b, v22
	v_exp_f32_e32 v23, v23
	scratch_store_dword off, v21, off
	v_add_f32_e32 v23, 1.0, v23
	v_cmp_gt_f32_e32 vcc, s16, v23
	s_nop 1
	v_cndmask_b32_e32 v17, 1.0, v17, vcc
	v_mul_f32_e32 v17, v23, v17
	v_log_f32_e32 v17, v17
	v_cndmask_b32_e32 v20, 0, v20, vcc
	v_mul_f32_e32 v21, 0x3f317217, v17
	v_fma_f32 v21, v17, s13, -v21
	v_fmac_f32_e32 v21, 0x3377d1cf, v17
	v_fmac_f32_e32 v21, 0x3f317217, v17
	v_cmp_lt_f32_e64 vcc, |v17|, s14
	s_nop 1
	v_cndmask_b32_e32 v17, v17, v21, vcc
	v_sub_f32_e32 v17, v17, v20
	v_cmp_lt_f32_e32 vcc, s12, v22
	v_cndmask_b32_e64 v21, 0, 1, s[6:7]
	v_cmp_ne_u32_e64 s[2:3], 1, v21
	v_cndmask_b32_e32 v17, v17, v22, vcc
	v_mul_f32_e32 v20, 0x4f800000, v17
	v_cmp_gt_f32_e64 s[4:5], s15, v17
	s_andn2_b64 vcc, exec, s[6:7]
	s_nop 0
	v_cndmask_b32_e64 v17, v17, v20, s[4:5]
	v_sqrt_f32_e32 v20, v17
	s_nop 0
	v_add_u32_e32 v21, -1, v20
	v_add_u32_e32 v22, 1, v20
	v_fma_f32 v23, -v21, v20, v17
	v_fma_f32 v24, -v22, v20, v17
	v_cmp_ge_f32_e64 s[6:7], 0, v23
	s_nop 1
	v_cndmask_b32_e64 v20, v20, v21, s[6:7]
	v_cmp_lt_f32_e64 s[6:7], 0, v24
	s_nop 1
	v_cndmask_b32_e64 v20, v20, v22, s[6:7]
	v_mul_f32_e32 v21, 0x37800000, v20
	v_cndmask_b32_e64 v20, v20, v21, s[4:5]
	v_cmp_class_f32_e64 s[4:5], v17, v15
	s_nop 1
	v_cndmask_b32_e64 v17, v20, v17, s[4:5]
	s_cbranch_vccnz .LBB419_8
; %bb.7:
	global_load_dword v15, v12, s[10:11] offset:128
	s_waitcnt vmcnt(0)
	v_add_f32_e32 v17, v17, v15
.LBB419_8:
	scratch_load_dword v21, off, off offset:8
	s_mov_b32 s15, 0x800000
	s_mov_b32 s16, 0xf800000
	scratch_store_dword off, v17, off offset:4
	v_mov_b32_e32 v17, 0x260
	s_waitcnt vmcnt(1)
	v_mul_f32_e32 v15, 0x3fb8aa3b, v21
	v_exp_f32_e32 v20, v15
	v_mov_b32_e32 v15, 0x4f800000
	v_add_f32_e32 v20, 1.0, v20
	v_cmp_gt_f32_e32 vcc, s15, v20
	s_nop 1
	v_cndmask_b32_e32 v22, 1.0, v15, vcc
	v_mul_f32_e32 v20, v20, v22
	v_log_f32_e32 v22, v20
	v_mov_b32_e32 v20, 0x41b17218
	v_cndmask_b32_e32 v23, 0, v20, vcc
	v_mul_f32_e32 v24, 0x3f317217, v22
	v_fma_f32 v24, v22, s13, -v24
	v_fmac_f32_e32 v24, 0x3377d1cf, v22
	v_fmac_f32_e32 v24, 0x3f317217, v22
	v_cmp_lt_f32_e64 vcc, |v22|, s14
	s_nop 1
	v_cndmask_b32_e32 v22, v22, v24, vcc
	v_sub_f32_e32 v22, v22, v23
	v_cmp_lt_f32_e32 vcc, s12, v21
	s_nop 1
	v_cndmask_b32_e32 v21, v22, v21, vcc
	v_mul_f32_e32 v22, 0x4f800000, v21
	v_cmp_gt_f32_e64 s[4:5], s16, v21
	s_and_b64 vcc, exec, s[2:3]
	s_nop 0
	v_cndmask_b32_e64 v21, v21, v22, s[4:5]
	v_sqrt_f32_e32 v22, v21
	s_nop 0
	v_add_u32_e32 v23, -1, v22
	v_add_u32_e32 v24, 1, v22
	v_fma_f32 v25, -v23, v22, v21
	v_fma_f32 v26, -v24, v22, v21
	v_cmp_ge_f32_e64 s[6:7], 0, v25
	s_nop 1
	v_cndmask_b32_e64 v22, v22, v23, s[6:7]
	v_cmp_lt_f32_e64 s[6:7], 0, v26
	s_nop 1
	v_cndmask_b32_e64 v22, v22, v24, s[6:7]
	v_mul_f32_e32 v23, 0x37800000, v22
	v_cndmask_b32_e64 v22, v22, v23, s[4:5]
	v_cmp_class_f32_e64 s[4:5], v21, v17
	s_nop 1
	v_cndmask_b32_e64 v21, v22, v21, s[4:5]
	s_cbranch_vccnz .LBB419_10
; %bb.9:
	global_load_dword v22, v12, s[10:11] offset:256
	s_waitcnt vmcnt(0)
	v_add_f32_e32 v21, v21, v22
.LBB419_10:
	v_mul_f32_e32 v22, 0x3fb8aa3b, v13
	v_exp_f32_e32 v22, v22
	scratch_store_dword off, v21, off offset:8
	v_add_f32_e32 v22, 1.0, v22
	v_cmp_gt_f32_e32 vcc, s15, v22
	s_nop 1
	v_cndmask_b32_e32 v15, 1.0, v15, vcc
	v_mul_f32_e32 v15, v22, v15
	v_log_f32_e32 v15, v15
	v_cndmask_b32_e32 v20, 0, v20, vcc
	v_mul_f32_e32 v22, 0x3f317217, v15
	v_fma_f32 v22, v15, s13, -v22
	v_fmac_f32_e32 v22, 0x3377d1cf, v15
	v_fmac_f32_e32 v22, 0x3f317217, v15
	v_cmp_lt_f32_e64 vcc, |v15|, s14
	s_nop 1
	v_cndmask_b32_e32 v15, v15, v22, vcc
	v_sub_f32_e32 v15, v15, v20
	v_cmp_lt_f32_e32 vcc, s12, v13
	s_nop 1
	v_cndmask_b32_e32 v13, v15, v13, vcc
	v_mul_f32_e32 v15, 0x4f800000, v13
	v_cmp_gt_f32_e32 vcc, s16, v13
	s_nop 1
	v_cndmask_b32_e32 v13, v13, v15, vcc
	v_sqrt_f32_e32 v15, v13
	s_nop 0
	v_add_u32_e32 v20, -1, v15
	v_add_u32_e32 v21, 1, v15
	v_fma_f32 v22, -v20, v15, v13
	v_fma_f32 v23, -v21, v15, v13
	v_cmp_ge_f32_e64 s[4:5], 0, v22
	s_nop 1
	v_cndmask_b32_e64 v15, v15, v20, s[4:5]
	v_cmp_lt_f32_e64 s[4:5], 0, v23
	s_nop 1
	v_cndmask_b32_e64 v15, v15, v21, s[4:5]
	v_mul_f32_e32 v20, 0x37800000, v15
	v_cndmask_b32_e32 v15, v15, v20, vcc
	v_cmp_class_f32_e64 s[4:5], v13, v17
	s_and_b64 vcc, exec, s[2:3]
	s_nop 0
	v_cndmask_b32_e64 v17, v15, v13, s[4:5]
	s_cbranch_vccnz .LBB419_12
; %bb.11:
	global_load_dword v13, v12, s[10:11] offset:384
	s_waitcnt vmcnt(0)
	v_add_f32_e32 v17, v17, v13
.LBB419_12:
	v_mul_f32_e32 v13, 0x3fb8aa3b, v8
	v_exp_f32_e32 v15, v13
	s_mov_b32 s13, 0x800000
	v_mov_b32_e32 v13, 0x4f800000
	s_mov_b32 s7, 0x3f317217
	v_add_f32_e32 v15, 1.0, v15
	v_cmp_gt_f32_e32 vcc, s13, v15
	s_mov_b32 s12, 0x7f800000
	s_mov_b32 s6, 0x41a00000
	v_cndmask_b32_e32 v20, 1.0, v13, vcc
	v_mul_f32_e32 v15, v15, v20
	v_log_f32_e32 v15, v15
	s_mov_b32 s14, 0xf800000
	scratch_store_dword off, v17, off offset:12
	v_mul_f32_e32 v20, 0x3f317217, v15
	v_fma_f32 v20, v15, s7, -v20
	v_fmac_f32_e32 v20, 0x3377d1cf, v15
	v_fmac_f32_e32 v20, 0x3f317217, v15
	v_cmp_lt_f32_e64 s[4:5], |v15|, s12
	s_nop 1
	v_cndmask_b32_e64 v20, v15, v20, s[4:5]
	v_mov_b32_e32 v15, 0x41b17218
	v_cndmask_b32_e32 v21, 0, v15, vcc
	v_sub_f32_e32 v20, v20, v21
	v_cmp_lt_f32_e32 vcc, s6, v8
	s_nop 1
	v_cndmask_b32_e32 v8, v20, v8, vcc
	v_mul_f32_e32 v20, 0x4f800000, v8
	v_cmp_gt_f32_e32 vcc, s14, v8
	s_nop 1
	v_cndmask_b32_e32 v20, v8, v20, vcc
	v_sqrt_f32_e32 v8, v20
	s_nop 0
	v_add_u32_e32 v17, -1, v8
	v_fma_f32 v21, -v17, v8, v20
	v_cmp_ge_f32_e64 s[4:5], 0, v21
	v_add_u32_e32 v21, 1, v8
	s_nop 0
	v_cndmask_b32_e64 v17, v8, v17, s[4:5]
	v_fma_f32 v8, -v21, v8, v20
	v_cmp_lt_f32_e64 s[4:5], 0, v8
	s_nop 1
	v_cndmask_b32_e64 v8, v17, v21, s[4:5]
	v_mul_f32_e32 v17, 0x37800000, v8
	v_cndmask_b32_e32 v17, v8, v17, vcc
	v_mov_b32_e32 v8, 0x260
	v_cmp_class_f32_e64 s[4:5], v20, v8
	s_and_b64 vcc, exec, s[2:3]
	s_nop 0
	v_cndmask_b32_e64 v17, v17, v20, s[4:5]
	s_cbranch_vccnz .LBB419_14
; %bb.13:
	global_load_dword v20, v12, s[10:11] offset:512
	s_waitcnt vmcnt(0)
	v_add_f32_e32 v17, v17, v20
.LBB419_14:
	v_mul_f32_e32 v20, 0x3fb8aa3b, v9
	v_exp_f32_e32 v20, v20
	scratch_store_dword off, v17, off offset:16
	v_add_f32_e32 v20, 1.0, v20
	v_cmp_gt_f32_e32 vcc, s13, v20
	s_nop 1
	v_cndmask_b32_e32 v13, 1.0, v13, vcc
	v_mul_f32_e32 v13, v20, v13
	v_log_f32_e32 v13, v13
	v_cndmask_b32_e32 v15, 0, v15, vcc
	v_mul_f32_e32 v20, 0x3f317217, v13
	v_fma_f32 v20, v13, s7, -v20
	v_fmac_f32_e32 v20, 0x3377d1cf, v13
	v_fmac_f32_e32 v20, 0x3f317217, v13
	v_cmp_lt_f32_e64 vcc, |v13|, s12
	s_nop 1
	v_cndmask_b32_e32 v13, v13, v20, vcc
	v_sub_f32_e32 v13, v13, v15
	v_cmp_lt_f32_e32 vcc, s6, v9
	s_nop 1
	v_cndmask_b32_e32 v9, v13, v9, vcc
	v_mul_f32_e32 v13, 0x4f800000, v9
	v_cmp_gt_f32_e32 vcc, s14, v9
	s_nop 1
	v_cndmask_b32_e32 v9, v9, v13, vcc
	v_sqrt_f32_e32 v13, v9
	s_nop 0
	v_add_u32_e32 v15, -1, v13
	v_add_u32_e32 v17, 1, v13
	v_fma_f32 v20, -v15, v13, v9
	v_fma_f32 v21, -v17, v13, v9
	v_cmp_ge_f32_e64 s[4:5], 0, v20
	s_nop 1
	v_cndmask_b32_e64 v13, v13, v15, s[4:5]
	v_cmp_lt_f32_e64 s[4:5], 0, v21
	s_nop 1
	v_cndmask_b32_e64 v13, v13, v17, s[4:5]
	v_mul_f32_e32 v15, 0x37800000, v13
	v_cndmask_b32_e32 v13, v13, v15, vcc
	v_cmp_class_f32_e64 s[4:5], v9, v8
	s_and_b64 vcc, exec, s[2:3]
	s_nop 0
	v_cndmask_b32_e64 v9, v13, v9, s[4:5]
	s_cbranch_vccnz .LBB419_16
; %bb.15:
	global_load_dword v8, v12, s[10:11] offset:640
	s_waitcnt vmcnt(0)
	v_add_f32_e32 v9, v9, v8
.LBB419_16:
	v_mul_f32_e32 v8, 0x3fb8aa3b, v10
	v_exp_f32_e32 v13, v8
	v_mov_b32_e32 v8, 0x4f800000
	scratch_store_dword off, v9, off offset:20
	v_add_f32_e32 v13, 1.0, v13
	v_cmp_gt_f32_e32 vcc, s13, v13
	s_nop 1
	v_cndmask_b32_e32 v15, 1.0, v8, vcc
	v_mul_f32_e32 v13, v13, v15
	v_log_f32_e32 v13, v13
	s_nop 0
	v_mul_f32_e32 v15, 0x3f317217, v13
	v_fma_f32 v15, v13, s7, -v15
	v_fmac_f32_e32 v15, 0x3377d1cf, v13
	v_fmac_f32_e32 v15, 0x3f317217, v13
	v_cmp_lt_f32_e64 s[4:5], |v13|, s12
	s_nop 1
	v_cndmask_b32_e64 v15, v13, v15, s[4:5]
	v_mov_b32_e32 v13, 0x41b17218
	v_cndmask_b32_e32 v17, 0, v13, vcc
	v_sub_f32_e32 v15, v15, v17
	v_cmp_lt_f32_e32 vcc, s6, v10
	s_nop 1
	v_cndmask_b32_e32 v10, v15, v10, vcc
	v_mul_f32_e32 v15, 0x4f800000, v10
	v_cmp_gt_f32_e32 vcc, s14, v10
	s_nop 1
	v_cndmask_b32_e32 v10, v10, v15, vcc
	v_sqrt_f32_e32 v15, v10
	s_nop 0
	v_add_u32_e32 v9, -1, v15
	v_fma_f32 v17, -v9, v15, v10
	v_cmp_ge_f32_e64 s[4:5], 0, v17
	v_add_u32_e32 v17, 1, v15
	s_nop 0
	v_cndmask_b32_e64 v9, v15, v9, s[4:5]
	v_fma_f32 v15, -v17, v15, v10
	v_cmp_lt_f32_e64 s[4:5], 0, v15
	s_nop 1
	v_cndmask_b32_e64 v9, v9, v17, s[4:5]
	v_mul_f32_e32 v15, 0x37800000, v9
	v_cndmask_b32_e32 v15, v9, v15, vcc
	v_mov_b32_e32 v9, 0x260
	v_cmp_class_f32_e64 s[4:5], v10, v9
	s_and_b64 vcc, exec, s[2:3]
	s_nop 0
	v_cndmask_b32_e64 v10, v15, v10, s[4:5]
	s_cbranch_vccnz .LBB419_18
; %bb.17:
	global_load_dword v15, v12, s[10:11] offset:768
	s_waitcnt vmcnt(0)
	v_add_f32_e32 v10, v10, v15
.LBB419_18:
	v_mul_f32_e32 v15, 0x3fb8aa3b, v11
	v_exp_f32_e32 v15, v15
	scratch_store_dword off, v10, off offset:24
	v_add_f32_e32 v15, 1.0, v15
	v_cmp_gt_f32_e32 vcc, s13, v15
	s_nop 1
	v_cndmask_b32_e32 v8, 1.0, v8, vcc
	v_mul_f32_e32 v8, v15, v8
	v_log_f32_e32 v8, v8
	v_cndmask_b32_e32 v13, 0, v13, vcc
	v_mul_f32_e32 v15, 0x3f317217, v8
	v_fma_f32 v15, v8, s7, -v15
	v_fmac_f32_e32 v15, 0x3377d1cf, v8
	v_fmac_f32_e32 v15, 0x3f317217, v8
	v_cmp_lt_f32_e64 vcc, |v8|, s12
	s_nop 1
	v_cndmask_b32_e32 v8, v8, v15, vcc
	v_sub_f32_e32 v8, v8, v13
	v_cmp_lt_f32_e32 vcc, s6, v11
	s_nop 1
	v_cndmask_b32_e32 v8, v8, v11, vcc
	v_mul_f32_e32 v11, 0x4f800000, v8
	v_cmp_gt_f32_e32 vcc, s14, v8
	s_nop 1
	v_cndmask_b32_e32 v8, v8, v11, vcc
	v_sqrt_f32_e32 v11, v8
	s_nop 0
	v_add_u32_e32 v10, -1, v11
	v_add_u32_e32 v13, 1, v11
	v_fma_f32 v15, -v10, v11, v8
	v_fma_f32 v17, -v13, v11, v8
	v_cmp_ge_f32_e64 s[4:5], 0, v15
	s_nop 1
	v_cndmask_b32_e64 v10, v11, v10, s[4:5]
	v_cmp_lt_f32_e64 s[4:5], 0, v17
	s_nop 1
	v_cndmask_b32_e64 v10, v10, v13, s[4:5]
	v_mul_f32_e32 v11, 0x37800000, v10
	v_cndmask_b32_e32 v10, v10, v11, vcc
	v_cmp_class_f32_e64 s[4:5], v8, v9
	s_and_b64 vcc, exec, s[2:3]
	s_nop 0
	v_cndmask_b32_e64 v10, v10, v8, s[4:5]
	s_cbranch_vccnz .LBB419_20
; %bb.19:
	global_load_dword v8, v12, s[10:11] offset:896
	s_waitcnt vmcnt(0)
	v_add_f32_e32 v10, v10, v8
.LBB419_20:
	v_mul_f32_e32 v8, 0x3fb8aa3b, v4
	v_exp_f32_e32 v9, v8
	v_mov_b32_e32 v8, 0x4f800000
	scratch_store_dword off, v10, off offset:28
	v_add_f32_e32 v9, 1.0, v9
	v_cmp_gt_f32_e32 vcc, s13, v9
	s_nop 1
	v_cndmask_b32_e32 v11, 1.0, v8, vcc
	v_mul_f32_e32 v9, v9, v11
	v_log_f32_e32 v9, v9
	s_nop 0
	v_mul_f32_e32 v11, 0x3f317217, v9
	v_fma_f32 v11, v9, s7, -v11
	v_fmac_f32_e32 v11, 0x3377d1cf, v9
	v_fmac_f32_e32 v11, 0x3f317217, v9
	v_cmp_lt_f32_e64 s[4:5], |v9|, s12
	s_nop 1
	v_cndmask_b32_e64 v11, v9, v11, s[4:5]
	v_mov_b32_e32 v9, 0x41b17218
	v_cndmask_b32_e32 v13, 0, v9, vcc
	v_sub_f32_e32 v11, v11, v13
	v_cmp_lt_f32_e32 vcc, s6, v4
	s_nop 1
	v_cndmask_b32_e32 v4, v11, v4, vcc
	v_mul_f32_e32 v11, 0x4f800000, v4
	v_cmp_gt_f32_e32 vcc, s14, v4
	s_nop 1
	v_cndmask_b32_e32 v11, v4, v11, vcc
	v_sqrt_f32_e32 v4, v11
	s_nop 0
	v_add_u32_e32 v10, -1, v4
	v_fma_f32 v13, -v10, v4, v11
	v_cmp_ge_f32_e64 s[4:5], 0, v13
	v_add_u32_e32 v13, 1, v4
	s_nop 0
	v_cndmask_b32_e64 v10, v4, v10, s[4:5]
	v_fma_f32 v4, -v13, v4, v11
	v_cmp_lt_f32_e64 s[4:5], 0, v4
	s_nop 1
	v_cndmask_b32_e64 v4, v10, v13, s[4:5]
	v_mul_f32_e32 v10, 0x37800000, v4
	v_cndmask_b32_e32 v10, v4, v10, vcc
	v_mov_b32_e32 v4, 0x260
	v_cmp_class_f32_e64 s[4:5], v11, v4
	s_and_b64 vcc, exec, s[2:3]
	s_nop 0
	v_cndmask_b32_e64 v10, v10, v11, s[4:5]
	s_cbranch_vccnz .LBB419_22
; %bb.21:
	global_load_dword v11, v12, s[10:11] offset:1024
	s_waitcnt vmcnt(0)
	v_add_f32_e32 v10, v10, v11
.LBB419_22:
	v_mul_f32_e32 v11, 0x3fb8aa3b, v5
	v_exp_f32_e32 v11, v11
	scratch_store_dword off, v10, off offset:32
	v_add_f32_e32 v11, 1.0, v11
	v_cmp_gt_f32_e32 vcc, s13, v11
	s_nop 1
	v_cndmask_b32_e32 v8, 1.0, v8, vcc
	v_mul_f32_e32 v8, v11, v8
	v_log_f32_e32 v8, v8
	v_cndmask_b32_e32 v9, 0, v9, vcc
	v_mul_f32_e32 v11, 0x3f317217, v8
	v_fma_f32 v11, v8, s7, -v11
	v_fmac_f32_e32 v11, 0x3377d1cf, v8
	v_fmac_f32_e32 v11, 0x3f317217, v8
	v_cmp_lt_f32_e64 vcc, |v8|, s12
	s_nop 1
	v_cndmask_b32_e32 v8, v8, v11, vcc
	v_sub_f32_e32 v8, v8, v9
	v_cmp_lt_f32_e32 vcc, s6, v5
	s_nop 1
	v_cndmask_b32_e32 v5, v8, v5, vcc
	v_mul_f32_e32 v8, 0x4f800000, v5
	v_cmp_gt_f32_e32 vcc, s14, v5
	s_nop 1
	v_cndmask_b32_e32 v5, v5, v8, vcc
	v_sqrt_f32_e32 v8, v5
	s_nop 0
	v_add_u32_e32 v9, -1, v8
	v_add_u32_e32 v10, 1, v8
	v_fma_f32 v11, -v9, v8, v5
	v_fma_f32 v13, -v10, v8, v5
	v_cmp_ge_f32_e64 s[4:5], 0, v11
	s_nop 1
	v_cndmask_b32_e64 v8, v8, v9, s[4:5]
	v_cmp_lt_f32_e64 s[4:5], 0, v13
	s_nop 1
	v_cndmask_b32_e64 v8, v8, v10, s[4:5]
	v_mul_f32_e32 v9, 0x37800000, v8
	v_cndmask_b32_e32 v8, v8, v9, vcc
	v_cmp_class_f32_e64 s[4:5], v5, v4
	s_and_b64 vcc, exec, s[2:3]
	s_nop 0
	v_cndmask_b32_e64 v5, v8, v5, s[4:5]
	s_cbranch_vccnz .LBB419_24
; %bb.23:
	global_load_dword v4, v12, s[10:11] offset:1152
	s_waitcnt vmcnt(0)
	v_add_f32_e32 v5, v5, v4
.LBB419_24:
	v_mul_f32_e32 v4, 0x3fb8aa3b, v6
	v_exp_f32_e32 v8, v4
	v_mov_b32_e32 v4, 0x4f800000
	scratch_store_dword off, v5, off offset:36
	v_add_f32_e32 v8, 1.0, v8
	v_cmp_gt_f32_e32 vcc, s13, v8
	s_nop 1
	v_cndmask_b32_e32 v9, 1.0, v4, vcc
	v_mul_f32_e32 v8, v8, v9
	v_log_f32_e32 v8, v8
	s_nop 0
	v_mul_f32_e32 v9, 0x3f317217, v8
	v_fma_f32 v9, v8, s7, -v9
	v_fmac_f32_e32 v9, 0x3377d1cf, v8
	v_fmac_f32_e32 v9, 0x3f317217, v8
	v_cmp_lt_f32_e64 s[4:5], |v8|, s12
	s_nop 1
	v_cndmask_b32_e64 v9, v8, v9, s[4:5]
	v_mov_b32_e32 v8, 0x41b17218
	v_cndmask_b32_e32 v10, 0, v8, vcc
	v_sub_f32_e32 v9, v9, v10
	v_cmp_lt_f32_e32 vcc, s6, v6
	s_nop 1
	v_cndmask_b32_e32 v6, v9, v6, vcc
	v_mul_f32_e32 v9, 0x4f800000, v6
	v_cmp_gt_f32_e32 vcc, s14, v6
	s_nop 1
	v_cndmask_b32_e32 v6, v6, v9, vcc
	v_sqrt_f32_e32 v9, v6
	s_nop 0
	v_add_u32_e32 v5, -1, v9
	v_fma_f32 v10, -v5, v9, v6
	v_cmp_ge_f32_e64 s[4:5], 0, v10
	v_add_u32_e32 v10, 1, v9
	s_nop 0
	v_cndmask_b32_e64 v5, v9, v5, s[4:5]
	v_fma_f32 v9, -v10, v9, v6
	v_cmp_lt_f32_e64 s[4:5], 0, v9
	s_nop 1
	v_cndmask_b32_e64 v5, v5, v10, s[4:5]
	v_mul_f32_e32 v9, 0x37800000, v5
	v_cndmask_b32_e32 v9, v5, v9, vcc
	v_mov_b32_e32 v5, 0x260
	v_cmp_class_f32_e64 s[4:5], v6, v5
	s_and_b64 vcc, exec, s[2:3]
	s_nop 0
	v_cndmask_b32_e64 v6, v9, v6, s[4:5]
	s_cbranch_vccnz .LBB419_26
; %bb.25:
	global_load_dword v9, v12, s[10:11] offset:1280
	s_waitcnt vmcnt(0)
	v_add_f32_e32 v6, v6, v9
.LBB419_26:
	v_mul_f32_e32 v9, 0x3fb8aa3b, v7
	v_exp_f32_e32 v9, v9
	scratch_store_dword off, v6, off offset:40
	v_add_f32_e32 v9, 1.0, v9
	v_cmp_gt_f32_e32 vcc, s13, v9
	s_nop 1
	v_cndmask_b32_e32 v4, 1.0, v4, vcc
	v_mul_f32_e32 v4, v9, v4
	v_log_f32_e32 v4, v4
	v_cndmask_b32_e32 v8, 0, v8, vcc
	v_mul_f32_e32 v9, 0x3f317217, v4
	v_fma_f32 v9, v4, s7, -v9
	v_fmac_f32_e32 v9, 0x3377d1cf, v4
	v_fmac_f32_e32 v9, 0x3f317217, v4
	v_cmp_lt_f32_e64 vcc, |v4|, s12
	s_nop 1
	v_cndmask_b32_e32 v4, v4, v9, vcc
	v_sub_f32_e32 v4, v4, v8
	v_cmp_lt_f32_e32 vcc, s6, v7
	s_nop 1
	v_cndmask_b32_e32 v4, v4, v7, vcc
	v_mul_f32_e32 v7, 0x4f800000, v4
	v_cmp_gt_f32_e32 vcc, s14, v4
	s_nop 1
	v_cndmask_b32_e32 v4, v4, v7, vcc
	v_sqrt_f32_e32 v7, v4
	s_nop 0
	v_add_u32_e32 v6, -1, v7
	v_add_u32_e32 v8, 1, v7
	v_fma_f32 v9, -v6, v7, v4
	v_fma_f32 v10, -v8, v7, v4
	v_cmp_ge_f32_e64 s[4:5], 0, v9
	s_nop 1
	v_cndmask_b32_e64 v6, v7, v6, s[4:5]
	v_cmp_lt_f32_e64 s[4:5], 0, v10
	s_nop 1
	v_cndmask_b32_e64 v6, v6, v8, s[4:5]
	v_mul_f32_e32 v7, 0x37800000, v6
	v_cndmask_b32_e32 v6, v6, v7, vcc
	v_cmp_class_f32_e64 s[4:5], v4, v5
	s_and_b64 vcc, exec, s[2:3]
	s_nop 0
	v_cndmask_b32_e64 v6, v6, v4, s[4:5]
	s_cbranch_vccnz .LBB419_28
; %bb.27:
	global_load_dword v4, v12, s[10:11] offset:1408
	s_waitcnt vmcnt(0)
	v_add_f32_e32 v6, v6, v4
.LBB419_28:
	v_mul_f32_e32 v4, 0x3fb8aa3b, v0
	v_exp_f32_e32 v5, v4
	v_mov_b32_e32 v4, 0x4f800000
	scratch_store_dword off, v6, off offset:44
	v_add_f32_e32 v5, 1.0, v5
	v_cmp_gt_f32_e32 vcc, s13, v5
	s_nop 1
	v_cndmask_b32_e32 v7, 1.0, v4, vcc
	v_mul_f32_e32 v5, v5, v7
	v_log_f32_e32 v5, v5
	s_nop 0
	v_mul_f32_e32 v7, 0x3f317217, v5
	v_fma_f32 v7, v5, s7, -v7
	v_fmac_f32_e32 v7, 0x3377d1cf, v5
	v_fmac_f32_e32 v7, 0x3f317217, v5
	v_cmp_lt_f32_e64 s[4:5], |v5|, s12
	s_nop 1
	v_cndmask_b32_e64 v7, v5, v7, s[4:5]
	v_mov_b32_e32 v5, 0x41b17218
	v_cndmask_b32_e32 v8, 0, v5, vcc
	v_sub_f32_e32 v7, v7, v8
	v_cmp_lt_f32_e32 vcc, s6, v0
	s_nop 1
	v_cndmask_b32_e32 v0, v7, v0, vcc
	v_mul_f32_e32 v7, 0x4f800000, v0
	v_cmp_gt_f32_e32 vcc, s14, v0
	s_nop 1
	v_cndmask_b32_e32 v7, v0, v7, vcc
	v_sqrt_f32_e32 v0, v7
	s_nop 0
	v_add_u32_e32 v6, -1, v0
	v_fma_f32 v8, -v6, v0, v7
	v_cmp_ge_f32_e64 s[4:5], 0, v8
	v_add_u32_e32 v8, 1, v0
	s_nop 0
	v_cndmask_b32_e64 v6, v0, v6, s[4:5]
	v_fma_f32 v0, -v8, v0, v7
	v_cmp_lt_f32_e64 s[4:5], 0, v0
	s_nop 1
	v_cndmask_b32_e64 v0, v6, v8, s[4:5]
	v_mul_f32_e32 v6, 0x37800000, v0
	v_cndmask_b32_e32 v6, v0, v6, vcc
	v_mov_b32_e32 v0, 0x260
	v_cmp_class_f32_e64 s[4:5], v7, v0
	s_and_b64 vcc, exec, s[2:3]
	s_nop 0
	v_cndmask_b32_e64 v6, v6, v7, s[4:5]
	s_cbranch_vccnz .LBB419_30
; %bb.29:
	global_load_dword v7, v12, s[10:11] offset:1536
	s_waitcnt vmcnt(0)
	v_add_f32_e32 v6, v6, v7
.LBB419_30:
	v_mul_f32_e32 v7, 0x3fb8aa3b, v1
	v_exp_f32_e32 v7, v7
	scratch_store_dword off, v6, off offset:48
	v_add_f32_e32 v7, 1.0, v7
	v_cmp_gt_f32_e32 vcc, s13, v7
	s_nop 1
	v_cndmask_b32_e32 v4, 1.0, v4, vcc
	v_mul_f32_e32 v4, v7, v4
	v_log_f32_e32 v4, v4
	v_cndmask_b32_e32 v5, 0, v5, vcc
	v_mul_f32_e32 v7, 0x3f317217, v4
	v_fma_f32 v7, v4, s7, -v7
	v_fmac_f32_e32 v7, 0x3377d1cf, v4
	v_fmac_f32_e32 v7, 0x3f317217, v4
	v_cmp_lt_f32_e64 vcc, |v4|, s12
	s_nop 1
	v_cndmask_b32_e32 v4, v4, v7, vcc
	v_sub_f32_e32 v4, v4, v5
	v_cmp_lt_f32_e32 vcc, s6, v1
	s_nop 1
	v_cndmask_b32_e32 v1, v4, v1, vcc
	v_mul_f32_e32 v4, 0x4f800000, v1
	v_cmp_gt_f32_e32 vcc, s14, v1
	s_nop 1
	v_cndmask_b32_e32 v1, v1, v4, vcc
	v_sqrt_f32_e32 v4, v1
	s_nop 0
	v_add_u32_e32 v5, -1, v4
	v_add_u32_e32 v6, 1, v4
	v_fma_f32 v7, -v5, v4, v1
	v_fma_f32 v8, -v6, v4, v1
	v_cmp_ge_f32_e64 s[4:5], 0, v7
	s_nop 1
	v_cndmask_b32_e64 v4, v4, v5, s[4:5]
	v_cmp_lt_f32_e64 s[4:5], 0, v8
	s_nop 1
	v_cndmask_b32_e64 v4, v4, v6, s[4:5]
	v_mul_f32_e32 v5, 0x37800000, v4
	v_cndmask_b32_e32 v4, v4, v5, vcc
	v_cmp_class_f32_e64 s[4:5], v1, v0
	s_and_b64 vcc, exec, s[2:3]
	s_nop 0
	v_cndmask_b32_e64 v1, v4, v1, s[4:5]
	s_cbranch_vccnz .LBB419_32
; %bb.31:
	global_load_dword v0, v12, s[10:11] offset:1664
	s_waitcnt vmcnt(0)
	v_add_f32_e32 v1, v1, v0
.LBB419_32:
	v_mul_f32_e32 v0, 0x3fb8aa3b, v2
	v_exp_f32_e32 v4, v0
	v_mov_b32_e32 v0, 0x4f800000
	scratch_store_dword off, v1, off offset:52
	v_add_f32_e32 v4, 1.0, v4
	v_cmp_gt_f32_e32 vcc, s13, v4
	s_nop 1
	v_cndmask_b32_e32 v5, 1.0, v0, vcc
	v_mul_f32_e32 v4, v4, v5
	v_log_f32_e32 v4, v4
	s_nop 0
	v_mul_f32_e32 v5, 0x3f317217, v4
	v_fma_f32 v5, v4, s7, -v5
	v_fmac_f32_e32 v5, 0x3377d1cf, v4
	v_fmac_f32_e32 v5, 0x3f317217, v4
	v_cmp_lt_f32_e64 s[4:5], |v4|, s12
	s_nop 1
	v_cndmask_b32_e64 v5, v4, v5, s[4:5]
	v_mov_b32_e32 v4, 0x41b17218
	v_cndmask_b32_e32 v6, 0, v4, vcc
	v_sub_f32_e32 v5, v5, v6
	v_cmp_lt_f32_e32 vcc, s6, v2
	s_nop 1
	v_cndmask_b32_e32 v2, v5, v2, vcc
	v_mul_f32_e32 v5, 0x4f800000, v2
	v_cmp_gt_f32_e32 vcc, s14, v2
	s_nop 1
	v_cndmask_b32_e32 v2, v2, v5, vcc
	v_sqrt_f32_e32 v5, v2
	s_nop 0
	v_add_u32_e32 v1, -1, v5
	v_fma_f32 v6, -v1, v5, v2
	v_cmp_ge_f32_e64 s[4:5], 0, v6
	v_add_u32_e32 v6, 1, v5
	s_nop 0
	v_cndmask_b32_e64 v1, v5, v1, s[4:5]
	v_fma_f32 v5, -v6, v5, v2
	v_cmp_lt_f32_e64 s[4:5], 0, v5
	s_nop 1
	v_cndmask_b32_e64 v1, v1, v6, s[4:5]
	v_mul_f32_e32 v5, 0x37800000, v1
	v_cndmask_b32_e32 v5, v1, v5, vcc
	v_mov_b32_e32 v1, 0x260
	v_cmp_class_f32_e64 s[4:5], v2, v1
	s_and_b64 vcc, exec, s[2:3]
	s_nop 0
	v_cndmask_b32_e64 v2, v5, v2, s[4:5]
	s_cbranch_vccnz .LBB419_34
; %bb.33:
	global_load_dword v5, v12, s[10:11] offset:1792
	s_waitcnt vmcnt(0)
	v_add_f32_e32 v2, v2, v5
.LBB419_34:
	v_mul_f32_e32 v5, 0x3fb8aa3b, v3
	v_exp_f32_e32 v5, v5
	scratch_store_dword off, v2, off offset:56
	v_add_f32_e32 v5, 1.0, v5
	v_cmp_gt_f32_e32 vcc, s13, v5
	s_nop 1
	v_cndmask_b32_e32 v0, 1.0, v0, vcc
	v_mul_f32_e32 v0, v5, v0
	v_log_f32_e32 v0, v0
	v_cndmask_b32_e32 v4, 0, v4, vcc
	v_mul_f32_e32 v5, 0x3f317217, v0
	v_fma_f32 v5, v0, s7, -v5
	v_fmac_f32_e32 v5, 0x3377d1cf, v0
	v_fmac_f32_e32 v5, 0x3f317217, v0
	v_cmp_lt_f32_e64 vcc, |v0|, s12
	s_nop 1
	v_cndmask_b32_e32 v0, v0, v5, vcc
	v_sub_f32_e32 v0, v0, v4
	v_cmp_lt_f32_e32 vcc, s6, v3
	s_nop 1
	v_cndmask_b32_e32 v0, v0, v3, vcc
	v_mul_f32_e32 v3, 0x4f800000, v0
	v_cmp_gt_f32_e32 vcc, s14, v0
	s_nop 1
	v_cndmask_b32_e32 v0, v0, v3, vcc
	v_sqrt_f32_e32 v3, v0
	s_nop 0
	v_add_u32_e32 v2, -1, v3
	v_add_u32_e32 v4, 1, v3
	v_fma_f32 v5, -v2, v3, v0
	v_fma_f32 v6, -v4, v3, v0
	v_cmp_ge_f32_e64 s[4:5], 0, v5
	s_nop 1
	v_cndmask_b32_e64 v2, v3, v2, s[4:5]
	v_cmp_lt_f32_e64 s[4:5], 0, v6
	s_nop 1
	v_cndmask_b32_e64 v2, v2, v4, s[4:5]
	v_mul_f32_e32 v3, 0x37800000, v2
	v_cndmask_b32_e32 v2, v2, v3, vcc
	v_cmp_class_f32_e64 s[4:5], v0, v1
	s_and_b64 vcc, exec, s[2:3]
	s_nop 0
	v_cndmask_b32_e64 v1, v2, v0, s[4:5]
	s_cbranch_vccnz .LBB419_36
; %bb.35:
	global_load_dword v0, v12, s[10:11] offset:1920
	s_waitcnt vmcnt(0)
	v_add_f32_e32 v1, v1, v0
.LBB419_36:
	v_mul_f32_e32 v0, 0x3fb8aa3b, v18
	v_exp_f32_e32 v2, v0
	v_mov_b32_e32 v0, 0x4f800000
	scratch_store_dword off, v1, off offset:60
	v_add_f32_e32 v2, 1.0, v2
	v_cmp_gt_f32_e32 vcc, s13, v2
	s_nop 1
	v_cndmask_b32_e32 v3, 1.0, v0, vcc
	v_mul_f32_e32 v2, v2, v3
	v_log_f32_e32 v2, v2
	s_nop 0
	v_mul_f32_e32 v3, 0x3f317217, v2
	v_fma_f32 v3, v2, s7, -v3
	v_fmac_f32_e32 v3, 0x3377d1cf, v2
	v_fmac_f32_e32 v3, 0x3f317217, v2
	v_cmp_lt_f32_e64 s[4:5], |v2|, s12
	s_nop 1
	v_cndmask_b32_e64 v3, v2, v3, s[4:5]
	v_mov_b32_e32 v2, 0x41b17218
	v_cndmask_b32_e32 v4, 0, v2, vcc
	v_sub_f32_e32 v3, v3, v4
	v_cmp_lt_f32_e32 vcc, s6, v18
	s_nop 1
	v_cndmask_b32_e32 v3, v3, v18, vcc
	v_mul_f32_e32 v4, 0x4f800000, v3
	v_cmp_gt_f32_e32 vcc, s14, v3
	s_nop 1
	v_cndmask_b32_e32 v3, v3, v4, vcc
	v_sqrt_f32_e32 v4, v3
	s_nop 0
	v_add_u32_e32 v1, -1, v4
	v_fma_f32 v5, -v1, v4, v3
	v_cmp_ge_f32_e64 s[4:5], 0, v5
	v_add_u32_e32 v5, 1, v4
	s_nop 0
	v_cndmask_b32_e64 v1, v4, v1, s[4:5]
	v_fma_f32 v4, -v5, v4, v3
	v_cmp_lt_f32_e64 s[4:5], 0, v4
	s_nop 1
	v_cndmask_b32_e64 v1, v1, v5, s[4:5]
	v_mul_f32_e32 v4, 0x37800000, v1
	v_cndmask_b32_e32 v4, v1, v4, vcc
	v_mov_b32_e32 v1, 0x260
	v_cmp_class_f32_e64 s[4:5], v3, v1
	s_and_b64 vcc, exec, s[2:3]
	s_nop 0
	v_cndmask_b32_e64 v3, v4, v3, s[4:5]
	s_cbranch_vccnz .LBB419_38
; %bb.37:
	global_load_dword v4, v12, s[10:11] offset:2048
	s_waitcnt vmcnt(0)
	v_add_f32_e32 v3, v3, v4
.LBB419_38:
	v_mul_f32_e32 v4, 0x3fb8aa3b, v19
	v_exp_f32_e32 v4, v4
	scratch_store_dword off, v3, off offset:64
	v_add_f32_e32 v4, 1.0, v4
	v_cmp_gt_f32_e32 vcc, s13, v4
	s_nop 1
	v_cndmask_b32_e32 v0, 1.0, v0, vcc
	v_mul_f32_e32 v0, v4, v0
	v_log_f32_e32 v0, v0
	v_cndmask_b32_e32 v2, 0, v2, vcc
	v_mul_f32_e32 v4, 0x3f317217, v0
	v_fma_f32 v4, v0, s7, -v4
	v_fmac_f32_e32 v4, 0x3377d1cf, v0
	v_fmac_f32_e32 v4, 0x3f317217, v0
	v_cmp_lt_f32_e64 vcc, |v0|, s12
	s_nop 1
	v_cndmask_b32_e32 v0, v0, v4, vcc
	v_sub_f32_e32 v0, v0, v2
	v_cmp_lt_f32_e32 vcc, s6, v19
	s_nop 1
	v_cndmask_b32_e32 v0, v0, v19, vcc
	v_mul_f32_e32 v2, 0x4f800000, v0
	v_cmp_gt_f32_e32 vcc, s14, v0
	s_nop 1
	v_cndmask_b32_e32 v0, v0, v2, vcc
	v_sqrt_f32_e32 v2, v0
	s_nop 0
	v_add_u32_e32 v3, -1, v2
	v_add_u32_e32 v4, 1, v2
	v_fma_f32 v5, -v3, v2, v0
	v_fma_f32 v6, -v4, v2, v0
	v_cmp_ge_f32_e64 s[4:5], 0, v5
	s_nop 1
	v_cndmask_b32_e64 v2, v2, v3, s[4:5]
	v_cmp_lt_f32_e64 s[4:5], 0, v6
	s_nop 1
	v_cndmask_b32_e64 v2, v2, v4, s[4:5]
	v_mul_f32_e32 v3, 0x37800000, v2
	v_cndmask_b32_e32 v2, v2, v3, vcc
	v_cmp_class_f32_e64 s[4:5], v0, v1
	s_and_b64 vcc, exec, s[2:3]
	s_nop 0
	v_cndmask_b32_e64 v0, v2, v0, s[4:5]
	s_cbranch_vccnz .LBB419_40
; %bb.39:
	global_load_dword v1, v12, s[10:11] offset:2176
	s_waitcnt vmcnt(0)
	v_add_f32_e32 v0, v0, v1
.LBB419_40:
	s_load_dwordx4 s[12:15], s[0:1], 0x30
	s_mov_b32 s31, 0
	v_cmp_eq_u32_e64 s[6:7], 0, v16
	scratch_store_dword off, v0, off offset:68
	s_waitcnt lgkmcnt(0)
	s_bitcmp1_b32 s15, 0
	s_cselect_b64 s[4:5], -1, 0
	s_cmp_gt_i32 s12, 0
	s_cselect_b64 s[24:25], -1, 0
	s_and_b64 vcc, exec, s[24:25]
	s_cbranch_vccz .LBB419_69
; %bb.41:
	v_mbcnt_lo_u32_b32 v0, -1, 0
	v_mbcnt_hi_u32_b32 v0, -1, v0
	v_and_b32_e32 v1, 0x60, v0
	v_add_u32_e32 v1, 32, v1
	v_xor_b32_e32 v12, 16, v0
	v_cmp_lt_i32_e32 vcc, v12, v1
	s_load_dwordx4 s[16:19], s[0:1], 0x20
	v_mul_lo_u32 v2, v14, s12
	v_cndmask_b32_e32 v12, v0, v12, vcc
	v_lshlrev_b32_e32 v23, 2, v12
	v_xor_b32_e32 v12, 8, v0
	v_cmp_lt_i32_e32 vcc, v12, v1
	v_or_b32_e32 v3, 32, v16
	v_or_b32_e32 v4, 64, v16
	v_cndmask_b32_e32 v12, v0, v12, vcc
	v_lshlrev_b32_e32 v24, 2, v12
	v_xor_b32_e32 v12, 4, v0
	v_cmp_lt_i32_e32 vcc, v12, v1
	v_or_b32_e32 v5, 0x60, v16
	v_or_b32_e32 v6, 0x80, v16
	;; [unrolled: 6-line block ×4, first 2 shown]
	v_cndmask_b32_e32 v0, v0, v12, vcc
	v_or_b32_e32 v11, 0x120, v16
	v_or_b32_e32 v13, 0x140, v16
	;; [unrolled: 1-line block ×9, first 2 shown]
	v_lshlrev_b32_e32 v27, 2, v0
	v_mov_b32_e32 v12, 0
	v_mov_b32_e32 v28, 0
	;; [unrolled: 1-line block ×5, first 2 shown]
	s_branch .LBB419_43
.LBB419_42:                             ;   in Loop: Header=BB419_43 Depth=1
	s_or_b64 exec, exec, s[0:1]
	s_cmp_eq_u32 s12, s31
	v_add_u32_e32 v31, s30, v31
	s_cbranch_scc1 .LBB419_70
.LBB419_43:                             ; =>This Inner Loop Header: Depth=1
	s_waitcnt lgkmcnt(0)
	scratch_load_dwordx4 v[32:35], off, off
	scratch_load_dwordx4 v[36:39], off, off offset:16
	scratch_load_dwordx4 v[40:43], off, off offset:32
	scratch_load_dwordx4 v[44:47], off, off offset:48
	scratch_load_dwordx2 v[0:1], off, off offset:64
	s_waitcnt vmcnt(4)
	v_cmp_gt_f32_e32 vcc, v33, v32
	s_nop 1
	v_cndmask_b32_e32 v32, v32, v33, vcc
	v_cndmask_b32_e32 v48, v16, v3, vcc
	v_cmp_gt_f32_e32 vcc, v34, v32
	s_nop 1
	v_cndmask_b32_e32 v32, v32, v34, vcc
	v_cndmask_b32_e32 v33, v48, v4, vcc
	v_cmp_gt_f32_e32 vcc, v35, v32
	s_nop 1
	v_cndmask_b32_e32 v32, v32, v35, vcc
	v_cndmask_b32_e32 v33, v33, v5, vcc
	s_waitcnt vmcnt(3)
	v_cmp_gt_f32_e32 vcc, v36, v32
	s_nop 1
	v_cndmask_b32_e32 v32, v32, v36, vcc
	v_cndmask_b32_e32 v33, v33, v6, vcc
	v_cmp_gt_f32_e32 vcc, v37, v32
	s_nop 1
	v_cndmask_b32_e32 v32, v32, v37, vcc
	v_cndmask_b32_e32 v33, v33, v7, vcc
	v_cmp_gt_f32_e32 vcc, v38, v32
	s_nop 1
	v_cndmask_b32_e32 v32, v32, v38, vcc
	v_cndmask_b32_e32 v33, v33, v8, vcc
	v_cmp_gt_f32_e32 vcc, v39, v32
	s_nop 1
	v_cndmask_b32_e32 v32, v32, v39, vcc
	v_cndmask_b32_e32 v33, v33, v9, vcc
	s_waitcnt vmcnt(2)
	v_cmp_gt_f32_e32 vcc, v40, v32
	s_nop 1
	v_cndmask_b32_e32 v32, v32, v40, vcc
	v_cndmask_b32_e32 v33, v33, v10, vcc
	v_cmp_gt_f32_e32 vcc, v41, v32
	s_nop 1
	v_cndmask_b32_e32 v32, v32, v41, vcc
	v_cndmask_b32_e32 v33, v33, v11, vcc
	v_cmp_gt_f32_e32 vcc, v42, v32
	s_nop 1
	v_cndmask_b32_e32 v32, v32, v42, vcc
	v_cndmask_b32_e32 v33, v33, v13, vcc
	v_cmp_gt_f32_e32 vcc, v43, v32
	s_nop 1
	v_cndmask_b32_e32 v32, v32, v43, vcc
	v_cndmask_b32_e32 v33, v33, v15, vcc
	s_waitcnt vmcnt(1)
	v_cmp_gt_f32_e32 vcc, v44, v32
	s_nop 1
	v_cndmask_b32_e32 v32, v32, v44, vcc
	v_cndmask_b32_e32 v33, v33, v17, vcc
	v_cmp_gt_f32_e32 vcc, v45, v32
	s_nop 1
	v_cndmask_b32_e32 v32, v32, v45, vcc
	v_cndmask_b32_e32 v33, v33, v18, vcc
	v_cmp_gt_f32_e32 vcc, v46, v32
	s_nop 1
	v_cndmask_b32_e32 v32, v32, v46, vcc
	v_cndmask_b32_e32 v33, v33, v19, vcc
	v_cmp_gt_f32_e32 vcc, v47, v32
	s_nop 1
	v_cndmask_b32_e32 v32, v32, v47, vcc
	v_cndmask_b32_e32 v33, v33, v20, vcc
	s_waitcnt vmcnt(0)
	v_cmp_gt_f32_e32 vcc, v0, v32
	s_nop 1
	v_cndmask_b32_e32 v32, v32, v0, vcc
	v_cndmask_b32_e32 v33, v33, v21, vcc
	v_cmp_gt_f32_e32 vcc, v1, v32
	s_nop 1
	v_cndmask_b32_e32 v32, v32, v1, vcc
	v_cndmask_b32_e32 v0, v33, v22, vcc
	ds_bpermute_b32 v1, v23, v32
	ds_bpermute_b32 v33, v23, v0
	s_waitcnt lgkmcnt(0)
	v_cmp_lt_f32_e64 s[26:27], v32, v1
	v_cmp_nlt_f32_e32 vcc, v32, v1
	s_and_saveexec_b64 s[28:29], vcc
; %bb.44:                               ;   in Loop: Header=BB419_43 Depth=1
	v_cmp_eq_f32_e32 vcc, v32, v1
	v_cmp_lt_i32_e64 s[0:1], v33, v0
	s_and_b64 s[0:1], vcc, s[0:1]
	s_andn2_b64 s[26:27], s[26:27], exec
	s_and_b64 s[0:1], s[0:1], exec
	s_or_b64 s[26:27], s[26:27], s[0:1]
; %bb.45:                               ;   in Loop: Header=BB419_43 Depth=1
	s_or_b64 exec, exec, s[28:29]
	s_and_saveexec_b64 s[0:1], s[26:27]
; %bb.46:                               ;   in Loop: Header=BB419_43 Depth=1
	v_mov_b32_e32 v32, v1
	v_mov_b32_e32 v0, v33
; %bb.47:                               ;   in Loop: Header=BB419_43 Depth=1
	s_or_b64 exec, exec, s[0:1]
	ds_bpermute_b32 v1, v24, v32
	ds_bpermute_b32 v33, v24, v0
	s_waitcnt lgkmcnt(1)
	v_cmp_lt_f32_e64 s[26:27], v32, v1
	v_cmp_nlt_f32_e32 vcc, v32, v1
	s_and_saveexec_b64 s[28:29], vcc
	s_cbranch_execz .LBB419_49
; %bb.48:                               ;   in Loop: Header=BB419_43 Depth=1
	v_cmp_eq_f32_e32 vcc, v32, v1
	s_waitcnt lgkmcnt(0)
	v_cmp_lt_i32_e64 s[0:1], v33, v0
	s_and_b64 s[0:1], vcc, s[0:1]
	s_andn2_b64 s[26:27], s[26:27], exec
	s_and_b64 s[0:1], s[0:1], exec
	s_or_b64 s[26:27], s[26:27], s[0:1]
.LBB419_49:                             ;   in Loop: Header=BB419_43 Depth=1
	s_or_b64 exec, exec, s[28:29]
	s_and_saveexec_b64 s[0:1], s[26:27]
	s_cbranch_execz .LBB419_51
; %bb.50:                               ;   in Loop: Header=BB419_43 Depth=1
	v_mov_b32_e32 v32, v1
	s_waitcnt lgkmcnt(0)
	v_mov_b32_e32 v0, v33
.LBB419_51:                             ;   in Loop: Header=BB419_43 Depth=1
	s_or_b64 exec, exec, s[0:1]
	ds_bpermute_b32 v1, v25, v32
	s_waitcnt lgkmcnt(1)
	ds_bpermute_b32 v33, v25, v0
	s_waitcnt lgkmcnt(1)
	v_cmp_lt_f32_e64 s[26:27], v32, v1
	v_cmp_nlt_f32_e32 vcc, v32, v1
	s_and_saveexec_b64 s[28:29], vcc
	s_cbranch_execz .LBB419_53
; %bb.52:                               ;   in Loop: Header=BB419_43 Depth=1
	v_cmp_eq_f32_e32 vcc, v32, v1
	s_waitcnt lgkmcnt(0)
	v_cmp_lt_i32_e64 s[0:1], v33, v0
	s_and_b64 s[0:1], vcc, s[0:1]
	s_andn2_b64 s[26:27], s[26:27], exec
	s_and_b64 s[0:1], s[0:1], exec
	s_or_b64 s[26:27], s[26:27], s[0:1]
.LBB419_53:                             ;   in Loop: Header=BB419_43 Depth=1
	s_or_b64 exec, exec, s[28:29]
	s_and_saveexec_b64 s[0:1], s[26:27]
	s_cbranch_execz .LBB419_55
; %bb.54:                               ;   in Loop: Header=BB419_43 Depth=1
	v_mov_b32_e32 v32, v1
	s_waitcnt lgkmcnt(0)
	v_mov_b32_e32 v0, v33
.LBB419_55:                             ;   in Loop: Header=BB419_43 Depth=1
	s_or_b64 exec, exec, s[0:1]
	ds_bpermute_b32 v1, v26, v32
	s_waitcnt lgkmcnt(1)
	;; [unrolled: 26-line block ×3, first 2 shown]
	ds_bpermute_b32 v33, v27, v0
	s_waitcnt lgkmcnt(1)
	v_cmp_lt_f32_e64 s[26:27], v32, v1
	v_cmp_nlt_f32_e32 vcc, v32, v1
	s_and_saveexec_b64 s[28:29], vcc
	s_cbranch_execnz .LBB419_62
; %bb.60:                               ;   in Loop: Header=BB419_43 Depth=1
	s_or_b64 exec, exec, s[28:29]
	s_and_saveexec_b64 s[0:1], s[26:27]
	s_cbranch_execnz .LBB419_63
.LBB419_61:                             ;   in Loop: Header=BB419_43 Depth=1
	s_or_b64 exec, exec, s[0:1]
	s_and_saveexec_b64 s[26:27], s[6:7]
	s_cbranch_execnz .LBB419_64
	s_branch .LBB419_67
.LBB419_62:                             ;   in Loop: Header=BB419_43 Depth=1
	v_cmp_eq_f32_e32 vcc, v32, v1
	s_waitcnt lgkmcnt(0)
	v_cmp_lt_i32_e64 s[0:1], v33, v0
	s_and_b64 s[0:1], vcc, s[0:1]
	s_andn2_b64 s[26:27], s[26:27], exec
	s_and_b64 s[0:1], s[0:1], exec
	s_or_b64 s[26:27], s[26:27], s[0:1]
	s_or_b64 exec, exec, s[28:29]
	s_and_saveexec_b64 s[0:1], s[26:27]
	s_cbranch_execz .LBB419_61
.LBB419_63:                             ;   in Loop: Header=BB419_43 Depth=1
	s_waitcnt lgkmcnt(0)
	v_mov_b32_e32 v0, v33
	v_mov_b32_e32 v32, v1
	s_or_b64 exec, exec, s[0:1]
	s_and_saveexec_b64 s[26:27], s[6:7]
	s_cbranch_execz .LBB419_67
.LBB419_64:                             ;   in Loop: Header=BB419_43 Depth=1
	s_and_b64 vcc, exec, s[2:3]
	s_cbranch_vccnz .LBB419_66
; %bb.65:                               ;   in Loop: Header=BB419_43 Depth=1
	v_ashrrev_i32_e32 v1, 31, v0
	v_lshl_add_u64 v[34:35], v[0:1], 2, s[10:11]
	global_load_dword v1, v[34:35], off
	s_waitcnt vmcnt(0)
	v_sub_f32_e32 v32, v32, v1
.LBB419_66:                             ;   in Loop: Header=BB419_43 Depth=1
	v_add_u32_e32 v34, s31, v2
	v_cmp_le_i32_e32 vcc, s13, v0
	v_cmp_gt_i32_e64 s[0:1], s14, v0
	v_ashrrev_i32_e32 v35, 31, v34
	s_and_b64 s[0:1], vcc, s[0:1]
	v_lshlrev_b64 v[34:35], 2, v[34:35]
	v_lshl_add_u64 v[36:37], s[20:21], 0, v[34:35]
	v_subrev_u32_e32 v1, s13, v0
	s_and_b64 vcc, s[22:23], s[0:1]
	global_store_dword v[36:37], v32, off
	v_cndmask_b32_e32 v1, v30, v1, vcc
	v_lshl_add_u64 v[36:37], s[16:17], 0, v[34:35]
	global_store_dword v[36:37], v1, off
	v_add_f32_e32 v1, v12, v32
	v_lshl_add_u64 v[34:35], s[18:19], 0, v[34:35]
	v_cndmask_b32_e64 v12, v12, v1, s[4:5]
	global_store_dword v[34:35], v31, off
.LBB419_67:                             ;   in Loop: Header=BB419_43 Depth=1
	s_or_b64 exec, exec, s[26:27]
	v_ashrrev_i32_e32 v1, 31, v0
	v_lshrrev_b32_e32 v1, 27, v1
	v_add_u32_e32 v1, v0, v1
	s_add_i32 s31, s31, 1
	v_and_b32_e32 v32, 0xffffffe0, v1
	s_cmp_lt_i32 s31, s12
	v_sub_u32_e32 v0, v0, v32
	s_cselect_b64 s[0:1], -1, 0
	v_cmp_eq_u32_e32 vcc, v16, v0
	s_and_b64 s[26:27], s[0:1], vcc
	s_and_saveexec_b64 s[0:1], s[26:27]
	s_cbranch_execz .LBB419_42
; %bb.68:                               ;   in Loop: Header=BB419_43 Depth=1
	v_ashrrev_i32_e32 v0, 5, v1
	v_lshl_add_u32 v0, v0, 2, v28
	scratch_store_dword v0, v29, off
	s_branch .LBB419_42
.LBB419_69:
	v_mov_b32_e32 v12, 0
.LBB419_70:
	v_cmp_eq_u32_e32 vcc, 0, v16
	s_and_b64 exec, exec, vcc
	s_cbranch_execz .LBB419_83
; %bb.71:
	s_andn2_b64 vcc, exec, s[4:5]
	v_cvt_f32_f64_e32 v0, s[8:9]
	s_cbranch_vccnz .LBB419_73
; %bb.72:
	v_cmp_lt_f32_e32 vcc, 0, v12
	s_nop 1
	v_cndmask_b32_e32 v1, 1.0, v12, vcc
	v_div_scale_f32 v2, s[0:1], v1, v1, v0
	v_rcp_f32_e32 v3, v2
	s_nop 0
	v_fma_f32 v4, -v2, v3, 1.0
	v_fmac_f32_e32 v3, v4, v3
	v_div_scale_f32 v4, vcc, v0, v1, v0
	v_mul_f32_e32 v5, v4, v3
	v_fma_f32 v6, -v2, v5, v4
	v_fmac_f32_e32 v5, v6, v3
	v_fma_f32 v2, -v2, v5, v4
	v_div_fmas_f32 v2, v2, v3, v5
	v_div_fixup_f32 v0, v2, v1, v0
.LBB419_73:
	s_andn2_b64 vcc, exec, s[24:25]
	s_cbranch_vccnz .LBB419_83
; %bb.74:
	v_mul_lo_u32 v2, v14, s12
	s_cmp_gt_u32 s12, 3
	v_ashrrev_i32_e32 v3, 31, v2
	s_cbranch_scc0 .LBB419_78
; %bb.75:
	s_and_b32 s0, s12, 0x7ffffffc
	v_lshl_add_u64 v[4:5], v[2:3], 2, s[20:21]
	v_mov_b32_e32 v1, v0
	v_lshl_add_u64 v[4:5], v[4:5], 0, 8
	s_mov_b32 s1, s0
.LBB419_76:                             ; =>This Inner Loop Header: Depth=1
	global_load_dwordx4 v[6:9], v[4:5], off offset:-8
	s_add_i32 s1, s1, -4
	s_cmp_lg_u32 s1, 0
	s_waitcnt vmcnt(0)
	v_pk_mul_f32 v[6:7], v[0:1], v[6:7]
	v_pk_mul_f32 v[8:9], v[0:1], v[8:9]
	global_store_dwordx4 v[4:5], v[6:9], off offset:-8
	v_lshl_add_u64 v[4:5], v[4:5], 0, 16
	s_cbranch_scc1 .LBB419_76
; %bb.77:
	s_cmp_lg_u32 s0, s12
	s_cselect_b64 s[2:3], -1, 0
	s_branch .LBB419_80
.LBB419_78:
	s_mov_b64 s[2:3], 0
                                        ; implicit-def: $sgpr0
	s_cbranch_execz .LBB419_80
; %bb.79:
	s_mov_b64 s[2:3], -1
	s_mov_b32 s0, 0
.LBB419_80:
	s_andn2_b64 vcc, exec, s[2:3]
	s_cbranch_vccnz .LBB419_83
; %bb.81:
	s_mov_b32 s1, 0
	v_lshl_add_u64 v[2:3], v[2:3], 0, s[0:1]
	s_sub_i32 s2, s12, s0
	v_lshl_add_u64 v[2:3], v[2:3], 2, s[20:21]
.LBB419_82:                             ; =>This Inner Loop Header: Depth=1
	global_load_dword v1, v[2:3], off
	s_add_i32 s2, s2, -1
	s_cmp_lg_u32 s2, 0
	s_waitcnt vmcnt(0)
	v_mul_f32_e32 v1, v0, v1
	global_store_dword v[2:3], v1, off
	v_lshl_add_u64 v[2:3], v[2:3], 0, 4
	s_cbranch_scc1 .LBB419_82
.LBB419_83:
	s_endpgm
	.section	.rodata,"a",@progbits
	.p2align	6, 0x0
	.amdhsa_kernel _ZN4vllm3moe22topkGatingSoftplusSqrtILi18ELi576ELi4ELi2ELi32ELb0Ei14__hip_bfloat16EEvPKT6_PKbPfiPT5_PiiiibdPKfPKS9_SF_
		.amdhsa_group_segment_fixed_size 0
		.amdhsa_private_segment_fixed_size 80
		.amdhsa_kernarg_size 96
		.amdhsa_user_sgpr_count 2
		.amdhsa_user_sgpr_dispatch_ptr 0
		.amdhsa_user_sgpr_queue_ptr 0
		.amdhsa_user_sgpr_kernarg_segment_ptr 1
		.amdhsa_user_sgpr_dispatch_id 0
		.amdhsa_user_sgpr_kernarg_preload_length 0
		.amdhsa_user_sgpr_kernarg_preload_offset 0
		.amdhsa_user_sgpr_private_segment_size 0
		.amdhsa_uses_dynamic_stack 0
		.amdhsa_enable_private_segment 1
		.amdhsa_system_sgpr_workgroup_id_x 1
		.amdhsa_system_sgpr_workgroup_id_y 0
		.amdhsa_system_sgpr_workgroup_id_z 0
		.amdhsa_system_sgpr_workgroup_info 0
		.amdhsa_system_vgpr_workitem_id 1
		.amdhsa_next_free_vgpr 49
		.amdhsa_next_free_sgpr 32
		.amdhsa_accum_offset 52
		.amdhsa_reserve_vcc 1
		.amdhsa_float_round_mode_32 0
		.amdhsa_float_round_mode_16_64 0
		.amdhsa_float_denorm_mode_32 3
		.amdhsa_float_denorm_mode_16_64 3
		.amdhsa_dx10_clamp 1
		.amdhsa_ieee_mode 1
		.amdhsa_fp16_overflow 0
		.amdhsa_tg_split 0
		.amdhsa_exception_fp_ieee_invalid_op 0
		.amdhsa_exception_fp_denorm_src 0
		.amdhsa_exception_fp_ieee_div_zero 0
		.amdhsa_exception_fp_ieee_overflow 0
		.amdhsa_exception_fp_ieee_underflow 0
		.amdhsa_exception_fp_ieee_inexact 0
		.amdhsa_exception_int_div_zero 0
	.end_amdhsa_kernel
	.section	.text._ZN4vllm3moe22topkGatingSoftplusSqrtILi18ELi576ELi4ELi2ELi32ELb0Ei14__hip_bfloat16EEvPKT6_PKbPfiPT5_PiiiibdPKfPKS9_SF_,"axG",@progbits,_ZN4vllm3moe22topkGatingSoftplusSqrtILi18ELi576ELi4ELi2ELi32ELb0Ei14__hip_bfloat16EEvPKT6_PKbPfiPT5_PiiiibdPKfPKS9_SF_,comdat
.Lfunc_end419:
	.size	_ZN4vllm3moe22topkGatingSoftplusSqrtILi18ELi576ELi4ELi2ELi32ELb0Ei14__hip_bfloat16EEvPKT6_PKbPfiPT5_PiiiibdPKfPKS9_SF_, .Lfunc_end419-_ZN4vllm3moe22topkGatingSoftplusSqrtILi18ELi576ELi4ELi2ELi32ELb0Ei14__hip_bfloat16EEvPKT6_PKbPfiPT5_PiiiibdPKfPKS9_SF_
                                        ; -- End function
	.section	.AMDGPU.csdata,"",@progbits
; Kernel info:
; codeLenInByte = 7452
; NumSgprs: 38
; NumVgprs: 49
; NumAgprs: 0
; TotalNumVgprs: 49
; ScratchSize: 80
; MemoryBound: 0
; FloatMode: 240
; IeeeMode: 1
; LDSByteSize: 0 bytes/workgroup (compile time only)
; SGPRBlocks: 4
; VGPRBlocks: 6
; NumSGPRsForWavesPerEU: 38
; NumVGPRsForWavesPerEU: 49
; AccumOffset: 52
; Occupancy: 8
; WaveLimiterHint : 0
; COMPUTE_PGM_RSRC2:SCRATCH_EN: 1
; COMPUTE_PGM_RSRC2:USER_SGPR: 2
; COMPUTE_PGM_RSRC2:TRAP_HANDLER: 0
; COMPUTE_PGM_RSRC2:TGID_X_EN: 1
; COMPUTE_PGM_RSRC2:TGID_Y_EN: 0
; COMPUTE_PGM_RSRC2:TGID_Z_EN: 0
; COMPUTE_PGM_RSRC2:TIDIG_COMP_CNT: 1
; COMPUTE_PGM_RSRC3_GFX90A:ACCUM_OFFSET: 12
; COMPUTE_PGM_RSRC3_GFX90A:TG_SPLIT: 0
	.section	.text._ZN4vllm3moe22topkGatingSoftplusSqrtILi1ELi1ELi4ELi2ELi64ELb1Ej14__hip_bfloat16EEvPKT6_PKbPfiPT5_PiiiibdPKfPKS9_SF_,"axG",@progbits,_ZN4vllm3moe22topkGatingSoftplusSqrtILi1ELi1ELi4ELi2ELi64ELb1Ej14__hip_bfloat16EEvPKT6_PKbPfiPT5_PiiiibdPKfPKS9_SF_,comdat
	.protected	_ZN4vllm3moe22topkGatingSoftplusSqrtILi1ELi1ELi4ELi2ELi64ELb1Ej14__hip_bfloat16EEvPKT6_PKbPfiPT5_PiiiibdPKfPKS9_SF_ ; -- Begin function _ZN4vllm3moe22topkGatingSoftplusSqrtILi1ELi1ELi4ELi2ELi64ELb1Ej14__hip_bfloat16EEvPKT6_PKbPfiPT5_PiiiibdPKfPKS9_SF_
	.globl	_ZN4vllm3moe22topkGatingSoftplusSqrtILi1ELi1ELi4ELi2ELi64ELb1Ej14__hip_bfloat16EEvPKT6_PKbPfiPT5_PiiiibdPKfPKS9_SF_
	.p2align	8
	.type	_ZN4vllm3moe22topkGatingSoftplusSqrtILi1ELi1ELi4ELi2ELi64ELb1Ej14__hip_bfloat16EEvPKT6_PKbPfiPT5_PiiiibdPKfPKS9_SF_,@function
_ZN4vllm3moe22topkGatingSoftplusSqrtILi1ELi1ELi4ELi2ELi64ELb1Ej14__hip_bfloat16EEvPKT6_PKbPfiPT5_PiiiibdPKfPKS9_SF_: ; @_ZN4vllm3moe22topkGatingSoftplusSqrtILi1ELi1ELi4ELi2ELi64ELb1Ej14__hip_bfloat16EEvPKT6_PKbPfiPT5_PiiiibdPKfPKS9_SF_
; %bb.0:
	s_load_dword s3, s[0:1], 0x18
	v_bfe_u32 v1, v0, 10, 10
	s_lshl_b32 s2, s2, 8
	v_lshlrev_b32_e32 v1, 6, v1
	v_and_b32_e32 v0, 0x3ff, v0
	v_add3_u32 v2, v1, v0, s2
	s_waitcnt lgkmcnt(0)
	v_cmp_gt_i32_e32 vcc, s3, v2
	s_and_saveexec_b64 s[2:3], vcc
	s_cbranch_execz .LBB420_55
; %bb.1:
	s_load_dwordx2 s[2:3], s[0:1], 0x0
	s_load_dword s14, s[0:1], 0x30
	v_ashrrev_i32_e32 v3, 31, v2
	s_load_dwordx4 s[4:7], s[0:1], 0x50
	v_mov_b32_e32 v6, 0x41b17218
	s_waitcnt lgkmcnt(0)
	v_lshl_add_u64 v[0:1], v[2:3], 1, s[2:3]
	global_load_ushort v4, v[0:1], off
	s_mov_b32 s3, 0x800000
	v_mov_b32_e32 v0, s4
	v_mov_b32_e32 v1, s5
	v_lshl_add_u64 v[0:1], v[2:3], 2, v[0:1]
	global_load_dword v0, v[0:1], off
	v_mov_b32_e32 v3, 0x4f800000
	s_mov_b32 s9, 0x3f317217
	s_mov_b32 s10, 0x7f800000
	s_mov_b32 s2, 0x41a00000
	s_mov_b32 s11, 0xf800000
	v_mov_b32_e32 v7, 0x260
	v_mov_b32_e32 v1, 0
	s_cmp_gt_i32 s14, 0
	s_mov_b32 s8, 0
	s_cselect_b64 s[4:5], -1, 0
	s_cmp_lt_i32 s14, 1
	v_mul_lo_u32 v2, v2, s14
	s_waitcnt vmcnt(1)
	v_lshlrev_b32_e32 v4, 16, v4
	v_mul_f32_e32 v5, 0x3fb8aa3b, v4
	v_exp_f32_e32 v5, v5
	s_waitcnt vmcnt(0)
	v_mul_lo_u32 v0, v0, s14
	v_add_f32_e32 v5, 1.0, v5
	v_cmp_gt_f32_e32 vcc, s3, v5
	s_nop 1
	v_cndmask_b32_e32 v3, 1.0, v3, vcc
	v_mul_f32_e32 v3, v5, v3
	v_log_f32_e32 v3, v3
	v_cndmask_b32_e32 v5, 0, v6, vcc
	v_mul_f32_e32 v6, 0x3f317217, v3
	v_fma_f32 v6, v3, s9, -v6
	v_fmamk_f32 v6, v3, 0x3377d1cf, v6
	v_fmac_f32_e32 v6, 0x3f317217, v3
	v_cmp_lt_f32_e64 vcc, |v3|, s10
	s_nop 1
	v_cndmask_b32_e32 v3, v3, v6, vcc
	v_sub_f32_e32 v3, v3, v5
	v_cmp_lt_f32_e32 vcc, s2, v4
	s_nop 1
	v_cndmask_b32_e32 v3, v3, v4, vcc
	v_mul_f32_e32 v4, 0x4f800000, v3
	v_cmp_gt_f32_e32 vcc, s11, v3
	s_nop 1
	v_cndmask_b32_e32 v3, v3, v4, vcc
	v_sqrt_f32_e32 v6, v3
	v_lshl_add_u64 v[4:5], v[0:1], 2, s[6:7]
	v_add_u32_e32 v8, -1, v6
	v_add_u32_e32 v9, 1, v6
	v_fma_f32 v10, -v8, v6, v3
	v_fma_f32 v11, -v9, v6, v3
	v_cmp_ge_f32_e64 s[2:3], 0, v10
	s_nop 1
	v_cndmask_b32_e64 v6, v6, v8, s[2:3]
	v_cmp_lt_f32_e64 s[2:3], 0, v11
	s_nop 1
	v_cndmask_b32_e64 v6, v6, v9, s[2:3]
	v_mul_f32_e32 v8, 0x37800000, v6
	v_cndmask_b32_e32 v6, v6, v8, vcc
	v_cmp_class_f32_e32 vcc, v3, v7
	s_nop 1
	v_cndmask_b32_e32 v10, v6, v3, vcc
	s_cbranch_scc1 .LBB420_21
; %bb.2:
	s_load_dwordx2 s[2:3], s[0:1], 0x20
	s_cmp_lt_u32 s14, 8
	s_cbranch_scc1 .LBB420_22
; %bb.3:
	v_ashrrev_i32_e32 v3, 31, v2
	s_and_b32 s8, s14, 0x7ffffff8
	s_waitcnt lgkmcnt(0)
	v_lshl_add_u64 v[6:7], v[2:3], 2, s[2:3]
	s_mov_b32 s9, 0
	s_mov_b64 s[10:11], 0
	v_mov_b32_e32 v11, 0
	v_mov_b32_e32 v3, 0
	s_branch .LBB420_5
.LBB420_4:                              ;   in Loop: Header=BB420_5 Depth=1
	s_or_b64 exec, exec, s[12:13]
	s_add_i32 s9, s9, 8
	s_add_u32 s10, s10, 32
	s_addc_u32 s11, s11, 0
	s_cmp_eq_u32 s8, s9
	s_cbranch_scc1 .LBB420_23
.LBB420_5:                              ; =>This Inner Loop Header: Depth=1
	v_lshl_add_u64 v[8:9], v[4:5], 0, s[10:11]
	global_load_dword v12, v[8:9], off
	s_waitcnt vmcnt(0)
	v_cmp_eq_u32_e32 vcc, 0, v12
	s_and_saveexec_b64 s[12:13], vcc
	s_cbranch_execz .LBB420_7
; %bb.6:                                ;   in Loop: Header=BB420_5 Depth=1
	v_add_u32_e32 v12, s9, v2
	v_ashrrev_i32_e32 v13, 31, v12
	v_lshl_add_u64 v[12:13], v[12:13], 2, s[2:3]
	v_add_f32_e32 v3, v10, v3
	global_store_dword v[12:13], v11, off
.LBB420_7:                              ;   in Loop: Header=BB420_5 Depth=1
	s_or_b64 exec, exec, s[12:13]
	global_load_dword v12, v[8:9], off offset:4
	s_waitcnt vmcnt(0)
	v_cmp_eq_u32_e32 vcc, 0, v12
	s_and_saveexec_b64 s[12:13], vcc
	s_cbranch_execz .LBB420_9
; %bb.8:                                ;   in Loop: Header=BB420_5 Depth=1
	v_lshl_add_u64 v[12:13], v[6:7], 0, s[10:11]
	v_add_f32_e32 v3, v10, v3
	global_store_dword v[12:13], v11, off offset:4
.LBB420_9:                              ;   in Loop: Header=BB420_5 Depth=1
	s_or_b64 exec, exec, s[12:13]
	global_load_dword v12, v[8:9], off offset:8
	s_waitcnt vmcnt(0)
	v_cmp_eq_u32_e32 vcc, 0, v12
	s_and_saveexec_b64 s[12:13], vcc
	s_cbranch_execz .LBB420_11
; %bb.10:                               ;   in Loop: Header=BB420_5 Depth=1
	v_lshl_add_u64 v[12:13], v[6:7], 0, s[10:11]
	v_add_f32_e32 v3, v10, v3
	global_store_dword v[12:13], v11, off offset:8
.LBB420_11:                             ;   in Loop: Header=BB420_5 Depth=1
	s_or_b64 exec, exec, s[12:13]
	global_load_dword v12, v[8:9], off offset:12
	s_waitcnt vmcnt(0)
	v_cmp_eq_u32_e32 vcc, 0, v12
	s_and_saveexec_b64 s[12:13], vcc
	s_cbranch_execz .LBB420_13
; %bb.12:                               ;   in Loop: Header=BB420_5 Depth=1
	v_lshl_add_u64 v[12:13], v[6:7], 0, s[10:11]
	v_add_f32_e32 v3, v10, v3
	global_store_dword v[12:13], v11, off offset:12
.LBB420_13:                             ;   in Loop: Header=BB420_5 Depth=1
	;; [unrolled: 11-line block ×5, first 2 shown]
	s_or_b64 exec, exec, s[12:13]
	global_load_dword v8, v[8:9], off offset:28
	s_waitcnt vmcnt(0)
	v_cmp_eq_u32_e32 vcc, 0, v8
	s_and_saveexec_b64 s[12:13], vcc
	s_cbranch_execz .LBB420_4
; %bb.20:                               ;   in Loop: Header=BB420_5 Depth=1
	v_lshl_add_u64 v[8:9], v[6:7], 0, s[10:11]
	v_add_f32_e32 v3, v10, v3
	global_store_dword v[8:9], v11, off offset:28
	s_branch .LBB420_4
.LBB420_21:
	v_mov_b32_e32 v3, v1
	s_branch .LBB420_28
.LBB420_22:
	v_mov_b32_e32 v3, v1
.LBB420_23:
	s_and_b32 s10, s14, 7
	s_cmp_eq_u32 s10, 0
	s_mov_b32 s9, 0
	s_cbranch_scc1 .LBB420_28
; %bb.24:
	v_add_u32_e32 v6, s8, v2
	s_lshl_b64 s[8:9], s[8:9], 2
	s_add_u32 s8, s6, s8
	s_addc_u32 s9, s7, s9
	v_lshl_add_u64 v[8:9], v[0:1], 2, s[8:9]
	v_mov_b32_e32 v11, 0
	s_branch .LBB420_26
.LBB420_25:                             ;   in Loop: Header=BB420_26 Depth=1
	s_or_b64 exec, exec, s[8:9]
	s_add_i32 s10, s10, -1
	v_add_u32_e32 v6, 1, v6
	s_cmp_lg_u32 s10, 0
	v_lshl_add_u64 v[8:9], v[8:9], 0, 4
	s_cbranch_scc0 .LBB420_28
.LBB420_26:                             ; =>This Inner Loop Header: Depth=1
	global_load_dword v7, v[8:9], off
	s_waitcnt vmcnt(0)
	v_cmp_eq_u32_e32 vcc, 0, v7
	s_and_saveexec_b64 s[8:9], vcc
	s_cbranch_execz .LBB420_25
; %bb.27:                               ;   in Loop: Header=BB420_26 Depth=1
	v_ashrrev_i32_e32 v7, 31, v6
	s_waitcnt lgkmcnt(0)
	v_lshl_add_u64 v[12:13], v[6:7], 2, s[2:3]
	v_add_f32_e32 v3, v10, v3
	global_store_dword v[12:13], v11, off
	s_branch .LBB420_25
.LBB420_28:
	s_load_dword s8, s[0:1], 0x3c
	s_waitcnt lgkmcnt(0)
	s_load_dwordx2 s[2:3], s[0:1], 0x40
	s_bitcmp1_b32 s8, 0
	s_cselect_b64 s[8:9], -1, 0
	s_waitcnt lgkmcnt(0)
	v_cvt_f32_f64_e32 v6, s[2:3]
	s_and_b64 vcc, exec, s[8:9]
	s_cbranch_vccz .LBB420_30
; %bb.29:
	v_cmp_lt_f32_e32 vcc, 0, v3
	s_nop 1
	v_cndmask_b32_e32 v3, 1.0, v3, vcc
	v_div_scale_f32 v7, s[2:3], v3, v3, v6
	v_rcp_f32_e32 v8, v7
	s_nop 0
	v_fma_f32 v9, -v7, v8, 1.0
	v_fmac_f32_e32 v8, v9, v8
	v_div_scale_f32 v9, vcc, v6, v3, v6
	v_mul_f32_e32 v11, v9, v8
	v_fma_f32 v12, -v7, v11, v9
	v_fmac_f32_e32 v11, v12, v8
	v_fma_f32 v7, -v7, v11, v9
	v_div_fmas_f32 v7, v7, v8, v11
	v_div_fixup_f32 v6, v7, v3, v6
.LBB420_30:
	s_andn2_b64 vcc, exec, s[4:5]
	s_cbranch_vccnz .LBB420_55
; %bb.31:
	s_load_dwordx2 s[0:1], s[0:1], 0x10
	v_mul_f32_e32 v10, v10, v6
	s_cmp_lt_u32 s14, 8
	s_mov_b32 s2, 0
	s_cbranch_scc1 .LBB420_50
; %bb.32:
	v_ashrrev_i32_e32 v3, 31, v2
	s_and_b32 s2, s14, 0x7ffffff8
	s_waitcnt lgkmcnt(0)
	v_lshl_add_u64 v[6:7], v[2:3], 2, s[0:1]
	s_mov_b32 s3, 0
	s_mov_b64 s[4:5], 0
	s_branch .LBB420_34
.LBB420_33:                             ;   in Loop: Header=BB420_34 Depth=1
	s_or_b64 exec, exec, s[8:9]
	s_add_i32 s3, s3, 8
	s_add_u32 s4, s4, 32
	s_addc_u32 s5, s5, 0
	s_cmp_lg_u32 s2, s3
	s_cbranch_scc0 .LBB420_50
.LBB420_34:                             ; =>This Inner Loop Header: Depth=1
	v_lshl_add_u64 v[8:9], v[4:5], 0, s[4:5]
	global_load_dword v3, v[8:9], off
	s_waitcnt vmcnt(0)
	v_cmp_eq_u32_e32 vcc, 0, v3
	s_and_saveexec_b64 s[8:9], vcc
	s_cbranch_execz .LBB420_36
; %bb.35:                               ;   in Loop: Header=BB420_34 Depth=1
	v_add_u32_e32 v12, s3, v2
	v_ashrrev_i32_e32 v13, 31, v12
	v_lshl_add_u64 v[12:13], v[12:13], 2, s[0:1]
	global_store_dword v[12:13], v10, off
.LBB420_36:                             ;   in Loop: Header=BB420_34 Depth=1
	s_or_b64 exec, exec, s[8:9]
	global_load_dword v3, v[8:9], off offset:4
	s_waitcnt vmcnt(0)
	v_cmp_eq_u32_e32 vcc, 0, v3
	s_and_saveexec_b64 s[8:9], vcc
	s_cbranch_execz .LBB420_38
; %bb.37:                               ;   in Loop: Header=BB420_34 Depth=1
	v_lshl_add_u64 v[12:13], v[6:7], 0, s[4:5]
	global_store_dword v[12:13], v10, off offset:4
.LBB420_38:                             ;   in Loop: Header=BB420_34 Depth=1
	s_or_b64 exec, exec, s[8:9]
	global_load_dword v3, v[8:9], off offset:8
	s_waitcnt vmcnt(0)
	v_cmp_eq_u32_e32 vcc, 0, v3
	s_and_saveexec_b64 s[8:9], vcc
	s_cbranch_execz .LBB420_40
; %bb.39:                               ;   in Loop: Header=BB420_34 Depth=1
	v_lshl_add_u64 v[12:13], v[6:7], 0, s[4:5]
	global_store_dword v[12:13], v10, off offset:8
.LBB420_40:                             ;   in Loop: Header=BB420_34 Depth=1
	;; [unrolled: 10-line block ×6, first 2 shown]
	s_or_b64 exec, exec, s[8:9]
	global_load_dword v3, v[8:9], off offset:28
	s_waitcnt vmcnt(0)
	v_cmp_eq_u32_e32 vcc, 0, v3
	s_and_saveexec_b64 s[8:9], vcc
	s_cbranch_execz .LBB420_33
; %bb.49:                               ;   in Loop: Header=BB420_34 Depth=1
	v_lshl_add_u64 v[8:9], v[6:7], 0, s[4:5]
	global_store_dword v[8:9], v10, off offset:28
	s_branch .LBB420_33
.LBB420_50:
	s_and_b32 s4, s14, 7
	s_cmp_eq_u32 s4, 0
	s_mov_b32 s3, 0
	s_cbranch_scc1 .LBB420_55
; %bb.51:
	v_add_u32_e32 v2, s2, v2
	s_lshl_b64 s[2:3], s[2:3], 2
	s_add_u32 s2, s6, s2
	s_addc_u32 s3, s7, s3
	v_lshl_add_u64 v[0:1], v[0:1], 2, s[2:3]
	s_branch .LBB420_53
.LBB420_52:                             ;   in Loop: Header=BB420_53 Depth=1
	s_or_b64 exec, exec, s[2:3]
	s_add_i32 s4, s4, -1
	v_add_u32_e32 v2, 1, v2
	s_cmp_lg_u32 s4, 0
	v_lshl_add_u64 v[0:1], v[0:1], 0, 4
	s_cbranch_scc0 .LBB420_55
.LBB420_53:                             ; =>This Inner Loop Header: Depth=1
	global_load_dword v3, v[0:1], off
	s_waitcnt vmcnt(0)
	v_cmp_eq_u32_e32 vcc, 0, v3
	s_and_saveexec_b64 s[2:3], vcc
	s_cbranch_execz .LBB420_52
; %bb.54:                               ;   in Loop: Header=BB420_53 Depth=1
	v_ashrrev_i32_e32 v3, 31, v2
	s_waitcnt lgkmcnt(0)
	v_lshl_add_u64 v[4:5], v[2:3], 2, s[0:1]
	global_store_dword v[4:5], v10, off
	s_branch .LBB420_52
.LBB420_55:
	s_endpgm
	.section	.rodata,"a",@progbits
	.p2align	6, 0x0
	.amdhsa_kernel _ZN4vllm3moe22topkGatingSoftplusSqrtILi1ELi1ELi4ELi2ELi64ELb1Ej14__hip_bfloat16EEvPKT6_PKbPfiPT5_PiiiibdPKfPKS9_SF_
		.amdhsa_group_segment_fixed_size 0
		.amdhsa_private_segment_fixed_size 0
		.amdhsa_kernarg_size 96
		.amdhsa_user_sgpr_count 2
		.amdhsa_user_sgpr_dispatch_ptr 0
		.amdhsa_user_sgpr_queue_ptr 0
		.amdhsa_user_sgpr_kernarg_segment_ptr 1
		.amdhsa_user_sgpr_dispatch_id 0
		.amdhsa_user_sgpr_kernarg_preload_length 0
		.amdhsa_user_sgpr_kernarg_preload_offset 0
		.amdhsa_user_sgpr_private_segment_size 0
		.amdhsa_uses_dynamic_stack 0
		.amdhsa_enable_private_segment 0
		.amdhsa_system_sgpr_workgroup_id_x 1
		.amdhsa_system_sgpr_workgroup_id_y 0
		.amdhsa_system_sgpr_workgroup_id_z 0
		.amdhsa_system_sgpr_workgroup_info 0
		.amdhsa_system_vgpr_workitem_id 1
		.amdhsa_next_free_vgpr 14
		.amdhsa_next_free_sgpr 15
		.amdhsa_accum_offset 16
		.amdhsa_reserve_vcc 1
		.amdhsa_float_round_mode_32 0
		.amdhsa_float_round_mode_16_64 0
		.amdhsa_float_denorm_mode_32 3
		.amdhsa_float_denorm_mode_16_64 3
		.amdhsa_dx10_clamp 1
		.amdhsa_ieee_mode 1
		.amdhsa_fp16_overflow 0
		.amdhsa_tg_split 0
		.amdhsa_exception_fp_ieee_invalid_op 0
		.amdhsa_exception_fp_denorm_src 0
		.amdhsa_exception_fp_ieee_div_zero 0
		.amdhsa_exception_fp_ieee_overflow 0
		.amdhsa_exception_fp_ieee_underflow 0
		.amdhsa_exception_fp_ieee_inexact 0
		.amdhsa_exception_int_div_zero 0
	.end_amdhsa_kernel
	.section	.text._ZN4vllm3moe22topkGatingSoftplusSqrtILi1ELi1ELi4ELi2ELi64ELb1Ej14__hip_bfloat16EEvPKT6_PKbPfiPT5_PiiiibdPKfPKS9_SF_,"axG",@progbits,_ZN4vllm3moe22topkGatingSoftplusSqrtILi1ELi1ELi4ELi2ELi64ELb1Ej14__hip_bfloat16EEvPKT6_PKbPfiPT5_PiiiibdPKfPKS9_SF_,comdat
.Lfunc_end420:
	.size	_ZN4vllm3moe22topkGatingSoftplusSqrtILi1ELi1ELi4ELi2ELi64ELb1Ej14__hip_bfloat16EEvPKT6_PKbPfiPT5_PiiiibdPKfPKS9_SF_, .Lfunc_end420-_ZN4vllm3moe22topkGatingSoftplusSqrtILi1ELi1ELi4ELi2ELi64ELb1Ej14__hip_bfloat16EEvPKT6_PKbPfiPT5_PiiiibdPKfPKS9_SF_
                                        ; -- End function
	.section	.AMDGPU.csdata,"",@progbits
; Kernel info:
; codeLenInByte = 1816
; NumSgprs: 21
; NumVgprs: 14
; NumAgprs: 0
; TotalNumVgprs: 14
; ScratchSize: 0
; MemoryBound: 0
; FloatMode: 240
; IeeeMode: 1
; LDSByteSize: 0 bytes/workgroup (compile time only)
; SGPRBlocks: 2
; VGPRBlocks: 1
; NumSGPRsForWavesPerEU: 21
; NumVGPRsForWavesPerEU: 14
; AccumOffset: 16
; Occupancy: 8
; WaveLimiterHint : 1
; COMPUTE_PGM_RSRC2:SCRATCH_EN: 0
; COMPUTE_PGM_RSRC2:USER_SGPR: 2
; COMPUTE_PGM_RSRC2:TRAP_HANDLER: 0
; COMPUTE_PGM_RSRC2:TGID_X_EN: 1
; COMPUTE_PGM_RSRC2:TGID_Y_EN: 0
; COMPUTE_PGM_RSRC2:TGID_Z_EN: 0
; COMPUTE_PGM_RSRC2:TIDIG_COMP_CNT: 1
; COMPUTE_PGM_RSRC3_GFX90A:ACCUM_OFFSET: 3
; COMPUTE_PGM_RSRC3_GFX90A:TG_SPLIT: 0
	.section	.text._ZN4vllm3moe22topkGatingSoftplusSqrtILi1ELi1ELi4ELi2ELi64ELb0Ej14__hip_bfloat16EEvPKT6_PKbPfiPT5_PiiiibdPKfPKS9_SF_,"axG",@progbits,_ZN4vllm3moe22topkGatingSoftplusSqrtILi1ELi1ELi4ELi2ELi64ELb0Ej14__hip_bfloat16EEvPKT6_PKbPfiPT5_PiiiibdPKfPKS9_SF_,comdat
	.protected	_ZN4vllm3moe22topkGatingSoftplusSqrtILi1ELi1ELi4ELi2ELi64ELb0Ej14__hip_bfloat16EEvPKT6_PKbPfiPT5_PiiiibdPKfPKS9_SF_ ; -- Begin function _ZN4vllm3moe22topkGatingSoftplusSqrtILi1ELi1ELi4ELi2ELi64ELb0Ej14__hip_bfloat16EEvPKT6_PKbPfiPT5_PiiiibdPKfPKS9_SF_
	.globl	_ZN4vllm3moe22topkGatingSoftplusSqrtILi1ELi1ELi4ELi2ELi64ELb0Ej14__hip_bfloat16EEvPKT6_PKbPfiPT5_PiiiibdPKfPKS9_SF_
	.p2align	8
	.type	_ZN4vllm3moe22topkGatingSoftplusSqrtILi1ELi1ELi4ELi2ELi64ELb0Ej14__hip_bfloat16EEvPKT6_PKbPfiPT5_PiiiibdPKfPKS9_SF_,@function
_ZN4vllm3moe22topkGatingSoftplusSqrtILi1ELi1ELi4ELi2ELi64ELb0Ej14__hip_bfloat16EEvPKT6_PKbPfiPT5_PiiiibdPKfPKS9_SF_: ; @_ZN4vllm3moe22topkGatingSoftplusSqrtILi1ELi1ELi4ELi2ELi64ELb0Ej14__hip_bfloat16EEvPKT6_PKbPfiPT5_PiiiibdPKfPKS9_SF_
; %bb.0:
	s_load_dword s24, s[0:1], 0x18
	v_bfe_u32 v1, v0, 10, 10
	s_lshl_b32 s2, s2, 8
	v_lshlrev_b32_e32 v1, 6, v1
	v_and_b32_e32 v0, 0x3ff, v0
	v_add3_u32 v2, v1, v0, s2
	s_waitcnt lgkmcnt(0)
	v_cmp_gt_i32_e32 vcc, s24, v2
	s_and_saveexec_b64 s[2:3], vcc
	s_cbranch_execz .LBB421_24
; %bb.1:
	s_load_dwordx4 s[4:7], s[0:1], 0x0
	s_load_dwordx2 s[16:17], s[0:1], 0x10
	v_ashrrev_i32_e32 v3, 31, v2
	s_waitcnt lgkmcnt(0)
	s_cmp_eq_u64 s[6:7], 0
	s_cbranch_scc1 .LBB421_3
; %bb.2:
	v_lshl_add_u64 v[0:1], s[6:7], 0, v[2:3]
	global_load_ubyte v0, v[0:1], off
	s_waitcnt vmcnt(0)
	v_and_b32_e32 v0, 1, v0
	v_cmp_eq_u32_e32 vcc, 1, v0
	s_xor_b64 s[2:3], vcc, -1
	s_orn2_b64 s[18:19], s[2:3], exec
	s_branch .LBB421_4
.LBB421_3:
	s_mov_b64 s[18:19], -1
.LBB421_4:
	v_mov_b32_e32 v0, s4
	v_mov_b32_e32 v1, s5
	v_lshl_add_u64 v[0:1], v[2:3], 1, v[0:1]
	global_load_ushort v0, v[0:1], off
	s_mov_b32 s3, 0x800000
	v_mov_b32_e32 v1, 0x4f800000
	s_mov_b32 s4, 0x3f317217
	s_mov_b32 s5, 0x7f800000
	v_mov_b32_e32 v4, 0x41b17218
	s_mov_b32 s2, 0x41a00000
	s_load_dwordx4 s[8:11], s[0:1], 0x40
	s_waitcnt lgkmcnt(0)
	s_cmp_lg_u64 s[10:11], 0
	s_cselect_b64 s[22:23], -1, 0
	s_cmp_eq_u64 s[10:11], 0
	s_waitcnt vmcnt(0)
	v_lshlrev_b32_e32 v0, 16, v0
	v_mul_f32_e32 v3, 0x3fb8aa3b, v0
	v_exp_f32_e32 v3, v3
	s_nop 0
	v_add_f32_e32 v3, 1.0, v3
	v_cmp_gt_f32_e32 vcc, s3, v3
	s_mov_b32 s3, 0xf800000
	s_nop 0
	v_cndmask_b32_e32 v1, 1.0, v1, vcc
	v_mul_f32_e32 v1, v3, v1
	v_log_f32_e32 v1, v1
	v_cndmask_b32_e32 v4, 0, v4, vcc
	v_mov_b32_e32 v3, 0x260
	v_mul_f32_e32 v5, 0x3f317217, v1
	v_fma_f32 v5, v1, s4, -v5
	v_fmamk_f32 v5, v1, 0x3377d1cf, v5
	v_fmac_f32_e32 v5, 0x3f317217, v1
	v_cmp_lt_f32_e64 vcc, |v1|, s5
	s_nop 1
	v_cndmask_b32_e32 v1, v1, v5, vcc
	v_sub_f32_e32 v1, v1, v4
	v_cmp_lt_f32_e32 vcc, s2, v0
	s_nop 1
	v_cndmask_b32_e32 v0, v1, v0, vcc
	v_mul_f32_e32 v1, 0x4f800000, v0
	v_cmp_gt_f32_e32 vcc, s3, v0
	s_nop 1
	v_cndmask_b32_e32 v0, v0, v1, vcc
	v_sqrt_f32_e32 v1, v0
	s_nop 0
	v_add_u32_e32 v4, -1, v1
	v_add_u32_e32 v5, 1, v1
	v_fma_f32 v6, -v4, v1, v0
	v_fma_f32 v7, -v5, v1, v0
	v_cmp_ge_f32_e64 s[2:3], 0, v6
	s_nop 1
	v_cndmask_b32_e64 v1, v1, v4, s[2:3]
	v_cmp_lt_f32_e64 s[2:3], 0, v7
	s_nop 1
	v_cndmask_b32_e64 v1, v1, v5, s[2:3]
	v_mul_f32_e32 v4, 0x37800000, v1
	v_cndmask_b32_e32 v1, v1, v4, vcc
	v_cmp_class_f32_e32 vcc, v0, v3
	s_nop 1
	v_cndmask_b32_e32 v1, v1, v0, vcc
	s_cbranch_scc1 .LBB421_6
; %bb.5:
	s_load_dword s2, s[10:11], 0x0
	s_waitcnt lgkmcnt(0)
	v_add_f32_e32 v1, s2, v1
.LBB421_6:
	s_load_dwordx4 s[4:7], s[0:1], 0x30
	s_waitcnt lgkmcnt(0)
	s_bitcmp1_b32 s7, 0
	s_cselect_b64 s[2:3], -1, 0
	s_cmp_gt_i32 s4, 0
	s_cselect_b64 s[20:21], -1, 0
	s_cmp_lt_i32 s4, 1
	v_mul_lo_u32 v0, v2, s4
	s_cbranch_scc1 .LBB421_11
; %bb.7:
	s_cmp_lt_i32 s5, 1
	s_load_dwordx4 s[12:15], s[0:1], 0x20
	s_cselect_b64 s[0:1], -1, 0
	s_cmp_gt_i32 s6, 0
	s_cselect_b64 s[26:27], -1, 0
	s_and_b64 s[0:1], s[0:1], s[26:27]
	s_sub_i32 s5, 0, s5
	v_mov_b32_e32 v3, s5
	s_and_b64 vcc, s[18:19], s[0:1]
	v_cndmask_b32_e32 v4, 1, v3, vcc
	v_cndmask_b32_e64 v3, 0, 1, s[22:23]
	s_mov_b32 s7, 0
	v_mov_b32_e32 v5, 0
	v_cmp_ne_u32_e64 s[0:1], 1, v3
	v_mov_b32_e32 v6, 0xc61c4000
	v_mov_b32_e32 v3, 0
	s_branch .LBB421_9
.LBB421_8:                              ;   in Loop: Header=BB421_9 Depth=1
	v_add_u32_e32 v8, s7, v0
	v_ashrrev_i32_e32 v9, 31, v8
	v_lshlrev_b64 v[8:9], 2, v[8:9]
	s_add_i32 s7, s7, 1
	v_lshl_add_u64 v[10:11], s[16:17], 0, v[8:9]
	s_cmp_ge_i32 s7, s4
	global_store_dword v[10:11], v7, off
	s_waitcnt lgkmcnt(0)
	v_lshl_add_u64 v[10:11], s[12:13], 0, v[8:9]
	v_lshl_add_u64 v[8:9], s[14:15], 0, v[8:9]
	v_add_f32_e32 v7, v3, v7
	s_cselect_b64 vcc, -1, 0
	global_store_dword v[10:11], v4, off
	global_store_dword v[8:9], v2, off
	v_cndmask_b32_e64 v3, v3, v7, s[2:3]
	v_cndmask_b32_e32 v1, v6, v1, vcc
	s_cmp_lg_u32 s4, s7
	v_add_u32_e32 v2, s24, v2
	s_cbranch_scc0 .LBB421_12
.LBB421_9:                              ; =>This Inner Loop Header: Depth=1
	s_and_b64 vcc, exec, s[0:1]
	v_mov_b32_e32 v7, v1
	s_cbranch_vccnz .LBB421_8
; %bb.10:                               ;   in Loop: Header=BB421_9 Depth=1
	global_load_dword v7, v5, s[10:11]
	s_waitcnt vmcnt(0)
	v_sub_f32_e32 v7, v1, v7
	s_branch .LBB421_8
.LBB421_11:
	v_mov_b32_e32 v3, 0
.LBB421_12:
	s_andn2_b64 vcc, exec, s[2:3]
	v_cvt_f32_f64_e32 v2, s[8:9]
	s_cbranch_vccnz .LBB421_14
; %bb.13:
	v_cmp_lt_f32_e32 vcc, 0, v3
	s_nop 1
	v_cndmask_b32_e32 v1, 1.0, v3, vcc
	v_div_scale_f32 v3, s[0:1], v1, v1, v2
	v_rcp_f32_e32 v4, v3
	s_nop 0
	v_fma_f32 v5, -v3, v4, 1.0
	v_fmac_f32_e32 v4, v5, v4
	v_div_scale_f32 v5, vcc, v2, v1, v2
	v_mul_f32_e32 v6, v5, v4
	v_fma_f32 v7, -v3, v6, v5
	v_fmac_f32_e32 v6, v7, v4
	v_fma_f32 v3, -v3, v6, v5
	v_div_fmas_f32 v3, v3, v4, v6
	v_div_fixup_f32 v2, v3, v1, v2
.LBB421_14:
	s_andn2_b64 vcc, exec, s[20:21]
	s_cbranch_vccnz .LBB421_24
; %bb.15:
	s_cmp_gt_u32 s4, 3
	v_ashrrev_i32_e32 v1, 31, v0
	s_cbranch_scc0 .LBB421_19
; %bb.16:
	s_and_b32 s0, s4, 0x7ffffffc
	v_lshl_add_u64 v[4:5], v[0:1], 2, s[16:17]
	v_mov_b32_e32 v3, v2
	v_lshl_add_u64 v[4:5], v[4:5], 0, 8
	s_mov_b32 s1, s0
.LBB421_17:                             ; =>This Inner Loop Header: Depth=1
	global_load_dwordx4 v[6:9], v[4:5], off offset:-8
	s_add_i32 s1, s1, -4
	s_cmp_lg_u32 s1, 0
	s_waitcnt vmcnt(0)
	v_pk_mul_f32 v[6:7], v[2:3], v[6:7]
	v_pk_mul_f32 v[8:9], v[2:3], v[8:9]
	global_store_dwordx4 v[4:5], v[6:9], off offset:-8
	v_lshl_add_u64 v[4:5], v[4:5], 0, 16
	s_cbranch_scc1 .LBB421_17
; %bb.18:
	s_cmp_lg_u32 s0, s4
	s_cselect_b64 s[2:3], -1, 0
	s_branch .LBB421_21
.LBB421_19:
	s_mov_b64 s[2:3], 0
                                        ; implicit-def: $sgpr0
	s_cbranch_execz .LBB421_21
; %bb.20:
	s_mov_b64 s[2:3], -1
	s_mov_b32 s0, 0
.LBB421_21:
	s_andn2_b64 vcc, exec, s[2:3]
	s_cbranch_vccnz .LBB421_24
; %bb.22:
	s_mov_b32 s1, 0
	v_lshl_add_u64 v[0:1], v[0:1], 0, s[0:1]
	s_sub_i32 s2, s4, s0
	v_lshl_add_u64 v[0:1], v[0:1], 2, s[16:17]
.LBB421_23:                             ; =>This Inner Loop Header: Depth=1
	global_load_dword v3, v[0:1], off
	s_add_i32 s2, s2, -1
	s_cmp_lg_u32 s2, 0
	s_waitcnt vmcnt(0)
	v_mul_f32_e32 v3, v2, v3
	global_store_dword v[0:1], v3, off
	v_lshl_add_u64 v[0:1], v[0:1], 0, 4
	s_cbranch_scc1 .LBB421_23
.LBB421_24:
	s_endpgm
	.section	.rodata,"a",@progbits
	.p2align	6, 0x0
	.amdhsa_kernel _ZN4vllm3moe22topkGatingSoftplusSqrtILi1ELi1ELi4ELi2ELi64ELb0Ej14__hip_bfloat16EEvPKT6_PKbPfiPT5_PiiiibdPKfPKS9_SF_
		.amdhsa_group_segment_fixed_size 0
		.amdhsa_private_segment_fixed_size 0
		.amdhsa_kernarg_size 96
		.amdhsa_user_sgpr_count 2
		.amdhsa_user_sgpr_dispatch_ptr 0
		.amdhsa_user_sgpr_queue_ptr 0
		.amdhsa_user_sgpr_kernarg_segment_ptr 1
		.amdhsa_user_sgpr_dispatch_id 0
		.amdhsa_user_sgpr_kernarg_preload_length 0
		.amdhsa_user_sgpr_kernarg_preload_offset 0
		.amdhsa_user_sgpr_private_segment_size 0
		.amdhsa_uses_dynamic_stack 0
		.amdhsa_enable_private_segment 0
		.amdhsa_system_sgpr_workgroup_id_x 1
		.amdhsa_system_sgpr_workgroup_id_y 0
		.amdhsa_system_sgpr_workgroup_id_z 0
		.amdhsa_system_sgpr_workgroup_info 0
		.amdhsa_system_vgpr_workitem_id 1
		.amdhsa_next_free_vgpr 12
		.amdhsa_next_free_sgpr 28
		.amdhsa_accum_offset 12
		.amdhsa_reserve_vcc 1
		.amdhsa_float_round_mode_32 0
		.amdhsa_float_round_mode_16_64 0
		.amdhsa_float_denorm_mode_32 3
		.amdhsa_float_denorm_mode_16_64 3
		.amdhsa_dx10_clamp 1
		.amdhsa_ieee_mode 1
		.amdhsa_fp16_overflow 0
		.amdhsa_tg_split 0
		.amdhsa_exception_fp_ieee_invalid_op 0
		.amdhsa_exception_fp_denorm_src 0
		.amdhsa_exception_fp_ieee_div_zero 0
		.amdhsa_exception_fp_ieee_overflow 0
		.amdhsa_exception_fp_ieee_underflow 0
		.amdhsa_exception_fp_ieee_inexact 0
		.amdhsa_exception_int_div_zero 0
	.end_amdhsa_kernel
	.section	.text._ZN4vllm3moe22topkGatingSoftplusSqrtILi1ELi1ELi4ELi2ELi64ELb0Ej14__hip_bfloat16EEvPKT6_PKbPfiPT5_PiiiibdPKfPKS9_SF_,"axG",@progbits,_ZN4vllm3moe22topkGatingSoftplusSqrtILi1ELi1ELi4ELi2ELi64ELb0Ej14__hip_bfloat16EEvPKT6_PKbPfiPT5_PiiiibdPKfPKS9_SF_,comdat
.Lfunc_end421:
	.size	_ZN4vllm3moe22topkGatingSoftplusSqrtILi1ELi1ELi4ELi2ELi64ELb0Ej14__hip_bfloat16EEvPKT6_PKbPfiPT5_PiiiibdPKfPKS9_SF_, .Lfunc_end421-_ZN4vllm3moe22topkGatingSoftplusSqrtILi1ELi1ELi4ELi2ELi64ELb0Ej14__hip_bfloat16EEvPKT6_PKbPfiPT5_PiiiibdPKfPKS9_SF_
                                        ; -- End function
	.section	.AMDGPU.csdata,"",@progbits
; Kernel info:
; codeLenInByte = 1084
; NumSgprs: 34
; NumVgprs: 12
; NumAgprs: 0
; TotalNumVgprs: 12
; ScratchSize: 0
; MemoryBound: 0
; FloatMode: 240
; IeeeMode: 1
; LDSByteSize: 0 bytes/workgroup (compile time only)
; SGPRBlocks: 4
; VGPRBlocks: 1
; NumSGPRsForWavesPerEU: 34
; NumVGPRsForWavesPerEU: 12
; AccumOffset: 12
; Occupancy: 8
; WaveLimiterHint : 0
; COMPUTE_PGM_RSRC2:SCRATCH_EN: 0
; COMPUTE_PGM_RSRC2:USER_SGPR: 2
; COMPUTE_PGM_RSRC2:TRAP_HANDLER: 0
; COMPUTE_PGM_RSRC2:TGID_X_EN: 1
; COMPUTE_PGM_RSRC2:TGID_Y_EN: 0
; COMPUTE_PGM_RSRC2:TGID_Z_EN: 0
; COMPUTE_PGM_RSRC2:TIDIG_COMP_CNT: 1
; COMPUTE_PGM_RSRC3_GFX90A:ACCUM_OFFSET: 2
; COMPUTE_PGM_RSRC3_GFX90A:TG_SPLIT: 0
	.section	.text._ZN4vllm3moe22topkGatingSoftplusSqrtILi1ELi1ELi4ELi2ELi32ELb1Ej14__hip_bfloat16EEvPKT6_PKbPfiPT5_PiiiibdPKfPKS9_SF_,"axG",@progbits,_ZN4vllm3moe22topkGatingSoftplusSqrtILi1ELi1ELi4ELi2ELi32ELb1Ej14__hip_bfloat16EEvPKT6_PKbPfiPT5_PiiiibdPKfPKS9_SF_,comdat
	.protected	_ZN4vllm3moe22topkGatingSoftplusSqrtILi1ELi1ELi4ELi2ELi32ELb1Ej14__hip_bfloat16EEvPKT6_PKbPfiPT5_PiiiibdPKfPKS9_SF_ ; -- Begin function _ZN4vllm3moe22topkGatingSoftplusSqrtILi1ELi1ELi4ELi2ELi32ELb1Ej14__hip_bfloat16EEvPKT6_PKbPfiPT5_PiiiibdPKfPKS9_SF_
	.globl	_ZN4vllm3moe22topkGatingSoftplusSqrtILi1ELi1ELi4ELi2ELi32ELb1Ej14__hip_bfloat16EEvPKT6_PKbPfiPT5_PiiiibdPKfPKS9_SF_
	.p2align	8
	.type	_ZN4vllm3moe22topkGatingSoftplusSqrtILi1ELi1ELi4ELi2ELi32ELb1Ej14__hip_bfloat16EEvPKT6_PKbPfiPT5_PiiiibdPKfPKS9_SF_,@function
_ZN4vllm3moe22topkGatingSoftplusSqrtILi1ELi1ELi4ELi2ELi32ELb1Ej14__hip_bfloat16EEvPKT6_PKbPfiPT5_PiiiibdPKfPKS9_SF_: ; @_ZN4vllm3moe22topkGatingSoftplusSqrtILi1ELi1ELi4ELi2ELi32ELb1Ej14__hip_bfloat16EEvPKT6_PKbPfiPT5_PiiiibdPKfPKS9_SF_
; %bb.0:
	s_load_dword s3, s[0:1], 0x18
	v_bfe_u32 v1, v0, 10, 10
	s_lshl_b32 s2, s2, 7
	v_lshlrev_b32_e32 v1, 5, v1
	v_and_b32_e32 v0, 0x3ff, v0
	v_add3_u32 v2, v1, v0, s2
	s_waitcnt lgkmcnt(0)
	v_cmp_gt_i32_e32 vcc, s3, v2
	s_and_saveexec_b64 s[2:3], vcc
	s_cbranch_execz .LBB422_55
; %bb.1:
	s_load_dwordx2 s[2:3], s[0:1], 0x0
	s_load_dword s14, s[0:1], 0x30
	v_ashrrev_i32_e32 v3, 31, v2
	s_load_dwordx4 s[4:7], s[0:1], 0x50
	v_mov_b32_e32 v6, 0x41b17218
	s_waitcnt lgkmcnt(0)
	v_lshl_add_u64 v[0:1], v[2:3], 1, s[2:3]
	global_load_ushort v4, v[0:1], off
	s_mov_b32 s3, 0x800000
	v_mov_b32_e32 v0, s4
	v_mov_b32_e32 v1, s5
	v_lshl_add_u64 v[0:1], v[2:3], 2, v[0:1]
	global_load_dword v0, v[0:1], off
	v_mov_b32_e32 v3, 0x4f800000
	s_mov_b32 s9, 0x3f317217
	s_mov_b32 s10, 0x7f800000
	s_mov_b32 s2, 0x41a00000
	s_mov_b32 s11, 0xf800000
	v_mov_b32_e32 v7, 0x260
	v_mov_b32_e32 v1, 0
	s_cmp_gt_i32 s14, 0
	s_mov_b32 s8, 0
	s_cselect_b64 s[4:5], -1, 0
	s_cmp_lt_i32 s14, 1
	v_mul_lo_u32 v2, v2, s14
	s_waitcnt vmcnt(1)
	v_lshlrev_b32_e32 v4, 16, v4
	v_mul_f32_e32 v5, 0x3fb8aa3b, v4
	v_exp_f32_e32 v5, v5
	s_waitcnt vmcnt(0)
	v_mul_lo_u32 v0, v0, s14
	v_add_f32_e32 v5, 1.0, v5
	v_cmp_gt_f32_e32 vcc, s3, v5
	s_nop 1
	v_cndmask_b32_e32 v3, 1.0, v3, vcc
	v_mul_f32_e32 v3, v5, v3
	v_log_f32_e32 v3, v3
	v_cndmask_b32_e32 v5, 0, v6, vcc
	v_mul_f32_e32 v6, 0x3f317217, v3
	v_fma_f32 v6, v3, s9, -v6
	v_fmamk_f32 v6, v3, 0x3377d1cf, v6
	v_fmac_f32_e32 v6, 0x3f317217, v3
	v_cmp_lt_f32_e64 vcc, |v3|, s10
	s_nop 1
	v_cndmask_b32_e32 v3, v3, v6, vcc
	v_sub_f32_e32 v3, v3, v5
	v_cmp_lt_f32_e32 vcc, s2, v4
	s_nop 1
	v_cndmask_b32_e32 v3, v3, v4, vcc
	v_mul_f32_e32 v4, 0x4f800000, v3
	v_cmp_gt_f32_e32 vcc, s11, v3
	s_nop 1
	v_cndmask_b32_e32 v3, v3, v4, vcc
	v_sqrt_f32_e32 v6, v3
	v_lshl_add_u64 v[4:5], v[0:1], 2, s[6:7]
	v_add_u32_e32 v8, -1, v6
	v_add_u32_e32 v9, 1, v6
	v_fma_f32 v10, -v8, v6, v3
	v_fma_f32 v11, -v9, v6, v3
	v_cmp_ge_f32_e64 s[2:3], 0, v10
	s_nop 1
	v_cndmask_b32_e64 v6, v6, v8, s[2:3]
	v_cmp_lt_f32_e64 s[2:3], 0, v11
	s_nop 1
	v_cndmask_b32_e64 v6, v6, v9, s[2:3]
	v_mul_f32_e32 v8, 0x37800000, v6
	v_cndmask_b32_e32 v6, v6, v8, vcc
	v_cmp_class_f32_e32 vcc, v3, v7
	s_nop 1
	v_cndmask_b32_e32 v10, v6, v3, vcc
	s_cbranch_scc1 .LBB422_21
; %bb.2:
	s_load_dwordx2 s[2:3], s[0:1], 0x20
	s_cmp_lt_u32 s14, 8
	s_cbranch_scc1 .LBB422_22
; %bb.3:
	v_ashrrev_i32_e32 v3, 31, v2
	s_and_b32 s8, s14, 0x7ffffff8
	s_waitcnt lgkmcnt(0)
	v_lshl_add_u64 v[6:7], v[2:3], 2, s[2:3]
	s_mov_b32 s9, 0
	s_mov_b64 s[10:11], 0
	v_mov_b32_e32 v11, 0
	v_mov_b32_e32 v3, 0
	s_branch .LBB422_5
.LBB422_4:                              ;   in Loop: Header=BB422_5 Depth=1
	s_or_b64 exec, exec, s[12:13]
	s_add_i32 s9, s9, 8
	s_add_u32 s10, s10, 32
	s_addc_u32 s11, s11, 0
	s_cmp_eq_u32 s8, s9
	s_cbranch_scc1 .LBB422_23
.LBB422_5:                              ; =>This Inner Loop Header: Depth=1
	v_lshl_add_u64 v[8:9], v[4:5], 0, s[10:11]
	global_load_dword v12, v[8:9], off
	s_waitcnt vmcnt(0)
	v_cmp_eq_u32_e32 vcc, 0, v12
	s_and_saveexec_b64 s[12:13], vcc
	s_cbranch_execz .LBB422_7
; %bb.6:                                ;   in Loop: Header=BB422_5 Depth=1
	v_add_u32_e32 v12, s9, v2
	v_ashrrev_i32_e32 v13, 31, v12
	v_lshl_add_u64 v[12:13], v[12:13], 2, s[2:3]
	v_add_f32_e32 v3, v10, v3
	global_store_dword v[12:13], v11, off
.LBB422_7:                              ;   in Loop: Header=BB422_5 Depth=1
	s_or_b64 exec, exec, s[12:13]
	global_load_dword v12, v[8:9], off offset:4
	s_waitcnt vmcnt(0)
	v_cmp_eq_u32_e32 vcc, 0, v12
	s_and_saveexec_b64 s[12:13], vcc
	s_cbranch_execz .LBB422_9
; %bb.8:                                ;   in Loop: Header=BB422_5 Depth=1
	v_lshl_add_u64 v[12:13], v[6:7], 0, s[10:11]
	v_add_f32_e32 v3, v10, v3
	global_store_dword v[12:13], v11, off offset:4
.LBB422_9:                              ;   in Loop: Header=BB422_5 Depth=1
	s_or_b64 exec, exec, s[12:13]
	global_load_dword v12, v[8:9], off offset:8
	s_waitcnt vmcnt(0)
	v_cmp_eq_u32_e32 vcc, 0, v12
	s_and_saveexec_b64 s[12:13], vcc
	s_cbranch_execz .LBB422_11
; %bb.10:                               ;   in Loop: Header=BB422_5 Depth=1
	v_lshl_add_u64 v[12:13], v[6:7], 0, s[10:11]
	v_add_f32_e32 v3, v10, v3
	global_store_dword v[12:13], v11, off offset:8
.LBB422_11:                             ;   in Loop: Header=BB422_5 Depth=1
	s_or_b64 exec, exec, s[12:13]
	global_load_dword v12, v[8:9], off offset:12
	s_waitcnt vmcnt(0)
	v_cmp_eq_u32_e32 vcc, 0, v12
	s_and_saveexec_b64 s[12:13], vcc
	s_cbranch_execz .LBB422_13
; %bb.12:                               ;   in Loop: Header=BB422_5 Depth=1
	v_lshl_add_u64 v[12:13], v[6:7], 0, s[10:11]
	v_add_f32_e32 v3, v10, v3
	global_store_dword v[12:13], v11, off offset:12
.LBB422_13:                             ;   in Loop: Header=BB422_5 Depth=1
	;; [unrolled: 11-line block ×5, first 2 shown]
	s_or_b64 exec, exec, s[12:13]
	global_load_dword v8, v[8:9], off offset:28
	s_waitcnt vmcnt(0)
	v_cmp_eq_u32_e32 vcc, 0, v8
	s_and_saveexec_b64 s[12:13], vcc
	s_cbranch_execz .LBB422_4
; %bb.20:                               ;   in Loop: Header=BB422_5 Depth=1
	v_lshl_add_u64 v[8:9], v[6:7], 0, s[10:11]
	v_add_f32_e32 v3, v10, v3
	global_store_dword v[8:9], v11, off offset:28
	s_branch .LBB422_4
.LBB422_21:
	v_mov_b32_e32 v3, v1
	s_branch .LBB422_28
.LBB422_22:
	v_mov_b32_e32 v3, v1
.LBB422_23:
	s_and_b32 s10, s14, 7
	s_cmp_eq_u32 s10, 0
	s_mov_b32 s9, 0
	s_cbranch_scc1 .LBB422_28
; %bb.24:
	v_add_u32_e32 v6, s8, v2
	s_lshl_b64 s[8:9], s[8:9], 2
	s_add_u32 s8, s6, s8
	s_addc_u32 s9, s7, s9
	v_lshl_add_u64 v[8:9], v[0:1], 2, s[8:9]
	v_mov_b32_e32 v11, 0
	s_branch .LBB422_26
.LBB422_25:                             ;   in Loop: Header=BB422_26 Depth=1
	s_or_b64 exec, exec, s[8:9]
	s_add_i32 s10, s10, -1
	v_add_u32_e32 v6, 1, v6
	s_cmp_lg_u32 s10, 0
	v_lshl_add_u64 v[8:9], v[8:9], 0, 4
	s_cbranch_scc0 .LBB422_28
.LBB422_26:                             ; =>This Inner Loop Header: Depth=1
	global_load_dword v7, v[8:9], off
	s_waitcnt vmcnt(0)
	v_cmp_eq_u32_e32 vcc, 0, v7
	s_and_saveexec_b64 s[8:9], vcc
	s_cbranch_execz .LBB422_25
; %bb.27:                               ;   in Loop: Header=BB422_26 Depth=1
	v_ashrrev_i32_e32 v7, 31, v6
	s_waitcnt lgkmcnt(0)
	v_lshl_add_u64 v[12:13], v[6:7], 2, s[2:3]
	v_add_f32_e32 v3, v10, v3
	global_store_dword v[12:13], v11, off
	s_branch .LBB422_25
.LBB422_28:
	s_load_dword s8, s[0:1], 0x3c
	s_waitcnt lgkmcnt(0)
	s_load_dwordx2 s[2:3], s[0:1], 0x40
	s_bitcmp1_b32 s8, 0
	s_cselect_b64 s[8:9], -1, 0
	s_waitcnt lgkmcnt(0)
	v_cvt_f32_f64_e32 v6, s[2:3]
	s_and_b64 vcc, exec, s[8:9]
	s_cbranch_vccz .LBB422_30
; %bb.29:
	v_cmp_lt_f32_e32 vcc, 0, v3
	s_nop 1
	v_cndmask_b32_e32 v3, 1.0, v3, vcc
	v_div_scale_f32 v7, s[2:3], v3, v3, v6
	v_rcp_f32_e32 v8, v7
	s_nop 0
	v_fma_f32 v9, -v7, v8, 1.0
	v_fmac_f32_e32 v8, v9, v8
	v_div_scale_f32 v9, vcc, v6, v3, v6
	v_mul_f32_e32 v11, v9, v8
	v_fma_f32 v12, -v7, v11, v9
	v_fmac_f32_e32 v11, v12, v8
	v_fma_f32 v7, -v7, v11, v9
	v_div_fmas_f32 v7, v7, v8, v11
	v_div_fixup_f32 v6, v7, v3, v6
.LBB422_30:
	s_andn2_b64 vcc, exec, s[4:5]
	s_cbranch_vccnz .LBB422_55
; %bb.31:
	s_load_dwordx2 s[0:1], s[0:1], 0x10
	v_mul_f32_e32 v10, v10, v6
	s_cmp_lt_u32 s14, 8
	s_mov_b32 s2, 0
	s_cbranch_scc1 .LBB422_50
; %bb.32:
	v_ashrrev_i32_e32 v3, 31, v2
	s_and_b32 s2, s14, 0x7ffffff8
	s_waitcnt lgkmcnt(0)
	v_lshl_add_u64 v[6:7], v[2:3], 2, s[0:1]
	s_mov_b32 s3, 0
	s_mov_b64 s[4:5], 0
	s_branch .LBB422_34
.LBB422_33:                             ;   in Loop: Header=BB422_34 Depth=1
	s_or_b64 exec, exec, s[8:9]
	s_add_i32 s3, s3, 8
	s_add_u32 s4, s4, 32
	s_addc_u32 s5, s5, 0
	s_cmp_lg_u32 s2, s3
	s_cbranch_scc0 .LBB422_50
.LBB422_34:                             ; =>This Inner Loop Header: Depth=1
	v_lshl_add_u64 v[8:9], v[4:5], 0, s[4:5]
	global_load_dword v3, v[8:9], off
	s_waitcnt vmcnt(0)
	v_cmp_eq_u32_e32 vcc, 0, v3
	s_and_saveexec_b64 s[8:9], vcc
	s_cbranch_execz .LBB422_36
; %bb.35:                               ;   in Loop: Header=BB422_34 Depth=1
	v_add_u32_e32 v12, s3, v2
	v_ashrrev_i32_e32 v13, 31, v12
	v_lshl_add_u64 v[12:13], v[12:13], 2, s[0:1]
	global_store_dword v[12:13], v10, off
.LBB422_36:                             ;   in Loop: Header=BB422_34 Depth=1
	s_or_b64 exec, exec, s[8:9]
	global_load_dword v3, v[8:9], off offset:4
	s_waitcnt vmcnt(0)
	v_cmp_eq_u32_e32 vcc, 0, v3
	s_and_saveexec_b64 s[8:9], vcc
	s_cbranch_execz .LBB422_38
; %bb.37:                               ;   in Loop: Header=BB422_34 Depth=1
	v_lshl_add_u64 v[12:13], v[6:7], 0, s[4:5]
	global_store_dword v[12:13], v10, off offset:4
.LBB422_38:                             ;   in Loop: Header=BB422_34 Depth=1
	s_or_b64 exec, exec, s[8:9]
	global_load_dword v3, v[8:9], off offset:8
	s_waitcnt vmcnt(0)
	v_cmp_eq_u32_e32 vcc, 0, v3
	s_and_saveexec_b64 s[8:9], vcc
	s_cbranch_execz .LBB422_40
; %bb.39:                               ;   in Loop: Header=BB422_34 Depth=1
	v_lshl_add_u64 v[12:13], v[6:7], 0, s[4:5]
	global_store_dword v[12:13], v10, off offset:8
.LBB422_40:                             ;   in Loop: Header=BB422_34 Depth=1
	;; [unrolled: 10-line block ×6, first 2 shown]
	s_or_b64 exec, exec, s[8:9]
	global_load_dword v3, v[8:9], off offset:28
	s_waitcnt vmcnt(0)
	v_cmp_eq_u32_e32 vcc, 0, v3
	s_and_saveexec_b64 s[8:9], vcc
	s_cbranch_execz .LBB422_33
; %bb.49:                               ;   in Loop: Header=BB422_34 Depth=1
	v_lshl_add_u64 v[8:9], v[6:7], 0, s[4:5]
	global_store_dword v[8:9], v10, off offset:28
	s_branch .LBB422_33
.LBB422_50:
	s_and_b32 s4, s14, 7
	s_cmp_eq_u32 s4, 0
	s_mov_b32 s3, 0
	s_cbranch_scc1 .LBB422_55
; %bb.51:
	v_add_u32_e32 v2, s2, v2
	s_lshl_b64 s[2:3], s[2:3], 2
	s_add_u32 s2, s6, s2
	s_addc_u32 s3, s7, s3
	v_lshl_add_u64 v[0:1], v[0:1], 2, s[2:3]
	s_branch .LBB422_53
.LBB422_52:                             ;   in Loop: Header=BB422_53 Depth=1
	s_or_b64 exec, exec, s[2:3]
	s_add_i32 s4, s4, -1
	v_add_u32_e32 v2, 1, v2
	s_cmp_lg_u32 s4, 0
	v_lshl_add_u64 v[0:1], v[0:1], 0, 4
	s_cbranch_scc0 .LBB422_55
.LBB422_53:                             ; =>This Inner Loop Header: Depth=1
	global_load_dword v3, v[0:1], off
	s_waitcnt vmcnt(0)
	v_cmp_eq_u32_e32 vcc, 0, v3
	s_and_saveexec_b64 s[2:3], vcc
	s_cbranch_execz .LBB422_52
; %bb.54:                               ;   in Loop: Header=BB422_53 Depth=1
	v_ashrrev_i32_e32 v3, 31, v2
	s_waitcnt lgkmcnt(0)
	v_lshl_add_u64 v[4:5], v[2:3], 2, s[0:1]
	global_store_dword v[4:5], v10, off
	s_branch .LBB422_52
.LBB422_55:
	s_endpgm
	.section	.rodata,"a",@progbits
	.p2align	6, 0x0
	.amdhsa_kernel _ZN4vllm3moe22topkGatingSoftplusSqrtILi1ELi1ELi4ELi2ELi32ELb1Ej14__hip_bfloat16EEvPKT6_PKbPfiPT5_PiiiibdPKfPKS9_SF_
		.amdhsa_group_segment_fixed_size 0
		.amdhsa_private_segment_fixed_size 0
		.amdhsa_kernarg_size 96
		.amdhsa_user_sgpr_count 2
		.amdhsa_user_sgpr_dispatch_ptr 0
		.amdhsa_user_sgpr_queue_ptr 0
		.amdhsa_user_sgpr_kernarg_segment_ptr 1
		.amdhsa_user_sgpr_dispatch_id 0
		.amdhsa_user_sgpr_kernarg_preload_length 0
		.amdhsa_user_sgpr_kernarg_preload_offset 0
		.amdhsa_user_sgpr_private_segment_size 0
		.amdhsa_uses_dynamic_stack 0
		.amdhsa_enable_private_segment 0
		.amdhsa_system_sgpr_workgroup_id_x 1
		.amdhsa_system_sgpr_workgroup_id_y 0
		.amdhsa_system_sgpr_workgroup_id_z 0
		.amdhsa_system_sgpr_workgroup_info 0
		.amdhsa_system_vgpr_workitem_id 1
		.amdhsa_next_free_vgpr 14
		.amdhsa_next_free_sgpr 15
		.amdhsa_accum_offset 16
		.amdhsa_reserve_vcc 1
		.amdhsa_float_round_mode_32 0
		.amdhsa_float_round_mode_16_64 0
		.amdhsa_float_denorm_mode_32 3
		.amdhsa_float_denorm_mode_16_64 3
		.amdhsa_dx10_clamp 1
		.amdhsa_ieee_mode 1
		.amdhsa_fp16_overflow 0
		.amdhsa_tg_split 0
		.amdhsa_exception_fp_ieee_invalid_op 0
		.amdhsa_exception_fp_denorm_src 0
		.amdhsa_exception_fp_ieee_div_zero 0
		.amdhsa_exception_fp_ieee_overflow 0
		.amdhsa_exception_fp_ieee_underflow 0
		.amdhsa_exception_fp_ieee_inexact 0
		.amdhsa_exception_int_div_zero 0
	.end_amdhsa_kernel
	.section	.text._ZN4vllm3moe22topkGatingSoftplusSqrtILi1ELi1ELi4ELi2ELi32ELb1Ej14__hip_bfloat16EEvPKT6_PKbPfiPT5_PiiiibdPKfPKS9_SF_,"axG",@progbits,_ZN4vllm3moe22topkGatingSoftplusSqrtILi1ELi1ELi4ELi2ELi32ELb1Ej14__hip_bfloat16EEvPKT6_PKbPfiPT5_PiiiibdPKfPKS9_SF_,comdat
.Lfunc_end422:
	.size	_ZN4vllm3moe22topkGatingSoftplusSqrtILi1ELi1ELi4ELi2ELi32ELb1Ej14__hip_bfloat16EEvPKT6_PKbPfiPT5_PiiiibdPKfPKS9_SF_, .Lfunc_end422-_ZN4vllm3moe22topkGatingSoftplusSqrtILi1ELi1ELi4ELi2ELi32ELb1Ej14__hip_bfloat16EEvPKT6_PKbPfiPT5_PiiiibdPKfPKS9_SF_
                                        ; -- End function
	.section	.AMDGPU.csdata,"",@progbits
; Kernel info:
; codeLenInByte = 1816
; NumSgprs: 21
; NumVgprs: 14
; NumAgprs: 0
; TotalNumVgprs: 14
; ScratchSize: 0
; MemoryBound: 0
; FloatMode: 240
; IeeeMode: 1
; LDSByteSize: 0 bytes/workgroup (compile time only)
; SGPRBlocks: 2
; VGPRBlocks: 1
; NumSGPRsForWavesPerEU: 21
; NumVGPRsForWavesPerEU: 14
; AccumOffset: 16
; Occupancy: 8
; WaveLimiterHint : 1
; COMPUTE_PGM_RSRC2:SCRATCH_EN: 0
; COMPUTE_PGM_RSRC2:USER_SGPR: 2
; COMPUTE_PGM_RSRC2:TRAP_HANDLER: 0
; COMPUTE_PGM_RSRC2:TGID_X_EN: 1
; COMPUTE_PGM_RSRC2:TGID_Y_EN: 0
; COMPUTE_PGM_RSRC2:TGID_Z_EN: 0
; COMPUTE_PGM_RSRC2:TIDIG_COMP_CNT: 1
; COMPUTE_PGM_RSRC3_GFX90A:ACCUM_OFFSET: 3
; COMPUTE_PGM_RSRC3_GFX90A:TG_SPLIT: 0
	.section	.text._ZN4vllm3moe22topkGatingSoftplusSqrtILi1ELi1ELi4ELi2ELi32ELb0Ej14__hip_bfloat16EEvPKT6_PKbPfiPT5_PiiiibdPKfPKS9_SF_,"axG",@progbits,_ZN4vllm3moe22topkGatingSoftplusSqrtILi1ELi1ELi4ELi2ELi32ELb0Ej14__hip_bfloat16EEvPKT6_PKbPfiPT5_PiiiibdPKfPKS9_SF_,comdat
	.protected	_ZN4vllm3moe22topkGatingSoftplusSqrtILi1ELi1ELi4ELi2ELi32ELb0Ej14__hip_bfloat16EEvPKT6_PKbPfiPT5_PiiiibdPKfPKS9_SF_ ; -- Begin function _ZN4vllm3moe22topkGatingSoftplusSqrtILi1ELi1ELi4ELi2ELi32ELb0Ej14__hip_bfloat16EEvPKT6_PKbPfiPT5_PiiiibdPKfPKS9_SF_
	.globl	_ZN4vllm3moe22topkGatingSoftplusSqrtILi1ELi1ELi4ELi2ELi32ELb0Ej14__hip_bfloat16EEvPKT6_PKbPfiPT5_PiiiibdPKfPKS9_SF_
	.p2align	8
	.type	_ZN4vllm3moe22topkGatingSoftplusSqrtILi1ELi1ELi4ELi2ELi32ELb0Ej14__hip_bfloat16EEvPKT6_PKbPfiPT5_PiiiibdPKfPKS9_SF_,@function
_ZN4vllm3moe22topkGatingSoftplusSqrtILi1ELi1ELi4ELi2ELi32ELb0Ej14__hip_bfloat16EEvPKT6_PKbPfiPT5_PiiiibdPKfPKS9_SF_: ; @_ZN4vllm3moe22topkGatingSoftplusSqrtILi1ELi1ELi4ELi2ELi32ELb0Ej14__hip_bfloat16EEvPKT6_PKbPfiPT5_PiiiibdPKfPKS9_SF_
; %bb.0:
	s_load_dword s24, s[0:1], 0x18
	v_bfe_u32 v1, v0, 10, 10
	s_lshl_b32 s2, s2, 7
	v_lshlrev_b32_e32 v1, 5, v1
	v_and_b32_e32 v0, 0x3ff, v0
	v_add3_u32 v2, v1, v0, s2
	s_waitcnt lgkmcnt(0)
	v_cmp_gt_i32_e32 vcc, s24, v2
	s_and_saveexec_b64 s[2:3], vcc
	s_cbranch_execz .LBB423_24
; %bb.1:
	s_load_dwordx4 s[4:7], s[0:1], 0x0
	s_load_dwordx2 s[16:17], s[0:1], 0x10
	v_ashrrev_i32_e32 v3, 31, v2
	s_waitcnt lgkmcnt(0)
	s_cmp_eq_u64 s[6:7], 0
	s_cbranch_scc1 .LBB423_3
; %bb.2:
	v_lshl_add_u64 v[0:1], s[6:7], 0, v[2:3]
	global_load_ubyte v0, v[0:1], off
	s_waitcnt vmcnt(0)
	v_and_b32_e32 v0, 1, v0
	v_cmp_eq_u32_e32 vcc, 1, v0
	s_xor_b64 s[2:3], vcc, -1
	s_orn2_b64 s[18:19], s[2:3], exec
	s_branch .LBB423_4
.LBB423_3:
	s_mov_b64 s[18:19], -1
.LBB423_4:
	v_mov_b32_e32 v0, s4
	v_mov_b32_e32 v1, s5
	v_lshl_add_u64 v[0:1], v[2:3], 1, v[0:1]
	global_load_ushort v0, v[0:1], off
	s_mov_b32 s3, 0x800000
	v_mov_b32_e32 v1, 0x4f800000
	s_mov_b32 s4, 0x3f317217
	s_mov_b32 s5, 0x7f800000
	v_mov_b32_e32 v4, 0x41b17218
	s_mov_b32 s2, 0x41a00000
	s_load_dwordx4 s[8:11], s[0:1], 0x40
	s_waitcnt lgkmcnt(0)
	s_cmp_lg_u64 s[10:11], 0
	s_cselect_b64 s[22:23], -1, 0
	s_cmp_eq_u64 s[10:11], 0
	s_waitcnt vmcnt(0)
	v_lshlrev_b32_e32 v0, 16, v0
	v_mul_f32_e32 v3, 0x3fb8aa3b, v0
	v_exp_f32_e32 v3, v3
	s_nop 0
	v_add_f32_e32 v3, 1.0, v3
	v_cmp_gt_f32_e32 vcc, s3, v3
	s_mov_b32 s3, 0xf800000
	s_nop 0
	v_cndmask_b32_e32 v1, 1.0, v1, vcc
	v_mul_f32_e32 v1, v3, v1
	v_log_f32_e32 v1, v1
	v_cndmask_b32_e32 v4, 0, v4, vcc
	v_mov_b32_e32 v3, 0x260
	v_mul_f32_e32 v5, 0x3f317217, v1
	v_fma_f32 v5, v1, s4, -v5
	v_fmamk_f32 v5, v1, 0x3377d1cf, v5
	v_fmac_f32_e32 v5, 0x3f317217, v1
	v_cmp_lt_f32_e64 vcc, |v1|, s5
	s_nop 1
	v_cndmask_b32_e32 v1, v1, v5, vcc
	v_sub_f32_e32 v1, v1, v4
	v_cmp_lt_f32_e32 vcc, s2, v0
	s_nop 1
	v_cndmask_b32_e32 v0, v1, v0, vcc
	v_mul_f32_e32 v1, 0x4f800000, v0
	v_cmp_gt_f32_e32 vcc, s3, v0
	s_nop 1
	v_cndmask_b32_e32 v0, v0, v1, vcc
	v_sqrt_f32_e32 v1, v0
	s_nop 0
	v_add_u32_e32 v4, -1, v1
	v_add_u32_e32 v5, 1, v1
	v_fma_f32 v6, -v4, v1, v0
	v_fma_f32 v7, -v5, v1, v0
	v_cmp_ge_f32_e64 s[2:3], 0, v6
	s_nop 1
	v_cndmask_b32_e64 v1, v1, v4, s[2:3]
	v_cmp_lt_f32_e64 s[2:3], 0, v7
	s_nop 1
	v_cndmask_b32_e64 v1, v1, v5, s[2:3]
	v_mul_f32_e32 v4, 0x37800000, v1
	v_cndmask_b32_e32 v1, v1, v4, vcc
	v_cmp_class_f32_e32 vcc, v0, v3
	s_nop 1
	v_cndmask_b32_e32 v1, v1, v0, vcc
	s_cbranch_scc1 .LBB423_6
; %bb.5:
	s_load_dword s2, s[10:11], 0x0
	s_waitcnt lgkmcnt(0)
	v_add_f32_e32 v1, s2, v1
.LBB423_6:
	s_load_dwordx4 s[4:7], s[0:1], 0x30
	s_waitcnt lgkmcnt(0)
	s_bitcmp1_b32 s7, 0
	s_cselect_b64 s[2:3], -1, 0
	s_cmp_gt_i32 s4, 0
	s_cselect_b64 s[20:21], -1, 0
	s_cmp_lt_i32 s4, 1
	v_mul_lo_u32 v0, v2, s4
	s_cbranch_scc1 .LBB423_11
; %bb.7:
	s_cmp_lt_i32 s5, 1
	s_load_dwordx4 s[12:15], s[0:1], 0x20
	s_cselect_b64 s[0:1], -1, 0
	s_cmp_gt_i32 s6, 0
	s_cselect_b64 s[26:27], -1, 0
	s_and_b64 s[0:1], s[0:1], s[26:27]
	s_sub_i32 s5, 0, s5
	v_mov_b32_e32 v3, s5
	s_and_b64 vcc, s[18:19], s[0:1]
	v_cndmask_b32_e32 v4, 1, v3, vcc
	v_cndmask_b32_e64 v3, 0, 1, s[22:23]
	s_mov_b32 s7, 0
	v_mov_b32_e32 v5, 0
	v_cmp_ne_u32_e64 s[0:1], 1, v3
	v_mov_b32_e32 v6, 0xc61c4000
	v_mov_b32_e32 v3, 0
	s_branch .LBB423_9
.LBB423_8:                              ;   in Loop: Header=BB423_9 Depth=1
	v_add_u32_e32 v8, s7, v0
	v_ashrrev_i32_e32 v9, 31, v8
	v_lshlrev_b64 v[8:9], 2, v[8:9]
	s_add_i32 s7, s7, 1
	v_lshl_add_u64 v[10:11], s[16:17], 0, v[8:9]
	s_cmp_ge_i32 s7, s4
	global_store_dword v[10:11], v7, off
	s_waitcnt lgkmcnt(0)
	v_lshl_add_u64 v[10:11], s[12:13], 0, v[8:9]
	v_lshl_add_u64 v[8:9], s[14:15], 0, v[8:9]
	v_add_f32_e32 v7, v3, v7
	s_cselect_b64 vcc, -1, 0
	global_store_dword v[10:11], v4, off
	global_store_dword v[8:9], v2, off
	v_cndmask_b32_e64 v3, v3, v7, s[2:3]
	v_cndmask_b32_e32 v1, v6, v1, vcc
	s_cmp_lg_u32 s4, s7
	v_add_u32_e32 v2, s24, v2
	s_cbranch_scc0 .LBB423_12
.LBB423_9:                              ; =>This Inner Loop Header: Depth=1
	s_and_b64 vcc, exec, s[0:1]
	v_mov_b32_e32 v7, v1
	s_cbranch_vccnz .LBB423_8
; %bb.10:                               ;   in Loop: Header=BB423_9 Depth=1
	global_load_dword v7, v5, s[10:11]
	s_waitcnt vmcnt(0)
	v_sub_f32_e32 v7, v1, v7
	s_branch .LBB423_8
.LBB423_11:
	v_mov_b32_e32 v3, 0
.LBB423_12:
	s_andn2_b64 vcc, exec, s[2:3]
	v_cvt_f32_f64_e32 v2, s[8:9]
	s_cbranch_vccnz .LBB423_14
; %bb.13:
	v_cmp_lt_f32_e32 vcc, 0, v3
	s_nop 1
	v_cndmask_b32_e32 v1, 1.0, v3, vcc
	v_div_scale_f32 v3, s[0:1], v1, v1, v2
	v_rcp_f32_e32 v4, v3
	s_nop 0
	v_fma_f32 v5, -v3, v4, 1.0
	v_fmac_f32_e32 v4, v5, v4
	v_div_scale_f32 v5, vcc, v2, v1, v2
	v_mul_f32_e32 v6, v5, v4
	v_fma_f32 v7, -v3, v6, v5
	v_fmac_f32_e32 v6, v7, v4
	v_fma_f32 v3, -v3, v6, v5
	v_div_fmas_f32 v3, v3, v4, v6
	v_div_fixup_f32 v2, v3, v1, v2
.LBB423_14:
	s_andn2_b64 vcc, exec, s[20:21]
	s_cbranch_vccnz .LBB423_24
; %bb.15:
	s_cmp_gt_u32 s4, 3
	v_ashrrev_i32_e32 v1, 31, v0
	s_cbranch_scc0 .LBB423_19
; %bb.16:
	s_and_b32 s0, s4, 0x7ffffffc
	v_lshl_add_u64 v[4:5], v[0:1], 2, s[16:17]
	v_mov_b32_e32 v3, v2
	v_lshl_add_u64 v[4:5], v[4:5], 0, 8
	s_mov_b32 s1, s0
.LBB423_17:                             ; =>This Inner Loop Header: Depth=1
	global_load_dwordx4 v[6:9], v[4:5], off offset:-8
	s_add_i32 s1, s1, -4
	s_cmp_lg_u32 s1, 0
	s_waitcnt vmcnt(0)
	v_pk_mul_f32 v[6:7], v[2:3], v[6:7]
	v_pk_mul_f32 v[8:9], v[2:3], v[8:9]
	global_store_dwordx4 v[4:5], v[6:9], off offset:-8
	v_lshl_add_u64 v[4:5], v[4:5], 0, 16
	s_cbranch_scc1 .LBB423_17
; %bb.18:
	s_cmp_lg_u32 s0, s4
	s_cselect_b64 s[2:3], -1, 0
	s_branch .LBB423_21
.LBB423_19:
	s_mov_b64 s[2:3], 0
                                        ; implicit-def: $sgpr0
	s_cbranch_execz .LBB423_21
; %bb.20:
	s_mov_b64 s[2:3], -1
	s_mov_b32 s0, 0
.LBB423_21:
	s_andn2_b64 vcc, exec, s[2:3]
	s_cbranch_vccnz .LBB423_24
; %bb.22:
	s_mov_b32 s1, 0
	v_lshl_add_u64 v[0:1], v[0:1], 0, s[0:1]
	s_sub_i32 s2, s4, s0
	v_lshl_add_u64 v[0:1], v[0:1], 2, s[16:17]
.LBB423_23:                             ; =>This Inner Loop Header: Depth=1
	global_load_dword v3, v[0:1], off
	s_add_i32 s2, s2, -1
	s_cmp_lg_u32 s2, 0
	s_waitcnt vmcnt(0)
	v_mul_f32_e32 v3, v2, v3
	global_store_dword v[0:1], v3, off
	v_lshl_add_u64 v[0:1], v[0:1], 0, 4
	s_cbranch_scc1 .LBB423_23
.LBB423_24:
	s_endpgm
	.section	.rodata,"a",@progbits
	.p2align	6, 0x0
	.amdhsa_kernel _ZN4vllm3moe22topkGatingSoftplusSqrtILi1ELi1ELi4ELi2ELi32ELb0Ej14__hip_bfloat16EEvPKT6_PKbPfiPT5_PiiiibdPKfPKS9_SF_
		.amdhsa_group_segment_fixed_size 0
		.amdhsa_private_segment_fixed_size 0
		.amdhsa_kernarg_size 96
		.amdhsa_user_sgpr_count 2
		.amdhsa_user_sgpr_dispatch_ptr 0
		.amdhsa_user_sgpr_queue_ptr 0
		.amdhsa_user_sgpr_kernarg_segment_ptr 1
		.amdhsa_user_sgpr_dispatch_id 0
		.amdhsa_user_sgpr_kernarg_preload_length 0
		.amdhsa_user_sgpr_kernarg_preload_offset 0
		.amdhsa_user_sgpr_private_segment_size 0
		.amdhsa_uses_dynamic_stack 0
		.amdhsa_enable_private_segment 0
		.amdhsa_system_sgpr_workgroup_id_x 1
		.amdhsa_system_sgpr_workgroup_id_y 0
		.amdhsa_system_sgpr_workgroup_id_z 0
		.amdhsa_system_sgpr_workgroup_info 0
		.amdhsa_system_vgpr_workitem_id 1
		.amdhsa_next_free_vgpr 12
		.amdhsa_next_free_sgpr 28
		.amdhsa_accum_offset 12
		.amdhsa_reserve_vcc 1
		.amdhsa_float_round_mode_32 0
		.amdhsa_float_round_mode_16_64 0
		.amdhsa_float_denorm_mode_32 3
		.amdhsa_float_denorm_mode_16_64 3
		.amdhsa_dx10_clamp 1
		.amdhsa_ieee_mode 1
		.amdhsa_fp16_overflow 0
		.amdhsa_tg_split 0
		.amdhsa_exception_fp_ieee_invalid_op 0
		.amdhsa_exception_fp_denorm_src 0
		.amdhsa_exception_fp_ieee_div_zero 0
		.amdhsa_exception_fp_ieee_overflow 0
		.amdhsa_exception_fp_ieee_underflow 0
		.amdhsa_exception_fp_ieee_inexact 0
		.amdhsa_exception_int_div_zero 0
	.end_amdhsa_kernel
	.section	.text._ZN4vllm3moe22topkGatingSoftplusSqrtILi1ELi1ELi4ELi2ELi32ELb0Ej14__hip_bfloat16EEvPKT6_PKbPfiPT5_PiiiibdPKfPKS9_SF_,"axG",@progbits,_ZN4vllm3moe22topkGatingSoftplusSqrtILi1ELi1ELi4ELi2ELi32ELb0Ej14__hip_bfloat16EEvPKT6_PKbPfiPT5_PiiiibdPKfPKS9_SF_,comdat
.Lfunc_end423:
	.size	_ZN4vllm3moe22topkGatingSoftplusSqrtILi1ELi1ELi4ELi2ELi32ELb0Ej14__hip_bfloat16EEvPKT6_PKbPfiPT5_PiiiibdPKfPKS9_SF_, .Lfunc_end423-_ZN4vllm3moe22topkGatingSoftplusSqrtILi1ELi1ELi4ELi2ELi32ELb0Ej14__hip_bfloat16EEvPKT6_PKbPfiPT5_PiiiibdPKfPKS9_SF_
                                        ; -- End function
	.section	.AMDGPU.csdata,"",@progbits
; Kernel info:
; codeLenInByte = 1084
; NumSgprs: 34
; NumVgprs: 12
; NumAgprs: 0
; TotalNumVgprs: 12
; ScratchSize: 0
; MemoryBound: 0
; FloatMode: 240
; IeeeMode: 1
; LDSByteSize: 0 bytes/workgroup (compile time only)
; SGPRBlocks: 4
; VGPRBlocks: 1
; NumSGPRsForWavesPerEU: 34
; NumVGPRsForWavesPerEU: 12
; AccumOffset: 12
; Occupancy: 8
; WaveLimiterHint : 0
; COMPUTE_PGM_RSRC2:SCRATCH_EN: 0
; COMPUTE_PGM_RSRC2:USER_SGPR: 2
; COMPUTE_PGM_RSRC2:TRAP_HANDLER: 0
; COMPUTE_PGM_RSRC2:TGID_X_EN: 1
; COMPUTE_PGM_RSRC2:TGID_Y_EN: 0
; COMPUTE_PGM_RSRC2:TGID_Z_EN: 0
; COMPUTE_PGM_RSRC2:TIDIG_COMP_CNT: 1
; COMPUTE_PGM_RSRC3_GFX90A:ACCUM_OFFSET: 2
; COMPUTE_PGM_RSRC3_GFX90A:TG_SPLIT: 0
	.section	.text._ZN4vllm3moe22topkGatingSoftplusSqrtILi2ELi2ELi4ELi4ELi64ELb1Ej14__hip_bfloat16EEvPKT6_PKbPfiPT5_PiiiibdPKfPKS9_SF_,"axG",@progbits,_ZN4vllm3moe22topkGatingSoftplusSqrtILi2ELi2ELi4ELi4ELi64ELb1Ej14__hip_bfloat16EEvPKT6_PKbPfiPT5_PiiiibdPKfPKS9_SF_,comdat
	.protected	_ZN4vllm3moe22topkGatingSoftplusSqrtILi2ELi2ELi4ELi4ELi64ELb1Ej14__hip_bfloat16EEvPKT6_PKbPfiPT5_PiiiibdPKfPKS9_SF_ ; -- Begin function _ZN4vllm3moe22topkGatingSoftplusSqrtILi2ELi2ELi4ELi4ELi64ELb1Ej14__hip_bfloat16EEvPKT6_PKbPfiPT5_PiiiibdPKfPKS9_SF_
	.globl	_ZN4vllm3moe22topkGatingSoftplusSqrtILi2ELi2ELi4ELi4ELi64ELb1Ej14__hip_bfloat16EEvPKT6_PKbPfiPT5_PiiiibdPKfPKS9_SF_
	.p2align	8
	.type	_ZN4vllm3moe22topkGatingSoftplusSqrtILi2ELi2ELi4ELi4ELi64ELb1Ej14__hip_bfloat16EEvPKT6_PKbPfiPT5_PiiiibdPKfPKS9_SF_,@function
_ZN4vllm3moe22topkGatingSoftplusSqrtILi2ELi2ELi4ELi4ELi64ELb1Ej14__hip_bfloat16EEvPKT6_PKbPfiPT5_PiiiibdPKfPKS9_SF_: ; @_ZN4vllm3moe22topkGatingSoftplusSqrtILi2ELi2ELi4ELi4ELi64ELb1Ej14__hip_bfloat16EEvPKT6_PKbPfiPT5_PiiiibdPKfPKS9_SF_
; %bb.0:
	s_load_dword s3, s[0:1], 0x18
	v_bfe_u32 v1, v0, 10, 10
	s_lshl_b32 s2, s2, 8
	v_lshlrev_b32_e32 v1, 6, v1
	v_and_b32_e32 v0, 0x3ff, v0
	v_add3_u32 v4, v1, v0, s2
	s_waitcnt lgkmcnt(0)
	v_cmp_gt_i32_e32 vcc, s3, v4
	s_and_saveexec_b64 s[2:3], vcc
	s_cbranch_execz .LBB424_57
; %bb.1:
	s_load_dwordx2 s[2:3], s[0:1], 0x0
	s_load_dword s16, s[0:1], 0x30
	s_load_dwordx4 s[4:7], s[0:1], 0x50
	v_lshlrev_b32_e32 v0, 1, v4
	v_ashrrev_i32_e32 v1, 31, v0
	s_waitcnt lgkmcnt(0)
	v_lshl_add_u64 v[0:1], v[0:1], 1, s[2:3]
	global_load_dword v2, v[0:1], off
	v_ashrrev_i32_e32 v5, 31, v4
	v_mov_b32_e32 v0, s4
	v_mov_b32_e32 v1, s5
	v_lshl_add_u64 v[0:1], v[4:5], 2, v[0:1]
	global_load_dword v0, v[0:1], off
	s_mov_b32 s2, 0x800000
	v_mov_b32_e32 v5, 0x4f800000
	s_mov_b32 s5, 0x3f317217
	s_mov_b32 s9, 0x7f800000
	v_mov_b32_e32 v6, 0x41b17218
	s_mov_b32 s4, 0x41a00000
	s_mov_b32 s12, 0xf800000
	v_mov_b32_e32 v7, 0x260
	v_mov_b32_e32 v1, 0
	s_cmp_gt_i32 s16, 0
	s_mov_b32 s8, 0
	s_cselect_b64 s[10:11], -1, 0
	s_cmp_lt_i32 s16, 1
	v_mul_lo_u32 v4, v4, s16
	s_waitcnt vmcnt(1)
	v_and_b32_e32 v8, 0xffff0000, v2
	v_lshlrev_b32_e32 v9, 16, v2
	v_mul_f32_e32 v2, 0x3fb8aa3b, v9
	v_mul_f32_e32 v3, 0x3fb8aa3b, v8
	v_exp_f32_e32 v2, v2
	v_exp_f32_e32 v3, v3
	s_waitcnt vmcnt(0)
	v_mul_lo_u32 v0, v0, s16
	v_pk_add_f32 v[2:3], v[2:3], 1.0 op_sel_hi:[1,0]
	s_nop 0
	v_cmp_gt_f32_e32 vcc, s2, v3
	v_cmp_gt_f32_e64 s[2:3], s2, v2
	s_nop 0
	v_cndmask_b32_e32 v10, 1.0, v5, vcc
	v_cndmask_b32_e64 v5, 1.0, v5, s[2:3]
	v_mul_f32_e32 v3, v3, v10
	v_mul_f32_e32 v2, v2, v5
	v_log_f32_e32 v3, v3
	v_log_f32_e32 v2, v2
	v_cndmask_b32_e32 v5, 0, v6, vcc
	v_cndmask_b32_e64 v6, 0, v6, s[2:3]
	v_mul_f32_e32 v10, 0x3f317217, v3
	v_mul_f32_e32 v11, 0x3f317217, v2
	v_fma_f32 v10, v3, s5, -v10
	v_fma_f32 v11, v2, s5, -v11
	v_fmac_f32_e32 v10, 0x3377d1cf, v3
	v_fmac_f32_e32 v11, 0x3377d1cf, v2
	;; [unrolled: 1-line block ×3, first 2 shown]
	v_cmp_lt_f32_e64 vcc, |v3|, s9
	v_fmac_f32_e32 v11, 0x3f317217, v2
	s_nop 0
	v_cndmask_b32_e32 v3, v3, v10, vcc
	v_cmp_lt_f32_e64 vcc, |v2|, s9
	v_sub_f32_e32 v3, v3, v5
	s_nop 0
	v_cndmask_b32_e32 v2, v2, v11, vcc
	v_sub_f32_e32 v2, v2, v6
	v_cmp_lt_f32_e32 vcc, s4, v9
	s_nop 1
	v_cndmask_b32_e32 v2, v2, v9, vcc
	v_cmp_lt_f32_e32 vcc, s4, v8
	v_mul_f32_e32 v6, 0x4f800000, v2
	v_cmp_gt_f32_e64 s[2:3], s12, v2
	v_cndmask_b32_e32 v3, v3, v8, vcc
	v_mul_f32_e32 v5, 0x4f800000, v3
	v_cmp_gt_f32_e32 vcc, s12, v3
	v_cndmask_b32_e64 v6, v2, v6, s[2:3]
	v_sqrt_f32_e32 v9, v6
	v_cndmask_b32_e32 v5, v3, v5, vcc
	v_sqrt_f32_e32 v8, v5
	v_lshl_add_u64 v[2:3], v[0:1], 2, s[6:7]
	v_add_u32_e32 v12, -1, v9
	v_fma_f32 v16, -v12, v9, v6
	v_add_u32_e32 v10, -1, v8
	v_fma_f32 v14, -v10, v8, v5
	v_add_u32_e32 v11, 1, v8
	v_cmp_ge_f32_e64 s[4:5], 0, v14
	v_add_u32_e32 v13, 1, v9
	v_fma_f32 v15, -v11, v8, v5
	v_cndmask_b32_e64 v8, v8, v10, s[4:5]
	v_cmp_ge_f32_e64 s[4:5], 0, v16
	v_fma_f32 v17, -v13, v9, v6
	s_nop 0
	v_cndmask_b32_e64 v9, v9, v12, s[4:5]
	v_cmp_lt_f32_e64 s[4:5], 0, v15
	s_nop 1
	v_cndmask_b32_e64 v8, v8, v11, s[4:5]
	v_cmp_lt_f32_e64 s[4:5], 0, v17
	v_mul_f32_e32 v10, 0x37800000, v8
	v_cndmask_b32_e32 v8, v8, v10, vcc
	v_cndmask_b32_e64 v9, v9, v13, s[4:5]
	v_mul_f32_e32 v11, 0x37800000, v9
	v_cmp_class_f32_e32 vcc, v5, v7
	v_cndmask_b32_e64 v9, v9, v11, s[2:3]
	s_nop 0
	v_cndmask_b32_e32 v10, v8, v5, vcc
	v_cmp_class_f32_e32 vcc, v6, v7
	s_nop 1
	v_cndmask_b32_e32 v11, v9, v6, vcc
	s_cbranch_scc1 .LBB424_21
; %bb.2:
	s_load_dwordx2 s[2:3], s[0:1], 0x20
	s_cmp_lt_u32 s16, 4
	s_cbranch_scc1 .LBB424_22
; %bb.3:
	s_mov_b32 s5, 0
	s_and_b32 s8, s16, 0x7ffffffc
	v_ashrrev_i32_e32 v5, 31, v4
	v_mov_b32_e32 v12, 0
	s_mov_b32 s4, s5
	s_branch .LBB424_5
.LBB424_4:                              ;   in Loop: Header=BB424_5 Depth=1
	s_or_b64 exec, exec, s[12:13]
	s_add_i32 s4, s4, 4
	s_cmp_eq_u32 s4, s8
	s_cbranch_scc1 .LBB424_23
.LBB424_5:                              ; =>This Loop Header: Depth=1
                                        ;     Child Loop BB424_7 Depth 2
                                        ;     Child Loop BB424_11 Depth 2
	;; [unrolled: 1-line block ×4, first 2 shown]
	v_lshl_add_u64 v[6:7], s[4:5], 2, v[2:3]
	global_load_dword v13, v[6:7], off
	v_add_u32_e32 v8, s4, v4
	v_ashrrev_i32_e32 v9, 31, v8
	s_mov_b64 s[12:13], 0
	s_waitcnt lgkmcnt(0)
	v_lshl_add_u64 v[8:9], v[8:9], 2, s[2:3]
	s_mov_b32 s9, 0
	s_waitcnt vmcnt(0)
	v_cmp_eq_u32_e32 vcc, 0, v13
	s_nop 1
	v_cndmask_b32_e64 v14, 2, 1, vcc
	v_cmp_eq_u32_e32 vcc, 1, v13
	s_nop 1
	v_cndmask_b32_e32 v15, v11, v10, vcc
	s_branch .LBB424_7
.LBB424_6:                              ;   in Loop: Header=BB424_7 Depth=2
	s_or_b64 exec, exec, s[14:15]
	s_add_i32 s9, s9, 1
	v_cmp_eq_u32_e32 vcc, s9, v14
	s_or_b64 s[12:13], vcc, s[12:13]
	s_andn2_b64 exec, exec, s[12:13]
	s_cbranch_execz .LBB424_9
.LBB424_7:                              ;   Parent Loop BB424_5 Depth=1
                                        ; =>  This Inner Loop Header: Depth=2
	v_cmp_eq_u32_e32 vcc, s9, v13
	s_and_saveexec_b64 s[14:15], vcc
	s_cbranch_execz .LBB424_6
; %bb.8:                                ;   in Loop: Header=BB424_7 Depth=2
	v_add_f32_e32 v12, v12, v15
	global_store_dword v[8:9], v13, off
	s_branch .LBB424_6
.LBB424_9:                              ;   in Loop: Header=BB424_5 Depth=1
	s_or_b64 exec, exec, s[12:13]
	global_load_dword v13, v[6:7], off offset:4
	s_ashr_i32 s13, s4, 31
	s_mov_b32 s12, s4
	v_lshl_add_u64 v[8:9], s[12:13], 0, v[4:5]
	s_mov_b32 s9, 0
	v_lshl_add_u64 v[8:9], v[8:9], 2, s[2:3]
	s_mov_b64 s[12:13], 0
	s_waitcnt vmcnt(0)
	v_cmp_eq_u32_e32 vcc, 0, v13
	s_nop 1
	v_cndmask_b32_e64 v14, 2, 1, vcc
	v_cmp_eq_u32_e32 vcc, 1, v13
	s_nop 1
	v_cndmask_b32_e32 v15, v11, v10, vcc
	s_branch .LBB424_11
.LBB424_10:                             ;   in Loop: Header=BB424_11 Depth=2
	s_or_b64 exec, exec, s[14:15]
	s_add_i32 s9, s9, 1
	v_cmp_eq_u32_e32 vcc, s9, v14
	s_or_b64 s[12:13], vcc, s[12:13]
	s_andn2_b64 exec, exec, s[12:13]
	s_cbranch_execz .LBB424_13
.LBB424_11:                             ;   Parent Loop BB424_5 Depth=1
                                        ; =>  This Inner Loop Header: Depth=2
	v_cmp_eq_u32_e32 vcc, s9, v13
	s_and_saveexec_b64 s[14:15], vcc
	s_cbranch_execz .LBB424_10
; %bb.12:                               ;   in Loop: Header=BB424_11 Depth=2
	v_add_f32_e32 v12, v12, v15
	global_store_dword v[8:9], v13, off offset:4
	s_branch .LBB424_10
.LBB424_13:                             ;   in Loop: Header=BB424_5 Depth=1
	s_or_b64 exec, exec, s[12:13]
	global_load_dword v13, v[6:7], off offset:8
	s_mov_b32 s9, 0
	s_mov_b64 s[12:13], 0
	s_waitcnt vmcnt(0)
	v_cmp_eq_u32_e32 vcc, 0, v13
	s_nop 1
	v_cndmask_b32_e64 v14, 2, 1, vcc
	v_cmp_eq_u32_e32 vcc, 1, v13
	s_nop 1
	v_cndmask_b32_e32 v15, v11, v10, vcc
	s_branch .LBB424_15
.LBB424_14:                             ;   in Loop: Header=BB424_15 Depth=2
	s_or_b64 exec, exec, s[14:15]
	s_add_i32 s9, s9, 1
	v_cmp_eq_u32_e32 vcc, s9, v14
	s_or_b64 s[12:13], vcc, s[12:13]
	s_andn2_b64 exec, exec, s[12:13]
	s_cbranch_execz .LBB424_17
.LBB424_15:                             ;   Parent Loop BB424_5 Depth=1
                                        ; =>  This Inner Loop Header: Depth=2
	v_cmp_eq_u32_e32 vcc, s9, v13
	s_and_saveexec_b64 s[14:15], vcc
	s_cbranch_execz .LBB424_14
; %bb.16:                               ;   in Loop: Header=BB424_15 Depth=2
	v_add_f32_e32 v12, v12, v15
	global_store_dword v[8:9], v13, off offset:8
	s_branch .LBB424_14
.LBB424_17:                             ;   in Loop: Header=BB424_5 Depth=1
	s_or_b64 exec, exec, s[12:13]
	global_load_dword v6, v[6:7], off offset:12
	s_mov_b32 s9, 0
	s_mov_b64 s[12:13], 0
	s_waitcnt vmcnt(0)
	v_cmp_eq_u32_e32 vcc, 0, v6
	s_nop 1
	v_cndmask_b32_e64 v7, 2, 1, vcc
	v_cmp_eq_u32_e32 vcc, 1, v6
	s_nop 1
	v_cndmask_b32_e32 v13, v11, v10, vcc
	s_branch .LBB424_19
.LBB424_18:                             ;   in Loop: Header=BB424_19 Depth=2
	s_or_b64 exec, exec, s[14:15]
	s_add_i32 s9, s9, 1
	v_cmp_eq_u32_e32 vcc, s9, v7
	s_or_b64 s[12:13], vcc, s[12:13]
	s_andn2_b64 exec, exec, s[12:13]
	s_cbranch_execz .LBB424_4
.LBB424_19:                             ;   Parent Loop BB424_5 Depth=1
                                        ; =>  This Inner Loop Header: Depth=2
	v_cmp_eq_u32_e32 vcc, s9, v6
	s_and_saveexec_b64 s[14:15], vcc
	s_cbranch_execz .LBB424_18
; %bb.20:                               ;   in Loop: Header=BB424_19 Depth=2
	v_add_f32_e32 v12, v12, v13
	global_store_dword v[8:9], v6, off offset:12
	s_branch .LBB424_18
.LBB424_21:
	v_mov_b32_e32 v12, v1
	s_branch .LBB424_30
.LBB424_22:
	v_mov_b32_e32 v12, v1
.LBB424_23:
	s_and_b32 s14, s16, 3
	s_cmp_eq_u32 s14, 0
	s_mov_b32 s9, 0
	s_cbranch_scc1 .LBB424_30
; %bb.24:
	s_mov_b32 s15, s9
	s_branch .LBB424_26
.LBB424_25:                             ;   in Loop: Header=BB424_26 Depth=1
	s_or_b64 exec, exec, s[4:5]
	s_add_i32 s8, s8, 1
	s_add_i32 s15, s15, 1
	s_cmp_lg_u32 s15, s14
	s_cbranch_scc0 .LBB424_30
.LBB424_26:                             ; =>This Loop Header: Depth=1
                                        ;     Child Loop BB424_28 Depth 2
	v_lshl_add_u64 v[6:7], s[8:9], 2, v[2:3]
	global_load_dword v5, v[6:7], off
	v_add_u32_e32 v6, s8, v4
	v_ashrrev_i32_e32 v7, 31, v6
	s_mov_b32 s17, 0
	s_waitcnt lgkmcnt(0)
	v_lshl_add_u64 v[6:7], v[6:7], 2, s[2:3]
	s_mov_b64 s[4:5], 0
	s_waitcnt vmcnt(0)
	v_cmp_eq_u32_e32 vcc, 0, v5
	s_nop 1
	v_cndmask_b32_e64 v8, 2, 1, vcc
	v_cmp_eq_u32_e32 vcc, 1, v5
	s_nop 1
	v_cndmask_b32_e32 v9, v11, v10, vcc
	s_branch .LBB424_28
.LBB424_27:                             ;   in Loop: Header=BB424_28 Depth=2
	s_or_b64 exec, exec, s[12:13]
	s_add_i32 s17, s17, 1
	v_cmp_eq_u32_e32 vcc, s17, v8
	s_or_b64 s[4:5], vcc, s[4:5]
	s_andn2_b64 exec, exec, s[4:5]
	s_cbranch_execz .LBB424_25
.LBB424_28:                             ;   Parent Loop BB424_26 Depth=1
                                        ; =>  This Inner Loop Header: Depth=2
	v_cmp_eq_u32_e32 vcc, s17, v5
	s_and_saveexec_b64 s[12:13], vcc
	s_cbranch_execz .LBB424_27
; %bb.29:                               ;   in Loop: Header=BB424_28 Depth=2
	v_add_f32_e32 v12, v12, v9
	global_store_dword v[6:7], v5, off
	s_branch .LBB424_27
.LBB424_30:
	s_load_dword s4, s[0:1], 0x3c
	s_waitcnt lgkmcnt(0)
	s_load_dwordx2 s[2:3], s[0:1], 0x40
	s_bitcmp1_b32 s4, 0
	s_cselect_b64 s[4:5], -1, 0
	s_waitcnt lgkmcnt(0)
	v_cvt_f32_f64_e32 v13, s[2:3]
	s_and_b64 vcc, exec, s[4:5]
	s_cbranch_vccz .LBB424_32
; %bb.31:
	v_cmp_lt_f32_e32 vcc, 0, v12
	s_nop 1
	v_cndmask_b32_e32 v5, 1.0, v12, vcc
	v_div_scale_f32 v6, s[2:3], v5, v5, v13
	v_rcp_f32_e32 v7, v6
	s_nop 0
	v_fma_f32 v8, -v6, v7, 1.0
	v_fmac_f32_e32 v7, v8, v7
	v_div_scale_f32 v8, vcc, v13, v5, v13
	v_mul_f32_e32 v9, v8, v7
	v_fma_f32 v12, -v6, v9, v8
	v_fmac_f32_e32 v9, v12, v7
	v_fma_f32 v6, -v6, v9, v8
	v_div_fmas_f32 v6, v6, v7, v9
	v_div_fixup_f32 v13, v6, v5, v13
.LBB424_32:
	s_andn2_b64 vcc, exec, s[10:11]
	s_cbranch_vccnz .LBB424_57
; %bb.33:
	s_load_dwordx2 s[0:1], s[0:1], 0x10
	s_cmp_lt_u32 s16, 8
	s_mov_b32 s2, 0
	s_cbranch_scc1 .LBB424_52
; %bb.34:
	v_ashrrev_i32_e32 v5, 31, v4
	s_and_b32 s2, s16, 0x7ffffff8
	s_waitcnt lgkmcnt(0)
	v_lshl_add_u64 v[6:7], v[4:5], 2, s[0:1]
	s_mov_b32 s3, 0
	s_mov_b64 s[4:5], 0
	s_branch .LBB424_36
.LBB424_35:                             ;   in Loop: Header=BB424_36 Depth=1
	s_or_b64 exec, exec, s[8:9]
	s_add_i32 s3, s3, 8
	s_add_u32 s4, s4, 32
	s_addc_u32 s5, s5, 0
	s_cmp_lg_u32 s2, s3
	s_cbranch_scc0 .LBB424_52
.LBB424_36:                             ; =>This Inner Loop Header: Depth=1
	v_lshl_add_u64 v[8:9], v[2:3], 0, s[4:5]
	global_load_dword v5, v[8:9], off
	s_waitcnt vmcnt(0)
	v_cmp_gt_u32_e32 vcc, 2, v5
	s_and_saveexec_b64 s[8:9], vcc
	s_cbranch_execz .LBB424_38
; %bb.37:                               ;   in Loop: Header=BB424_36 Depth=1
	v_add_u32_e32 v14, s3, v4
	v_cmp_eq_u32_e32 vcc, 1, v5
	v_ashrrev_i32_e32 v15, 31, v14
	v_lshl_add_u64 v[14:15], v[14:15], 2, s[0:1]
	v_cndmask_b32_e32 v5, v11, v10, vcc
	v_mul_f32_e32 v5, v13, v5
	global_store_dword v[14:15], v5, off
.LBB424_38:                             ;   in Loop: Header=BB424_36 Depth=1
	s_or_b64 exec, exec, s[8:9]
	global_load_dword v5, v[8:9], off offset:4
	s_waitcnt vmcnt(0)
	v_cmp_gt_u32_e32 vcc, 2, v5
	s_and_saveexec_b64 s[8:9], vcc
	s_cbranch_execz .LBB424_40
; %bb.39:                               ;   in Loop: Header=BB424_36 Depth=1
	v_cmp_eq_u32_e32 vcc, 1, v5
	v_lshl_add_u64 v[14:15], v[6:7], 0, s[4:5]
	s_nop 0
	v_cndmask_b32_e32 v5, v11, v10, vcc
	v_mul_f32_e32 v5, v13, v5
	global_store_dword v[14:15], v5, off offset:4
.LBB424_40:                             ;   in Loop: Header=BB424_36 Depth=1
	s_or_b64 exec, exec, s[8:9]
	global_load_dword v5, v[8:9], off offset:8
	s_waitcnt vmcnt(0)
	v_cmp_gt_u32_e32 vcc, 2, v5
	s_and_saveexec_b64 s[8:9], vcc
	s_cbranch_execz .LBB424_42
; %bb.41:                               ;   in Loop: Header=BB424_36 Depth=1
	v_cmp_eq_u32_e32 vcc, 1, v5
	v_lshl_add_u64 v[14:15], v[6:7], 0, s[4:5]
	s_nop 0
	v_cndmask_b32_e32 v5, v11, v10, vcc
	v_mul_f32_e32 v5, v13, v5
	global_store_dword v[14:15], v5, off offset:8
.LBB424_42:                             ;   in Loop: Header=BB424_36 Depth=1
	;; [unrolled: 14-line block ×6, first 2 shown]
	s_or_b64 exec, exec, s[8:9]
	global_load_dword v5, v[8:9], off offset:28
	s_waitcnt vmcnt(0)
	v_cmp_gt_u32_e32 vcc, 2, v5
	s_and_saveexec_b64 s[8:9], vcc
	s_cbranch_execz .LBB424_35
; %bb.51:                               ;   in Loop: Header=BB424_36 Depth=1
	v_cmp_eq_u32_e32 vcc, 1, v5
	v_lshl_add_u64 v[8:9], v[6:7], 0, s[4:5]
	s_nop 0
	v_cndmask_b32_e32 v5, v11, v10, vcc
	v_mul_f32_e32 v5, v13, v5
	global_store_dword v[8:9], v5, off offset:28
	s_branch .LBB424_35
.LBB424_52:
	s_and_b32 s4, s16, 7
	s_cmp_eq_u32 s4, 0
	s_mov_b32 s3, 0
	s_cbranch_scc1 .LBB424_57
; %bb.53:
	v_add_u32_e32 v2, s2, v4
	s_lshl_b64 s[2:3], s[2:3], 2
	s_add_u32 s2, s6, s2
	s_addc_u32 s3, s7, s3
	v_lshl_add_u64 v[0:1], v[0:1], 2, s[2:3]
	s_branch .LBB424_55
.LBB424_54:                             ;   in Loop: Header=BB424_55 Depth=1
	s_or_b64 exec, exec, s[2:3]
	s_add_i32 s4, s4, -1
	v_add_u32_e32 v2, 1, v2
	s_cmp_lg_u32 s4, 0
	v_lshl_add_u64 v[0:1], v[0:1], 0, 4
	s_cbranch_scc0 .LBB424_57
.LBB424_55:                             ; =>This Inner Loop Header: Depth=1
	global_load_dword v3, v[0:1], off
	s_waitcnt vmcnt(0)
	v_cmp_gt_u32_e32 vcc, 2, v3
	s_and_saveexec_b64 s[2:3], vcc
	s_cbranch_execz .LBB424_54
; %bb.56:                               ;   in Loop: Header=BB424_55 Depth=1
	v_cmp_eq_u32_e32 vcc, 1, v3
	s_nop 1
	v_cndmask_b32_e32 v3, v11, v10, vcc
	v_mul_f32_e32 v6, v13, v3
	v_ashrrev_i32_e32 v3, 31, v2
	s_waitcnt lgkmcnt(0)
	v_lshl_add_u64 v[4:5], v[2:3], 2, s[0:1]
	global_store_dword v[4:5], v6, off
	s_branch .LBB424_54
.LBB424_57:
	s_endpgm
	.section	.rodata,"a",@progbits
	.p2align	6, 0x0
	.amdhsa_kernel _ZN4vllm3moe22topkGatingSoftplusSqrtILi2ELi2ELi4ELi4ELi64ELb1Ej14__hip_bfloat16EEvPKT6_PKbPfiPT5_PiiiibdPKfPKS9_SF_
		.amdhsa_group_segment_fixed_size 0
		.amdhsa_private_segment_fixed_size 0
		.amdhsa_kernarg_size 96
		.amdhsa_user_sgpr_count 2
		.amdhsa_user_sgpr_dispatch_ptr 0
		.amdhsa_user_sgpr_queue_ptr 0
		.amdhsa_user_sgpr_kernarg_segment_ptr 1
		.amdhsa_user_sgpr_dispatch_id 0
		.amdhsa_user_sgpr_kernarg_preload_length 0
		.amdhsa_user_sgpr_kernarg_preload_offset 0
		.amdhsa_user_sgpr_private_segment_size 0
		.amdhsa_uses_dynamic_stack 0
		.amdhsa_enable_private_segment 0
		.amdhsa_system_sgpr_workgroup_id_x 1
		.amdhsa_system_sgpr_workgroup_id_y 0
		.amdhsa_system_sgpr_workgroup_id_z 0
		.amdhsa_system_sgpr_workgroup_info 0
		.amdhsa_system_vgpr_workitem_id 1
		.amdhsa_next_free_vgpr 18
		.amdhsa_next_free_sgpr 18
		.amdhsa_accum_offset 20
		.amdhsa_reserve_vcc 1
		.amdhsa_float_round_mode_32 0
		.amdhsa_float_round_mode_16_64 0
		.amdhsa_float_denorm_mode_32 3
		.amdhsa_float_denorm_mode_16_64 3
		.amdhsa_dx10_clamp 1
		.amdhsa_ieee_mode 1
		.amdhsa_fp16_overflow 0
		.amdhsa_tg_split 0
		.amdhsa_exception_fp_ieee_invalid_op 0
		.amdhsa_exception_fp_denorm_src 0
		.amdhsa_exception_fp_ieee_div_zero 0
		.amdhsa_exception_fp_ieee_overflow 0
		.amdhsa_exception_fp_ieee_underflow 0
		.amdhsa_exception_fp_ieee_inexact 0
		.amdhsa_exception_int_div_zero 0
	.end_amdhsa_kernel
	.section	.text._ZN4vllm3moe22topkGatingSoftplusSqrtILi2ELi2ELi4ELi4ELi64ELb1Ej14__hip_bfloat16EEvPKT6_PKbPfiPT5_PiiiibdPKfPKS9_SF_,"axG",@progbits,_ZN4vllm3moe22topkGatingSoftplusSqrtILi2ELi2ELi4ELi4ELi64ELb1Ej14__hip_bfloat16EEvPKT6_PKbPfiPT5_PiiiibdPKfPKS9_SF_,comdat
.Lfunc_end424:
	.size	_ZN4vllm3moe22topkGatingSoftplusSqrtILi2ELi2ELi4ELi4ELi64ELb1Ej14__hip_bfloat16EEvPKT6_PKbPfiPT5_PiiiibdPKfPKS9_SF_, .Lfunc_end424-_ZN4vllm3moe22topkGatingSoftplusSqrtILi2ELi2ELi4ELi4ELi64ELb1Ej14__hip_bfloat16EEvPKT6_PKbPfiPT5_PiiiibdPKfPKS9_SF_
                                        ; -- End function
	.section	.AMDGPU.csdata,"",@progbits
; Kernel info:
; codeLenInByte = 2288
; NumSgprs: 24
; NumVgprs: 18
; NumAgprs: 0
; TotalNumVgprs: 18
; ScratchSize: 0
; MemoryBound: 0
; FloatMode: 240
; IeeeMode: 1
; LDSByteSize: 0 bytes/workgroup (compile time only)
; SGPRBlocks: 2
; VGPRBlocks: 2
; NumSGPRsForWavesPerEU: 24
; NumVGPRsForWavesPerEU: 18
; AccumOffset: 20
; Occupancy: 8
; WaveLimiterHint : 1
; COMPUTE_PGM_RSRC2:SCRATCH_EN: 0
; COMPUTE_PGM_RSRC2:USER_SGPR: 2
; COMPUTE_PGM_RSRC2:TRAP_HANDLER: 0
; COMPUTE_PGM_RSRC2:TGID_X_EN: 1
; COMPUTE_PGM_RSRC2:TGID_Y_EN: 0
; COMPUTE_PGM_RSRC2:TGID_Z_EN: 0
; COMPUTE_PGM_RSRC2:TIDIG_COMP_CNT: 1
; COMPUTE_PGM_RSRC3_GFX90A:ACCUM_OFFSET: 4
; COMPUTE_PGM_RSRC3_GFX90A:TG_SPLIT: 0
	.section	.text._ZN4vllm3moe22topkGatingSoftplusSqrtILi2ELi2ELi4ELi4ELi64ELb0Ej14__hip_bfloat16EEvPKT6_PKbPfiPT5_PiiiibdPKfPKS9_SF_,"axG",@progbits,_ZN4vllm3moe22topkGatingSoftplusSqrtILi2ELi2ELi4ELi4ELi64ELb0Ej14__hip_bfloat16EEvPKT6_PKbPfiPT5_PiiiibdPKfPKS9_SF_,comdat
	.protected	_ZN4vllm3moe22topkGatingSoftplusSqrtILi2ELi2ELi4ELi4ELi64ELb0Ej14__hip_bfloat16EEvPKT6_PKbPfiPT5_PiiiibdPKfPKS9_SF_ ; -- Begin function _ZN4vllm3moe22topkGatingSoftplusSqrtILi2ELi2ELi4ELi4ELi64ELb0Ej14__hip_bfloat16EEvPKT6_PKbPfiPT5_PiiiibdPKfPKS9_SF_
	.globl	_ZN4vllm3moe22topkGatingSoftplusSqrtILi2ELi2ELi4ELi4ELi64ELb0Ej14__hip_bfloat16EEvPKT6_PKbPfiPT5_PiiiibdPKfPKS9_SF_
	.p2align	8
	.type	_ZN4vllm3moe22topkGatingSoftplusSqrtILi2ELi2ELi4ELi4ELi64ELb0Ej14__hip_bfloat16EEvPKT6_PKbPfiPT5_PiiiibdPKfPKS9_SF_,@function
_ZN4vllm3moe22topkGatingSoftplusSqrtILi2ELi2ELi4ELi4ELi64ELb0Ej14__hip_bfloat16EEvPKT6_PKbPfiPT5_PiiiibdPKfPKS9_SF_: ; @_ZN4vllm3moe22topkGatingSoftplusSqrtILi2ELi2ELi4ELi4ELi64ELb0Ej14__hip_bfloat16EEvPKT6_PKbPfiPT5_PiiiibdPKfPKS9_SF_
; %bb.0:
	s_load_dword s24, s[0:1], 0x18
	v_bfe_u32 v1, v0, 10, 10
	s_lshl_b32 s2, s2, 8
	v_lshlrev_b32_e32 v1, 6, v1
	v_and_b32_e32 v0, 0x3ff, v0
	v_add3_u32 v0, v1, v0, s2
	s_waitcnt lgkmcnt(0)
	v_cmp_gt_i32_e32 vcc, s24, v0
	s_and_saveexec_b64 s[2:3], vcc
	s_cbranch_execz .LBB425_28
; %bb.1:
	s_load_dwordx4 s[4:7], s[0:1], 0x0
	s_load_dwordx2 s[16:17], s[0:1], 0x10
	s_waitcnt lgkmcnt(0)
	s_cmp_eq_u64 s[6:7], 0
	s_cbranch_scc1 .LBB425_3
; %bb.2:
	v_ashrrev_i32_e32 v1, 31, v0
	v_lshl_add_u64 v[2:3], s[6:7], 0, v[0:1]
	global_load_ubyte v1, v[2:3], off
	s_waitcnt vmcnt(0)
	v_and_b32_e32 v1, 1, v1
	v_cmp_eq_u32_e32 vcc, 1, v1
	s_xor_b64 s[2:3], vcc, -1
	s_orn2_b64 s[18:19], s[2:3], exec
	s_branch .LBB425_4
.LBB425_3:
	s_mov_b64 s[18:19], -1
.LBB425_4:
	v_lshlrev_b32_e32 v4, 1, v0
	v_mov_b32_e32 v2, s4
	v_mov_b32_e32 v3, s5
	v_ashrrev_i32_e32 v5, 31, v4
	v_lshl_add_u64 v[2:3], v[4:5], 1, v[2:3]
	global_load_dword v2, v[2:3], off
	s_mov_b32 s14, 0x800000
	v_mov_b32_e32 v3, 0x4f800000
	s_mov_b32 s7, 0x3f317217
	s_mov_b32 s12, 0x7f800000
	v_mov_b32_e32 v5, 0x41b17218
	s_mov_b32 s6, 0x41a00000
	s_mov_b32 s13, 0xf800000
	s_load_dwordx4 s[8:11], s[0:1], 0x40
	s_waitcnt lgkmcnt(0)
	s_cmp_lg_u64 s[10:11], 0
	s_cselect_b64 s[20:21], -1, 0
	s_and_b64 s[2:3], exec, s[20:21]
	s_waitcnt vmcnt(0)
	v_lshlrev_b32_e32 v4, 16, v2
	v_mul_f32_e32 v1, 0x3fb8aa3b, v4
	v_exp_f32_e32 v1, v1
	s_nop 0
	v_add_f32_e32 v1, 1.0, v1
	v_cmp_gt_f32_e32 vcc, s14, v1
	s_nop 1
	v_cndmask_b32_e32 v6, 1.0, v3, vcc
	v_mul_f32_e32 v1, v1, v6
	v_log_f32_e32 v6, v1
	v_cndmask_b32_e32 v7, 0, v5, vcc
	v_mov_b32_e32 v1, 0x260
	v_mul_f32_e32 v8, 0x3f317217, v6
	v_fma_f32 v8, v6, s7, -v8
	v_fmac_f32_e32 v8, 0x3377d1cf, v6
	v_fmac_f32_e32 v8, 0x3f317217, v6
	v_cmp_lt_f32_e64 vcc, |v6|, s12
	s_nop 1
	v_cndmask_b32_e32 v6, v6, v8, vcc
	v_sub_f32_e32 v6, v6, v7
	v_cmp_lt_f32_e32 vcc, s6, v4
	s_nop 1
	v_cndmask_b32_e32 v4, v6, v4, vcc
	v_mul_f32_e32 v6, 0x4f800000, v4
	v_cmp_gt_f32_e32 vcc, s13, v4
	s_nop 1
	v_cndmask_b32_e32 v4, v4, v6, vcc
	v_sqrt_f32_e32 v6, v4
	s_nop 0
	v_add_u32_e32 v7, -1, v6
	v_add_u32_e32 v8, 1, v6
	v_fma_f32 v9, -v7, v6, v4
	v_fma_f32 v10, -v8, v6, v4
	v_cmp_ge_f32_e64 s[4:5], 0, v9
	s_nop 1
	v_cndmask_b32_e64 v6, v6, v7, s[4:5]
	v_cmp_lt_f32_e64 s[4:5], 0, v10
	s_nop 1
	v_cndmask_b32_e64 v6, v6, v8, s[4:5]
	v_mul_f32_e32 v7, 0x37800000, v6
	v_cndmask_b32_e32 v6, v6, v7, vcc
	v_cmp_class_f32_e32 vcc, v4, v1
	s_nop 1
	v_cndmask_b32_e32 v4, v6, v4, vcc
	s_mov_b64 vcc, s[2:3]
	s_cbranch_vccz .LBB425_6
; %bb.5:
	s_load_dword s2, s[10:11], 0x0
	s_waitcnt lgkmcnt(0)
	v_add_f32_e32 v4, s2, v4
.LBB425_6:
	v_and_b32_e32 v2, 0xffff0000, v2
	v_mul_f32_e32 v6, 0x3fb8aa3b, v2
	v_exp_f32_e32 v6, v6
	s_nop 0
	v_add_f32_e32 v6, 1.0, v6
	v_cmp_gt_f32_e32 vcc, s14, v6
	s_nop 1
	v_cndmask_b32_e32 v3, 1.0, v3, vcc
	v_mul_f32_e32 v3, v6, v3
	v_log_f32_e32 v3, v3
	v_cndmask_b32_e32 v5, 0, v5, vcc
	v_mul_f32_e32 v6, 0x3f317217, v3
	v_fma_f32 v6, v3, s7, -v6
	v_fmac_f32_e32 v6, 0x3377d1cf, v3
	v_fmac_f32_e32 v6, 0x3f317217, v3
	v_cmp_lt_f32_e64 vcc, |v3|, s12
	s_nop 1
	v_cndmask_b32_e32 v3, v3, v6, vcc
	v_sub_f32_e32 v3, v3, v5
	v_cmp_lt_f32_e32 vcc, s6, v2
	s_nop 1
	v_cndmask_b32_e32 v2, v3, v2, vcc
	v_mul_f32_e32 v3, 0x4f800000, v2
	v_cmp_gt_f32_e32 vcc, s13, v2
	s_nop 1
	v_cndmask_b32_e32 v2, v2, v3, vcc
	v_sqrt_f32_e32 v3, v2
	s_nop 0
	v_add_u32_e32 v5, -1, v3
	v_add_u32_e32 v6, 1, v3
	v_fma_f32 v7, -v5, v3, v2
	v_fma_f32 v8, -v6, v3, v2
	v_cmp_ge_f32_e64 s[2:3], 0, v7
	s_nop 1
	v_cndmask_b32_e64 v3, v3, v5, s[2:3]
	v_cmp_lt_f32_e64 s[2:3], 0, v8
	s_nop 1
	v_cndmask_b32_e64 v3, v3, v6, s[2:3]
	v_mul_f32_e32 v5, 0x37800000, v3
	v_cndmask_b32_e32 v3, v3, v5, vcc
	v_cmp_class_f32_e64 s[2:3], v2, v1
	s_andn2_b64 vcc, exec, s[20:21]
	s_nop 0
	v_cndmask_b32_e64 v1, v3, v2, s[2:3]
	s_cbranch_vccnz .LBB425_8
; %bb.7:
	s_load_dword s2, s[10:11], 0x4
	s_waitcnt lgkmcnt(0)
	v_add_f32_e32 v1, s2, v1
.LBB425_8:
	s_load_dwordx4 s[4:7], s[0:1], 0x30
	s_mov_b32 s25, 0
	s_waitcnt lgkmcnt(0)
	s_bitcmp1_b32 s7, 0
	s_cselect_b64 s[2:3], -1, 0
	s_cmp_gt_i32 s4, 0
	s_cselect_b64 s[22:23], -1, 0
	s_and_b64 vcc, exec, s[22:23]
	v_mul_lo_u32 v2, v0, s4
	s_cbranch_vccz .LBB425_15
; %bb.9:
	s_load_dwordx4 s[12:15], s[0:1], 0x20
	v_mov_b32_e32 v3, 0
	v_mov_b32_e32 v5, 0xc61c4000
	s_branch .LBB425_11
.LBB425_10:                             ;   in Loop: Header=BB425_11 Depth=1
	v_add_u32_e32 v8, s25, v2
	v_ashrrev_i32_e32 v9, 31, v8
	v_cmp_le_i32_e32 vcc, s5, v6
	v_cmp_gt_i32_e64 s[0:1], s6, v6
	v_lshlrev_b64 v[8:9], 2, v[8:9]
	s_and_b64 s[0:1], vcc, s[0:1]
	v_lshl_add_u64 v[10:11], s[16:17], 0, v[8:9]
	global_store_dword v[10:11], v7, off
	v_subrev_u32_e32 v10, s5, v6
	s_and_b64 vcc, s[18:19], s[0:1]
	v_cndmask_b32_e32 v12, 2, v10, vcc
	v_add_f32_e32 v7, v3, v7
	s_add_i32 s25, s25, 1
	v_cmp_ne_u32_e32 vcc, 0, v6
	v_cndmask_b32_e64 v3, v3, v7, s[2:3]
	s_cmp_lt_i32 s25, s4
	v_cndmask_b32_e32 v7, v5, v4, vcc
	v_cmp_ne_u32_e32 vcc, 1, v6
	s_waitcnt lgkmcnt(0)
	v_lshl_add_u64 v[10:11], s[12:13], 0, v[8:9]
	v_lshl_add_u64 v[8:9], s[14:15], 0, v[8:9]
	v_cndmask_b32_e32 v6, v5, v1, vcc
	s_cselect_b64 vcc, -1, 0
	global_store_dword v[10:11], v12, off
	global_store_dword v[8:9], v0, off
	v_cndmask_b32_e32 v1, v1, v6, vcc
	v_cndmask_b32_e32 v4, v4, v7, vcc
	s_cmp_lg_u32 s4, s25
	v_add_u32_e32 v0, s24, v0
	s_cbranch_scc0 .LBB425_16
.LBB425_11:                             ; =>This Inner Loop Header: Depth=1
	v_cmp_gt_f32_e32 vcc, v1, v4
	s_and_b64 s[0:1], exec, s[20:21]
	s_nop 0
	v_cndmask_b32_e32 v8, v4, v1, vcc
	v_cndmask_b32_e64 v6, 0, 1, vcc
	s_mov_b64 vcc, s[0:1]
	s_cbranch_vccz .LBB425_13
; %bb.12:                               ;   in Loop: Header=BB425_11 Depth=1
	v_lshlrev_b32_e32 v7, 2, v6
	global_load_dword v7, v7, s[10:11]
	s_waitcnt vmcnt(0)
	v_sub_f32_e32 v7, v8, v7
	s_cbranch_execnz .LBB425_10
	s_branch .LBB425_14
.LBB425_13:                             ;   in Loop: Header=BB425_11 Depth=1
                                        ; implicit-def: $vgpr7
.LBB425_14:                             ;   in Loop: Header=BB425_11 Depth=1
	v_mov_b32_e32 v7, v8
	s_branch .LBB425_10
.LBB425_15:
	v_mov_b32_e32 v3, 0
.LBB425_16:
	s_andn2_b64 vcc, exec, s[2:3]
	v_cvt_f32_f64_e32 v0, s[8:9]
	s_cbranch_vccnz .LBB425_18
; %bb.17:
	v_cmp_lt_f32_e32 vcc, 0, v3
	s_nop 1
	v_cndmask_b32_e32 v1, 1.0, v3, vcc
	v_div_scale_f32 v3, s[0:1], v1, v1, v0
	v_rcp_f32_e32 v4, v3
	s_nop 0
	v_fma_f32 v5, -v3, v4, 1.0
	v_fmac_f32_e32 v4, v5, v4
	v_div_scale_f32 v5, vcc, v0, v1, v0
	v_mul_f32_e32 v6, v5, v4
	v_fma_f32 v7, -v3, v6, v5
	v_fmac_f32_e32 v6, v7, v4
	v_fma_f32 v3, -v3, v6, v5
	v_div_fmas_f32 v3, v3, v4, v6
	v_div_fixup_f32 v0, v3, v1, v0
.LBB425_18:
	s_andn2_b64 vcc, exec, s[22:23]
	s_cbranch_vccnz .LBB425_28
; %bb.19:
	s_cmp_gt_u32 s4, 3
	v_ashrrev_i32_e32 v3, 31, v2
	s_cbranch_scc0 .LBB425_23
; %bb.20:
	s_and_b32 s0, s4, 0x7ffffffc
	v_lshl_add_u64 v[4:5], v[2:3], 2, s[16:17]
	v_mov_b32_e32 v1, v0
	v_lshl_add_u64 v[4:5], v[4:5], 0, 8
	s_mov_b32 s1, s0
.LBB425_21:                             ; =>This Inner Loop Header: Depth=1
	global_load_dwordx4 v[6:9], v[4:5], off offset:-8
	s_add_i32 s1, s1, -4
	s_cmp_lg_u32 s1, 0
	s_waitcnt vmcnt(0)
	v_pk_mul_f32 v[6:7], v[0:1], v[6:7]
	v_pk_mul_f32 v[8:9], v[0:1], v[8:9]
	global_store_dwordx4 v[4:5], v[6:9], off offset:-8
	v_lshl_add_u64 v[4:5], v[4:5], 0, 16
	s_cbranch_scc1 .LBB425_21
; %bb.22:
	s_cmp_lg_u32 s0, s4
	s_cselect_b64 s[2:3], -1, 0
	s_branch .LBB425_25
.LBB425_23:
	s_mov_b64 s[2:3], 0
                                        ; implicit-def: $sgpr0
	s_cbranch_execz .LBB425_25
; %bb.24:
	s_mov_b64 s[2:3], -1
	s_mov_b32 s0, 0
.LBB425_25:
	s_andn2_b64 vcc, exec, s[2:3]
	s_cbranch_vccnz .LBB425_28
; %bb.26:
	s_mov_b32 s1, 0
	v_lshl_add_u64 v[2:3], v[2:3], 0, s[0:1]
	s_sub_i32 s2, s4, s0
	v_lshl_add_u64 v[2:3], v[2:3], 2, s[16:17]
.LBB425_27:                             ; =>This Inner Loop Header: Depth=1
	global_load_dword v1, v[2:3], off
	s_add_i32 s2, s2, -1
	s_cmp_lg_u32 s2, 0
	s_waitcnt vmcnt(0)
	v_mul_f32_e32 v1, v0, v1
	global_store_dword v[2:3], v1, off
	v_lshl_add_u64 v[2:3], v[2:3], 0, 4
	s_cbranch_scc1 .LBB425_27
.LBB425_28:
	s_endpgm
	.section	.rodata,"a",@progbits
	.p2align	6, 0x0
	.amdhsa_kernel _ZN4vllm3moe22topkGatingSoftplusSqrtILi2ELi2ELi4ELi4ELi64ELb0Ej14__hip_bfloat16EEvPKT6_PKbPfiPT5_PiiiibdPKfPKS9_SF_
		.amdhsa_group_segment_fixed_size 0
		.amdhsa_private_segment_fixed_size 0
		.amdhsa_kernarg_size 96
		.amdhsa_user_sgpr_count 2
		.amdhsa_user_sgpr_dispatch_ptr 0
		.amdhsa_user_sgpr_queue_ptr 0
		.amdhsa_user_sgpr_kernarg_segment_ptr 1
		.amdhsa_user_sgpr_dispatch_id 0
		.amdhsa_user_sgpr_kernarg_preload_length 0
		.amdhsa_user_sgpr_kernarg_preload_offset 0
		.amdhsa_user_sgpr_private_segment_size 0
		.amdhsa_uses_dynamic_stack 0
		.amdhsa_enable_private_segment 0
		.amdhsa_system_sgpr_workgroup_id_x 1
		.amdhsa_system_sgpr_workgroup_id_y 0
		.amdhsa_system_sgpr_workgroup_id_z 0
		.amdhsa_system_sgpr_workgroup_info 0
		.amdhsa_system_vgpr_workitem_id 1
		.amdhsa_next_free_vgpr 13
		.amdhsa_next_free_sgpr 26
		.amdhsa_accum_offset 16
		.amdhsa_reserve_vcc 1
		.amdhsa_float_round_mode_32 0
		.amdhsa_float_round_mode_16_64 0
		.amdhsa_float_denorm_mode_32 3
		.amdhsa_float_denorm_mode_16_64 3
		.amdhsa_dx10_clamp 1
		.amdhsa_ieee_mode 1
		.amdhsa_fp16_overflow 0
		.amdhsa_tg_split 0
		.amdhsa_exception_fp_ieee_invalid_op 0
		.amdhsa_exception_fp_denorm_src 0
		.amdhsa_exception_fp_ieee_div_zero 0
		.amdhsa_exception_fp_ieee_overflow 0
		.amdhsa_exception_fp_ieee_underflow 0
		.amdhsa_exception_fp_ieee_inexact 0
		.amdhsa_exception_int_div_zero 0
	.end_amdhsa_kernel
	.section	.text._ZN4vllm3moe22topkGatingSoftplusSqrtILi2ELi2ELi4ELi4ELi64ELb0Ej14__hip_bfloat16EEvPKT6_PKbPfiPT5_PiiiibdPKfPKS9_SF_,"axG",@progbits,_ZN4vllm3moe22topkGatingSoftplusSqrtILi2ELi2ELi4ELi4ELi64ELb0Ej14__hip_bfloat16EEvPKT6_PKbPfiPT5_PiiiibdPKfPKS9_SF_,comdat
.Lfunc_end425:
	.size	_ZN4vllm3moe22topkGatingSoftplusSqrtILi2ELi2ELi4ELi4ELi64ELb0Ej14__hip_bfloat16EEvPKT6_PKbPfiPT5_PiiiibdPKfPKS9_SF_, .Lfunc_end425-_ZN4vllm3moe22topkGatingSoftplusSqrtILi2ELi2ELi4ELi4ELi64ELb0Ej14__hip_bfloat16EEvPKT6_PKbPfiPT5_PiiiibdPKfPKS9_SF_
                                        ; -- End function
	.section	.AMDGPU.csdata,"",@progbits
; Kernel info:
; codeLenInByte = 1388
; NumSgprs: 32
; NumVgprs: 13
; NumAgprs: 0
; TotalNumVgprs: 13
; ScratchSize: 0
; MemoryBound: 0
; FloatMode: 240
; IeeeMode: 1
; LDSByteSize: 0 bytes/workgroup (compile time only)
; SGPRBlocks: 3
; VGPRBlocks: 1
; NumSGPRsForWavesPerEU: 32
; NumVGPRsForWavesPerEU: 13
; AccumOffset: 16
; Occupancy: 8
; WaveLimiterHint : 0
; COMPUTE_PGM_RSRC2:SCRATCH_EN: 0
; COMPUTE_PGM_RSRC2:USER_SGPR: 2
; COMPUTE_PGM_RSRC2:TRAP_HANDLER: 0
; COMPUTE_PGM_RSRC2:TGID_X_EN: 1
; COMPUTE_PGM_RSRC2:TGID_Y_EN: 0
; COMPUTE_PGM_RSRC2:TGID_Z_EN: 0
; COMPUTE_PGM_RSRC2:TIDIG_COMP_CNT: 1
; COMPUTE_PGM_RSRC3_GFX90A:ACCUM_OFFSET: 3
; COMPUTE_PGM_RSRC3_GFX90A:TG_SPLIT: 0
	.section	.text._ZN4vllm3moe22topkGatingSoftplusSqrtILi2ELi2ELi4ELi4ELi32ELb1Ej14__hip_bfloat16EEvPKT6_PKbPfiPT5_PiiiibdPKfPKS9_SF_,"axG",@progbits,_ZN4vllm3moe22topkGatingSoftplusSqrtILi2ELi2ELi4ELi4ELi32ELb1Ej14__hip_bfloat16EEvPKT6_PKbPfiPT5_PiiiibdPKfPKS9_SF_,comdat
	.protected	_ZN4vllm3moe22topkGatingSoftplusSqrtILi2ELi2ELi4ELi4ELi32ELb1Ej14__hip_bfloat16EEvPKT6_PKbPfiPT5_PiiiibdPKfPKS9_SF_ ; -- Begin function _ZN4vllm3moe22topkGatingSoftplusSqrtILi2ELi2ELi4ELi4ELi32ELb1Ej14__hip_bfloat16EEvPKT6_PKbPfiPT5_PiiiibdPKfPKS9_SF_
	.globl	_ZN4vllm3moe22topkGatingSoftplusSqrtILi2ELi2ELi4ELi4ELi32ELb1Ej14__hip_bfloat16EEvPKT6_PKbPfiPT5_PiiiibdPKfPKS9_SF_
	.p2align	8
	.type	_ZN4vllm3moe22topkGatingSoftplusSqrtILi2ELi2ELi4ELi4ELi32ELb1Ej14__hip_bfloat16EEvPKT6_PKbPfiPT5_PiiiibdPKfPKS9_SF_,@function
_ZN4vllm3moe22topkGatingSoftplusSqrtILi2ELi2ELi4ELi4ELi32ELb1Ej14__hip_bfloat16EEvPKT6_PKbPfiPT5_PiiiibdPKfPKS9_SF_: ; @_ZN4vllm3moe22topkGatingSoftplusSqrtILi2ELi2ELi4ELi4ELi32ELb1Ej14__hip_bfloat16EEvPKT6_PKbPfiPT5_PiiiibdPKfPKS9_SF_
; %bb.0:
	s_load_dword s3, s[0:1], 0x18
	v_bfe_u32 v1, v0, 10, 10
	s_lshl_b32 s2, s2, 7
	v_lshlrev_b32_e32 v1, 5, v1
	v_and_b32_e32 v0, 0x3ff, v0
	v_add3_u32 v4, v1, v0, s2
	s_waitcnt lgkmcnt(0)
	v_cmp_gt_i32_e32 vcc, s3, v4
	s_and_saveexec_b64 s[2:3], vcc
	s_cbranch_execz .LBB426_57
; %bb.1:
	s_load_dwordx2 s[2:3], s[0:1], 0x0
	s_load_dword s16, s[0:1], 0x30
	s_load_dwordx4 s[4:7], s[0:1], 0x50
	v_lshlrev_b32_e32 v0, 1, v4
	v_ashrrev_i32_e32 v1, 31, v0
	s_waitcnt lgkmcnt(0)
	v_lshl_add_u64 v[0:1], v[0:1], 1, s[2:3]
	global_load_dword v2, v[0:1], off
	v_ashrrev_i32_e32 v5, 31, v4
	v_mov_b32_e32 v0, s4
	v_mov_b32_e32 v1, s5
	v_lshl_add_u64 v[0:1], v[4:5], 2, v[0:1]
	global_load_dword v0, v[0:1], off
	s_mov_b32 s2, 0x800000
	v_mov_b32_e32 v5, 0x4f800000
	s_mov_b32 s5, 0x3f317217
	s_mov_b32 s9, 0x7f800000
	v_mov_b32_e32 v6, 0x41b17218
	s_mov_b32 s4, 0x41a00000
	s_mov_b32 s12, 0xf800000
	v_mov_b32_e32 v7, 0x260
	v_mov_b32_e32 v1, 0
	s_cmp_gt_i32 s16, 0
	s_mov_b32 s8, 0
	s_cselect_b64 s[10:11], -1, 0
	s_cmp_lt_i32 s16, 1
	v_mul_lo_u32 v4, v4, s16
	s_waitcnt vmcnt(1)
	v_and_b32_e32 v8, 0xffff0000, v2
	v_lshlrev_b32_e32 v9, 16, v2
	v_mul_f32_e32 v2, 0x3fb8aa3b, v9
	v_mul_f32_e32 v3, 0x3fb8aa3b, v8
	v_exp_f32_e32 v2, v2
	v_exp_f32_e32 v3, v3
	s_waitcnt vmcnt(0)
	v_mul_lo_u32 v0, v0, s16
	v_pk_add_f32 v[2:3], v[2:3], 1.0 op_sel_hi:[1,0]
	s_nop 0
	v_cmp_gt_f32_e32 vcc, s2, v3
	v_cmp_gt_f32_e64 s[2:3], s2, v2
	s_nop 0
	v_cndmask_b32_e32 v10, 1.0, v5, vcc
	v_cndmask_b32_e64 v5, 1.0, v5, s[2:3]
	v_mul_f32_e32 v3, v3, v10
	v_mul_f32_e32 v2, v2, v5
	v_log_f32_e32 v3, v3
	v_log_f32_e32 v2, v2
	v_cndmask_b32_e32 v5, 0, v6, vcc
	v_cndmask_b32_e64 v6, 0, v6, s[2:3]
	v_mul_f32_e32 v10, 0x3f317217, v3
	v_mul_f32_e32 v11, 0x3f317217, v2
	v_fma_f32 v10, v3, s5, -v10
	v_fma_f32 v11, v2, s5, -v11
	v_fmac_f32_e32 v10, 0x3377d1cf, v3
	v_fmac_f32_e32 v11, 0x3377d1cf, v2
	;; [unrolled: 1-line block ×3, first 2 shown]
	v_cmp_lt_f32_e64 vcc, |v3|, s9
	v_fmac_f32_e32 v11, 0x3f317217, v2
	s_nop 0
	v_cndmask_b32_e32 v3, v3, v10, vcc
	v_cmp_lt_f32_e64 vcc, |v2|, s9
	v_sub_f32_e32 v3, v3, v5
	s_nop 0
	v_cndmask_b32_e32 v2, v2, v11, vcc
	v_sub_f32_e32 v2, v2, v6
	v_cmp_lt_f32_e32 vcc, s4, v9
	s_nop 1
	v_cndmask_b32_e32 v2, v2, v9, vcc
	v_cmp_lt_f32_e32 vcc, s4, v8
	v_mul_f32_e32 v6, 0x4f800000, v2
	v_cmp_gt_f32_e64 s[2:3], s12, v2
	v_cndmask_b32_e32 v3, v3, v8, vcc
	v_mul_f32_e32 v5, 0x4f800000, v3
	v_cmp_gt_f32_e32 vcc, s12, v3
	v_cndmask_b32_e64 v6, v2, v6, s[2:3]
	v_sqrt_f32_e32 v9, v6
	v_cndmask_b32_e32 v5, v3, v5, vcc
	v_sqrt_f32_e32 v8, v5
	v_lshl_add_u64 v[2:3], v[0:1], 2, s[6:7]
	v_add_u32_e32 v12, -1, v9
	v_fma_f32 v16, -v12, v9, v6
	v_add_u32_e32 v10, -1, v8
	v_fma_f32 v14, -v10, v8, v5
	v_add_u32_e32 v11, 1, v8
	v_cmp_ge_f32_e64 s[4:5], 0, v14
	v_add_u32_e32 v13, 1, v9
	v_fma_f32 v15, -v11, v8, v5
	v_cndmask_b32_e64 v8, v8, v10, s[4:5]
	v_cmp_ge_f32_e64 s[4:5], 0, v16
	v_fma_f32 v17, -v13, v9, v6
	s_nop 0
	v_cndmask_b32_e64 v9, v9, v12, s[4:5]
	v_cmp_lt_f32_e64 s[4:5], 0, v15
	s_nop 1
	v_cndmask_b32_e64 v8, v8, v11, s[4:5]
	v_cmp_lt_f32_e64 s[4:5], 0, v17
	v_mul_f32_e32 v10, 0x37800000, v8
	v_cndmask_b32_e32 v8, v8, v10, vcc
	v_cndmask_b32_e64 v9, v9, v13, s[4:5]
	v_mul_f32_e32 v11, 0x37800000, v9
	v_cmp_class_f32_e32 vcc, v5, v7
	v_cndmask_b32_e64 v9, v9, v11, s[2:3]
	s_nop 0
	v_cndmask_b32_e32 v10, v8, v5, vcc
	v_cmp_class_f32_e32 vcc, v6, v7
	s_nop 1
	v_cndmask_b32_e32 v11, v9, v6, vcc
	s_cbranch_scc1 .LBB426_21
; %bb.2:
	s_load_dwordx2 s[2:3], s[0:1], 0x20
	s_cmp_lt_u32 s16, 4
	s_cbranch_scc1 .LBB426_22
; %bb.3:
	s_mov_b32 s5, 0
	s_and_b32 s8, s16, 0x7ffffffc
	v_ashrrev_i32_e32 v5, 31, v4
	v_mov_b32_e32 v12, 0
	s_mov_b32 s4, s5
	s_branch .LBB426_5
.LBB426_4:                              ;   in Loop: Header=BB426_5 Depth=1
	s_or_b64 exec, exec, s[12:13]
	s_add_i32 s4, s4, 4
	s_cmp_eq_u32 s4, s8
	s_cbranch_scc1 .LBB426_23
.LBB426_5:                              ; =>This Loop Header: Depth=1
                                        ;     Child Loop BB426_7 Depth 2
                                        ;     Child Loop BB426_11 Depth 2
                                        ;     Child Loop BB426_15 Depth 2
                                        ;     Child Loop BB426_19 Depth 2
	v_lshl_add_u64 v[6:7], s[4:5], 2, v[2:3]
	global_load_dword v13, v[6:7], off
	v_add_u32_e32 v8, s4, v4
	v_ashrrev_i32_e32 v9, 31, v8
	s_mov_b64 s[12:13], 0
	s_waitcnt lgkmcnt(0)
	v_lshl_add_u64 v[8:9], v[8:9], 2, s[2:3]
	s_mov_b32 s9, 0
	s_waitcnt vmcnt(0)
	v_cmp_eq_u32_e32 vcc, 0, v13
	s_nop 1
	v_cndmask_b32_e64 v14, 2, 1, vcc
	v_cmp_eq_u32_e32 vcc, 1, v13
	s_nop 1
	v_cndmask_b32_e32 v15, v11, v10, vcc
	s_branch .LBB426_7
.LBB426_6:                              ;   in Loop: Header=BB426_7 Depth=2
	s_or_b64 exec, exec, s[14:15]
	s_add_i32 s9, s9, 1
	v_cmp_eq_u32_e32 vcc, s9, v14
	s_or_b64 s[12:13], vcc, s[12:13]
	s_andn2_b64 exec, exec, s[12:13]
	s_cbranch_execz .LBB426_9
.LBB426_7:                              ;   Parent Loop BB426_5 Depth=1
                                        ; =>  This Inner Loop Header: Depth=2
	v_cmp_eq_u32_e32 vcc, s9, v13
	s_and_saveexec_b64 s[14:15], vcc
	s_cbranch_execz .LBB426_6
; %bb.8:                                ;   in Loop: Header=BB426_7 Depth=2
	v_add_f32_e32 v12, v12, v15
	global_store_dword v[8:9], v13, off
	s_branch .LBB426_6
.LBB426_9:                              ;   in Loop: Header=BB426_5 Depth=1
	s_or_b64 exec, exec, s[12:13]
	global_load_dword v13, v[6:7], off offset:4
	s_ashr_i32 s13, s4, 31
	s_mov_b32 s12, s4
	v_lshl_add_u64 v[8:9], s[12:13], 0, v[4:5]
	s_mov_b32 s9, 0
	v_lshl_add_u64 v[8:9], v[8:9], 2, s[2:3]
	s_mov_b64 s[12:13], 0
	s_waitcnt vmcnt(0)
	v_cmp_eq_u32_e32 vcc, 0, v13
	s_nop 1
	v_cndmask_b32_e64 v14, 2, 1, vcc
	v_cmp_eq_u32_e32 vcc, 1, v13
	s_nop 1
	v_cndmask_b32_e32 v15, v11, v10, vcc
	s_branch .LBB426_11
.LBB426_10:                             ;   in Loop: Header=BB426_11 Depth=2
	s_or_b64 exec, exec, s[14:15]
	s_add_i32 s9, s9, 1
	v_cmp_eq_u32_e32 vcc, s9, v14
	s_or_b64 s[12:13], vcc, s[12:13]
	s_andn2_b64 exec, exec, s[12:13]
	s_cbranch_execz .LBB426_13
.LBB426_11:                             ;   Parent Loop BB426_5 Depth=1
                                        ; =>  This Inner Loop Header: Depth=2
	v_cmp_eq_u32_e32 vcc, s9, v13
	s_and_saveexec_b64 s[14:15], vcc
	s_cbranch_execz .LBB426_10
; %bb.12:                               ;   in Loop: Header=BB426_11 Depth=2
	v_add_f32_e32 v12, v12, v15
	global_store_dword v[8:9], v13, off offset:4
	s_branch .LBB426_10
.LBB426_13:                             ;   in Loop: Header=BB426_5 Depth=1
	s_or_b64 exec, exec, s[12:13]
	global_load_dword v13, v[6:7], off offset:8
	s_mov_b32 s9, 0
	s_mov_b64 s[12:13], 0
	s_waitcnt vmcnt(0)
	v_cmp_eq_u32_e32 vcc, 0, v13
	s_nop 1
	v_cndmask_b32_e64 v14, 2, 1, vcc
	v_cmp_eq_u32_e32 vcc, 1, v13
	s_nop 1
	v_cndmask_b32_e32 v15, v11, v10, vcc
	s_branch .LBB426_15
.LBB426_14:                             ;   in Loop: Header=BB426_15 Depth=2
	s_or_b64 exec, exec, s[14:15]
	s_add_i32 s9, s9, 1
	v_cmp_eq_u32_e32 vcc, s9, v14
	s_or_b64 s[12:13], vcc, s[12:13]
	s_andn2_b64 exec, exec, s[12:13]
	s_cbranch_execz .LBB426_17
.LBB426_15:                             ;   Parent Loop BB426_5 Depth=1
                                        ; =>  This Inner Loop Header: Depth=2
	v_cmp_eq_u32_e32 vcc, s9, v13
	s_and_saveexec_b64 s[14:15], vcc
	s_cbranch_execz .LBB426_14
; %bb.16:                               ;   in Loop: Header=BB426_15 Depth=2
	v_add_f32_e32 v12, v12, v15
	global_store_dword v[8:9], v13, off offset:8
	s_branch .LBB426_14
.LBB426_17:                             ;   in Loop: Header=BB426_5 Depth=1
	s_or_b64 exec, exec, s[12:13]
	global_load_dword v6, v[6:7], off offset:12
	s_mov_b32 s9, 0
	s_mov_b64 s[12:13], 0
	s_waitcnt vmcnt(0)
	v_cmp_eq_u32_e32 vcc, 0, v6
	s_nop 1
	v_cndmask_b32_e64 v7, 2, 1, vcc
	v_cmp_eq_u32_e32 vcc, 1, v6
	s_nop 1
	v_cndmask_b32_e32 v13, v11, v10, vcc
	s_branch .LBB426_19
.LBB426_18:                             ;   in Loop: Header=BB426_19 Depth=2
	s_or_b64 exec, exec, s[14:15]
	s_add_i32 s9, s9, 1
	v_cmp_eq_u32_e32 vcc, s9, v7
	s_or_b64 s[12:13], vcc, s[12:13]
	s_andn2_b64 exec, exec, s[12:13]
	s_cbranch_execz .LBB426_4
.LBB426_19:                             ;   Parent Loop BB426_5 Depth=1
                                        ; =>  This Inner Loop Header: Depth=2
	v_cmp_eq_u32_e32 vcc, s9, v6
	s_and_saveexec_b64 s[14:15], vcc
	s_cbranch_execz .LBB426_18
; %bb.20:                               ;   in Loop: Header=BB426_19 Depth=2
	v_add_f32_e32 v12, v12, v13
	global_store_dword v[8:9], v6, off offset:12
	s_branch .LBB426_18
.LBB426_21:
	v_mov_b32_e32 v12, v1
	s_branch .LBB426_30
.LBB426_22:
	v_mov_b32_e32 v12, v1
.LBB426_23:
	s_and_b32 s14, s16, 3
	s_cmp_eq_u32 s14, 0
	s_mov_b32 s9, 0
	s_cbranch_scc1 .LBB426_30
; %bb.24:
	s_mov_b32 s15, s9
	s_branch .LBB426_26
.LBB426_25:                             ;   in Loop: Header=BB426_26 Depth=1
	s_or_b64 exec, exec, s[4:5]
	s_add_i32 s8, s8, 1
	s_add_i32 s15, s15, 1
	s_cmp_lg_u32 s15, s14
	s_cbranch_scc0 .LBB426_30
.LBB426_26:                             ; =>This Loop Header: Depth=1
                                        ;     Child Loop BB426_28 Depth 2
	v_lshl_add_u64 v[6:7], s[8:9], 2, v[2:3]
	global_load_dword v5, v[6:7], off
	v_add_u32_e32 v6, s8, v4
	v_ashrrev_i32_e32 v7, 31, v6
	s_mov_b32 s17, 0
	s_waitcnt lgkmcnt(0)
	v_lshl_add_u64 v[6:7], v[6:7], 2, s[2:3]
	s_mov_b64 s[4:5], 0
	s_waitcnt vmcnt(0)
	v_cmp_eq_u32_e32 vcc, 0, v5
	s_nop 1
	v_cndmask_b32_e64 v8, 2, 1, vcc
	v_cmp_eq_u32_e32 vcc, 1, v5
	s_nop 1
	v_cndmask_b32_e32 v9, v11, v10, vcc
	s_branch .LBB426_28
.LBB426_27:                             ;   in Loop: Header=BB426_28 Depth=2
	s_or_b64 exec, exec, s[12:13]
	s_add_i32 s17, s17, 1
	v_cmp_eq_u32_e32 vcc, s17, v8
	s_or_b64 s[4:5], vcc, s[4:5]
	s_andn2_b64 exec, exec, s[4:5]
	s_cbranch_execz .LBB426_25
.LBB426_28:                             ;   Parent Loop BB426_26 Depth=1
                                        ; =>  This Inner Loop Header: Depth=2
	v_cmp_eq_u32_e32 vcc, s17, v5
	s_and_saveexec_b64 s[12:13], vcc
	s_cbranch_execz .LBB426_27
; %bb.29:                               ;   in Loop: Header=BB426_28 Depth=2
	v_add_f32_e32 v12, v12, v9
	global_store_dword v[6:7], v5, off
	s_branch .LBB426_27
.LBB426_30:
	s_load_dword s4, s[0:1], 0x3c
	s_waitcnt lgkmcnt(0)
	s_load_dwordx2 s[2:3], s[0:1], 0x40
	s_bitcmp1_b32 s4, 0
	s_cselect_b64 s[4:5], -1, 0
	s_waitcnt lgkmcnt(0)
	v_cvt_f32_f64_e32 v13, s[2:3]
	s_and_b64 vcc, exec, s[4:5]
	s_cbranch_vccz .LBB426_32
; %bb.31:
	v_cmp_lt_f32_e32 vcc, 0, v12
	s_nop 1
	v_cndmask_b32_e32 v5, 1.0, v12, vcc
	v_div_scale_f32 v6, s[2:3], v5, v5, v13
	v_rcp_f32_e32 v7, v6
	s_nop 0
	v_fma_f32 v8, -v6, v7, 1.0
	v_fmac_f32_e32 v7, v8, v7
	v_div_scale_f32 v8, vcc, v13, v5, v13
	v_mul_f32_e32 v9, v8, v7
	v_fma_f32 v12, -v6, v9, v8
	v_fmac_f32_e32 v9, v12, v7
	v_fma_f32 v6, -v6, v9, v8
	v_div_fmas_f32 v6, v6, v7, v9
	v_div_fixup_f32 v13, v6, v5, v13
.LBB426_32:
	s_andn2_b64 vcc, exec, s[10:11]
	s_cbranch_vccnz .LBB426_57
; %bb.33:
	s_load_dwordx2 s[0:1], s[0:1], 0x10
	s_cmp_lt_u32 s16, 8
	s_mov_b32 s2, 0
	s_cbranch_scc1 .LBB426_52
; %bb.34:
	v_ashrrev_i32_e32 v5, 31, v4
	s_and_b32 s2, s16, 0x7ffffff8
	s_waitcnt lgkmcnt(0)
	v_lshl_add_u64 v[6:7], v[4:5], 2, s[0:1]
	s_mov_b32 s3, 0
	s_mov_b64 s[4:5], 0
	s_branch .LBB426_36
.LBB426_35:                             ;   in Loop: Header=BB426_36 Depth=1
	s_or_b64 exec, exec, s[8:9]
	s_add_i32 s3, s3, 8
	s_add_u32 s4, s4, 32
	s_addc_u32 s5, s5, 0
	s_cmp_lg_u32 s2, s3
	s_cbranch_scc0 .LBB426_52
.LBB426_36:                             ; =>This Inner Loop Header: Depth=1
	v_lshl_add_u64 v[8:9], v[2:3], 0, s[4:5]
	global_load_dword v5, v[8:9], off
	s_waitcnt vmcnt(0)
	v_cmp_gt_u32_e32 vcc, 2, v5
	s_and_saveexec_b64 s[8:9], vcc
	s_cbranch_execz .LBB426_38
; %bb.37:                               ;   in Loop: Header=BB426_36 Depth=1
	v_add_u32_e32 v14, s3, v4
	v_cmp_eq_u32_e32 vcc, 1, v5
	v_ashrrev_i32_e32 v15, 31, v14
	v_lshl_add_u64 v[14:15], v[14:15], 2, s[0:1]
	v_cndmask_b32_e32 v5, v11, v10, vcc
	v_mul_f32_e32 v5, v13, v5
	global_store_dword v[14:15], v5, off
.LBB426_38:                             ;   in Loop: Header=BB426_36 Depth=1
	s_or_b64 exec, exec, s[8:9]
	global_load_dword v5, v[8:9], off offset:4
	s_waitcnt vmcnt(0)
	v_cmp_gt_u32_e32 vcc, 2, v5
	s_and_saveexec_b64 s[8:9], vcc
	s_cbranch_execz .LBB426_40
; %bb.39:                               ;   in Loop: Header=BB426_36 Depth=1
	v_cmp_eq_u32_e32 vcc, 1, v5
	v_lshl_add_u64 v[14:15], v[6:7], 0, s[4:5]
	s_nop 0
	v_cndmask_b32_e32 v5, v11, v10, vcc
	v_mul_f32_e32 v5, v13, v5
	global_store_dword v[14:15], v5, off offset:4
.LBB426_40:                             ;   in Loop: Header=BB426_36 Depth=1
	s_or_b64 exec, exec, s[8:9]
	global_load_dword v5, v[8:9], off offset:8
	s_waitcnt vmcnt(0)
	v_cmp_gt_u32_e32 vcc, 2, v5
	s_and_saveexec_b64 s[8:9], vcc
	s_cbranch_execz .LBB426_42
; %bb.41:                               ;   in Loop: Header=BB426_36 Depth=1
	v_cmp_eq_u32_e32 vcc, 1, v5
	v_lshl_add_u64 v[14:15], v[6:7], 0, s[4:5]
	s_nop 0
	v_cndmask_b32_e32 v5, v11, v10, vcc
	v_mul_f32_e32 v5, v13, v5
	global_store_dword v[14:15], v5, off offset:8
.LBB426_42:                             ;   in Loop: Header=BB426_36 Depth=1
	;; [unrolled: 14-line block ×6, first 2 shown]
	s_or_b64 exec, exec, s[8:9]
	global_load_dword v5, v[8:9], off offset:28
	s_waitcnt vmcnt(0)
	v_cmp_gt_u32_e32 vcc, 2, v5
	s_and_saveexec_b64 s[8:9], vcc
	s_cbranch_execz .LBB426_35
; %bb.51:                               ;   in Loop: Header=BB426_36 Depth=1
	v_cmp_eq_u32_e32 vcc, 1, v5
	v_lshl_add_u64 v[8:9], v[6:7], 0, s[4:5]
	s_nop 0
	v_cndmask_b32_e32 v5, v11, v10, vcc
	v_mul_f32_e32 v5, v13, v5
	global_store_dword v[8:9], v5, off offset:28
	s_branch .LBB426_35
.LBB426_52:
	s_and_b32 s4, s16, 7
	s_cmp_eq_u32 s4, 0
	s_mov_b32 s3, 0
	s_cbranch_scc1 .LBB426_57
; %bb.53:
	v_add_u32_e32 v2, s2, v4
	s_lshl_b64 s[2:3], s[2:3], 2
	s_add_u32 s2, s6, s2
	s_addc_u32 s3, s7, s3
	v_lshl_add_u64 v[0:1], v[0:1], 2, s[2:3]
	s_branch .LBB426_55
.LBB426_54:                             ;   in Loop: Header=BB426_55 Depth=1
	s_or_b64 exec, exec, s[2:3]
	s_add_i32 s4, s4, -1
	v_add_u32_e32 v2, 1, v2
	s_cmp_lg_u32 s4, 0
	v_lshl_add_u64 v[0:1], v[0:1], 0, 4
	s_cbranch_scc0 .LBB426_57
.LBB426_55:                             ; =>This Inner Loop Header: Depth=1
	global_load_dword v3, v[0:1], off
	s_waitcnt vmcnt(0)
	v_cmp_gt_u32_e32 vcc, 2, v3
	s_and_saveexec_b64 s[2:3], vcc
	s_cbranch_execz .LBB426_54
; %bb.56:                               ;   in Loop: Header=BB426_55 Depth=1
	v_cmp_eq_u32_e32 vcc, 1, v3
	s_nop 1
	v_cndmask_b32_e32 v3, v11, v10, vcc
	v_mul_f32_e32 v6, v13, v3
	v_ashrrev_i32_e32 v3, 31, v2
	s_waitcnt lgkmcnt(0)
	v_lshl_add_u64 v[4:5], v[2:3], 2, s[0:1]
	global_store_dword v[4:5], v6, off
	s_branch .LBB426_54
.LBB426_57:
	s_endpgm
	.section	.rodata,"a",@progbits
	.p2align	6, 0x0
	.amdhsa_kernel _ZN4vllm3moe22topkGatingSoftplusSqrtILi2ELi2ELi4ELi4ELi32ELb1Ej14__hip_bfloat16EEvPKT6_PKbPfiPT5_PiiiibdPKfPKS9_SF_
		.amdhsa_group_segment_fixed_size 0
		.amdhsa_private_segment_fixed_size 0
		.amdhsa_kernarg_size 96
		.amdhsa_user_sgpr_count 2
		.amdhsa_user_sgpr_dispatch_ptr 0
		.amdhsa_user_sgpr_queue_ptr 0
		.amdhsa_user_sgpr_kernarg_segment_ptr 1
		.amdhsa_user_sgpr_dispatch_id 0
		.amdhsa_user_sgpr_kernarg_preload_length 0
		.amdhsa_user_sgpr_kernarg_preload_offset 0
		.amdhsa_user_sgpr_private_segment_size 0
		.amdhsa_uses_dynamic_stack 0
		.amdhsa_enable_private_segment 0
		.amdhsa_system_sgpr_workgroup_id_x 1
		.amdhsa_system_sgpr_workgroup_id_y 0
		.amdhsa_system_sgpr_workgroup_id_z 0
		.amdhsa_system_sgpr_workgroup_info 0
		.amdhsa_system_vgpr_workitem_id 1
		.amdhsa_next_free_vgpr 18
		.amdhsa_next_free_sgpr 18
		.amdhsa_accum_offset 20
		.amdhsa_reserve_vcc 1
		.amdhsa_float_round_mode_32 0
		.amdhsa_float_round_mode_16_64 0
		.amdhsa_float_denorm_mode_32 3
		.amdhsa_float_denorm_mode_16_64 3
		.amdhsa_dx10_clamp 1
		.amdhsa_ieee_mode 1
		.amdhsa_fp16_overflow 0
		.amdhsa_tg_split 0
		.amdhsa_exception_fp_ieee_invalid_op 0
		.amdhsa_exception_fp_denorm_src 0
		.amdhsa_exception_fp_ieee_div_zero 0
		.amdhsa_exception_fp_ieee_overflow 0
		.amdhsa_exception_fp_ieee_underflow 0
		.amdhsa_exception_fp_ieee_inexact 0
		.amdhsa_exception_int_div_zero 0
	.end_amdhsa_kernel
	.section	.text._ZN4vllm3moe22topkGatingSoftplusSqrtILi2ELi2ELi4ELi4ELi32ELb1Ej14__hip_bfloat16EEvPKT6_PKbPfiPT5_PiiiibdPKfPKS9_SF_,"axG",@progbits,_ZN4vllm3moe22topkGatingSoftplusSqrtILi2ELi2ELi4ELi4ELi32ELb1Ej14__hip_bfloat16EEvPKT6_PKbPfiPT5_PiiiibdPKfPKS9_SF_,comdat
.Lfunc_end426:
	.size	_ZN4vllm3moe22topkGatingSoftplusSqrtILi2ELi2ELi4ELi4ELi32ELb1Ej14__hip_bfloat16EEvPKT6_PKbPfiPT5_PiiiibdPKfPKS9_SF_, .Lfunc_end426-_ZN4vllm3moe22topkGatingSoftplusSqrtILi2ELi2ELi4ELi4ELi32ELb1Ej14__hip_bfloat16EEvPKT6_PKbPfiPT5_PiiiibdPKfPKS9_SF_
                                        ; -- End function
	.section	.AMDGPU.csdata,"",@progbits
; Kernel info:
; codeLenInByte = 2288
; NumSgprs: 24
; NumVgprs: 18
; NumAgprs: 0
; TotalNumVgprs: 18
; ScratchSize: 0
; MemoryBound: 0
; FloatMode: 240
; IeeeMode: 1
; LDSByteSize: 0 bytes/workgroup (compile time only)
; SGPRBlocks: 2
; VGPRBlocks: 2
; NumSGPRsForWavesPerEU: 24
; NumVGPRsForWavesPerEU: 18
; AccumOffset: 20
; Occupancy: 8
; WaveLimiterHint : 1
; COMPUTE_PGM_RSRC2:SCRATCH_EN: 0
; COMPUTE_PGM_RSRC2:USER_SGPR: 2
; COMPUTE_PGM_RSRC2:TRAP_HANDLER: 0
; COMPUTE_PGM_RSRC2:TGID_X_EN: 1
; COMPUTE_PGM_RSRC2:TGID_Y_EN: 0
; COMPUTE_PGM_RSRC2:TGID_Z_EN: 0
; COMPUTE_PGM_RSRC2:TIDIG_COMP_CNT: 1
; COMPUTE_PGM_RSRC3_GFX90A:ACCUM_OFFSET: 4
; COMPUTE_PGM_RSRC3_GFX90A:TG_SPLIT: 0
	.section	.text._ZN4vllm3moe22topkGatingSoftplusSqrtILi2ELi2ELi4ELi4ELi32ELb0Ej14__hip_bfloat16EEvPKT6_PKbPfiPT5_PiiiibdPKfPKS9_SF_,"axG",@progbits,_ZN4vllm3moe22topkGatingSoftplusSqrtILi2ELi2ELi4ELi4ELi32ELb0Ej14__hip_bfloat16EEvPKT6_PKbPfiPT5_PiiiibdPKfPKS9_SF_,comdat
	.protected	_ZN4vllm3moe22topkGatingSoftplusSqrtILi2ELi2ELi4ELi4ELi32ELb0Ej14__hip_bfloat16EEvPKT6_PKbPfiPT5_PiiiibdPKfPKS9_SF_ ; -- Begin function _ZN4vllm3moe22topkGatingSoftplusSqrtILi2ELi2ELi4ELi4ELi32ELb0Ej14__hip_bfloat16EEvPKT6_PKbPfiPT5_PiiiibdPKfPKS9_SF_
	.globl	_ZN4vllm3moe22topkGatingSoftplusSqrtILi2ELi2ELi4ELi4ELi32ELb0Ej14__hip_bfloat16EEvPKT6_PKbPfiPT5_PiiiibdPKfPKS9_SF_
	.p2align	8
	.type	_ZN4vllm3moe22topkGatingSoftplusSqrtILi2ELi2ELi4ELi4ELi32ELb0Ej14__hip_bfloat16EEvPKT6_PKbPfiPT5_PiiiibdPKfPKS9_SF_,@function
_ZN4vllm3moe22topkGatingSoftplusSqrtILi2ELi2ELi4ELi4ELi32ELb0Ej14__hip_bfloat16EEvPKT6_PKbPfiPT5_PiiiibdPKfPKS9_SF_: ; @_ZN4vllm3moe22topkGatingSoftplusSqrtILi2ELi2ELi4ELi4ELi32ELb0Ej14__hip_bfloat16EEvPKT6_PKbPfiPT5_PiiiibdPKfPKS9_SF_
; %bb.0:
	s_load_dword s24, s[0:1], 0x18
	v_bfe_u32 v1, v0, 10, 10
	s_lshl_b32 s2, s2, 7
	v_lshlrev_b32_e32 v1, 5, v1
	v_and_b32_e32 v0, 0x3ff, v0
	v_add3_u32 v0, v1, v0, s2
	s_waitcnt lgkmcnt(0)
	v_cmp_gt_i32_e32 vcc, s24, v0
	s_and_saveexec_b64 s[2:3], vcc
	s_cbranch_execz .LBB427_28
; %bb.1:
	s_load_dwordx4 s[4:7], s[0:1], 0x0
	s_load_dwordx2 s[16:17], s[0:1], 0x10
	s_waitcnt lgkmcnt(0)
	s_cmp_eq_u64 s[6:7], 0
	s_cbranch_scc1 .LBB427_3
; %bb.2:
	v_ashrrev_i32_e32 v1, 31, v0
	v_lshl_add_u64 v[2:3], s[6:7], 0, v[0:1]
	global_load_ubyte v1, v[2:3], off
	s_waitcnt vmcnt(0)
	v_and_b32_e32 v1, 1, v1
	v_cmp_eq_u32_e32 vcc, 1, v1
	s_xor_b64 s[2:3], vcc, -1
	s_orn2_b64 s[18:19], s[2:3], exec
	s_branch .LBB427_4
.LBB427_3:
	s_mov_b64 s[18:19], -1
.LBB427_4:
	v_lshlrev_b32_e32 v4, 1, v0
	v_mov_b32_e32 v2, s4
	v_mov_b32_e32 v3, s5
	v_ashrrev_i32_e32 v5, 31, v4
	v_lshl_add_u64 v[2:3], v[4:5], 1, v[2:3]
	global_load_dword v2, v[2:3], off
	s_mov_b32 s14, 0x800000
	v_mov_b32_e32 v3, 0x4f800000
	s_mov_b32 s7, 0x3f317217
	s_mov_b32 s12, 0x7f800000
	v_mov_b32_e32 v5, 0x41b17218
	s_mov_b32 s6, 0x41a00000
	s_mov_b32 s13, 0xf800000
	s_load_dwordx4 s[8:11], s[0:1], 0x40
	s_waitcnt lgkmcnt(0)
	s_cmp_lg_u64 s[10:11], 0
	s_cselect_b64 s[20:21], -1, 0
	s_and_b64 s[2:3], exec, s[20:21]
	s_waitcnt vmcnt(0)
	v_lshlrev_b32_e32 v4, 16, v2
	v_mul_f32_e32 v1, 0x3fb8aa3b, v4
	v_exp_f32_e32 v1, v1
	s_nop 0
	v_add_f32_e32 v1, 1.0, v1
	v_cmp_gt_f32_e32 vcc, s14, v1
	s_nop 1
	v_cndmask_b32_e32 v6, 1.0, v3, vcc
	v_mul_f32_e32 v1, v1, v6
	v_log_f32_e32 v6, v1
	v_cndmask_b32_e32 v7, 0, v5, vcc
	v_mov_b32_e32 v1, 0x260
	v_mul_f32_e32 v8, 0x3f317217, v6
	v_fma_f32 v8, v6, s7, -v8
	v_fmac_f32_e32 v8, 0x3377d1cf, v6
	v_fmac_f32_e32 v8, 0x3f317217, v6
	v_cmp_lt_f32_e64 vcc, |v6|, s12
	s_nop 1
	v_cndmask_b32_e32 v6, v6, v8, vcc
	v_sub_f32_e32 v6, v6, v7
	v_cmp_lt_f32_e32 vcc, s6, v4
	s_nop 1
	v_cndmask_b32_e32 v4, v6, v4, vcc
	v_mul_f32_e32 v6, 0x4f800000, v4
	v_cmp_gt_f32_e32 vcc, s13, v4
	s_nop 1
	v_cndmask_b32_e32 v4, v4, v6, vcc
	v_sqrt_f32_e32 v6, v4
	s_nop 0
	v_add_u32_e32 v7, -1, v6
	v_add_u32_e32 v8, 1, v6
	v_fma_f32 v9, -v7, v6, v4
	v_fma_f32 v10, -v8, v6, v4
	v_cmp_ge_f32_e64 s[4:5], 0, v9
	s_nop 1
	v_cndmask_b32_e64 v6, v6, v7, s[4:5]
	v_cmp_lt_f32_e64 s[4:5], 0, v10
	s_nop 1
	v_cndmask_b32_e64 v6, v6, v8, s[4:5]
	v_mul_f32_e32 v7, 0x37800000, v6
	v_cndmask_b32_e32 v6, v6, v7, vcc
	v_cmp_class_f32_e32 vcc, v4, v1
	s_nop 1
	v_cndmask_b32_e32 v4, v6, v4, vcc
	s_mov_b64 vcc, s[2:3]
	s_cbranch_vccz .LBB427_6
; %bb.5:
	s_load_dword s2, s[10:11], 0x0
	s_waitcnt lgkmcnt(0)
	v_add_f32_e32 v4, s2, v4
.LBB427_6:
	v_and_b32_e32 v2, 0xffff0000, v2
	v_mul_f32_e32 v6, 0x3fb8aa3b, v2
	v_exp_f32_e32 v6, v6
	s_nop 0
	v_add_f32_e32 v6, 1.0, v6
	v_cmp_gt_f32_e32 vcc, s14, v6
	s_nop 1
	v_cndmask_b32_e32 v3, 1.0, v3, vcc
	v_mul_f32_e32 v3, v6, v3
	v_log_f32_e32 v3, v3
	v_cndmask_b32_e32 v5, 0, v5, vcc
	v_mul_f32_e32 v6, 0x3f317217, v3
	v_fma_f32 v6, v3, s7, -v6
	v_fmac_f32_e32 v6, 0x3377d1cf, v3
	v_fmac_f32_e32 v6, 0x3f317217, v3
	v_cmp_lt_f32_e64 vcc, |v3|, s12
	s_nop 1
	v_cndmask_b32_e32 v3, v3, v6, vcc
	v_sub_f32_e32 v3, v3, v5
	v_cmp_lt_f32_e32 vcc, s6, v2
	s_nop 1
	v_cndmask_b32_e32 v2, v3, v2, vcc
	v_mul_f32_e32 v3, 0x4f800000, v2
	v_cmp_gt_f32_e32 vcc, s13, v2
	s_nop 1
	v_cndmask_b32_e32 v2, v2, v3, vcc
	v_sqrt_f32_e32 v3, v2
	s_nop 0
	v_add_u32_e32 v5, -1, v3
	v_add_u32_e32 v6, 1, v3
	v_fma_f32 v7, -v5, v3, v2
	v_fma_f32 v8, -v6, v3, v2
	v_cmp_ge_f32_e64 s[2:3], 0, v7
	s_nop 1
	v_cndmask_b32_e64 v3, v3, v5, s[2:3]
	v_cmp_lt_f32_e64 s[2:3], 0, v8
	s_nop 1
	v_cndmask_b32_e64 v3, v3, v6, s[2:3]
	v_mul_f32_e32 v5, 0x37800000, v3
	v_cndmask_b32_e32 v3, v3, v5, vcc
	v_cmp_class_f32_e64 s[2:3], v2, v1
	s_andn2_b64 vcc, exec, s[20:21]
	s_nop 0
	v_cndmask_b32_e64 v1, v3, v2, s[2:3]
	s_cbranch_vccnz .LBB427_8
; %bb.7:
	s_load_dword s2, s[10:11], 0x4
	s_waitcnt lgkmcnt(0)
	v_add_f32_e32 v1, s2, v1
.LBB427_8:
	s_load_dwordx4 s[4:7], s[0:1], 0x30
	s_mov_b32 s25, 0
	s_waitcnt lgkmcnt(0)
	s_bitcmp1_b32 s7, 0
	s_cselect_b64 s[2:3], -1, 0
	s_cmp_gt_i32 s4, 0
	s_cselect_b64 s[22:23], -1, 0
	s_and_b64 vcc, exec, s[22:23]
	v_mul_lo_u32 v2, v0, s4
	s_cbranch_vccz .LBB427_15
; %bb.9:
	s_load_dwordx4 s[12:15], s[0:1], 0x20
	v_mov_b32_e32 v3, 0
	v_mov_b32_e32 v5, 0xc61c4000
	s_branch .LBB427_11
.LBB427_10:                             ;   in Loop: Header=BB427_11 Depth=1
	v_add_u32_e32 v8, s25, v2
	v_ashrrev_i32_e32 v9, 31, v8
	v_cmp_le_i32_e32 vcc, s5, v6
	v_cmp_gt_i32_e64 s[0:1], s6, v6
	v_lshlrev_b64 v[8:9], 2, v[8:9]
	s_and_b64 s[0:1], vcc, s[0:1]
	v_lshl_add_u64 v[10:11], s[16:17], 0, v[8:9]
	global_store_dword v[10:11], v7, off
	v_subrev_u32_e32 v10, s5, v6
	s_and_b64 vcc, s[18:19], s[0:1]
	v_cndmask_b32_e32 v12, 2, v10, vcc
	v_add_f32_e32 v7, v3, v7
	s_add_i32 s25, s25, 1
	v_cmp_ne_u32_e32 vcc, 0, v6
	v_cndmask_b32_e64 v3, v3, v7, s[2:3]
	s_cmp_lt_i32 s25, s4
	v_cndmask_b32_e32 v7, v5, v4, vcc
	v_cmp_ne_u32_e32 vcc, 1, v6
	s_waitcnt lgkmcnt(0)
	v_lshl_add_u64 v[10:11], s[12:13], 0, v[8:9]
	v_lshl_add_u64 v[8:9], s[14:15], 0, v[8:9]
	v_cndmask_b32_e32 v6, v5, v1, vcc
	s_cselect_b64 vcc, -1, 0
	global_store_dword v[10:11], v12, off
	global_store_dword v[8:9], v0, off
	v_cndmask_b32_e32 v1, v1, v6, vcc
	v_cndmask_b32_e32 v4, v4, v7, vcc
	s_cmp_lg_u32 s4, s25
	v_add_u32_e32 v0, s24, v0
	s_cbranch_scc0 .LBB427_16
.LBB427_11:                             ; =>This Inner Loop Header: Depth=1
	v_cmp_gt_f32_e32 vcc, v1, v4
	s_and_b64 s[0:1], exec, s[20:21]
	s_nop 0
	v_cndmask_b32_e32 v8, v4, v1, vcc
	v_cndmask_b32_e64 v6, 0, 1, vcc
	s_mov_b64 vcc, s[0:1]
	s_cbranch_vccz .LBB427_13
; %bb.12:                               ;   in Loop: Header=BB427_11 Depth=1
	v_lshlrev_b32_e32 v7, 2, v6
	global_load_dword v7, v7, s[10:11]
	s_waitcnt vmcnt(0)
	v_sub_f32_e32 v7, v8, v7
	s_cbranch_execnz .LBB427_10
	s_branch .LBB427_14
.LBB427_13:                             ;   in Loop: Header=BB427_11 Depth=1
                                        ; implicit-def: $vgpr7
.LBB427_14:                             ;   in Loop: Header=BB427_11 Depth=1
	v_mov_b32_e32 v7, v8
	s_branch .LBB427_10
.LBB427_15:
	v_mov_b32_e32 v3, 0
.LBB427_16:
	s_andn2_b64 vcc, exec, s[2:3]
	v_cvt_f32_f64_e32 v0, s[8:9]
	s_cbranch_vccnz .LBB427_18
; %bb.17:
	v_cmp_lt_f32_e32 vcc, 0, v3
	s_nop 1
	v_cndmask_b32_e32 v1, 1.0, v3, vcc
	v_div_scale_f32 v3, s[0:1], v1, v1, v0
	v_rcp_f32_e32 v4, v3
	s_nop 0
	v_fma_f32 v5, -v3, v4, 1.0
	v_fmac_f32_e32 v4, v5, v4
	v_div_scale_f32 v5, vcc, v0, v1, v0
	v_mul_f32_e32 v6, v5, v4
	v_fma_f32 v7, -v3, v6, v5
	v_fmac_f32_e32 v6, v7, v4
	v_fma_f32 v3, -v3, v6, v5
	v_div_fmas_f32 v3, v3, v4, v6
	v_div_fixup_f32 v0, v3, v1, v0
.LBB427_18:
	s_andn2_b64 vcc, exec, s[22:23]
	s_cbranch_vccnz .LBB427_28
; %bb.19:
	s_cmp_gt_u32 s4, 3
	v_ashrrev_i32_e32 v3, 31, v2
	s_cbranch_scc0 .LBB427_23
; %bb.20:
	s_and_b32 s0, s4, 0x7ffffffc
	v_lshl_add_u64 v[4:5], v[2:3], 2, s[16:17]
	v_mov_b32_e32 v1, v0
	v_lshl_add_u64 v[4:5], v[4:5], 0, 8
	s_mov_b32 s1, s0
.LBB427_21:                             ; =>This Inner Loop Header: Depth=1
	global_load_dwordx4 v[6:9], v[4:5], off offset:-8
	s_add_i32 s1, s1, -4
	s_cmp_lg_u32 s1, 0
	s_waitcnt vmcnt(0)
	v_pk_mul_f32 v[6:7], v[0:1], v[6:7]
	v_pk_mul_f32 v[8:9], v[0:1], v[8:9]
	global_store_dwordx4 v[4:5], v[6:9], off offset:-8
	v_lshl_add_u64 v[4:5], v[4:5], 0, 16
	s_cbranch_scc1 .LBB427_21
; %bb.22:
	s_cmp_lg_u32 s0, s4
	s_cselect_b64 s[2:3], -1, 0
	s_branch .LBB427_25
.LBB427_23:
	s_mov_b64 s[2:3], 0
                                        ; implicit-def: $sgpr0
	s_cbranch_execz .LBB427_25
; %bb.24:
	s_mov_b64 s[2:3], -1
	s_mov_b32 s0, 0
.LBB427_25:
	s_andn2_b64 vcc, exec, s[2:3]
	s_cbranch_vccnz .LBB427_28
; %bb.26:
	s_mov_b32 s1, 0
	v_lshl_add_u64 v[2:3], v[2:3], 0, s[0:1]
	s_sub_i32 s2, s4, s0
	v_lshl_add_u64 v[2:3], v[2:3], 2, s[16:17]
.LBB427_27:                             ; =>This Inner Loop Header: Depth=1
	global_load_dword v1, v[2:3], off
	s_add_i32 s2, s2, -1
	s_cmp_lg_u32 s2, 0
	s_waitcnt vmcnt(0)
	v_mul_f32_e32 v1, v0, v1
	global_store_dword v[2:3], v1, off
	v_lshl_add_u64 v[2:3], v[2:3], 0, 4
	s_cbranch_scc1 .LBB427_27
.LBB427_28:
	s_endpgm
	.section	.rodata,"a",@progbits
	.p2align	6, 0x0
	.amdhsa_kernel _ZN4vllm3moe22topkGatingSoftplusSqrtILi2ELi2ELi4ELi4ELi32ELb0Ej14__hip_bfloat16EEvPKT6_PKbPfiPT5_PiiiibdPKfPKS9_SF_
		.amdhsa_group_segment_fixed_size 0
		.amdhsa_private_segment_fixed_size 0
		.amdhsa_kernarg_size 96
		.amdhsa_user_sgpr_count 2
		.amdhsa_user_sgpr_dispatch_ptr 0
		.amdhsa_user_sgpr_queue_ptr 0
		.amdhsa_user_sgpr_kernarg_segment_ptr 1
		.amdhsa_user_sgpr_dispatch_id 0
		.amdhsa_user_sgpr_kernarg_preload_length 0
		.amdhsa_user_sgpr_kernarg_preload_offset 0
		.amdhsa_user_sgpr_private_segment_size 0
		.amdhsa_uses_dynamic_stack 0
		.amdhsa_enable_private_segment 0
		.amdhsa_system_sgpr_workgroup_id_x 1
		.amdhsa_system_sgpr_workgroup_id_y 0
		.amdhsa_system_sgpr_workgroup_id_z 0
		.amdhsa_system_sgpr_workgroup_info 0
		.amdhsa_system_vgpr_workitem_id 1
		.amdhsa_next_free_vgpr 13
		.amdhsa_next_free_sgpr 26
		.amdhsa_accum_offset 16
		.amdhsa_reserve_vcc 1
		.amdhsa_float_round_mode_32 0
		.amdhsa_float_round_mode_16_64 0
		.amdhsa_float_denorm_mode_32 3
		.amdhsa_float_denorm_mode_16_64 3
		.amdhsa_dx10_clamp 1
		.amdhsa_ieee_mode 1
		.amdhsa_fp16_overflow 0
		.amdhsa_tg_split 0
		.amdhsa_exception_fp_ieee_invalid_op 0
		.amdhsa_exception_fp_denorm_src 0
		.amdhsa_exception_fp_ieee_div_zero 0
		.amdhsa_exception_fp_ieee_overflow 0
		.amdhsa_exception_fp_ieee_underflow 0
		.amdhsa_exception_fp_ieee_inexact 0
		.amdhsa_exception_int_div_zero 0
	.end_amdhsa_kernel
	.section	.text._ZN4vllm3moe22topkGatingSoftplusSqrtILi2ELi2ELi4ELi4ELi32ELb0Ej14__hip_bfloat16EEvPKT6_PKbPfiPT5_PiiiibdPKfPKS9_SF_,"axG",@progbits,_ZN4vllm3moe22topkGatingSoftplusSqrtILi2ELi2ELi4ELi4ELi32ELb0Ej14__hip_bfloat16EEvPKT6_PKbPfiPT5_PiiiibdPKfPKS9_SF_,comdat
.Lfunc_end427:
	.size	_ZN4vllm3moe22topkGatingSoftplusSqrtILi2ELi2ELi4ELi4ELi32ELb0Ej14__hip_bfloat16EEvPKT6_PKbPfiPT5_PiiiibdPKfPKS9_SF_, .Lfunc_end427-_ZN4vllm3moe22topkGatingSoftplusSqrtILi2ELi2ELi4ELi4ELi32ELb0Ej14__hip_bfloat16EEvPKT6_PKbPfiPT5_PiiiibdPKfPKS9_SF_
                                        ; -- End function
	.section	.AMDGPU.csdata,"",@progbits
; Kernel info:
; codeLenInByte = 1388
; NumSgprs: 32
; NumVgprs: 13
; NumAgprs: 0
; TotalNumVgprs: 13
; ScratchSize: 0
; MemoryBound: 0
; FloatMode: 240
; IeeeMode: 1
; LDSByteSize: 0 bytes/workgroup (compile time only)
; SGPRBlocks: 3
; VGPRBlocks: 1
; NumSGPRsForWavesPerEU: 32
; NumVGPRsForWavesPerEU: 13
; AccumOffset: 16
; Occupancy: 8
; WaveLimiterHint : 0
; COMPUTE_PGM_RSRC2:SCRATCH_EN: 0
; COMPUTE_PGM_RSRC2:USER_SGPR: 2
; COMPUTE_PGM_RSRC2:TRAP_HANDLER: 0
; COMPUTE_PGM_RSRC2:TGID_X_EN: 1
; COMPUTE_PGM_RSRC2:TGID_Y_EN: 0
; COMPUTE_PGM_RSRC2:TGID_Z_EN: 0
; COMPUTE_PGM_RSRC2:TIDIG_COMP_CNT: 1
; COMPUTE_PGM_RSRC3_GFX90A:ACCUM_OFFSET: 3
; COMPUTE_PGM_RSRC3_GFX90A:TG_SPLIT: 0
	.section	.text._ZN4vllm3moe22topkGatingSoftplusSqrtILi4ELi4ELi4ELi8ELi64ELb1Ej14__hip_bfloat16EEvPKT6_PKbPfiPT5_PiiiibdPKfPKS9_SF_,"axG",@progbits,_ZN4vllm3moe22topkGatingSoftplusSqrtILi4ELi4ELi4ELi8ELi64ELb1Ej14__hip_bfloat16EEvPKT6_PKbPfiPT5_PiiiibdPKfPKS9_SF_,comdat
	.protected	_ZN4vllm3moe22topkGatingSoftplusSqrtILi4ELi4ELi4ELi8ELi64ELb1Ej14__hip_bfloat16EEvPKT6_PKbPfiPT5_PiiiibdPKfPKS9_SF_ ; -- Begin function _ZN4vllm3moe22topkGatingSoftplusSqrtILi4ELi4ELi4ELi8ELi64ELb1Ej14__hip_bfloat16EEvPKT6_PKbPfiPT5_PiiiibdPKfPKS9_SF_
	.globl	_ZN4vllm3moe22topkGatingSoftplusSqrtILi4ELi4ELi4ELi8ELi64ELb1Ej14__hip_bfloat16EEvPKT6_PKbPfiPT5_PiiiibdPKfPKS9_SF_
	.p2align	8
	.type	_ZN4vllm3moe22topkGatingSoftplusSqrtILi4ELi4ELi4ELi8ELi64ELb1Ej14__hip_bfloat16EEvPKT6_PKbPfiPT5_PiiiibdPKfPKS9_SF_,@function
_ZN4vllm3moe22topkGatingSoftplusSqrtILi4ELi4ELi4ELi8ELi64ELb1Ej14__hip_bfloat16EEvPKT6_PKbPfiPT5_PiiiibdPKfPKS9_SF_: ; @_ZN4vllm3moe22topkGatingSoftplusSqrtILi4ELi4ELi4ELi8ELi64ELb1Ej14__hip_bfloat16EEvPKT6_PKbPfiPT5_PiiiibdPKfPKS9_SF_
; %bb.0:
	s_load_dword s3, s[0:1], 0x18
	v_bfe_u32 v1, v0, 10, 10
	s_lshl_b32 s2, s2, 8
	v_lshlrev_b32_e32 v1, 6, v1
	v_and_b32_e32 v0, 0x3ff, v0
	v_add3_u32 v2, v1, v0, s2
	s_waitcnt lgkmcnt(0)
	v_cmp_gt_i32_e32 vcc, s3, v2
	s_and_saveexec_b64 s[2:3], vcc
	s_cbranch_execz .LBB428_57
; %bb.1:
	s_load_dwordx4 s[8:11], s[0:1], 0x50
	s_load_dwordx2 s[2:3], s[0:1], 0x0
	s_load_dword s16, s[0:1], 0x30
	v_lshlrev_b32_e32 v0, 2, v2
	v_ashrrev_i32_e32 v1, 31, v0
	s_waitcnt lgkmcnt(0)
	v_mov_b32_e32 v4, s8
	v_lshl_add_u64 v[0:1], v[0:1], 1, s[2:3]
	global_load_dwordx2 v[6:7], v[0:1], off
	v_mov_b32_e32 v5, s9
	v_ashrrev_i32_e32 v3, 31, v2
	v_lshl_add_u64 v[0:1], v[2:3], 2, v[4:5]
	global_load_dword v0, v[0:1], off
	s_mov_b32 s4, 0x800000
	v_mov_b32_e32 v3, 0x4f800000
	v_mov_b32_e32 v8, 0x41b17218
	s_mov_b32 s5, 0x3f317217
	s_mov_b32 s12, 0x7f800000
	;; [unrolled: 1-line block ×4, first 2 shown]
	v_mov_b32_e32 v9, 0x260
	v_mov_b32_e32 v1, 0
	s_cmp_gt_i32 s16, 0
	s_mov_b32 s8, 0
	v_mul_lo_u32 v2, v2, s16
	s_waitcnt vmcnt(1)
	v_lshlrev_b32_e32 v10, 16, v6
	v_and_b32_e32 v11, 0xffff0000, v6
	v_alignbit_b32 v4, v7, v6, 16
	v_mul_f32_e32 v5, 0x3fb8aa3b, v10
	v_mul_f32_e32 v6, 0x3fb8aa3b, v11
	v_and_b32_e32 v12, 0xffff0000, v7
	v_and_b32_e32 v13, 0xffff0000, v4
	v_exp_f32_e32 v4, v5
	v_exp_f32_e32 v5, v6
	v_mul_f32_e32 v7, 0x3fb8aa3b, v12
	v_mul_f32_e32 v6, 0x3fb8aa3b, v13
	v_exp_f32_e32 v7, v7
	v_exp_f32_e32 v6, v6
	v_pk_add_f32 v[4:5], v[4:5], 1.0 op_sel_hi:[1,0]
	s_waitcnt vmcnt(0)
	v_mul_lo_u32 v0, v0, s16
	v_cmp_gt_f32_e32 vcc, s4, v5
	v_cmp_gt_f32_e64 s[2:3], s4, v4
	v_pk_add_f32 v[6:7], v[6:7], 1.0 op_sel_hi:[1,0]
	v_cndmask_b32_e32 v14, 1.0, v3, vcc
	v_cndmask_b32_e64 v15, 1.0, v3, s[2:3]
	v_mul_f32_e32 v5, v5, v14
	v_cndmask_b32_e32 v14, 0, v8, vcc
	v_cmp_gt_f32_e32 vcc, s4, v7
	v_mul_f32_e32 v4, v4, v15
	v_cndmask_b32_e64 v15, 0, v8, s[2:3]
	v_cndmask_b32_e32 v16, 1.0, v3, vcc
	v_cmp_gt_f32_e64 s[2:3], s4, v6
	v_log_f32_e32 v5, v5
	v_log_f32_e32 v4, v4
	v_cndmask_b32_e64 v3, 1.0, v3, s[2:3]
	v_mul_f32_e32 v7, v7, v16
	v_mul_f32_e32 v3, v6, v3
	v_log_f32_e32 v6, v7
	v_mul_f32_e32 v7, 0x3f317217, v5
	v_mul_f32_e32 v17, 0x3f317217, v4
	v_fma_f32 v7, v5, s5, -v7
	v_fma_f32 v17, v4, s5, -v17
	v_mul_f32_e32 v18, 0x3f317217, v6
	v_fmac_f32_e32 v7, 0x3377d1cf, v5
	v_cndmask_b32_e32 v16, 0, v8, vcc
	v_fmac_f32_e32 v17, 0x3377d1cf, v4
	v_fma_f32 v18, v6, s5, -v18
	v_fmac_f32_e32 v7, 0x3f317217, v5
	v_cmp_lt_f32_e64 vcc, |v5|, s12
	v_fmac_f32_e32 v17, 0x3f317217, v4
	v_fmac_f32_e32 v18, 0x3377d1cf, v6
	v_cndmask_b32_e32 v5, v5, v7, vcc
	v_cmp_lt_f32_e64 vcc, |v4|, s12
	v_log_f32_e32 v3, v3
	v_fmac_f32_e32 v18, 0x3f317217, v6
	v_cndmask_b32_e32 v4, v4, v17, vcc
	v_cmp_lt_f32_e64 vcc, |v6|, s12
	v_sub_f32_e32 v4, v4, v15
	v_sub_f32_e32 v5, v5, v14
	v_cndmask_b32_e32 v6, v6, v18, vcc
	v_cmp_lt_f32_e32 vcc, s9, v10
	v_mul_f32_e32 v19, 0x3f317217, v3
	v_fma_f32 v19, v3, s5, -v19
	v_cndmask_b32_e32 v4, v4, v10, vcc
	v_cmp_lt_f32_e32 vcc, s9, v11
	v_mul_f32_e32 v10, 0x4f800000, v4
	v_cmp_gt_f32_e64 s[4:5], s13, v4
	v_cndmask_b32_e32 v5, v5, v11, vcc
	v_mul_f32_e32 v7, 0x4f800000, v5
	v_cmp_gt_f32_e32 vcc, s13, v5
	v_cndmask_b32_e64 v4, v4, v10, s[4:5]
	v_sqrt_f32_e32 v10, v4
	v_cndmask_b32_e32 v5, v5, v7, vcc
	v_sqrt_f32_e32 v7, v5
	v_sub_f32_e32 v6, v6, v16
	v_add_u32_e32 v15, -1, v10
	v_fma_f32 v20, -v15, v10, v4
	v_add_u32_e32 v11, -1, v7
	v_fma_f32 v17, -v11, v7, v5
	v_add_u32_e32 v14, 1, v7
	v_cmp_ge_f32_e64 s[6:7], 0, v17
	v_add_u32_e32 v16, 1, v10
	v_fma_f32 v18, -v14, v7, v5
	v_cndmask_b32_e64 v7, v7, v11, s[6:7]
	v_cmp_ge_f32_e64 s[6:7], 0, v20
	v_fma_f32 v21, -v16, v10, v4
	v_fmac_f32_e32 v19, 0x3377d1cf, v3
	v_cndmask_b32_e64 v10, v10, v15, s[6:7]
	v_cmp_lt_f32_e64 s[6:7], 0, v18
	v_fmac_f32_e32 v19, 0x3f317217, v3
	s_nop 0
	v_cndmask_b32_e64 v7, v7, v14, s[6:7]
	v_cmp_lt_f32_e64 s[6:7], 0, v21
	v_mul_f32_e32 v11, 0x37800000, v7
	v_cndmask_b32_e32 v7, v7, v11, vcc
	v_cndmask_b32_e64 v10, v10, v16, s[6:7]
	v_mul_f32_e32 v14, 0x37800000, v10
	v_cmp_class_f32_e32 vcc, v5, v9
	v_cndmask_b32_e64 v11, v10, v14, s[4:5]
	s_nop 0
	v_cndmask_b32_e32 v10, v7, v5, vcc
	v_cmp_class_f32_e32 vcc, v4, v9
	s_nop 1
	v_cndmask_b32_e32 v11, v11, v4, vcc
	v_cmp_lt_f32_e64 vcc, |v3|, s12
	v_cndmask_b32_e64 v4, 0, v8, s[2:3]
	v_cmp_lt_f32_e64 s[2:3], s9, v13
	v_cndmask_b32_e32 v3, v3, v19, vcc
	v_cmp_lt_f32_e32 vcc, s9, v12
	v_sub_f32_e32 v3, v3, v4
	v_cndmask_b32_e64 v3, v3, v13, s[2:3]
	v_cndmask_b32_e32 v5, v6, v12, vcc
	v_mul_f32_e32 v6, 0x4f800000, v5
	v_cmp_gt_f32_e32 vcc, s13, v5
	s_nop 1
	v_cndmask_b32_e32 v5, v5, v6, vcc
	v_sqrt_f32_e32 v6, v5
	s_nop 0
	v_add_u32_e32 v4, -1, v6
	v_fma_f32 v7, -v4, v6, v5
	v_cmp_ge_f32_e64 s[2:3], 0, v7
	v_add_u32_e32 v7, 1, v6
	s_nop 0
	v_cndmask_b32_e64 v4, v6, v4, s[2:3]
	v_fma_f32 v6, -v7, v6, v5
	v_cmp_lt_f32_e64 s[2:3], 0, v6
	s_nop 1
	v_cndmask_b32_e64 v4, v4, v7, s[2:3]
	v_mul_f32_e32 v7, 0x4f800000, v3
	v_cmp_gt_f32_e64 s[2:3], s13, v3
	v_mul_f32_e32 v6, 0x37800000, v4
	v_cndmask_b32_e32 v4, v4, v6, vcc
	v_cndmask_b32_e64 v3, v3, v7, s[2:3]
	v_sqrt_f32_e32 v7, v3
	v_cmp_class_f32_e32 vcc, v5, v9
	s_nop 1
	v_cndmask_b32_e32 v12, v4, v5, vcc
	v_add_u32_e32 v4, -1, v7
	v_fma_f32 v5, -v4, v7, v3
	v_cmp_ge_f32_e32 vcc, 0, v5
	v_add_u32_e32 v5, 1, v7
	v_fma_f32 v6, -v5, v7, v3
	v_cndmask_b32_e32 v4, v7, v4, vcc
	v_cmp_lt_f32_e32 vcc, 0, v6
	s_nop 1
	v_cndmask_b32_e32 v4, v4, v5, vcc
	v_mul_f32_e32 v5, 0x37800000, v4
	v_cndmask_b32_e64 v4, v4, v5, s[2:3]
	v_cmp_class_f32_e32 vcc, v3, v9
	s_cselect_b64 s[2:3], -1, 0
	s_cmp_lt_i32 s16, 1
	v_cndmask_b32_e32 v13, v4, v3, vcc
	v_lshl_add_u64 v[4:5], v[0:1], 2, s[10:11]
	s_cbranch_scc1 .LBB428_21
; %bb.2:
	s_load_dwordx2 s[4:5], s[0:1], 0x20
	s_cmp_lt_u32 s16, 4
	s_cbranch_scc1 .LBB428_22
; %bb.3:
	s_mov_b32 s7, 0
	s_and_b32 s8, s16, 0x7ffffffc
	v_ashrrev_i32_e32 v3, 31, v2
	v_mov_b32_e32 v14, 0
	s_mov_b32 s6, s7
	s_branch .LBB428_5
.LBB428_4:                              ;   in Loop: Header=BB428_5 Depth=1
	s_or_b64 exec, exec, s[12:13]
	s_add_i32 s6, s6, 4
	s_cmp_eq_u32 s6, s8
	s_cbranch_scc1 .LBB428_23
.LBB428_5:                              ; =>This Loop Header: Depth=1
                                        ;     Child Loop BB428_7 Depth 2
                                        ;     Child Loop BB428_11 Depth 2
	;; [unrolled: 1-line block ×4, first 2 shown]
	v_lshl_add_u64 v[6:7], s[6:7], 2, v[4:5]
	global_load_dword v15, v[6:7], off
	v_add_u32_e32 v8, s6, v2
	v_ashrrev_i32_e32 v9, 31, v8
	s_mov_b64 s[12:13], 0
	s_waitcnt lgkmcnt(0)
	v_lshl_add_u64 v[8:9], v[8:9], 2, s[4:5]
	s_mov_b32 s9, 0
	s_waitcnt vmcnt(0)
	v_cmp_eq_u32_e32 vcc, 1, v15
	s_nop 1
	v_cndmask_b32_e32 v17, v11, v10, vcc
	v_cmp_eq_u32_e32 vcc, 2, v15
	v_min_u32_e32 v16, 3, v15
	v_add_u32_e32 v16, 1, v16
	v_cndmask_b32_e32 v17, v17, v13, vcc
	v_cmp_eq_u32_e32 vcc, 3, v15
	s_nop 1
	v_cndmask_b32_e32 v17, v17, v12, vcc
	s_branch .LBB428_7
.LBB428_6:                              ;   in Loop: Header=BB428_7 Depth=2
	s_or_b64 exec, exec, s[14:15]
	s_add_i32 s9, s9, 1
	v_cmp_eq_u32_e32 vcc, s9, v16
	s_or_b64 s[12:13], vcc, s[12:13]
	s_andn2_b64 exec, exec, s[12:13]
	s_cbranch_execz .LBB428_9
.LBB428_7:                              ;   Parent Loop BB428_5 Depth=1
                                        ; =>  This Inner Loop Header: Depth=2
	v_cmp_eq_u32_e32 vcc, s9, v15
	s_and_saveexec_b64 s[14:15], vcc
	s_cbranch_execz .LBB428_6
; %bb.8:                                ;   in Loop: Header=BB428_7 Depth=2
	v_add_f32_e32 v14, v14, v17
	global_store_dword v[8:9], v15, off
	s_branch .LBB428_6
.LBB428_9:                              ;   in Loop: Header=BB428_5 Depth=1
	s_or_b64 exec, exec, s[12:13]
	global_load_dword v15, v[6:7], off offset:4
	s_ashr_i32 s13, s6, 31
	s_mov_b32 s12, s6
	v_lshl_add_u64 v[8:9], s[12:13], 0, v[2:3]
	s_mov_b32 s9, 0
	v_lshl_add_u64 v[8:9], v[8:9], 2, s[4:5]
	s_mov_b64 s[12:13], 0
	s_waitcnt vmcnt(0)
	v_cmp_eq_u32_e32 vcc, 1, v15
	s_nop 1
	v_cndmask_b32_e32 v17, v11, v10, vcc
	v_cmp_eq_u32_e32 vcc, 2, v15
	v_min_u32_e32 v16, 3, v15
	v_add_u32_e32 v16, 1, v16
	v_cndmask_b32_e32 v17, v17, v13, vcc
	v_cmp_eq_u32_e32 vcc, 3, v15
	s_nop 1
	v_cndmask_b32_e32 v17, v17, v12, vcc
	s_branch .LBB428_11
.LBB428_10:                             ;   in Loop: Header=BB428_11 Depth=2
	s_or_b64 exec, exec, s[14:15]
	s_add_i32 s9, s9, 1
	v_cmp_eq_u32_e32 vcc, s9, v16
	s_or_b64 s[12:13], vcc, s[12:13]
	s_andn2_b64 exec, exec, s[12:13]
	s_cbranch_execz .LBB428_13
.LBB428_11:                             ;   Parent Loop BB428_5 Depth=1
                                        ; =>  This Inner Loop Header: Depth=2
	v_cmp_eq_u32_e32 vcc, s9, v15
	s_and_saveexec_b64 s[14:15], vcc
	s_cbranch_execz .LBB428_10
; %bb.12:                               ;   in Loop: Header=BB428_11 Depth=2
	v_add_f32_e32 v14, v14, v17
	global_store_dword v[8:9], v15, off offset:4
	s_branch .LBB428_10
.LBB428_13:                             ;   in Loop: Header=BB428_5 Depth=1
	s_or_b64 exec, exec, s[12:13]
	global_load_dword v15, v[6:7], off offset:8
	s_mov_b32 s9, 0
	s_mov_b64 s[12:13], 0
	s_waitcnt vmcnt(0)
	v_cmp_eq_u32_e32 vcc, 1, v15
	s_nop 1
	v_cndmask_b32_e32 v17, v11, v10, vcc
	v_cmp_eq_u32_e32 vcc, 2, v15
	v_min_u32_e32 v16, 3, v15
	v_add_u32_e32 v16, 1, v16
	v_cndmask_b32_e32 v17, v17, v13, vcc
	v_cmp_eq_u32_e32 vcc, 3, v15
	s_nop 1
	v_cndmask_b32_e32 v17, v17, v12, vcc
	s_branch .LBB428_15
.LBB428_14:                             ;   in Loop: Header=BB428_15 Depth=2
	s_or_b64 exec, exec, s[14:15]
	s_add_i32 s9, s9, 1
	v_cmp_eq_u32_e32 vcc, s9, v16
	s_or_b64 s[12:13], vcc, s[12:13]
	s_andn2_b64 exec, exec, s[12:13]
	s_cbranch_execz .LBB428_17
.LBB428_15:                             ;   Parent Loop BB428_5 Depth=1
                                        ; =>  This Inner Loop Header: Depth=2
	v_cmp_eq_u32_e32 vcc, s9, v15
	s_and_saveexec_b64 s[14:15], vcc
	s_cbranch_execz .LBB428_14
; %bb.16:                               ;   in Loop: Header=BB428_15 Depth=2
	v_add_f32_e32 v14, v14, v17
	global_store_dword v[8:9], v15, off offset:8
	s_branch .LBB428_14
.LBB428_17:                             ;   in Loop: Header=BB428_5 Depth=1
	s_or_b64 exec, exec, s[12:13]
	global_load_dword v6, v[6:7], off offset:12
	s_mov_b32 s9, 0
	s_mov_b64 s[12:13], 0
	s_waitcnt vmcnt(0)
	v_cmp_eq_u32_e32 vcc, 1, v6
	s_nop 1
	v_cndmask_b32_e32 v15, v11, v10, vcc
	v_cmp_eq_u32_e32 vcc, 2, v6
	v_min_u32_e32 v7, 3, v6
	v_add_u32_e32 v7, 1, v7
	v_cndmask_b32_e32 v15, v15, v13, vcc
	v_cmp_eq_u32_e32 vcc, 3, v6
	s_nop 1
	v_cndmask_b32_e32 v15, v15, v12, vcc
	s_branch .LBB428_19
.LBB428_18:                             ;   in Loop: Header=BB428_19 Depth=2
	s_or_b64 exec, exec, s[14:15]
	s_add_i32 s9, s9, 1
	v_cmp_eq_u32_e32 vcc, s9, v7
	s_or_b64 s[12:13], vcc, s[12:13]
	s_andn2_b64 exec, exec, s[12:13]
	s_cbranch_execz .LBB428_4
.LBB428_19:                             ;   Parent Loop BB428_5 Depth=1
                                        ; =>  This Inner Loop Header: Depth=2
	v_cmp_eq_u32_e32 vcc, s9, v6
	s_and_saveexec_b64 s[14:15], vcc
	s_cbranch_execz .LBB428_18
; %bb.20:                               ;   in Loop: Header=BB428_19 Depth=2
	v_add_f32_e32 v14, v14, v15
	global_store_dword v[8:9], v6, off offset:12
	s_branch .LBB428_18
.LBB428_21:
	v_mov_b32_e32 v14, v1
	s_branch .LBB428_30
.LBB428_22:
	v_mov_b32_e32 v14, v1
.LBB428_23:
	s_and_b32 s14, s16, 3
	s_cmp_eq_u32 s14, 0
	s_mov_b32 s9, 0
	s_cbranch_scc1 .LBB428_30
; %bb.24:
	s_mov_b32 s15, s9
	s_branch .LBB428_26
.LBB428_25:                             ;   in Loop: Header=BB428_26 Depth=1
	s_or_b64 exec, exec, s[6:7]
	s_add_i32 s8, s8, 1
	s_add_i32 s15, s15, 1
	s_cmp_lg_u32 s15, s14
	s_cbranch_scc0 .LBB428_30
.LBB428_26:                             ; =>This Loop Header: Depth=1
                                        ;     Child Loop BB428_28 Depth 2
	v_lshl_add_u64 v[6:7], s[8:9], 2, v[4:5]
	global_load_dword v3, v[6:7], off
	v_add_u32_e32 v6, s8, v2
	v_ashrrev_i32_e32 v7, 31, v6
	s_mov_b32 s17, 0
	s_waitcnt lgkmcnt(0)
	v_lshl_add_u64 v[6:7], v[6:7], 2, s[4:5]
	s_mov_b64 s[6:7], 0
	s_waitcnt vmcnt(0)
	v_cmp_eq_u32_e32 vcc, 1, v3
	s_nop 1
	v_cndmask_b32_e32 v9, v11, v10, vcc
	v_cmp_eq_u32_e32 vcc, 2, v3
	v_min_u32_e32 v8, 3, v3
	v_add_u32_e32 v8, 1, v8
	v_cndmask_b32_e32 v9, v9, v13, vcc
	v_cmp_eq_u32_e32 vcc, 3, v3
	s_nop 1
	v_cndmask_b32_e32 v9, v9, v12, vcc
	s_branch .LBB428_28
.LBB428_27:                             ;   in Loop: Header=BB428_28 Depth=2
	s_or_b64 exec, exec, s[12:13]
	s_add_i32 s17, s17, 1
	v_cmp_eq_u32_e32 vcc, s17, v8
	s_or_b64 s[6:7], vcc, s[6:7]
	s_andn2_b64 exec, exec, s[6:7]
	s_cbranch_execz .LBB428_25
.LBB428_28:                             ;   Parent Loop BB428_26 Depth=1
                                        ; =>  This Inner Loop Header: Depth=2
	v_cmp_eq_u32_e32 vcc, s17, v3
	s_and_saveexec_b64 s[12:13], vcc
	s_cbranch_execz .LBB428_27
; %bb.29:                               ;   in Loop: Header=BB428_28 Depth=2
	v_add_f32_e32 v14, v14, v9
	global_store_dword v[6:7], v3, off
	s_branch .LBB428_27
.LBB428_30:
	s_load_dword s6, s[0:1], 0x3c
	s_waitcnt lgkmcnt(0)
	s_load_dwordx2 s[4:5], s[0:1], 0x40
	s_bitcmp1_b32 s6, 0
	s_cselect_b64 s[6:7], -1, 0
	s_waitcnt lgkmcnt(0)
	v_cvt_f32_f64_e32 v15, s[4:5]
	s_and_b64 vcc, exec, s[6:7]
	s_cbranch_vccz .LBB428_32
; %bb.31:
	v_cmp_lt_f32_e32 vcc, 0, v14
	s_nop 1
	v_cndmask_b32_e32 v3, 1.0, v14, vcc
	v_div_scale_f32 v6, s[4:5], v3, v3, v15
	v_rcp_f32_e32 v7, v6
	s_nop 0
	v_fma_f32 v8, -v6, v7, 1.0
	v_fmac_f32_e32 v7, v8, v7
	v_div_scale_f32 v8, vcc, v15, v3, v15
	v_mul_f32_e32 v9, v8, v7
	v_fma_f32 v14, -v6, v9, v8
	v_fmac_f32_e32 v9, v14, v7
	v_fma_f32 v6, -v6, v9, v8
	v_div_fmas_f32 v6, v6, v7, v9
	v_div_fixup_f32 v15, v6, v3, v15
.LBB428_32:
	s_andn2_b64 vcc, exec, s[2:3]
	s_cbranch_vccnz .LBB428_57
; %bb.33:
	s_load_dwordx2 s[0:1], s[0:1], 0x10
	s_cmp_lt_u32 s16, 8
	s_mov_b32 s2, 0
	s_cbranch_scc1 .LBB428_52
; %bb.34:
	v_ashrrev_i32_e32 v3, 31, v2
	s_and_b32 s2, s16, 0x7ffffff8
	s_waitcnt lgkmcnt(0)
	v_lshl_add_u64 v[6:7], v[2:3], 2, s[0:1]
	s_mov_b32 s3, 0
	s_mov_b64 s[4:5], 0
	s_branch .LBB428_36
.LBB428_35:                             ;   in Loop: Header=BB428_36 Depth=1
	s_or_b64 exec, exec, s[6:7]
	s_add_i32 s3, s3, 8
	s_add_u32 s4, s4, 32
	s_addc_u32 s5, s5, 0
	s_cmp_eq_u32 s2, s3
	s_cbranch_scc1 .LBB428_52
.LBB428_36:                             ; =>This Inner Loop Header: Depth=1
	v_lshl_add_u64 v[8:9], v[4:5], 0, s[4:5]
	global_load_dword v3, v[8:9], off
	s_waitcnt vmcnt(0)
	v_cmp_gt_u32_e32 vcc, 4, v3
	s_and_saveexec_b64 s[6:7], vcc
	s_cbranch_execz .LBB428_38
; %bb.37:                               ;   in Loop: Header=BB428_36 Depth=1
	v_cmp_eq_u32_e32 vcc, 1, v3
	v_add_u32_e32 v16, s3, v2
	v_ashrrev_i32_e32 v17, 31, v16
	v_cndmask_b32_e32 v14, v11, v10, vcc
	v_cmp_eq_u32_e32 vcc, 2, v3
	v_lshl_add_u64 v[16:17], v[16:17], 2, s[0:1]
	s_nop 0
	v_cndmask_b32_e32 v14, v14, v13, vcc
	v_cmp_eq_u32_e32 vcc, 3, v3
	s_nop 1
	v_cndmask_b32_e32 v3, v14, v12, vcc
	v_mul_f32_e32 v3, v15, v3
	global_store_dword v[16:17], v3, off
.LBB428_38:                             ;   in Loop: Header=BB428_36 Depth=1
	s_or_b64 exec, exec, s[6:7]
	global_load_dword v3, v[8:9], off offset:4
	s_waitcnt vmcnt(0)
	v_cmp_gt_u32_e32 vcc, 4, v3
	s_and_saveexec_b64 s[6:7], vcc
	s_cbranch_execz .LBB428_40
; %bb.39:                               ;   in Loop: Header=BB428_36 Depth=1
	v_cmp_eq_u32_e32 vcc, 1, v3
	v_lshl_add_u64 v[16:17], v[6:7], 0, s[4:5]
	s_nop 0
	v_cndmask_b32_e32 v14, v11, v10, vcc
	v_cmp_eq_u32_e32 vcc, 2, v3
	s_nop 1
	v_cndmask_b32_e32 v14, v14, v13, vcc
	v_cmp_eq_u32_e32 vcc, 3, v3
	s_nop 1
	v_cndmask_b32_e32 v3, v14, v12, vcc
	v_mul_f32_e32 v3, v15, v3
	global_store_dword v[16:17], v3, off offset:4
.LBB428_40:                             ;   in Loop: Header=BB428_36 Depth=1
	s_or_b64 exec, exec, s[6:7]
	global_load_dword v3, v[8:9], off offset:8
	s_waitcnt vmcnt(0)
	v_cmp_gt_u32_e32 vcc, 4, v3
	s_and_saveexec_b64 s[6:7], vcc
	s_cbranch_execz .LBB428_42
; %bb.41:                               ;   in Loop: Header=BB428_36 Depth=1
	v_cmp_eq_u32_e32 vcc, 1, v3
	v_lshl_add_u64 v[16:17], v[6:7], 0, s[4:5]
	s_nop 0
	v_cndmask_b32_e32 v14, v11, v10, vcc
	v_cmp_eq_u32_e32 vcc, 2, v3
	s_nop 1
	v_cndmask_b32_e32 v14, v14, v13, vcc
	v_cmp_eq_u32_e32 vcc, 3, v3
	s_nop 1
	v_cndmask_b32_e32 v3, v14, v12, vcc
	v_mul_f32_e32 v3, v15, v3
	global_store_dword v[16:17], v3, off offset:8
.LBB428_42:                             ;   in Loop: Header=BB428_36 Depth=1
	;; [unrolled: 20-line block ×6, first 2 shown]
	s_or_b64 exec, exec, s[6:7]
	global_load_dword v3, v[8:9], off offset:28
	s_waitcnt vmcnt(0)
	v_cmp_gt_u32_e32 vcc, 4, v3
	s_and_saveexec_b64 s[6:7], vcc
	s_cbranch_execz .LBB428_35
; %bb.51:                               ;   in Loop: Header=BB428_36 Depth=1
	v_cmp_eq_u32_e32 vcc, 1, v3
	s_nop 1
	v_cndmask_b32_e32 v8, v11, v10, vcc
	v_cmp_eq_u32_e32 vcc, 2, v3
	s_nop 1
	v_cndmask_b32_e32 v8, v8, v13, vcc
	;; [unrolled: 3-line block ×3, first 2 shown]
	v_mul_f32_e32 v3, v15, v3
	v_lshl_add_u64 v[8:9], v[6:7], 0, s[4:5]
	global_store_dword v[8:9], v3, off offset:28
	s_branch .LBB428_35
.LBB428_52:
	s_and_b32 s4, s16, 7
	s_cmp_eq_u32 s4, 0
	s_mov_b32 s3, 0
	s_cbranch_scc1 .LBB428_57
; %bb.53:
	v_add_u32_e32 v2, s2, v2
	s_lshl_b64 s[2:3], s[2:3], 2
	s_add_u32 s2, s10, s2
	s_addc_u32 s3, s11, s3
	v_lshl_add_u64 v[0:1], v[0:1], 2, s[2:3]
	s_branch .LBB428_55
.LBB428_54:                             ;   in Loop: Header=BB428_55 Depth=1
	s_or_b64 exec, exec, s[2:3]
	s_add_i32 s4, s4, -1
	v_add_u32_e32 v2, 1, v2
	s_cmp_eq_u32 s4, 0
	v_lshl_add_u64 v[0:1], v[0:1], 0, 4
	s_cbranch_scc1 .LBB428_57
.LBB428_55:                             ; =>This Inner Loop Header: Depth=1
	global_load_dword v3, v[0:1], off
	s_waitcnt vmcnt(0)
	v_cmp_gt_u32_e32 vcc, 4, v3
	s_and_saveexec_b64 s[2:3], vcc
	s_cbranch_execz .LBB428_54
; %bb.56:                               ;   in Loop: Header=BB428_55 Depth=1
	v_cmp_eq_u32_e32 vcc, 1, v3
	s_nop 1
	v_cndmask_b32_e32 v4, v11, v10, vcc
	v_cmp_eq_u32_e32 vcc, 2, v3
	s_nop 1
	v_cndmask_b32_e32 v4, v4, v13, vcc
	;; [unrolled: 3-line block ×3, first 2 shown]
	v_mul_f32_e32 v6, v15, v3
	v_ashrrev_i32_e32 v3, 31, v2
	s_waitcnt lgkmcnt(0)
	v_lshl_add_u64 v[4:5], v[2:3], 2, s[0:1]
	global_store_dword v[4:5], v6, off
	s_branch .LBB428_54
.LBB428_57:
	s_endpgm
	.section	.rodata,"a",@progbits
	.p2align	6, 0x0
	.amdhsa_kernel _ZN4vllm3moe22topkGatingSoftplusSqrtILi4ELi4ELi4ELi8ELi64ELb1Ej14__hip_bfloat16EEvPKT6_PKbPfiPT5_PiiiibdPKfPKS9_SF_
		.amdhsa_group_segment_fixed_size 0
		.amdhsa_private_segment_fixed_size 0
		.amdhsa_kernarg_size 96
		.amdhsa_user_sgpr_count 2
		.amdhsa_user_sgpr_dispatch_ptr 0
		.amdhsa_user_sgpr_queue_ptr 0
		.amdhsa_user_sgpr_kernarg_segment_ptr 1
		.amdhsa_user_sgpr_dispatch_id 0
		.amdhsa_user_sgpr_kernarg_preload_length 0
		.amdhsa_user_sgpr_kernarg_preload_offset 0
		.amdhsa_user_sgpr_private_segment_size 0
		.amdhsa_uses_dynamic_stack 0
		.amdhsa_enable_private_segment 0
		.amdhsa_system_sgpr_workgroup_id_x 1
		.amdhsa_system_sgpr_workgroup_id_y 0
		.amdhsa_system_sgpr_workgroup_id_z 0
		.amdhsa_system_sgpr_workgroup_info 0
		.amdhsa_system_vgpr_workitem_id 1
		.amdhsa_next_free_vgpr 22
		.amdhsa_next_free_sgpr 18
		.amdhsa_accum_offset 24
		.amdhsa_reserve_vcc 1
		.amdhsa_float_round_mode_32 0
		.amdhsa_float_round_mode_16_64 0
		.amdhsa_float_denorm_mode_32 3
		.amdhsa_float_denorm_mode_16_64 3
		.amdhsa_dx10_clamp 1
		.amdhsa_ieee_mode 1
		.amdhsa_fp16_overflow 0
		.amdhsa_tg_split 0
		.amdhsa_exception_fp_ieee_invalid_op 0
		.amdhsa_exception_fp_denorm_src 0
		.amdhsa_exception_fp_ieee_div_zero 0
		.amdhsa_exception_fp_ieee_overflow 0
		.amdhsa_exception_fp_ieee_underflow 0
		.amdhsa_exception_fp_ieee_inexact 0
		.amdhsa_exception_int_div_zero 0
	.end_amdhsa_kernel
	.section	.text._ZN4vllm3moe22topkGatingSoftplusSqrtILi4ELi4ELi4ELi8ELi64ELb1Ej14__hip_bfloat16EEvPKT6_PKbPfiPT5_PiiiibdPKfPKS9_SF_,"axG",@progbits,_ZN4vllm3moe22topkGatingSoftplusSqrtILi4ELi4ELi4ELi8ELi64ELb1Ej14__hip_bfloat16EEvPKT6_PKbPfiPT5_PiiiibdPKfPKS9_SF_,comdat
.Lfunc_end428:
	.size	_ZN4vllm3moe22topkGatingSoftplusSqrtILi4ELi4ELi4ELi8ELi64ELb1Ej14__hip_bfloat16EEvPKT6_PKbPfiPT5_PiiiibdPKfPKS9_SF_, .Lfunc_end428-_ZN4vllm3moe22topkGatingSoftplusSqrtILi4ELi4ELi4ELi8ELi64ELb1Ej14__hip_bfloat16EEvPKT6_PKbPfiPT5_PiiiibdPKfPKS9_SF_
                                        ; -- End function
	.section	.AMDGPU.csdata,"",@progbits
; Kernel info:
; codeLenInByte = 2980
; NumSgprs: 24
; NumVgprs: 22
; NumAgprs: 0
; TotalNumVgprs: 22
; ScratchSize: 0
; MemoryBound: 0
; FloatMode: 240
; IeeeMode: 1
; LDSByteSize: 0 bytes/workgroup (compile time only)
; SGPRBlocks: 2
; VGPRBlocks: 2
; NumSGPRsForWavesPerEU: 24
; NumVGPRsForWavesPerEU: 22
; AccumOffset: 24
; Occupancy: 8
; WaveLimiterHint : 1
; COMPUTE_PGM_RSRC2:SCRATCH_EN: 0
; COMPUTE_PGM_RSRC2:USER_SGPR: 2
; COMPUTE_PGM_RSRC2:TRAP_HANDLER: 0
; COMPUTE_PGM_RSRC2:TGID_X_EN: 1
; COMPUTE_PGM_RSRC2:TGID_Y_EN: 0
; COMPUTE_PGM_RSRC2:TGID_Z_EN: 0
; COMPUTE_PGM_RSRC2:TIDIG_COMP_CNT: 1
; COMPUTE_PGM_RSRC3_GFX90A:ACCUM_OFFSET: 5
; COMPUTE_PGM_RSRC3_GFX90A:TG_SPLIT: 0
	.section	.text._ZN4vllm3moe22topkGatingSoftplusSqrtILi4ELi4ELi4ELi8ELi64ELb0Ej14__hip_bfloat16EEvPKT6_PKbPfiPT5_PiiiibdPKfPKS9_SF_,"axG",@progbits,_ZN4vllm3moe22topkGatingSoftplusSqrtILi4ELi4ELi4ELi8ELi64ELb0Ej14__hip_bfloat16EEvPKT6_PKbPfiPT5_PiiiibdPKfPKS9_SF_,comdat
	.protected	_ZN4vllm3moe22topkGatingSoftplusSqrtILi4ELi4ELi4ELi8ELi64ELb0Ej14__hip_bfloat16EEvPKT6_PKbPfiPT5_PiiiibdPKfPKS9_SF_ ; -- Begin function _ZN4vllm3moe22topkGatingSoftplusSqrtILi4ELi4ELi4ELi8ELi64ELb0Ej14__hip_bfloat16EEvPKT6_PKbPfiPT5_PiiiibdPKfPKS9_SF_
	.globl	_ZN4vllm3moe22topkGatingSoftplusSqrtILi4ELi4ELi4ELi8ELi64ELb0Ej14__hip_bfloat16EEvPKT6_PKbPfiPT5_PiiiibdPKfPKS9_SF_
	.p2align	8
	.type	_ZN4vllm3moe22topkGatingSoftplusSqrtILi4ELi4ELi4ELi8ELi64ELb0Ej14__hip_bfloat16EEvPKT6_PKbPfiPT5_PiiiibdPKfPKS9_SF_,@function
_ZN4vllm3moe22topkGatingSoftplusSqrtILi4ELi4ELi4ELi8ELi64ELb0Ej14__hip_bfloat16EEvPKT6_PKbPfiPT5_PiiiibdPKfPKS9_SF_: ; @_ZN4vllm3moe22topkGatingSoftplusSqrtILi4ELi4ELi4ELi8ELi64ELb0Ej14__hip_bfloat16EEvPKT6_PKbPfiPT5_PiiiibdPKfPKS9_SF_
; %bb.0:
	s_load_dword s24, s[0:1], 0x18
	v_bfe_u32 v1, v0, 10, 10
	s_lshl_b32 s2, s2, 8
	v_lshlrev_b32_e32 v1, 6, v1
	v_and_b32_e32 v0, 0x3ff, v0
	v_add3_u32 v4, v1, v0, s2
	s_waitcnt lgkmcnt(0)
	v_cmp_gt_i32_e32 vcc, s24, v4
	s_and_saveexec_b64 s[2:3], vcc
	s_cbranch_execz .LBB429_32
; %bb.1:
	s_load_dwordx4 s[4:7], s[0:1], 0x0
	s_load_dwordx2 s[20:21], s[0:1], 0x10
	s_waitcnt lgkmcnt(0)
	s_cmp_eq_u64 s[6:7], 0
	s_cbranch_scc1 .LBB429_3
; %bb.2:
	v_ashrrev_i32_e32 v5, 31, v4
	v_lshl_add_u64 v[0:1], s[6:7], 0, v[4:5]
	global_load_ubyte v0, v[0:1], off
	s_waitcnt vmcnt(0)
	v_and_b32_e32 v0, 1, v0
	v_cmp_eq_u32_e32 vcc, 1, v0
	s_xor_b64 s[2:3], vcc, -1
	s_orn2_b64 s[6:7], s[2:3], exec
	s_branch .LBB429_4
.LBB429_3:
	s_mov_b64 s[6:7], -1
.LBB429_4:
	v_lshlrev_b32_e32 v2, 2, v4
	v_mov_b32_e32 v0, s4
	v_mov_b32_e32 v1, s5
	v_ashrrev_i32_e32 v3, 31, v2
	v_lshl_add_u64 v[0:1], v[2:3], 1, v[0:1]
	global_load_dwordx2 v[2:3], v[0:1], off
	s_mov_b32 s18, 0x800000
	v_mov_b32_e32 v5, 0x4f800000
	s_mov_b32 s15, 0x3f317217
	s_mov_b32 s16, 0x7f800000
	v_mov_b32_e32 v6, 0x41b17218
	s_mov_b32 s14, 0x41a00000
	s_mov_b32 s17, 0xf800000
	s_load_dwordx4 s[8:11], s[0:1], 0x40
	s_waitcnt lgkmcnt(0)
	s_cmp_lg_u64 s[10:11], 0
	s_cselect_b64 s[12:13], -1, 0
	s_and_b64 s[2:3], exec, s[12:13]
	s_waitcnt vmcnt(0)
	v_lshlrev_b32_e32 v0, 16, v2
	v_mul_f32_e32 v1, 0x3fb8aa3b, v0
	v_exp_f32_e32 v1, v1
	s_nop 0
	v_add_f32_e32 v1, 1.0, v1
	v_cmp_gt_f32_e32 vcc, s18, v1
	s_nop 1
	v_cndmask_b32_e32 v7, 1.0, v5, vcc
	v_mul_f32_e32 v1, v1, v7
	v_log_f32_e32 v7, v1
	v_cndmask_b32_e32 v8, 0, v6, vcc
	v_mov_b32_e32 v1, 0x260
	v_mul_f32_e32 v9, 0x3f317217, v7
	v_fma_f32 v9, v7, s15, -v9
	v_fmac_f32_e32 v9, 0x3377d1cf, v7
	v_fmac_f32_e32 v9, 0x3f317217, v7
	v_cmp_lt_f32_e64 vcc, |v7|, s16
	s_nop 1
	v_cndmask_b32_e32 v7, v7, v9, vcc
	v_sub_f32_e32 v7, v7, v8
	v_cmp_lt_f32_e32 vcc, s14, v0
	s_nop 1
	v_cndmask_b32_e32 v0, v7, v0, vcc
	v_mul_f32_e32 v7, 0x4f800000, v0
	v_cmp_gt_f32_e32 vcc, s17, v0
	s_nop 1
	v_cndmask_b32_e32 v0, v0, v7, vcc
	v_sqrt_f32_e32 v7, v0
	s_nop 0
	v_add_u32_e32 v8, -1, v7
	v_add_u32_e32 v9, 1, v7
	v_fma_f32 v10, -v8, v7, v0
	v_fma_f32 v11, -v9, v7, v0
	v_cmp_ge_f32_e64 s[4:5], 0, v10
	s_nop 1
	v_cndmask_b32_e64 v7, v7, v8, s[4:5]
	v_cmp_lt_f32_e64 s[4:5], 0, v11
	s_nop 1
	v_cndmask_b32_e64 v7, v7, v9, s[4:5]
	v_mul_f32_e32 v8, 0x37800000, v7
	v_cndmask_b32_e32 v7, v7, v8, vcc
	v_cmp_class_f32_e32 vcc, v0, v1
	s_nop 1
	v_cndmask_b32_e32 v0, v7, v0, vcc
	s_mov_b64 vcc, s[2:3]
	s_cbranch_vccz .LBB429_6
; %bb.5:
	s_load_dword s2, s[10:11], 0x0
	s_waitcnt lgkmcnt(0)
	v_add_f32_e32 v0, s2, v0
.LBB429_6:
	v_and_b32_e32 v7, 0xffff0000, v2
	v_mul_f32_e32 v8, 0x3fb8aa3b, v7
	v_exp_f32_e32 v8, v8
	s_nop 0
	v_add_f32_e32 v8, 1.0, v8
	v_cmp_gt_f32_e32 vcc, s18, v8
	s_nop 1
	v_cndmask_b32_e32 v5, 1.0, v5, vcc
	v_mul_f32_e32 v5, v8, v5
	v_log_f32_e32 v5, v5
	v_cndmask_b32_e32 v6, 0, v6, vcc
	v_mul_f32_e32 v8, 0x3f317217, v5
	v_fma_f32 v8, v5, s15, -v8
	v_fmac_f32_e32 v8, 0x3377d1cf, v5
	v_fmac_f32_e32 v8, 0x3f317217, v5
	v_cmp_lt_f32_e64 vcc, |v5|, s16
	s_nop 1
	v_cndmask_b32_e32 v5, v5, v8, vcc
	v_sub_f32_e32 v5, v5, v6
	v_cmp_lt_f32_e32 vcc, s14, v7
	s_nop 1
	v_cndmask_b32_e32 v5, v5, v7, vcc
	v_mul_f32_e32 v6, 0x4f800000, v5
	v_cmp_gt_f32_e32 vcc, s17, v5
	s_nop 1
	v_cndmask_b32_e32 v5, v5, v6, vcc
	v_sqrt_f32_e32 v6, v5
	v_cmp_class_f32_e64 s[4:5], v5, v1
	v_add_u32_e32 v7, -1, v6
	v_add_u32_e32 v8, 1, v6
	v_fma_f32 v9, -v7, v6, v5
	v_fma_f32 v10, -v8, v6, v5
	v_cmp_ge_f32_e64 s[2:3], 0, v9
	s_nop 1
	v_cndmask_b32_e64 v6, v6, v7, s[2:3]
	v_cmp_lt_f32_e64 s[2:3], 0, v10
	s_nop 1
	v_cndmask_b32_e64 v6, v6, v8, s[2:3]
	v_mul_f32_e32 v7, 0x37800000, v6
	v_cndmask_b32_e32 v6, v6, v7, vcc
	v_cndmask_b32_e64 v7, 0, 1, s[12:13]
	v_cmp_ne_u32_e64 s[2:3], 1, v7
	s_andn2_b64 vcc, exec, s[12:13]
	v_cndmask_b32_e64 v1, v6, v5, s[4:5]
	s_cbranch_vccnz .LBB429_8
; %bb.7:
	s_load_dword s4, s[10:11], 0x4
	s_waitcnt lgkmcnt(0)
	v_add_f32_e32 v1, s4, v1
.LBB429_8:
	v_alignbit_b32 v2, v3, v2, 16
	v_and_b32_e32 v2, 0xffff0000, v2
	v_mul_f32_e32 v5, 0x3fb8aa3b, v2
	v_exp_f32_e32 v5, v5
	s_mov_b32 s16, 0x800000
	v_mov_b32_e32 v6, 0x4f800000
	s_mov_b32 s13, 0x3f317217
	v_add_f32_e32 v5, 1.0, v5
	v_cmp_gt_f32_e32 vcc, s16, v5
	s_mov_b32 s14, 0x7f800000
	s_mov_b32 s12, 0x41a00000
	v_cndmask_b32_e32 v7, 1.0, v6, vcc
	v_mul_f32_e32 v5, v5, v7
	v_log_f32_e32 v5, v5
	s_mov_b32 s15, 0xf800000
	v_mul_f32_e32 v7, 0x3f317217, v5
	v_fma_f32 v7, v5, s13, -v7
	v_fmac_f32_e32 v7, 0x3377d1cf, v5
	v_fmac_f32_e32 v7, 0x3f317217, v5
	v_cmp_lt_f32_e64 s[4:5], |v5|, s14
	s_nop 1
	v_cndmask_b32_e64 v5, v5, v7, s[4:5]
	v_mov_b32_e32 v7, 0x41b17218
	v_cndmask_b32_e32 v8, 0, v7, vcc
	v_sub_f32_e32 v5, v5, v8
	v_cmp_lt_f32_e32 vcc, s12, v2
	s_nop 1
	v_cndmask_b32_e32 v2, v5, v2, vcc
	v_mul_f32_e32 v5, 0x4f800000, v2
	v_cmp_gt_f32_e32 vcc, s15, v2
	s_nop 1
	v_cndmask_b32_e32 v2, v2, v5, vcc
	v_sqrt_f32_e32 v5, v2
	s_nop 0
	v_add_u32_e32 v8, -1, v5
	v_fma_f32 v9, -v8, v5, v2
	v_cmp_ge_f32_e64 s[4:5], 0, v9
	v_add_u32_e32 v9, 1, v5
	s_nop 0
	v_cndmask_b32_e64 v8, v5, v8, s[4:5]
	v_fma_f32 v5, -v9, v5, v2
	v_cmp_lt_f32_e64 s[4:5], 0, v5
	s_nop 1
	v_cndmask_b32_e64 v5, v8, v9, s[4:5]
	v_mul_f32_e32 v8, 0x37800000, v5
	v_cndmask_b32_e32 v8, v5, v8, vcc
	v_mov_b32_e32 v5, 0x260
	v_cmp_class_f32_e64 s[4:5], v2, v5
	s_and_b64 vcc, exec, s[2:3]
	s_nop 0
	v_cndmask_b32_e64 v2, v8, v2, s[4:5]
	s_cbranch_vccnz .LBB429_10
; %bb.9:
	s_load_dword s4, s[10:11], 0x8
	s_waitcnt lgkmcnt(0)
	v_add_f32_e32 v2, s4, v2
.LBB429_10:
	v_and_b32_e32 v3, 0xffff0000, v3
	v_mul_f32_e32 v8, 0x3fb8aa3b, v3
	v_exp_f32_e32 v8, v8
	s_nop 0
	v_add_f32_e32 v8, 1.0, v8
	v_cmp_gt_f32_e32 vcc, s16, v8
	s_nop 1
	v_cndmask_b32_e32 v6, 1.0, v6, vcc
	v_mul_f32_e32 v6, v8, v6
	v_log_f32_e32 v6, v6
	v_cndmask_b32_e32 v7, 0, v7, vcc
	v_mul_f32_e32 v8, 0x3f317217, v6
	v_fma_f32 v8, v6, s13, -v8
	v_fmac_f32_e32 v8, 0x3377d1cf, v6
	v_fmac_f32_e32 v8, 0x3f317217, v6
	v_cmp_lt_f32_e64 vcc, |v6|, s14
	s_nop 1
	v_cndmask_b32_e32 v6, v6, v8, vcc
	v_sub_f32_e32 v6, v6, v7
	v_cmp_lt_f32_e32 vcc, s12, v3
	s_nop 1
	v_cndmask_b32_e32 v3, v6, v3, vcc
	v_mul_f32_e32 v6, 0x4f800000, v3
	v_cmp_gt_f32_e32 vcc, s15, v3
	s_nop 1
	v_cndmask_b32_e32 v3, v3, v6, vcc
	v_sqrt_f32_e32 v6, v3
	s_nop 0
	v_add_u32_e32 v7, -1, v6
	v_add_u32_e32 v8, 1, v6
	v_fma_f32 v9, -v7, v6, v3
	v_fma_f32 v10, -v8, v6, v3
	v_cmp_ge_f32_e64 s[4:5], 0, v9
	s_nop 1
	v_cndmask_b32_e64 v6, v6, v7, s[4:5]
	v_cmp_lt_f32_e64 s[4:5], 0, v10
	s_nop 1
	v_cndmask_b32_e64 v6, v6, v8, s[4:5]
	v_mul_f32_e32 v7, 0x37800000, v6
	v_cndmask_b32_e32 v6, v6, v7, vcc
	v_cmp_class_f32_e64 s[4:5], v3, v5
	s_and_b64 vcc, exec, s[2:3]
	s_nop 0
	v_cndmask_b32_e64 v3, v6, v3, s[4:5]
	s_cbranch_vccnz .LBB429_12
; %bb.11:
	s_load_dword s4, s[10:11], 0xc
	s_waitcnt lgkmcnt(0)
	v_add_f32_e32 v3, s4, v3
.LBB429_12:
	s_load_dwordx4 s[12:15], s[0:1], 0x30
	s_mov_b32 s25, 0
	s_waitcnt lgkmcnt(0)
	s_bitcmp1_b32 s15, 0
	s_cselect_b64 s[4:5], -1, 0
	s_cmp_gt_i32 s12, 0
	s_cselect_b64 s[22:23], -1, 0
	s_and_b64 vcc, exec, s[22:23]
	v_mul_lo_u32 v6, v4, s12
	s_cbranch_vccz .LBB429_19
; %bb.13:
	s_load_dwordx4 s[16:19], s[0:1], 0x20
	v_mov_b32_e32 v5, 0
	v_mov_b32_e32 v7, 0xc61c4000
	s_branch .LBB429_15
.LBB429_14:                             ;   in Loop: Header=BB429_15 Depth=1
	v_add_f32_e32 v8, v5, v8
	v_cndmask_b32_e64 v5, v5, v8, s[4:5]
	s_cmp_lg_u32 s12, s25
	v_add_u32_e32 v4, s24, v4
	s_cbranch_scc0 .LBB429_20
.LBB429_15:                             ; =>This Inner Loop Header: Depth=1
	v_cmp_gt_f32_e32 vcc, v1, v0
	s_nop 1
	v_cndmask_b32_e32 v9, v0, v1, vcc
	v_cndmask_b32_e64 v8, 0, 1, vcc
	v_cmp_gt_f32_e32 vcc, v2, v9
	s_nop 1
	v_cndmask_b32_e32 v10, v9, v2, vcc
	v_cndmask_b32_e64 v8, v8, 2, vcc
	v_cmp_gt_f32_e64 s[0:1], v3, v10
	s_and_b64 vcc, exec, s[2:3]
	s_nop 0
	v_cndmask_b32_e64 v9, v8, 3, s[0:1]
	v_cndmask_b32_e64 v8, v10, v3, s[0:1]
	s_cbranch_vccnz .LBB429_17
; %bb.16:                               ;   in Loop: Header=BB429_15 Depth=1
	v_lshlrev_b32_e32 v10, 2, v9
	global_load_dword v10, v10, s[10:11]
	s_waitcnt vmcnt(0)
	v_sub_f32_e32 v8, v8, v10
.LBB429_17:                             ;   in Loop: Header=BB429_15 Depth=1
	v_add_u32_e32 v10, s25, v6
	v_ashrrev_i32_e32 v11, 31, v10
	v_cmp_le_i32_e32 vcc, s13, v9
	v_cmp_gt_i32_e64 s[0:1], s14, v9
	v_lshlrev_b64 v[10:11], 2, v[10:11]
	s_and_b64 s[0:1], vcc, s[0:1]
	v_lshl_add_u64 v[12:13], s[20:21], 0, v[10:11]
	global_store_dword v[12:13], v8, off
	v_subrev_u32_e32 v12, s13, v9
	s_and_b64 vcc, s[6:7], s[0:1]
	s_add_i32 s25, s25, 1
	v_cndmask_b32_e32 v14, 4, v12, vcc
	s_waitcnt lgkmcnt(0)
	v_lshl_add_u64 v[12:13], s[16:17], 0, v[10:11]
	v_lshl_add_u64 v[10:11], s[18:19], 0, v[10:11]
	s_cmp_ge_i32 s25, s12
	global_store_dword v[12:13], v14, off
	global_store_dword v[10:11], v4, off
	s_cbranch_scc1 .LBB429_14
; %bb.18:                               ;   in Loop: Header=BB429_15 Depth=1
	v_cmp_ne_u32_e32 vcc, 3, v9
	s_nop 1
	v_cndmask_b32_e32 v3, v7, v3, vcc
	v_cmp_ne_u32_e32 vcc, 2, v9
	s_nop 1
	v_cndmask_b32_e32 v2, v7, v2, vcc
	;; [unrolled: 3-line block ×4, first 2 shown]
	s_branch .LBB429_14
.LBB429_19:
	v_mov_b32_e32 v5, 0
.LBB429_20:
	s_andn2_b64 vcc, exec, s[4:5]
	v_cvt_f32_f64_e32 v0, s[8:9]
	s_cbranch_vccnz .LBB429_22
; %bb.21:
	v_cmp_lt_f32_e32 vcc, 0, v5
	s_nop 1
	v_cndmask_b32_e32 v1, 1.0, v5, vcc
	v_div_scale_f32 v2, s[0:1], v1, v1, v0
	v_rcp_f32_e32 v3, v2
	s_nop 0
	v_fma_f32 v4, -v2, v3, 1.0
	v_fmac_f32_e32 v3, v4, v3
	v_div_scale_f32 v4, vcc, v0, v1, v0
	v_mul_f32_e32 v5, v4, v3
	v_fma_f32 v7, -v2, v5, v4
	v_fmac_f32_e32 v5, v7, v3
	v_fma_f32 v2, -v2, v5, v4
	v_div_fmas_f32 v2, v2, v3, v5
	v_div_fixup_f32 v0, v2, v1, v0
.LBB429_22:
	s_andn2_b64 vcc, exec, s[22:23]
	s_cbranch_vccnz .LBB429_32
; %bb.23:
	s_cmp_gt_u32 s12, 3
	v_ashrrev_i32_e32 v7, 31, v6
	s_cbranch_scc0 .LBB429_27
; %bb.24:
	s_and_b32 s0, s12, 0x7ffffffc
	v_lshl_add_u64 v[2:3], v[6:7], 2, s[20:21]
	v_mov_b32_e32 v1, v0
	v_lshl_add_u64 v[2:3], v[2:3], 0, 8
	s_mov_b32 s1, s0
.LBB429_25:                             ; =>This Inner Loop Header: Depth=1
	global_load_dwordx4 v[8:11], v[2:3], off offset:-8
	s_add_i32 s1, s1, -4
	s_cmp_lg_u32 s1, 0
	s_waitcnt vmcnt(0)
	v_pk_mul_f32 v[8:9], v[0:1], v[8:9]
	v_pk_mul_f32 v[10:11], v[0:1], v[10:11]
	global_store_dwordx4 v[2:3], v[8:11], off offset:-8
	v_lshl_add_u64 v[2:3], v[2:3], 0, 16
	s_cbranch_scc1 .LBB429_25
; %bb.26:
	s_cmp_lg_u32 s0, s12
	s_cselect_b64 s[2:3], -1, 0
	s_branch .LBB429_29
.LBB429_27:
	s_mov_b64 s[2:3], 0
                                        ; implicit-def: $sgpr0
	s_cbranch_execz .LBB429_29
; %bb.28:
	s_mov_b64 s[2:3], -1
	s_mov_b32 s0, 0
.LBB429_29:
	s_andn2_b64 vcc, exec, s[2:3]
	s_cbranch_vccnz .LBB429_32
; %bb.30:
	s_mov_b32 s1, 0
	v_lshl_add_u64 v[2:3], v[6:7], 0, s[0:1]
	s_sub_i32 s2, s12, s0
	v_lshl_add_u64 v[2:3], v[2:3], 2, s[20:21]
.LBB429_31:                             ; =>This Inner Loop Header: Depth=1
	global_load_dword v1, v[2:3], off
	s_add_i32 s2, s2, -1
	s_cmp_lg_u32 s2, 0
	s_waitcnt vmcnt(0)
	v_mul_f32_e32 v1, v0, v1
	global_store_dword v[2:3], v1, off
	v_lshl_add_u64 v[2:3], v[2:3], 0, 4
	s_cbranch_scc1 .LBB429_31
.LBB429_32:
	s_endpgm
	.section	.rodata,"a",@progbits
	.p2align	6, 0x0
	.amdhsa_kernel _ZN4vllm3moe22topkGatingSoftplusSqrtILi4ELi4ELi4ELi8ELi64ELb0Ej14__hip_bfloat16EEvPKT6_PKbPfiPT5_PiiiibdPKfPKS9_SF_
		.amdhsa_group_segment_fixed_size 0
		.amdhsa_private_segment_fixed_size 0
		.amdhsa_kernarg_size 96
		.amdhsa_user_sgpr_count 2
		.amdhsa_user_sgpr_dispatch_ptr 0
		.amdhsa_user_sgpr_queue_ptr 0
		.amdhsa_user_sgpr_kernarg_segment_ptr 1
		.amdhsa_user_sgpr_dispatch_id 0
		.amdhsa_user_sgpr_kernarg_preload_length 0
		.amdhsa_user_sgpr_kernarg_preload_offset 0
		.amdhsa_user_sgpr_private_segment_size 0
		.amdhsa_uses_dynamic_stack 0
		.amdhsa_enable_private_segment 0
		.amdhsa_system_sgpr_workgroup_id_x 1
		.amdhsa_system_sgpr_workgroup_id_y 0
		.amdhsa_system_sgpr_workgroup_id_z 0
		.amdhsa_system_sgpr_workgroup_info 0
		.amdhsa_system_vgpr_workitem_id 1
		.amdhsa_next_free_vgpr 15
		.amdhsa_next_free_sgpr 26
		.amdhsa_accum_offset 16
		.amdhsa_reserve_vcc 1
		.amdhsa_float_round_mode_32 0
		.amdhsa_float_round_mode_16_64 0
		.amdhsa_float_denorm_mode_32 3
		.amdhsa_float_denorm_mode_16_64 3
		.amdhsa_dx10_clamp 1
		.amdhsa_ieee_mode 1
		.amdhsa_fp16_overflow 0
		.amdhsa_tg_split 0
		.amdhsa_exception_fp_ieee_invalid_op 0
		.amdhsa_exception_fp_denorm_src 0
		.amdhsa_exception_fp_ieee_div_zero 0
		.amdhsa_exception_fp_ieee_overflow 0
		.amdhsa_exception_fp_ieee_underflow 0
		.amdhsa_exception_fp_ieee_inexact 0
		.amdhsa_exception_int_div_zero 0
	.end_amdhsa_kernel
	.section	.text._ZN4vllm3moe22topkGatingSoftplusSqrtILi4ELi4ELi4ELi8ELi64ELb0Ej14__hip_bfloat16EEvPKT6_PKbPfiPT5_PiiiibdPKfPKS9_SF_,"axG",@progbits,_ZN4vllm3moe22topkGatingSoftplusSqrtILi4ELi4ELi4ELi8ELi64ELb0Ej14__hip_bfloat16EEvPKT6_PKbPfiPT5_PiiiibdPKfPKS9_SF_,comdat
.Lfunc_end429:
	.size	_ZN4vllm3moe22topkGatingSoftplusSqrtILi4ELi4ELi4ELi8ELi64ELb0Ej14__hip_bfloat16EEvPKT6_PKbPfiPT5_PiiiibdPKfPKS9_SF_, .Lfunc_end429-_ZN4vllm3moe22topkGatingSoftplusSqrtILi4ELi4ELi4ELi8ELi64ELb0Ej14__hip_bfloat16EEvPKT6_PKbPfiPT5_PiiiibdPKfPKS9_SF_
                                        ; -- End function
	.section	.AMDGPU.csdata,"",@progbits
; Kernel info:
; codeLenInByte = 2048
; NumSgprs: 32
; NumVgprs: 15
; NumAgprs: 0
; TotalNumVgprs: 15
; ScratchSize: 0
; MemoryBound: 0
; FloatMode: 240
; IeeeMode: 1
; LDSByteSize: 0 bytes/workgroup (compile time only)
; SGPRBlocks: 3
; VGPRBlocks: 1
; NumSGPRsForWavesPerEU: 32
; NumVGPRsForWavesPerEU: 15
; AccumOffset: 16
; Occupancy: 8
; WaveLimiterHint : 0
; COMPUTE_PGM_RSRC2:SCRATCH_EN: 0
; COMPUTE_PGM_RSRC2:USER_SGPR: 2
; COMPUTE_PGM_RSRC2:TRAP_HANDLER: 0
; COMPUTE_PGM_RSRC2:TGID_X_EN: 1
; COMPUTE_PGM_RSRC2:TGID_Y_EN: 0
; COMPUTE_PGM_RSRC2:TGID_Z_EN: 0
; COMPUTE_PGM_RSRC2:TIDIG_COMP_CNT: 1
; COMPUTE_PGM_RSRC3_GFX90A:ACCUM_OFFSET: 3
; COMPUTE_PGM_RSRC3_GFX90A:TG_SPLIT: 0
	.section	.text._ZN4vllm3moe22topkGatingSoftplusSqrtILi4ELi4ELi4ELi8ELi32ELb1Ej14__hip_bfloat16EEvPKT6_PKbPfiPT5_PiiiibdPKfPKS9_SF_,"axG",@progbits,_ZN4vllm3moe22topkGatingSoftplusSqrtILi4ELi4ELi4ELi8ELi32ELb1Ej14__hip_bfloat16EEvPKT6_PKbPfiPT5_PiiiibdPKfPKS9_SF_,comdat
	.protected	_ZN4vllm3moe22topkGatingSoftplusSqrtILi4ELi4ELi4ELi8ELi32ELb1Ej14__hip_bfloat16EEvPKT6_PKbPfiPT5_PiiiibdPKfPKS9_SF_ ; -- Begin function _ZN4vllm3moe22topkGatingSoftplusSqrtILi4ELi4ELi4ELi8ELi32ELb1Ej14__hip_bfloat16EEvPKT6_PKbPfiPT5_PiiiibdPKfPKS9_SF_
	.globl	_ZN4vllm3moe22topkGatingSoftplusSqrtILi4ELi4ELi4ELi8ELi32ELb1Ej14__hip_bfloat16EEvPKT6_PKbPfiPT5_PiiiibdPKfPKS9_SF_
	.p2align	8
	.type	_ZN4vllm3moe22topkGatingSoftplusSqrtILi4ELi4ELi4ELi8ELi32ELb1Ej14__hip_bfloat16EEvPKT6_PKbPfiPT5_PiiiibdPKfPKS9_SF_,@function
_ZN4vllm3moe22topkGatingSoftplusSqrtILi4ELi4ELi4ELi8ELi32ELb1Ej14__hip_bfloat16EEvPKT6_PKbPfiPT5_PiiiibdPKfPKS9_SF_: ; @_ZN4vllm3moe22topkGatingSoftplusSqrtILi4ELi4ELi4ELi8ELi32ELb1Ej14__hip_bfloat16EEvPKT6_PKbPfiPT5_PiiiibdPKfPKS9_SF_
; %bb.0:
	s_load_dword s3, s[0:1], 0x18
	v_bfe_u32 v1, v0, 10, 10
	s_lshl_b32 s2, s2, 7
	v_lshlrev_b32_e32 v1, 5, v1
	v_and_b32_e32 v0, 0x3ff, v0
	v_add3_u32 v2, v1, v0, s2
	s_waitcnt lgkmcnt(0)
	v_cmp_gt_i32_e32 vcc, s3, v2
	s_and_saveexec_b64 s[2:3], vcc
	s_cbranch_execz .LBB430_57
; %bb.1:
	s_load_dwordx4 s[8:11], s[0:1], 0x50
	s_load_dwordx2 s[2:3], s[0:1], 0x0
	s_load_dword s16, s[0:1], 0x30
	v_lshlrev_b32_e32 v0, 2, v2
	v_ashrrev_i32_e32 v1, 31, v0
	s_waitcnt lgkmcnt(0)
	v_mov_b32_e32 v4, s8
	v_lshl_add_u64 v[0:1], v[0:1], 1, s[2:3]
	global_load_dwordx2 v[6:7], v[0:1], off
	v_mov_b32_e32 v5, s9
	v_ashrrev_i32_e32 v3, 31, v2
	v_lshl_add_u64 v[0:1], v[2:3], 2, v[4:5]
	global_load_dword v0, v[0:1], off
	s_mov_b32 s4, 0x800000
	v_mov_b32_e32 v3, 0x4f800000
	v_mov_b32_e32 v8, 0x41b17218
	s_mov_b32 s5, 0x3f317217
	s_mov_b32 s12, 0x7f800000
	;; [unrolled: 1-line block ×4, first 2 shown]
	v_mov_b32_e32 v9, 0x260
	v_mov_b32_e32 v1, 0
	s_cmp_gt_i32 s16, 0
	s_mov_b32 s8, 0
	v_mul_lo_u32 v2, v2, s16
	s_waitcnt vmcnt(1)
	v_lshlrev_b32_e32 v10, 16, v6
	v_and_b32_e32 v11, 0xffff0000, v6
	v_alignbit_b32 v4, v7, v6, 16
	v_mul_f32_e32 v5, 0x3fb8aa3b, v10
	v_mul_f32_e32 v6, 0x3fb8aa3b, v11
	v_and_b32_e32 v12, 0xffff0000, v7
	v_and_b32_e32 v13, 0xffff0000, v4
	v_exp_f32_e32 v4, v5
	v_exp_f32_e32 v5, v6
	v_mul_f32_e32 v7, 0x3fb8aa3b, v12
	v_mul_f32_e32 v6, 0x3fb8aa3b, v13
	v_exp_f32_e32 v7, v7
	v_exp_f32_e32 v6, v6
	v_pk_add_f32 v[4:5], v[4:5], 1.0 op_sel_hi:[1,0]
	s_waitcnt vmcnt(0)
	v_mul_lo_u32 v0, v0, s16
	v_cmp_gt_f32_e32 vcc, s4, v5
	v_cmp_gt_f32_e64 s[2:3], s4, v4
	v_pk_add_f32 v[6:7], v[6:7], 1.0 op_sel_hi:[1,0]
	v_cndmask_b32_e32 v14, 1.0, v3, vcc
	v_cndmask_b32_e64 v15, 1.0, v3, s[2:3]
	v_mul_f32_e32 v5, v5, v14
	v_cndmask_b32_e32 v14, 0, v8, vcc
	v_cmp_gt_f32_e32 vcc, s4, v7
	v_mul_f32_e32 v4, v4, v15
	v_cndmask_b32_e64 v15, 0, v8, s[2:3]
	v_cndmask_b32_e32 v16, 1.0, v3, vcc
	v_cmp_gt_f32_e64 s[2:3], s4, v6
	v_log_f32_e32 v5, v5
	v_log_f32_e32 v4, v4
	v_cndmask_b32_e64 v3, 1.0, v3, s[2:3]
	v_mul_f32_e32 v7, v7, v16
	v_mul_f32_e32 v3, v6, v3
	v_log_f32_e32 v6, v7
	v_mul_f32_e32 v7, 0x3f317217, v5
	v_mul_f32_e32 v17, 0x3f317217, v4
	v_fma_f32 v7, v5, s5, -v7
	v_fma_f32 v17, v4, s5, -v17
	v_mul_f32_e32 v18, 0x3f317217, v6
	v_fmac_f32_e32 v7, 0x3377d1cf, v5
	v_cndmask_b32_e32 v16, 0, v8, vcc
	v_fmac_f32_e32 v17, 0x3377d1cf, v4
	v_fma_f32 v18, v6, s5, -v18
	v_fmac_f32_e32 v7, 0x3f317217, v5
	v_cmp_lt_f32_e64 vcc, |v5|, s12
	v_fmac_f32_e32 v17, 0x3f317217, v4
	v_fmac_f32_e32 v18, 0x3377d1cf, v6
	v_cndmask_b32_e32 v5, v5, v7, vcc
	v_cmp_lt_f32_e64 vcc, |v4|, s12
	v_log_f32_e32 v3, v3
	v_fmac_f32_e32 v18, 0x3f317217, v6
	v_cndmask_b32_e32 v4, v4, v17, vcc
	v_cmp_lt_f32_e64 vcc, |v6|, s12
	v_sub_f32_e32 v4, v4, v15
	v_sub_f32_e32 v5, v5, v14
	v_cndmask_b32_e32 v6, v6, v18, vcc
	v_cmp_lt_f32_e32 vcc, s9, v10
	v_mul_f32_e32 v19, 0x3f317217, v3
	v_fma_f32 v19, v3, s5, -v19
	v_cndmask_b32_e32 v4, v4, v10, vcc
	v_cmp_lt_f32_e32 vcc, s9, v11
	v_mul_f32_e32 v10, 0x4f800000, v4
	v_cmp_gt_f32_e64 s[4:5], s13, v4
	v_cndmask_b32_e32 v5, v5, v11, vcc
	v_mul_f32_e32 v7, 0x4f800000, v5
	v_cmp_gt_f32_e32 vcc, s13, v5
	v_cndmask_b32_e64 v4, v4, v10, s[4:5]
	v_sqrt_f32_e32 v10, v4
	v_cndmask_b32_e32 v5, v5, v7, vcc
	v_sqrt_f32_e32 v7, v5
	v_sub_f32_e32 v6, v6, v16
	v_add_u32_e32 v15, -1, v10
	v_fma_f32 v20, -v15, v10, v4
	v_add_u32_e32 v11, -1, v7
	v_fma_f32 v17, -v11, v7, v5
	v_add_u32_e32 v14, 1, v7
	v_cmp_ge_f32_e64 s[6:7], 0, v17
	v_add_u32_e32 v16, 1, v10
	v_fma_f32 v18, -v14, v7, v5
	v_cndmask_b32_e64 v7, v7, v11, s[6:7]
	v_cmp_ge_f32_e64 s[6:7], 0, v20
	v_fma_f32 v21, -v16, v10, v4
	v_fmac_f32_e32 v19, 0x3377d1cf, v3
	v_cndmask_b32_e64 v10, v10, v15, s[6:7]
	v_cmp_lt_f32_e64 s[6:7], 0, v18
	v_fmac_f32_e32 v19, 0x3f317217, v3
	s_nop 0
	v_cndmask_b32_e64 v7, v7, v14, s[6:7]
	v_cmp_lt_f32_e64 s[6:7], 0, v21
	v_mul_f32_e32 v11, 0x37800000, v7
	v_cndmask_b32_e32 v7, v7, v11, vcc
	v_cndmask_b32_e64 v10, v10, v16, s[6:7]
	v_mul_f32_e32 v14, 0x37800000, v10
	v_cmp_class_f32_e32 vcc, v5, v9
	v_cndmask_b32_e64 v11, v10, v14, s[4:5]
	s_nop 0
	v_cndmask_b32_e32 v10, v7, v5, vcc
	v_cmp_class_f32_e32 vcc, v4, v9
	s_nop 1
	v_cndmask_b32_e32 v11, v11, v4, vcc
	v_cmp_lt_f32_e64 vcc, |v3|, s12
	v_cndmask_b32_e64 v4, 0, v8, s[2:3]
	v_cmp_lt_f32_e64 s[2:3], s9, v13
	v_cndmask_b32_e32 v3, v3, v19, vcc
	v_cmp_lt_f32_e32 vcc, s9, v12
	v_sub_f32_e32 v3, v3, v4
	v_cndmask_b32_e64 v3, v3, v13, s[2:3]
	v_cndmask_b32_e32 v5, v6, v12, vcc
	v_mul_f32_e32 v6, 0x4f800000, v5
	v_cmp_gt_f32_e32 vcc, s13, v5
	s_nop 1
	v_cndmask_b32_e32 v5, v5, v6, vcc
	v_sqrt_f32_e32 v6, v5
	s_nop 0
	v_add_u32_e32 v4, -1, v6
	v_fma_f32 v7, -v4, v6, v5
	v_cmp_ge_f32_e64 s[2:3], 0, v7
	v_add_u32_e32 v7, 1, v6
	s_nop 0
	v_cndmask_b32_e64 v4, v6, v4, s[2:3]
	v_fma_f32 v6, -v7, v6, v5
	v_cmp_lt_f32_e64 s[2:3], 0, v6
	s_nop 1
	v_cndmask_b32_e64 v4, v4, v7, s[2:3]
	v_mul_f32_e32 v7, 0x4f800000, v3
	v_cmp_gt_f32_e64 s[2:3], s13, v3
	v_mul_f32_e32 v6, 0x37800000, v4
	v_cndmask_b32_e32 v4, v4, v6, vcc
	v_cndmask_b32_e64 v3, v3, v7, s[2:3]
	v_sqrt_f32_e32 v7, v3
	v_cmp_class_f32_e32 vcc, v5, v9
	s_nop 1
	v_cndmask_b32_e32 v12, v4, v5, vcc
	v_add_u32_e32 v4, -1, v7
	v_fma_f32 v5, -v4, v7, v3
	v_cmp_ge_f32_e32 vcc, 0, v5
	v_add_u32_e32 v5, 1, v7
	v_fma_f32 v6, -v5, v7, v3
	v_cndmask_b32_e32 v4, v7, v4, vcc
	v_cmp_lt_f32_e32 vcc, 0, v6
	s_nop 1
	v_cndmask_b32_e32 v4, v4, v5, vcc
	v_mul_f32_e32 v5, 0x37800000, v4
	v_cndmask_b32_e64 v4, v4, v5, s[2:3]
	v_cmp_class_f32_e32 vcc, v3, v9
	s_cselect_b64 s[2:3], -1, 0
	s_cmp_lt_i32 s16, 1
	v_cndmask_b32_e32 v13, v4, v3, vcc
	v_lshl_add_u64 v[4:5], v[0:1], 2, s[10:11]
	s_cbranch_scc1 .LBB430_21
; %bb.2:
	s_load_dwordx2 s[4:5], s[0:1], 0x20
	s_cmp_lt_u32 s16, 4
	s_cbranch_scc1 .LBB430_22
; %bb.3:
	s_mov_b32 s7, 0
	s_and_b32 s8, s16, 0x7ffffffc
	v_ashrrev_i32_e32 v3, 31, v2
	v_mov_b32_e32 v14, 0
	s_mov_b32 s6, s7
	s_branch .LBB430_5
.LBB430_4:                              ;   in Loop: Header=BB430_5 Depth=1
	s_or_b64 exec, exec, s[12:13]
	s_add_i32 s6, s6, 4
	s_cmp_eq_u32 s6, s8
	s_cbranch_scc1 .LBB430_23
.LBB430_5:                              ; =>This Loop Header: Depth=1
                                        ;     Child Loop BB430_7 Depth 2
                                        ;     Child Loop BB430_11 Depth 2
                                        ;     Child Loop BB430_15 Depth 2
                                        ;     Child Loop BB430_19 Depth 2
	v_lshl_add_u64 v[6:7], s[6:7], 2, v[4:5]
	global_load_dword v15, v[6:7], off
	v_add_u32_e32 v8, s6, v2
	v_ashrrev_i32_e32 v9, 31, v8
	s_mov_b64 s[12:13], 0
	s_waitcnt lgkmcnt(0)
	v_lshl_add_u64 v[8:9], v[8:9], 2, s[4:5]
	s_mov_b32 s9, 0
	s_waitcnt vmcnt(0)
	v_cmp_eq_u32_e32 vcc, 1, v15
	s_nop 1
	v_cndmask_b32_e32 v17, v11, v10, vcc
	v_cmp_eq_u32_e32 vcc, 2, v15
	v_min_u32_e32 v16, 3, v15
	v_add_u32_e32 v16, 1, v16
	v_cndmask_b32_e32 v17, v17, v13, vcc
	v_cmp_eq_u32_e32 vcc, 3, v15
	s_nop 1
	v_cndmask_b32_e32 v17, v17, v12, vcc
	s_branch .LBB430_7
.LBB430_6:                              ;   in Loop: Header=BB430_7 Depth=2
	s_or_b64 exec, exec, s[14:15]
	s_add_i32 s9, s9, 1
	v_cmp_eq_u32_e32 vcc, s9, v16
	s_or_b64 s[12:13], vcc, s[12:13]
	s_andn2_b64 exec, exec, s[12:13]
	s_cbranch_execz .LBB430_9
.LBB430_7:                              ;   Parent Loop BB430_5 Depth=1
                                        ; =>  This Inner Loop Header: Depth=2
	v_cmp_eq_u32_e32 vcc, s9, v15
	s_and_saveexec_b64 s[14:15], vcc
	s_cbranch_execz .LBB430_6
; %bb.8:                                ;   in Loop: Header=BB430_7 Depth=2
	v_add_f32_e32 v14, v14, v17
	global_store_dword v[8:9], v15, off
	s_branch .LBB430_6
.LBB430_9:                              ;   in Loop: Header=BB430_5 Depth=1
	s_or_b64 exec, exec, s[12:13]
	global_load_dword v15, v[6:7], off offset:4
	s_ashr_i32 s13, s6, 31
	s_mov_b32 s12, s6
	v_lshl_add_u64 v[8:9], s[12:13], 0, v[2:3]
	s_mov_b32 s9, 0
	v_lshl_add_u64 v[8:9], v[8:9], 2, s[4:5]
	s_mov_b64 s[12:13], 0
	s_waitcnt vmcnt(0)
	v_cmp_eq_u32_e32 vcc, 1, v15
	s_nop 1
	v_cndmask_b32_e32 v17, v11, v10, vcc
	v_cmp_eq_u32_e32 vcc, 2, v15
	v_min_u32_e32 v16, 3, v15
	v_add_u32_e32 v16, 1, v16
	v_cndmask_b32_e32 v17, v17, v13, vcc
	v_cmp_eq_u32_e32 vcc, 3, v15
	s_nop 1
	v_cndmask_b32_e32 v17, v17, v12, vcc
	s_branch .LBB430_11
.LBB430_10:                             ;   in Loop: Header=BB430_11 Depth=2
	s_or_b64 exec, exec, s[14:15]
	s_add_i32 s9, s9, 1
	v_cmp_eq_u32_e32 vcc, s9, v16
	s_or_b64 s[12:13], vcc, s[12:13]
	s_andn2_b64 exec, exec, s[12:13]
	s_cbranch_execz .LBB430_13
.LBB430_11:                             ;   Parent Loop BB430_5 Depth=1
                                        ; =>  This Inner Loop Header: Depth=2
	v_cmp_eq_u32_e32 vcc, s9, v15
	s_and_saveexec_b64 s[14:15], vcc
	s_cbranch_execz .LBB430_10
; %bb.12:                               ;   in Loop: Header=BB430_11 Depth=2
	v_add_f32_e32 v14, v14, v17
	global_store_dword v[8:9], v15, off offset:4
	s_branch .LBB430_10
.LBB430_13:                             ;   in Loop: Header=BB430_5 Depth=1
	s_or_b64 exec, exec, s[12:13]
	global_load_dword v15, v[6:7], off offset:8
	s_mov_b32 s9, 0
	s_mov_b64 s[12:13], 0
	s_waitcnt vmcnt(0)
	v_cmp_eq_u32_e32 vcc, 1, v15
	s_nop 1
	v_cndmask_b32_e32 v17, v11, v10, vcc
	v_cmp_eq_u32_e32 vcc, 2, v15
	v_min_u32_e32 v16, 3, v15
	v_add_u32_e32 v16, 1, v16
	v_cndmask_b32_e32 v17, v17, v13, vcc
	v_cmp_eq_u32_e32 vcc, 3, v15
	s_nop 1
	v_cndmask_b32_e32 v17, v17, v12, vcc
	s_branch .LBB430_15
.LBB430_14:                             ;   in Loop: Header=BB430_15 Depth=2
	s_or_b64 exec, exec, s[14:15]
	s_add_i32 s9, s9, 1
	v_cmp_eq_u32_e32 vcc, s9, v16
	s_or_b64 s[12:13], vcc, s[12:13]
	s_andn2_b64 exec, exec, s[12:13]
	s_cbranch_execz .LBB430_17
.LBB430_15:                             ;   Parent Loop BB430_5 Depth=1
                                        ; =>  This Inner Loop Header: Depth=2
	v_cmp_eq_u32_e32 vcc, s9, v15
	s_and_saveexec_b64 s[14:15], vcc
	s_cbranch_execz .LBB430_14
; %bb.16:                               ;   in Loop: Header=BB430_15 Depth=2
	v_add_f32_e32 v14, v14, v17
	global_store_dword v[8:9], v15, off offset:8
	s_branch .LBB430_14
.LBB430_17:                             ;   in Loop: Header=BB430_5 Depth=1
	s_or_b64 exec, exec, s[12:13]
	global_load_dword v6, v[6:7], off offset:12
	s_mov_b32 s9, 0
	s_mov_b64 s[12:13], 0
	s_waitcnt vmcnt(0)
	v_cmp_eq_u32_e32 vcc, 1, v6
	s_nop 1
	v_cndmask_b32_e32 v15, v11, v10, vcc
	v_cmp_eq_u32_e32 vcc, 2, v6
	v_min_u32_e32 v7, 3, v6
	v_add_u32_e32 v7, 1, v7
	v_cndmask_b32_e32 v15, v15, v13, vcc
	v_cmp_eq_u32_e32 vcc, 3, v6
	s_nop 1
	v_cndmask_b32_e32 v15, v15, v12, vcc
	s_branch .LBB430_19
.LBB430_18:                             ;   in Loop: Header=BB430_19 Depth=2
	s_or_b64 exec, exec, s[14:15]
	s_add_i32 s9, s9, 1
	v_cmp_eq_u32_e32 vcc, s9, v7
	s_or_b64 s[12:13], vcc, s[12:13]
	s_andn2_b64 exec, exec, s[12:13]
	s_cbranch_execz .LBB430_4
.LBB430_19:                             ;   Parent Loop BB430_5 Depth=1
                                        ; =>  This Inner Loop Header: Depth=2
	v_cmp_eq_u32_e32 vcc, s9, v6
	s_and_saveexec_b64 s[14:15], vcc
	s_cbranch_execz .LBB430_18
; %bb.20:                               ;   in Loop: Header=BB430_19 Depth=2
	v_add_f32_e32 v14, v14, v15
	global_store_dword v[8:9], v6, off offset:12
	s_branch .LBB430_18
.LBB430_21:
	v_mov_b32_e32 v14, v1
	s_branch .LBB430_30
.LBB430_22:
	v_mov_b32_e32 v14, v1
.LBB430_23:
	s_and_b32 s14, s16, 3
	s_cmp_eq_u32 s14, 0
	s_mov_b32 s9, 0
	s_cbranch_scc1 .LBB430_30
; %bb.24:
	s_mov_b32 s15, s9
	s_branch .LBB430_26
.LBB430_25:                             ;   in Loop: Header=BB430_26 Depth=1
	s_or_b64 exec, exec, s[6:7]
	s_add_i32 s8, s8, 1
	s_add_i32 s15, s15, 1
	s_cmp_lg_u32 s15, s14
	s_cbranch_scc0 .LBB430_30
.LBB430_26:                             ; =>This Loop Header: Depth=1
                                        ;     Child Loop BB430_28 Depth 2
	v_lshl_add_u64 v[6:7], s[8:9], 2, v[4:5]
	global_load_dword v3, v[6:7], off
	v_add_u32_e32 v6, s8, v2
	v_ashrrev_i32_e32 v7, 31, v6
	s_mov_b32 s17, 0
	s_waitcnt lgkmcnt(0)
	v_lshl_add_u64 v[6:7], v[6:7], 2, s[4:5]
	s_mov_b64 s[6:7], 0
	s_waitcnt vmcnt(0)
	v_cmp_eq_u32_e32 vcc, 1, v3
	s_nop 1
	v_cndmask_b32_e32 v9, v11, v10, vcc
	v_cmp_eq_u32_e32 vcc, 2, v3
	v_min_u32_e32 v8, 3, v3
	v_add_u32_e32 v8, 1, v8
	v_cndmask_b32_e32 v9, v9, v13, vcc
	v_cmp_eq_u32_e32 vcc, 3, v3
	s_nop 1
	v_cndmask_b32_e32 v9, v9, v12, vcc
	s_branch .LBB430_28
.LBB430_27:                             ;   in Loop: Header=BB430_28 Depth=2
	s_or_b64 exec, exec, s[12:13]
	s_add_i32 s17, s17, 1
	v_cmp_eq_u32_e32 vcc, s17, v8
	s_or_b64 s[6:7], vcc, s[6:7]
	s_andn2_b64 exec, exec, s[6:7]
	s_cbranch_execz .LBB430_25
.LBB430_28:                             ;   Parent Loop BB430_26 Depth=1
                                        ; =>  This Inner Loop Header: Depth=2
	v_cmp_eq_u32_e32 vcc, s17, v3
	s_and_saveexec_b64 s[12:13], vcc
	s_cbranch_execz .LBB430_27
; %bb.29:                               ;   in Loop: Header=BB430_28 Depth=2
	v_add_f32_e32 v14, v14, v9
	global_store_dword v[6:7], v3, off
	s_branch .LBB430_27
.LBB430_30:
	s_load_dword s6, s[0:1], 0x3c
	s_waitcnt lgkmcnt(0)
	s_load_dwordx2 s[4:5], s[0:1], 0x40
	s_bitcmp1_b32 s6, 0
	s_cselect_b64 s[6:7], -1, 0
	s_waitcnt lgkmcnt(0)
	v_cvt_f32_f64_e32 v15, s[4:5]
	s_and_b64 vcc, exec, s[6:7]
	s_cbranch_vccz .LBB430_32
; %bb.31:
	v_cmp_lt_f32_e32 vcc, 0, v14
	s_nop 1
	v_cndmask_b32_e32 v3, 1.0, v14, vcc
	v_div_scale_f32 v6, s[4:5], v3, v3, v15
	v_rcp_f32_e32 v7, v6
	s_nop 0
	v_fma_f32 v8, -v6, v7, 1.0
	v_fmac_f32_e32 v7, v8, v7
	v_div_scale_f32 v8, vcc, v15, v3, v15
	v_mul_f32_e32 v9, v8, v7
	v_fma_f32 v14, -v6, v9, v8
	v_fmac_f32_e32 v9, v14, v7
	v_fma_f32 v6, -v6, v9, v8
	v_div_fmas_f32 v6, v6, v7, v9
	v_div_fixup_f32 v15, v6, v3, v15
.LBB430_32:
	s_andn2_b64 vcc, exec, s[2:3]
	s_cbranch_vccnz .LBB430_57
; %bb.33:
	s_load_dwordx2 s[0:1], s[0:1], 0x10
	s_cmp_lt_u32 s16, 8
	s_mov_b32 s2, 0
	s_cbranch_scc1 .LBB430_52
; %bb.34:
	v_ashrrev_i32_e32 v3, 31, v2
	s_and_b32 s2, s16, 0x7ffffff8
	s_waitcnt lgkmcnt(0)
	v_lshl_add_u64 v[6:7], v[2:3], 2, s[0:1]
	s_mov_b32 s3, 0
	s_mov_b64 s[4:5], 0
	s_branch .LBB430_36
.LBB430_35:                             ;   in Loop: Header=BB430_36 Depth=1
	s_or_b64 exec, exec, s[6:7]
	s_add_i32 s3, s3, 8
	s_add_u32 s4, s4, 32
	s_addc_u32 s5, s5, 0
	s_cmp_eq_u32 s2, s3
	s_cbranch_scc1 .LBB430_52
.LBB430_36:                             ; =>This Inner Loop Header: Depth=1
	v_lshl_add_u64 v[8:9], v[4:5], 0, s[4:5]
	global_load_dword v3, v[8:9], off
	s_waitcnt vmcnt(0)
	v_cmp_gt_u32_e32 vcc, 4, v3
	s_and_saveexec_b64 s[6:7], vcc
	s_cbranch_execz .LBB430_38
; %bb.37:                               ;   in Loop: Header=BB430_36 Depth=1
	v_cmp_eq_u32_e32 vcc, 1, v3
	v_add_u32_e32 v16, s3, v2
	v_ashrrev_i32_e32 v17, 31, v16
	v_cndmask_b32_e32 v14, v11, v10, vcc
	v_cmp_eq_u32_e32 vcc, 2, v3
	v_lshl_add_u64 v[16:17], v[16:17], 2, s[0:1]
	s_nop 0
	v_cndmask_b32_e32 v14, v14, v13, vcc
	v_cmp_eq_u32_e32 vcc, 3, v3
	s_nop 1
	v_cndmask_b32_e32 v3, v14, v12, vcc
	v_mul_f32_e32 v3, v15, v3
	global_store_dword v[16:17], v3, off
.LBB430_38:                             ;   in Loop: Header=BB430_36 Depth=1
	s_or_b64 exec, exec, s[6:7]
	global_load_dword v3, v[8:9], off offset:4
	s_waitcnt vmcnt(0)
	v_cmp_gt_u32_e32 vcc, 4, v3
	s_and_saveexec_b64 s[6:7], vcc
	s_cbranch_execz .LBB430_40
; %bb.39:                               ;   in Loop: Header=BB430_36 Depth=1
	v_cmp_eq_u32_e32 vcc, 1, v3
	v_lshl_add_u64 v[16:17], v[6:7], 0, s[4:5]
	s_nop 0
	v_cndmask_b32_e32 v14, v11, v10, vcc
	v_cmp_eq_u32_e32 vcc, 2, v3
	s_nop 1
	v_cndmask_b32_e32 v14, v14, v13, vcc
	v_cmp_eq_u32_e32 vcc, 3, v3
	s_nop 1
	v_cndmask_b32_e32 v3, v14, v12, vcc
	v_mul_f32_e32 v3, v15, v3
	global_store_dword v[16:17], v3, off offset:4
.LBB430_40:                             ;   in Loop: Header=BB430_36 Depth=1
	s_or_b64 exec, exec, s[6:7]
	global_load_dword v3, v[8:9], off offset:8
	s_waitcnt vmcnt(0)
	v_cmp_gt_u32_e32 vcc, 4, v3
	s_and_saveexec_b64 s[6:7], vcc
	s_cbranch_execz .LBB430_42
; %bb.41:                               ;   in Loop: Header=BB430_36 Depth=1
	v_cmp_eq_u32_e32 vcc, 1, v3
	v_lshl_add_u64 v[16:17], v[6:7], 0, s[4:5]
	s_nop 0
	v_cndmask_b32_e32 v14, v11, v10, vcc
	v_cmp_eq_u32_e32 vcc, 2, v3
	s_nop 1
	v_cndmask_b32_e32 v14, v14, v13, vcc
	v_cmp_eq_u32_e32 vcc, 3, v3
	s_nop 1
	v_cndmask_b32_e32 v3, v14, v12, vcc
	v_mul_f32_e32 v3, v15, v3
	global_store_dword v[16:17], v3, off offset:8
.LBB430_42:                             ;   in Loop: Header=BB430_36 Depth=1
	;; [unrolled: 20-line block ×6, first 2 shown]
	s_or_b64 exec, exec, s[6:7]
	global_load_dword v3, v[8:9], off offset:28
	s_waitcnt vmcnt(0)
	v_cmp_gt_u32_e32 vcc, 4, v3
	s_and_saveexec_b64 s[6:7], vcc
	s_cbranch_execz .LBB430_35
; %bb.51:                               ;   in Loop: Header=BB430_36 Depth=1
	v_cmp_eq_u32_e32 vcc, 1, v3
	s_nop 1
	v_cndmask_b32_e32 v8, v11, v10, vcc
	v_cmp_eq_u32_e32 vcc, 2, v3
	s_nop 1
	v_cndmask_b32_e32 v8, v8, v13, vcc
	;; [unrolled: 3-line block ×3, first 2 shown]
	v_mul_f32_e32 v3, v15, v3
	v_lshl_add_u64 v[8:9], v[6:7], 0, s[4:5]
	global_store_dword v[8:9], v3, off offset:28
	s_branch .LBB430_35
.LBB430_52:
	s_and_b32 s4, s16, 7
	s_cmp_eq_u32 s4, 0
	s_mov_b32 s3, 0
	s_cbranch_scc1 .LBB430_57
; %bb.53:
	v_add_u32_e32 v2, s2, v2
	s_lshl_b64 s[2:3], s[2:3], 2
	s_add_u32 s2, s10, s2
	s_addc_u32 s3, s11, s3
	v_lshl_add_u64 v[0:1], v[0:1], 2, s[2:3]
	s_branch .LBB430_55
.LBB430_54:                             ;   in Loop: Header=BB430_55 Depth=1
	s_or_b64 exec, exec, s[2:3]
	s_add_i32 s4, s4, -1
	v_add_u32_e32 v2, 1, v2
	s_cmp_eq_u32 s4, 0
	v_lshl_add_u64 v[0:1], v[0:1], 0, 4
	s_cbranch_scc1 .LBB430_57
.LBB430_55:                             ; =>This Inner Loop Header: Depth=1
	global_load_dword v3, v[0:1], off
	s_waitcnt vmcnt(0)
	v_cmp_gt_u32_e32 vcc, 4, v3
	s_and_saveexec_b64 s[2:3], vcc
	s_cbranch_execz .LBB430_54
; %bb.56:                               ;   in Loop: Header=BB430_55 Depth=1
	v_cmp_eq_u32_e32 vcc, 1, v3
	s_nop 1
	v_cndmask_b32_e32 v4, v11, v10, vcc
	v_cmp_eq_u32_e32 vcc, 2, v3
	s_nop 1
	v_cndmask_b32_e32 v4, v4, v13, vcc
	;; [unrolled: 3-line block ×3, first 2 shown]
	v_mul_f32_e32 v6, v15, v3
	v_ashrrev_i32_e32 v3, 31, v2
	s_waitcnt lgkmcnt(0)
	v_lshl_add_u64 v[4:5], v[2:3], 2, s[0:1]
	global_store_dword v[4:5], v6, off
	s_branch .LBB430_54
.LBB430_57:
	s_endpgm
	.section	.rodata,"a",@progbits
	.p2align	6, 0x0
	.amdhsa_kernel _ZN4vllm3moe22topkGatingSoftplusSqrtILi4ELi4ELi4ELi8ELi32ELb1Ej14__hip_bfloat16EEvPKT6_PKbPfiPT5_PiiiibdPKfPKS9_SF_
		.amdhsa_group_segment_fixed_size 0
		.amdhsa_private_segment_fixed_size 0
		.amdhsa_kernarg_size 96
		.amdhsa_user_sgpr_count 2
		.amdhsa_user_sgpr_dispatch_ptr 0
		.amdhsa_user_sgpr_queue_ptr 0
		.amdhsa_user_sgpr_kernarg_segment_ptr 1
		.amdhsa_user_sgpr_dispatch_id 0
		.amdhsa_user_sgpr_kernarg_preload_length 0
		.amdhsa_user_sgpr_kernarg_preload_offset 0
		.amdhsa_user_sgpr_private_segment_size 0
		.amdhsa_uses_dynamic_stack 0
		.amdhsa_enable_private_segment 0
		.amdhsa_system_sgpr_workgroup_id_x 1
		.amdhsa_system_sgpr_workgroup_id_y 0
		.amdhsa_system_sgpr_workgroup_id_z 0
		.amdhsa_system_sgpr_workgroup_info 0
		.amdhsa_system_vgpr_workitem_id 1
		.amdhsa_next_free_vgpr 22
		.amdhsa_next_free_sgpr 18
		.amdhsa_accum_offset 24
		.amdhsa_reserve_vcc 1
		.amdhsa_float_round_mode_32 0
		.amdhsa_float_round_mode_16_64 0
		.amdhsa_float_denorm_mode_32 3
		.amdhsa_float_denorm_mode_16_64 3
		.amdhsa_dx10_clamp 1
		.amdhsa_ieee_mode 1
		.amdhsa_fp16_overflow 0
		.amdhsa_tg_split 0
		.amdhsa_exception_fp_ieee_invalid_op 0
		.amdhsa_exception_fp_denorm_src 0
		.amdhsa_exception_fp_ieee_div_zero 0
		.amdhsa_exception_fp_ieee_overflow 0
		.amdhsa_exception_fp_ieee_underflow 0
		.amdhsa_exception_fp_ieee_inexact 0
		.amdhsa_exception_int_div_zero 0
	.end_amdhsa_kernel
	.section	.text._ZN4vllm3moe22topkGatingSoftplusSqrtILi4ELi4ELi4ELi8ELi32ELb1Ej14__hip_bfloat16EEvPKT6_PKbPfiPT5_PiiiibdPKfPKS9_SF_,"axG",@progbits,_ZN4vllm3moe22topkGatingSoftplusSqrtILi4ELi4ELi4ELi8ELi32ELb1Ej14__hip_bfloat16EEvPKT6_PKbPfiPT5_PiiiibdPKfPKS9_SF_,comdat
.Lfunc_end430:
	.size	_ZN4vllm3moe22topkGatingSoftplusSqrtILi4ELi4ELi4ELi8ELi32ELb1Ej14__hip_bfloat16EEvPKT6_PKbPfiPT5_PiiiibdPKfPKS9_SF_, .Lfunc_end430-_ZN4vllm3moe22topkGatingSoftplusSqrtILi4ELi4ELi4ELi8ELi32ELb1Ej14__hip_bfloat16EEvPKT6_PKbPfiPT5_PiiiibdPKfPKS9_SF_
                                        ; -- End function
	.section	.AMDGPU.csdata,"",@progbits
; Kernel info:
; codeLenInByte = 2980
; NumSgprs: 24
; NumVgprs: 22
; NumAgprs: 0
; TotalNumVgprs: 22
; ScratchSize: 0
; MemoryBound: 0
; FloatMode: 240
; IeeeMode: 1
; LDSByteSize: 0 bytes/workgroup (compile time only)
; SGPRBlocks: 2
; VGPRBlocks: 2
; NumSGPRsForWavesPerEU: 24
; NumVGPRsForWavesPerEU: 22
; AccumOffset: 24
; Occupancy: 8
; WaveLimiterHint : 1
; COMPUTE_PGM_RSRC2:SCRATCH_EN: 0
; COMPUTE_PGM_RSRC2:USER_SGPR: 2
; COMPUTE_PGM_RSRC2:TRAP_HANDLER: 0
; COMPUTE_PGM_RSRC2:TGID_X_EN: 1
; COMPUTE_PGM_RSRC2:TGID_Y_EN: 0
; COMPUTE_PGM_RSRC2:TGID_Z_EN: 0
; COMPUTE_PGM_RSRC2:TIDIG_COMP_CNT: 1
; COMPUTE_PGM_RSRC3_GFX90A:ACCUM_OFFSET: 5
; COMPUTE_PGM_RSRC3_GFX90A:TG_SPLIT: 0
	.section	.text._ZN4vllm3moe22topkGatingSoftplusSqrtILi4ELi4ELi4ELi8ELi32ELb0Ej14__hip_bfloat16EEvPKT6_PKbPfiPT5_PiiiibdPKfPKS9_SF_,"axG",@progbits,_ZN4vllm3moe22topkGatingSoftplusSqrtILi4ELi4ELi4ELi8ELi32ELb0Ej14__hip_bfloat16EEvPKT6_PKbPfiPT5_PiiiibdPKfPKS9_SF_,comdat
	.protected	_ZN4vllm3moe22topkGatingSoftplusSqrtILi4ELi4ELi4ELi8ELi32ELb0Ej14__hip_bfloat16EEvPKT6_PKbPfiPT5_PiiiibdPKfPKS9_SF_ ; -- Begin function _ZN4vllm3moe22topkGatingSoftplusSqrtILi4ELi4ELi4ELi8ELi32ELb0Ej14__hip_bfloat16EEvPKT6_PKbPfiPT5_PiiiibdPKfPKS9_SF_
	.globl	_ZN4vllm3moe22topkGatingSoftplusSqrtILi4ELi4ELi4ELi8ELi32ELb0Ej14__hip_bfloat16EEvPKT6_PKbPfiPT5_PiiiibdPKfPKS9_SF_
	.p2align	8
	.type	_ZN4vllm3moe22topkGatingSoftplusSqrtILi4ELi4ELi4ELi8ELi32ELb0Ej14__hip_bfloat16EEvPKT6_PKbPfiPT5_PiiiibdPKfPKS9_SF_,@function
_ZN4vllm3moe22topkGatingSoftplusSqrtILi4ELi4ELi4ELi8ELi32ELb0Ej14__hip_bfloat16EEvPKT6_PKbPfiPT5_PiiiibdPKfPKS9_SF_: ; @_ZN4vllm3moe22topkGatingSoftplusSqrtILi4ELi4ELi4ELi8ELi32ELb0Ej14__hip_bfloat16EEvPKT6_PKbPfiPT5_PiiiibdPKfPKS9_SF_
; %bb.0:
	s_load_dword s24, s[0:1], 0x18
	v_bfe_u32 v1, v0, 10, 10
	s_lshl_b32 s2, s2, 7
	v_lshlrev_b32_e32 v1, 5, v1
	v_and_b32_e32 v0, 0x3ff, v0
	v_add3_u32 v4, v1, v0, s2
	s_waitcnt lgkmcnt(0)
	v_cmp_gt_i32_e32 vcc, s24, v4
	s_and_saveexec_b64 s[2:3], vcc
	s_cbranch_execz .LBB431_32
; %bb.1:
	s_load_dwordx4 s[4:7], s[0:1], 0x0
	s_load_dwordx2 s[20:21], s[0:1], 0x10
	s_waitcnt lgkmcnt(0)
	s_cmp_eq_u64 s[6:7], 0
	s_cbranch_scc1 .LBB431_3
; %bb.2:
	v_ashrrev_i32_e32 v5, 31, v4
	v_lshl_add_u64 v[0:1], s[6:7], 0, v[4:5]
	global_load_ubyte v0, v[0:1], off
	s_waitcnt vmcnt(0)
	v_and_b32_e32 v0, 1, v0
	v_cmp_eq_u32_e32 vcc, 1, v0
	s_xor_b64 s[2:3], vcc, -1
	s_orn2_b64 s[6:7], s[2:3], exec
	s_branch .LBB431_4
.LBB431_3:
	s_mov_b64 s[6:7], -1
.LBB431_4:
	v_lshlrev_b32_e32 v2, 2, v4
	v_mov_b32_e32 v0, s4
	v_mov_b32_e32 v1, s5
	v_ashrrev_i32_e32 v3, 31, v2
	v_lshl_add_u64 v[0:1], v[2:3], 1, v[0:1]
	global_load_dwordx2 v[2:3], v[0:1], off
	s_mov_b32 s18, 0x800000
	v_mov_b32_e32 v5, 0x4f800000
	s_mov_b32 s15, 0x3f317217
	s_mov_b32 s16, 0x7f800000
	v_mov_b32_e32 v6, 0x41b17218
	s_mov_b32 s14, 0x41a00000
	s_mov_b32 s17, 0xf800000
	s_load_dwordx4 s[8:11], s[0:1], 0x40
	s_waitcnt lgkmcnt(0)
	s_cmp_lg_u64 s[10:11], 0
	s_cselect_b64 s[12:13], -1, 0
	s_and_b64 s[2:3], exec, s[12:13]
	s_waitcnt vmcnt(0)
	v_lshlrev_b32_e32 v0, 16, v2
	v_mul_f32_e32 v1, 0x3fb8aa3b, v0
	v_exp_f32_e32 v1, v1
	s_nop 0
	v_add_f32_e32 v1, 1.0, v1
	v_cmp_gt_f32_e32 vcc, s18, v1
	s_nop 1
	v_cndmask_b32_e32 v7, 1.0, v5, vcc
	v_mul_f32_e32 v1, v1, v7
	v_log_f32_e32 v7, v1
	v_cndmask_b32_e32 v8, 0, v6, vcc
	v_mov_b32_e32 v1, 0x260
	v_mul_f32_e32 v9, 0x3f317217, v7
	v_fma_f32 v9, v7, s15, -v9
	v_fmac_f32_e32 v9, 0x3377d1cf, v7
	v_fmac_f32_e32 v9, 0x3f317217, v7
	v_cmp_lt_f32_e64 vcc, |v7|, s16
	s_nop 1
	v_cndmask_b32_e32 v7, v7, v9, vcc
	v_sub_f32_e32 v7, v7, v8
	v_cmp_lt_f32_e32 vcc, s14, v0
	s_nop 1
	v_cndmask_b32_e32 v0, v7, v0, vcc
	v_mul_f32_e32 v7, 0x4f800000, v0
	v_cmp_gt_f32_e32 vcc, s17, v0
	s_nop 1
	v_cndmask_b32_e32 v0, v0, v7, vcc
	v_sqrt_f32_e32 v7, v0
	s_nop 0
	v_add_u32_e32 v8, -1, v7
	v_add_u32_e32 v9, 1, v7
	v_fma_f32 v10, -v8, v7, v0
	v_fma_f32 v11, -v9, v7, v0
	v_cmp_ge_f32_e64 s[4:5], 0, v10
	s_nop 1
	v_cndmask_b32_e64 v7, v7, v8, s[4:5]
	v_cmp_lt_f32_e64 s[4:5], 0, v11
	s_nop 1
	v_cndmask_b32_e64 v7, v7, v9, s[4:5]
	v_mul_f32_e32 v8, 0x37800000, v7
	v_cndmask_b32_e32 v7, v7, v8, vcc
	v_cmp_class_f32_e32 vcc, v0, v1
	s_nop 1
	v_cndmask_b32_e32 v0, v7, v0, vcc
	s_mov_b64 vcc, s[2:3]
	s_cbranch_vccz .LBB431_6
; %bb.5:
	s_load_dword s2, s[10:11], 0x0
	s_waitcnt lgkmcnt(0)
	v_add_f32_e32 v0, s2, v0
.LBB431_6:
	v_and_b32_e32 v7, 0xffff0000, v2
	v_mul_f32_e32 v8, 0x3fb8aa3b, v7
	v_exp_f32_e32 v8, v8
	s_nop 0
	v_add_f32_e32 v8, 1.0, v8
	v_cmp_gt_f32_e32 vcc, s18, v8
	s_nop 1
	v_cndmask_b32_e32 v5, 1.0, v5, vcc
	v_mul_f32_e32 v5, v8, v5
	v_log_f32_e32 v5, v5
	v_cndmask_b32_e32 v6, 0, v6, vcc
	v_mul_f32_e32 v8, 0x3f317217, v5
	v_fma_f32 v8, v5, s15, -v8
	v_fmac_f32_e32 v8, 0x3377d1cf, v5
	v_fmac_f32_e32 v8, 0x3f317217, v5
	v_cmp_lt_f32_e64 vcc, |v5|, s16
	s_nop 1
	v_cndmask_b32_e32 v5, v5, v8, vcc
	v_sub_f32_e32 v5, v5, v6
	v_cmp_lt_f32_e32 vcc, s14, v7
	s_nop 1
	v_cndmask_b32_e32 v5, v5, v7, vcc
	v_mul_f32_e32 v6, 0x4f800000, v5
	v_cmp_gt_f32_e32 vcc, s17, v5
	s_nop 1
	v_cndmask_b32_e32 v5, v5, v6, vcc
	v_sqrt_f32_e32 v6, v5
	v_cmp_class_f32_e64 s[4:5], v5, v1
	v_add_u32_e32 v7, -1, v6
	v_add_u32_e32 v8, 1, v6
	v_fma_f32 v9, -v7, v6, v5
	v_fma_f32 v10, -v8, v6, v5
	v_cmp_ge_f32_e64 s[2:3], 0, v9
	s_nop 1
	v_cndmask_b32_e64 v6, v6, v7, s[2:3]
	v_cmp_lt_f32_e64 s[2:3], 0, v10
	s_nop 1
	v_cndmask_b32_e64 v6, v6, v8, s[2:3]
	v_mul_f32_e32 v7, 0x37800000, v6
	v_cndmask_b32_e32 v6, v6, v7, vcc
	v_cndmask_b32_e64 v7, 0, 1, s[12:13]
	v_cmp_ne_u32_e64 s[2:3], 1, v7
	s_andn2_b64 vcc, exec, s[12:13]
	v_cndmask_b32_e64 v1, v6, v5, s[4:5]
	s_cbranch_vccnz .LBB431_8
; %bb.7:
	s_load_dword s4, s[10:11], 0x4
	s_waitcnt lgkmcnt(0)
	v_add_f32_e32 v1, s4, v1
.LBB431_8:
	v_alignbit_b32 v2, v3, v2, 16
	v_and_b32_e32 v2, 0xffff0000, v2
	v_mul_f32_e32 v5, 0x3fb8aa3b, v2
	v_exp_f32_e32 v5, v5
	s_mov_b32 s16, 0x800000
	v_mov_b32_e32 v6, 0x4f800000
	s_mov_b32 s13, 0x3f317217
	v_add_f32_e32 v5, 1.0, v5
	v_cmp_gt_f32_e32 vcc, s16, v5
	s_mov_b32 s14, 0x7f800000
	s_mov_b32 s12, 0x41a00000
	v_cndmask_b32_e32 v7, 1.0, v6, vcc
	v_mul_f32_e32 v5, v5, v7
	v_log_f32_e32 v5, v5
	s_mov_b32 s15, 0xf800000
	v_mul_f32_e32 v7, 0x3f317217, v5
	v_fma_f32 v7, v5, s13, -v7
	v_fmac_f32_e32 v7, 0x3377d1cf, v5
	v_fmac_f32_e32 v7, 0x3f317217, v5
	v_cmp_lt_f32_e64 s[4:5], |v5|, s14
	s_nop 1
	v_cndmask_b32_e64 v5, v5, v7, s[4:5]
	v_mov_b32_e32 v7, 0x41b17218
	v_cndmask_b32_e32 v8, 0, v7, vcc
	v_sub_f32_e32 v5, v5, v8
	v_cmp_lt_f32_e32 vcc, s12, v2
	s_nop 1
	v_cndmask_b32_e32 v2, v5, v2, vcc
	v_mul_f32_e32 v5, 0x4f800000, v2
	v_cmp_gt_f32_e32 vcc, s15, v2
	s_nop 1
	v_cndmask_b32_e32 v2, v2, v5, vcc
	v_sqrt_f32_e32 v5, v2
	s_nop 0
	v_add_u32_e32 v8, -1, v5
	v_fma_f32 v9, -v8, v5, v2
	v_cmp_ge_f32_e64 s[4:5], 0, v9
	v_add_u32_e32 v9, 1, v5
	s_nop 0
	v_cndmask_b32_e64 v8, v5, v8, s[4:5]
	v_fma_f32 v5, -v9, v5, v2
	v_cmp_lt_f32_e64 s[4:5], 0, v5
	s_nop 1
	v_cndmask_b32_e64 v5, v8, v9, s[4:5]
	v_mul_f32_e32 v8, 0x37800000, v5
	v_cndmask_b32_e32 v8, v5, v8, vcc
	v_mov_b32_e32 v5, 0x260
	v_cmp_class_f32_e64 s[4:5], v2, v5
	s_and_b64 vcc, exec, s[2:3]
	s_nop 0
	v_cndmask_b32_e64 v2, v8, v2, s[4:5]
	s_cbranch_vccnz .LBB431_10
; %bb.9:
	s_load_dword s4, s[10:11], 0x8
	s_waitcnt lgkmcnt(0)
	v_add_f32_e32 v2, s4, v2
.LBB431_10:
	v_and_b32_e32 v3, 0xffff0000, v3
	v_mul_f32_e32 v8, 0x3fb8aa3b, v3
	v_exp_f32_e32 v8, v8
	s_nop 0
	v_add_f32_e32 v8, 1.0, v8
	v_cmp_gt_f32_e32 vcc, s16, v8
	s_nop 1
	v_cndmask_b32_e32 v6, 1.0, v6, vcc
	v_mul_f32_e32 v6, v8, v6
	v_log_f32_e32 v6, v6
	v_cndmask_b32_e32 v7, 0, v7, vcc
	v_mul_f32_e32 v8, 0x3f317217, v6
	v_fma_f32 v8, v6, s13, -v8
	v_fmac_f32_e32 v8, 0x3377d1cf, v6
	v_fmac_f32_e32 v8, 0x3f317217, v6
	v_cmp_lt_f32_e64 vcc, |v6|, s14
	s_nop 1
	v_cndmask_b32_e32 v6, v6, v8, vcc
	v_sub_f32_e32 v6, v6, v7
	v_cmp_lt_f32_e32 vcc, s12, v3
	s_nop 1
	v_cndmask_b32_e32 v3, v6, v3, vcc
	v_mul_f32_e32 v6, 0x4f800000, v3
	v_cmp_gt_f32_e32 vcc, s15, v3
	s_nop 1
	v_cndmask_b32_e32 v3, v3, v6, vcc
	v_sqrt_f32_e32 v6, v3
	s_nop 0
	v_add_u32_e32 v7, -1, v6
	v_add_u32_e32 v8, 1, v6
	v_fma_f32 v9, -v7, v6, v3
	v_fma_f32 v10, -v8, v6, v3
	v_cmp_ge_f32_e64 s[4:5], 0, v9
	s_nop 1
	v_cndmask_b32_e64 v6, v6, v7, s[4:5]
	v_cmp_lt_f32_e64 s[4:5], 0, v10
	s_nop 1
	v_cndmask_b32_e64 v6, v6, v8, s[4:5]
	v_mul_f32_e32 v7, 0x37800000, v6
	v_cndmask_b32_e32 v6, v6, v7, vcc
	v_cmp_class_f32_e64 s[4:5], v3, v5
	s_and_b64 vcc, exec, s[2:3]
	s_nop 0
	v_cndmask_b32_e64 v3, v6, v3, s[4:5]
	s_cbranch_vccnz .LBB431_12
; %bb.11:
	s_load_dword s4, s[10:11], 0xc
	s_waitcnt lgkmcnt(0)
	v_add_f32_e32 v3, s4, v3
.LBB431_12:
	s_load_dwordx4 s[12:15], s[0:1], 0x30
	s_mov_b32 s25, 0
	s_waitcnt lgkmcnt(0)
	s_bitcmp1_b32 s15, 0
	s_cselect_b64 s[4:5], -1, 0
	s_cmp_gt_i32 s12, 0
	s_cselect_b64 s[22:23], -1, 0
	s_and_b64 vcc, exec, s[22:23]
	v_mul_lo_u32 v6, v4, s12
	s_cbranch_vccz .LBB431_19
; %bb.13:
	s_load_dwordx4 s[16:19], s[0:1], 0x20
	v_mov_b32_e32 v5, 0
	v_mov_b32_e32 v7, 0xc61c4000
	s_branch .LBB431_15
.LBB431_14:                             ;   in Loop: Header=BB431_15 Depth=1
	v_add_f32_e32 v8, v5, v8
	v_cndmask_b32_e64 v5, v5, v8, s[4:5]
	s_cmp_lg_u32 s12, s25
	v_add_u32_e32 v4, s24, v4
	s_cbranch_scc0 .LBB431_20
.LBB431_15:                             ; =>This Inner Loop Header: Depth=1
	v_cmp_gt_f32_e32 vcc, v1, v0
	s_nop 1
	v_cndmask_b32_e32 v9, v0, v1, vcc
	v_cndmask_b32_e64 v8, 0, 1, vcc
	v_cmp_gt_f32_e32 vcc, v2, v9
	s_nop 1
	v_cndmask_b32_e32 v10, v9, v2, vcc
	v_cndmask_b32_e64 v8, v8, 2, vcc
	v_cmp_gt_f32_e64 s[0:1], v3, v10
	s_and_b64 vcc, exec, s[2:3]
	s_nop 0
	v_cndmask_b32_e64 v9, v8, 3, s[0:1]
	v_cndmask_b32_e64 v8, v10, v3, s[0:1]
	s_cbranch_vccnz .LBB431_17
; %bb.16:                               ;   in Loop: Header=BB431_15 Depth=1
	v_lshlrev_b32_e32 v10, 2, v9
	global_load_dword v10, v10, s[10:11]
	s_waitcnt vmcnt(0)
	v_sub_f32_e32 v8, v8, v10
.LBB431_17:                             ;   in Loop: Header=BB431_15 Depth=1
	v_add_u32_e32 v10, s25, v6
	v_ashrrev_i32_e32 v11, 31, v10
	v_cmp_le_i32_e32 vcc, s13, v9
	v_cmp_gt_i32_e64 s[0:1], s14, v9
	v_lshlrev_b64 v[10:11], 2, v[10:11]
	s_and_b64 s[0:1], vcc, s[0:1]
	v_lshl_add_u64 v[12:13], s[20:21], 0, v[10:11]
	global_store_dword v[12:13], v8, off
	v_subrev_u32_e32 v12, s13, v9
	s_and_b64 vcc, s[6:7], s[0:1]
	s_add_i32 s25, s25, 1
	v_cndmask_b32_e32 v14, 4, v12, vcc
	s_waitcnt lgkmcnt(0)
	v_lshl_add_u64 v[12:13], s[16:17], 0, v[10:11]
	v_lshl_add_u64 v[10:11], s[18:19], 0, v[10:11]
	s_cmp_ge_i32 s25, s12
	global_store_dword v[12:13], v14, off
	global_store_dword v[10:11], v4, off
	s_cbranch_scc1 .LBB431_14
; %bb.18:                               ;   in Loop: Header=BB431_15 Depth=1
	v_cmp_ne_u32_e32 vcc, 3, v9
	s_nop 1
	v_cndmask_b32_e32 v3, v7, v3, vcc
	v_cmp_ne_u32_e32 vcc, 2, v9
	s_nop 1
	v_cndmask_b32_e32 v2, v7, v2, vcc
	;; [unrolled: 3-line block ×4, first 2 shown]
	s_branch .LBB431_14
.LBB431_19:
	v_mov_b32_e32 v5, 0
.LBB431_20:
	s_andn2_b64 vcc, exec, s[4:5]
	v_cvt_f32_f64_e32 v0, s[8:9]
	s_cbranch_vccnz .LBB431_22
; %bb.21:
	v_cmp_lt_f32_e32 vcc, 0, v5
	s_nop 1
	v_cndmask_b32_e32 v1, 1.0, v5, vcc
	v_div_scale_f32 v2, s[0:1], v1, v1, v0
	v_rcp_f32_e32 v3, v2
	s_nop 0
	v_fma_f32 v4, -v2, v3, 1.0
	v_fmac_f32_e32 v3, v4, v3
	v_div_scale_f32 v4, vcc, v0, v1, v0
	v_mul_f32_e32 v5, v4, v3
	v_fma_f32 v7, -v2, v5, v4
	v_fmac_f32_e32 v5, v7, v3
	v_fma_f32 v2, -v2, v5, v4
	v_div_fmas_f32 v2, v2, v3, v5
	v_div_fixup_f32 v0, v2, v1, v0
.LBB431_22:
	s_andn2_b64 vcc, exec, s[22:23]
	s_cbranch_vccnz .LBB431_32
; %bb.23:
	s_cmp_gt_u32 s12, 3
	v_ashrrev_i32_e32 v7, 31, v6
	s_cbranch_scc0 .LBB431_27
; %bb.24:
	s_and_b32 s0, s12, 0x7ffffffc
	v_lshl_add_u64 v[2:3], v[6:7], 2, s[20:21]
	v_mov_b32_e32 v1, v0
	v_lshl_add_u64 v[2:3], v[2:3], 0, 8
	s_mov_b32 s1, s0
.LBB431_25:                             ; =>This Inner Loop Header: Depth=1
	global_load_dwordx4 v[8:11], v[2:3], off offset:-8
	s_add_i32 s1, s1, -4
	s_cmp_lg_u32 s1, 0
	s_waitcnt vmcnt(0)
	v_pk_mul_f32 v[8:9], v[0:1], v[8:9]
	v_pk_mul_f32 v[10:11], v[0:1], v[10:11]
	global_store_dwordx4 v[2:3], v[8:11], off offset:-8
	v_lshl_add_u64 v[2:3], v[2:3], 0, 16
	s_cbranch_scc1 .LBB431_25
; %bb.26:
	s_cmp_lg_u32 s0, s12
	s_cselect_b64 s[2:3], -1, 0
	s_branch .LBB431_29
.LBB431_27:
	s_mov_b64 s[2:3], 0
                                        ; implicit-def: $sgpr0
	s_cbranch_execz .LBB431_29
; %bb.28:
	s_mov_b64 s[2:3], -1
	s_mov_b32 s0, 0
.LBB431_29:
	s_andn2_b64 vcc, exec, s[2:3]
	s_cbranch_vccnz .LBB431_32
; %bb.30:
	s_mov_b32 s1, 0
	v_lshl_add_u64 v[2:3], v[6:7], 0, s[0:1]
	s_sub_i32 s2, s12, s0
	v_lshl_add_u64 v[2:3], v[2:3], 2, s[20:21]
.LBB431_31:                             ; =>This Inner Loop Header: Depth=1
	global_load_dword v1, v[2:3], off
	s_add_i32 s2, s2, -1
	s_cmp_lg_u32 s2, 0
	s_waitcnt vmcnt(0)
	v_mul_f32_e32 v1, v0, v1
	global_store_dword v[2:3], v1, off
	v_lshl_add_u64 v[2:3], v[2:3], 0, 4
	s_cbranch_scc1 .LBB431_31
.LBB431_32:
	s_endpgm
	.section	.rodata,"a",@progbits
	.p2align	6, 0x0
	.amdhsa_kernel _ZN4vllm3moe22topkGatingSoftplusSqrtILi4ELi4ELi4ELi8ELi32ELb0Ej14__hip_bfloat16EEvPKT6_PKbPfiPT5_PiiiibdPKfPKS9_SF_
		.amdhsa_group_segment_fixed_size 0
		.amdhsa_private_segment_fixed_size 0
		.amdhsa_kernarg_size 96
		.amdhsa_user_sgpr_count 2
		.amdhsa_user_sgpr_dispatch_ptr 0
		.amdhsa_user_sgpr_queue_ptr 0
		.amdhsa_user_sgpr_kernarg_segment_ptr 1
		.amdhsa_user_sgpr_dispatch_id 0
		.amdhsa_user_sgpr_kernarg_preload_length 0
		.amdhsa_user_sgpr_kernarg_preload_offset 0
		.amdhsa_user_sgpr_private_segment_size 0
		.amdhsa_uses_dynamic_stack 0
		.amdhsa_enable_private_segment 0
		.amdhsa_system_sgpr_workgroup_id_x 1
		.amdhsa_system_sgpr_workgroup_id_y 0
		.amdhsa_system_sgpr_workgroup_id_z 0
		.amdhsa_system_sgpr_workgroup_info 0
		.amdhsa_system_vgpr_workitem_id 1
		.amdhsa_next_free_vgpr 15
		.amdhsa_next_free_sgpr 26
		.amdhsa_accum_offset 16
		.amdhsa_reserve_vcc 1
		.amdhsa_float_round_mode_32 0
		.amdhsa_float_round_mode_16_64 0
		.amdhsa_float_denorm_mode_32 3
		.amdhsa_float_denorm_mode_16_64 3
		.amdhsa_dx10_clamp 1
		.amdhsa_ieee_mode 1
		.amdhsa_fp16_overflow 0
		.amdhsa_tg_split 0
		.amdhsa_exception_fp_ieee_invalid_op 0
		.amdhsa_exception_fp_denorm_src 0
		.amdhsa_exception_fp_ieee_div_zero 0
		.amdhsa_exception_fp_ieee_overflow 0
		.amdhsa_exception_fp_ieee_underflow 0
		.amdhsa_exception_fp_ieee_inexact 0
		.amdhsa_exception_int_div_zero 0
	.end_amdhsa_kernel
	.section	.text._ZN4vllm3moe22topkGatingSoftplusSqrtILi4ELi4ELi4ELi8ELi32ELb0Ej14__hip_bfloat16EEvPKT6_PKbPfiPT5_PiiiibdPKfPKS9_SF_,"axG",@progbits,_ZN4vllm3moe22topkGatingSoftplusSqrtILi4ELi4ELi4ELi8ELi32ELb0Ej14__hip_bfloat16EEvPKT6_PKbPfiPT5_PiiiibdPKfPKS9_SF_,comdat
.Lfunc_end431:
	.size	_ZN4vllm3moe22topkGatingSoftplusSqrtILi4ELi4ELi4ELi8ELi32ELb0Ej14__hip_bfloat16EEvPKT6_PKbPfiPT5_PiiiibdPKfPKS9_SF_, .Lfunc_end431-_ZN4vllm3moe22topkGatingSoftplusSqrtILi4ELi4ELi4ELi8ELi32ELb0Ej14__hip_bfloat16EEvPKT6_PKbPfiPT5_PiiiibdPKfPKS9_SF_
                                        ; -- End function
	.section	.AMDGPU.csdata,"",@progbits
; Kernel info:
; codeLenInByte = 2048
; NumSgprs: 32
; NumVgprs: 15
; NumAgprs: 0
; TotalNumVgprs: 15
; ScratchSize: 0
; MemoryBound: 0
; FloatMode: 240
; IeeeMode: 1
; LDSByteSize: 0 bytes/workgroup (compile time only)
; SGPRBlocks: 3
; VGPRBlocks: 1
; NumSGPRsForWavesPerEU: 32
; NumVGPRsForWavesPerEU: 15
; AccumOffset: 16
; Occupancy: 8
; WaveLimiterHint : 0
; COMPUTE_PGM_RSRC2:SCRATCH_EN: 0
; COMPUTE_PGM_RSRC2:USER_SGPR: 2
; COMPUTE_PGM_RSRC2:TRAP_HANDLER: 0
; COMPUTE_PGM_RSRC2:TGID_X_EN: 1
; COMPUTE_PGM_RSRC2:TGID_Y_EN: 0
; COMPUTE_PGM_RSRC2:TGID_Z_EN: 0
; COMPUTE_PGM_RSRC2:TIDIG_COMP_CNT: 1
; COMPUTE_PGM_RSRC3_GFX90A:ACCUM_OFFSET: 3
; COMPUTE_PGM_RSRC3_GFX90A:TG_SPLIT: 0
	.section	.text._ZN4vllm3moe22topkGatingSoftplusSqrtILi8ELi8ELi4ELi16ELi64ELb1Ej14__hip_bfloat16EEvPKT6_PKbPfiPT5_PiiiibdPKfPKS9_SF_,"axG",@progbits,_ZN4vllm3moe22topkGatingSoftplusSqrtILi8ELi8ELi4ELi16ELi64ELb1Ej14__hip_bfloat16EEvPKT6_PKbPfiPT5_PiiiibdPKfPKS9_SF_,comdat
	.protected	_ZN4vllm3moe22topkGatingSoftplusSqrtILi8ELi8ELi4ELi16ELi64ELb1Ej14__hip_bfloat16EEvPKT6_PKbPfiPT5_PiiiibdPKfPKS9_SF_ ; -- Begin function _ZN4vllm3moe22topkGatingSoftplusSqrtILi8ELi8ELi4ELi16ELi64ELb1Ej14__hip_bfloat16EEvPKT6_PKbPfiPT5_PiiiibdPKfPKS9_SF_
	.globl	_ZN4vllm3moe22topkGatingSoftplusSqrtILi8ELi8ELi4ELi16ELi64ELb1Ej14__hip_bfloat16EEvPKT6_PKbPfiPT5_PiiiibdPKfPKS9_SF_
	.p2align	8
	.type	_ZN4vllm3moe22topkGatingSoftplusSqrtILi8ELi8ELi4ELi16ELi64ELb1Ej14__hip_bfloat16EEvPKT6_PKbPfiPT5_PiiiibdPKfPKS9_SF_,@function
_ZN4vllm3moe22topkGatingSoftplusSqrtILi8ELi8ELi4ELi16ELi64ELb1Ej14__hip_bfloat16EEvPKT6_PKbPfiPT5_PiiiibdPKfPKS9_SF_: ; @_ZN4vllm3moe22topkGatingSoftplusSqrtILi8ELi8ELi4ELi16ELi64ELb1Ej14__hip_bfloat16EEvPKT6_PKbPfiPT5_PiiiibdPKfPKS9_SF_
; %bb.0:
	s_load_dword s3, s[0:1], 0x18
	v_bfe_u32 v1, v0, 10, 10
	s_lshl_b32 s2, s2, 8
	v_lshlrev_b32_e32 v1, 6, v1
	v_and_b32_e32 v0, 0x3ff, v0
	v_add3_u32 v6, v1, v0, s2
	s_waitcnt lgkmcnt(0)
	v_cmp_gt_i32_e32 vcc, s3, v6
	s_and_saveexec_b64 s[2:3], vcc
	s_cbranch_execz .LBB432_57
; %bb.1:
	s_load_dwordx2 s[2:3], s[0:1], 0x0
	s_load_dword s16, s[0:1], 0x30
	v_lshlrev_b32_e32 v0, 3, v6
	v_ashrrev_i32_e32 v1, 31, v0
	s_load_dwordx4 s[8:11], s[0:1], 0x50
	s_waitcnt lgkmcnt(0)
	v_lshl_add_u64 v[0:1], v[0:1], 1, s[2:3]
	global_load_dwordx4 v[0:3], v[0:1], off
	v_ashrrev_i32_e32 v7, 31, v6
	s_mov_b32 s15, 0x800000
	v_mov_b32_e32 v4, s8
	v_mov_b32_e32 v5, s9
	v_lshl_add_u64 v[4:5], v[6:7], 2, v[4:5]
	v_mov_b32_e32 v7, 0x4f800000
	s_mov_b32 s13, 0x3f317217
	s_mov_b32 s14, 0x7f800000
	v_mov_b32_e32 v16, 0x41b17218
	s_mov_b32 s9, 0x41a00000
	s_mov_b32 s12, 0xf800000
	v_mov_b32_e32 v17, 0x260
	global_load_dword v4, v[4:5], off
	v_mov_b32_e32 v5, 0
	s_cmp_gt_i32 s16, 0
	s_mov_b32 s8, 0
	s_waitcnt vmcnt(1)
	v_and_b32_e32 v10, 0xffff0000, v0
	v_lshlrev_b32_e32 v11, 16, v0
	v_and_b32_e32 v12, 0xffff0000, v1
	v_lshlrev_b32_e32 v13, 16, v1
	v_mul_f32_e32 v0, 0x3fb8aa3b, v11
	v_mul_f32_e32 v1, 0x3fb8aa3b, v10
	v_exp_f32_e32 v0, v0
	v_exp_f32_e32 v1, v1
	v_mul_f32_e32 v8, 0x3fb8aa3b, v13
	v_mul_f32_e32 v9, 0x3fb8aa3b, v12
	v_exp_f32_e32 v8, v8
	v_exp_f32_e32 v9, v9
	v_pk_add_f32 v[0:1], v[0:1], 1.0 op_sel_hi:[1,0]
	s_waitcnt vmcnt(0)
	v_mul_lo_u32 v4, v4, s16
	v_cmp_gt_f32_e32 vcc, s15, v1
	v_pk_add_f32 v[8:9], v[8:9], 1.0 op_sel_hi:[1,0]
	v_cmp_gt_f32_e64 s[2:3], s15, v0
	v_cndmask_b32_e32 v14, 1.0, v7, vcc
	v_cmp_gt_f32_e64 s[4:5], s15, v9
	v_cndmask_b32_e64 v15, 1.0, v7, s[2:3]
	v_mul_f32_e32 v1, v1, v14
	v_cndmask_b32_e64 v18, 1.0, v7, s[4:5]
	v_cmp_gt_f32_e64 s[6:7], s15, v8
	v_mul_f32_e32 v0, v0, v15
	v_log_f32_e32 v1, v1
	v_cndmask_b32_e64 v19, 1.0, v7, s[6:7]
	v_mul_f32_e32 v9, v9, v18
	v_log_f32_e32 v0, v0
	v_mul_f32_e32 v8, v8, v19
	v_log_f32_e32 v9, v9
	v_log_f32_e32 v8, v8
	v_mul_f32_e32 v19, 0x3f317217, v1
	v_mul_f32_e32 v20, 0x3f317217, v0
	v_fma_f32 v19, v1, s13, -v19
	v_mul_f32_e32 v21, 0x3f317217, v9
	v_fma_f32 v20, v0, s13, -v20
	v_fmac_f32_e32 v19, 0x3377d1cf, v1
	v_cndmask_b32_e32 v14, 0, v16, vcc
	v_mul_f32_e32 v22, 0x3f317217, v8
	v_fma_f32 v21, v9, s13, -v21
	v_fmac_f32_e32 v20, 0x3377d1cf, v0
	v_fmac_f32_e32 v19, 0x3f317217, v1
	v_cmp_lt_f32_e64 vcc, |v1|, s14
	v_fma_f32 v22, v8, s13, -v22
	v_fmac_f32_e32 v21, 0x3377d1cf, v9
	v_fmac_f32_e32 v20, 0x3f317217, v0
	v_cndmask_b32_e32 v1, v1, v19, vcc
	v_cmp_lt_f32_e64 vcc, |v0|, s14
	v_fmac_f32_e32 v22, 0x3377d1cf, v8
	v_fmac_f32_e32 v21, 0x3f317217, v9
	v_cndmask_b32_e32 v0, v0, v20, vcc
	v_cmp_lt_f32_e64 vcc, |v9|, s14
	v_cndmask_b32_e64 v15, 0, v16, s[2:3]
	v_fmac_f32_e32 v22, 0x3f317217, v8
	v_cndmask_b32_e32 v9, v9, v21, vcc
	v_cmp_lt_f32_e64 vcc, |v8|, s14
	v_sub_f32_e32 v0, v0, v15
	v_sub_f32_e32 v1, v1, v14
	v_cndmask_b32_e32 v8, v8, v22, vcc
	v_cmp_lt_f32_e32 vcc, s9, v11
	v_cndmask_b32_e64 v18, 0, v16, s[4:5]
	v_sub_f32_e32 v9, v9, v18
	v_cndmask_b32_e32 v0, v0, v11, vcc
	v_cmp_lt_f32_e32 vcc, s9, v10
	v_mul_f32_e32 v11, 0x4f800000, v0
	v_cmp_gt_f32_e64 s[2:3], s12, v0
	v_cndmask_b32_e32 v1, v1, v10, vcc
	v_mul_f32_e32 v10, 0x4f800000, v1
	v_cmp_gt_f32_e32 vcc, s12, v1
	v_cndmask_b32_e64 v0, v0, v11, s[2:3]
	v_sqrt_f32_e32 v11, v0
	v_cndmask_b32_e32 v1, v1, v10, vcc
	v_sqrt_f32_e32 v10, v1
	v_add_u32_e32 v18, -1, v11
	v_fma_f32 v22, -v18, v11, v0
	v_add_u32_e32 v14, -1, v10
	v_fma_f32 v20, -v14, v10, v1
	v_add_u32_e32 v15, 1, v10
	v_cmp_ge_f32_e64 s[4:5], 0, v20
	v_add_u32_e32 v19, 1, v11
	v_fma_f32 v21, -v15, v10, v1
	v_cndmask_b32_e64 v10, v10, v14, s[4:5]
	v_cmp_ge_f32_e64 s[4:5], 0, v22
	v_fma_f32 v23, -v19, v11, v0
	s_nop 0
	v_cndmask_b32_e64 v11, v11, v18, s[4:5]
	v_cmp_lt_f32_e64 s[4:5], 0, v21
	v_and_b32_e32 v18, 0xffff0000, v3
	v_lshlrev_b32_e32 v3, 16, v3
	v_cndmask_b32_e64 v10, v10, v15, s[4:5]
	v_cmp_lt_f32_e64 s[4:5], 0, v23
	v_mul_f32_e32 v14, 0x37800000, v10
	v_cndmask_b32_e32 v10, v10, v14, vcc
	v_cndmask_b32_e64 v11, v11, v19, s[4:5]
	v_mul_f32_e32 v15, 0x37800000, v11
	v_cmp_class_f32_e32 vcc, v1, v17
	v_cndmask_b32_e64 v11, v11, v15, s[2:3]
	v_cmp_lt_f32_e64 s[2:3], s9, v13
	v_cndmask_b32_e32 v10, v10, v1, vcc
	v_cmp_class_f32_e32 vcc, v0, v17
	v_and_b32_e32 v15, 0xffff0000, v2
	v_lshlrev_b32_e32 v2, 16, v2
	v_cndmask_b32_e32 v11, v11, v0, vcc
	v_cmp_lt_f32_e32 vcc, s9, v12
	v_cndmask_b32_e64 v0, 0, v16, s[6:7]
	v_sub_f32_e32 v0, v8, v0
	v_cndmask_b32_e32 v1, v9, v12, vcc
	v_mul_f32_e32 v9, 0x4f800000, v1
	v_cmp_gt_f32_e32 vcc, s12, v1
	v_cndmask_b32_e64 v0, v0, v13, s[2:3]
	s_nop 0
	v_cndmask_b32_e32 v1, v1, v9, vcc
	v_sqrt_f32_e32 v9, v1
	s_nop 0
	v_add_u32_e32 v8, -1, v9
	v_fma_f32 v12, -v8, v9, v1
	v_cmp_ge_f32_e64 s[2:3], 0, v12
	v_add_u32_e32 v12, 1, v9
	s_nop 0
	v_cndmask_b32_e64 v8, v9, v8, s[2:3]
	v_fma_f32 v9, -v12, v9, v1
	v_cmp_lt_f32_e64 s[2:3], 0, v9
	s_nop 1
	v_cndmask_b32_e64 v8, v8, v12, s[2:3]
	v_mul_f32_e32 v12, 0x4f800000, v0
	v_cmp_gt_f32_e64 s[2:3], s12, v0
	v_mul_f32_e32 v9, 0x37800000, v8
	v_cndmask_b32_e32 v8, v8, v9, vcc
	v_cndmask_b32_e64 v13, v0, v12, s[2:3]
	v_sqrt_f32_e32 v0, v13
	v_cmp_class_f32_e32 vcc, v1, v17
	v_add_u32_e32 v9, 1, v0
	s_nop 0
	v_cndmask_b32_e32 v12, v8, v1, vcc
	v_add_u32_e32 v1, -1, v0
	v_fma_f32 v8, -v1, v0, v13
	v_cmp_ge_f32_e32 vcc, 0, v8
	v_fma_f32 v14, -v9, v0, v13
	s_nop 0
	v_cndmask_b32_e32 v8, v0, v1, vcc
	v_mul_f32_e32 v0, 0x3fb8aa3b, v2
	v_mul_f32_e32 v1, 0x3fb8aa3b, v15
	v_exp_f32_e32 v0, v0
	v_exp_f32_e32 v1, v1
	v_cmp_lt_f32_e32 vcc, 0, v14
	v_pk_add_f32 v[0:1], v[0:1], 1.0 op_sel_hi:[1,0]
	s_nop 0
	v_cndmask_b32_e32 v8, v8, v9, vcc
	v_cmp_gt_f32_e32 vcc, s15, v1
	v_mul_f32_e32 v9, 0x37800000, v8
	v_cndmask_b32_e64 v8, v8, v9, s[2:3]
	v_cndmask_b32_e32 v14, 1.0, v7, vcc
	v_mul_f32_e32 v1, v1, v14
	v_log_f32_e32 v1, v1
	v_cmp_class_f32_e64 s[2:3], v13, v17
	v_cmp_lt_f32_e64 s[4:5], |v1|, s14
	s_nop 0
	v_cndmask_b32_e64 v13, v8, v13, s[2:3]
	v_cmp_gt_f32_e64 s[2:3], s15, v0
	v_mul_f32_e32 v8, 0x3f317217, v1
	v_fma_f32 v8, v1, s13, -v8
	v_cndmask_b32_e64 v9, 1.0, v7, s[2:3]
	v_mul_f32_e32 v0, v0, v9
	v_log_f32_e32 v0, v0
	v_fmac_f32_e32 v8, 0x3377d1cf, v1
	v_fmac_f32_e32 v8, 0x3f317217, v1
	v_cndmask_b32_e64 v1, v1, v8, s[4:5]
	v_cndmask_b32_e32 v8, 0, v16, vcc
	v_sub_f32_e32 v1, v1, v8
	v_mul_f32_e32 v8, 0x3f317217, v0
	v_fma_f32 v8, v0, s13, -v8
	v_fmac_f32_e32 v8, 0x3377d1cf, v0
	v_fmac_f32_e32 v8, 0x3f317217, v0
	v_cmp_lt_f32_e64 vcc, |v0|, s14
	s_nop 1
	v_cndmask_b32_e32 v0, v0, v8, vcc
	v_cmp_lt_f32_e32 vcc, s9, v15
	v_cndmask_b32_e64 v8, 0, v16, s[2:3]
	v_sub_f32_e32 v0, v0, v8
	v_cndmask_b32_e32 v1, v1, v15, vcc
	v_mul_f32_e32 v9, 0x4f800000, v1
	v_cmp_gt_f32_e32 vcc, s12, v1
	v_cmp_lt_f32_e64 s[2:3], s9, v2
	s_nop 0
	v_cndmask_b32_e32 v1, v1, v9, vcc
	v_sqrt_f32_e32 v9, v1
	v_cndmask_b32_e64 v0, v0, v2, s[2:3]
	v_add_u32_e32 v2, -1, v9
	v_fma_f32 v8, -v2, v9, v1
	v_cmp_ge_f32_e64 s[2:3], 0, v8
	v_add_u32_e32 v8, 1, v9
	s_nop 0
	v_cndmask_b32_e64 v2, v9, v2, s[2:3]
	v_fma_f32 v9, -v8, v9, v1
	v_cmp_lt_f32_e64 s[2:3], 0, v9
	v_mul_f32_e32 v9, 0x4f800000, v0
	s_nop 0
	v_cndmask_b32_e64 v2, v2, v8, s[2:3]
	v_cmp_gt_f32_e64 s[2:3], s12, v0
	v_mul_f32_e32 v8, 0x37800000, v2
	v_cndmask_b32_e32 v2, v2, v8, vcc
	v_cndmask_b32_e64 v9, v0, v9, s[2:3]
	v_sqrt_f32_e32 v0, v9
	v_cmp_class_f32_e32 vcc, v1, v17
	v_add_u32_e32 v8, 1, v0
	s_nop 0
	v_cndmask_b32_e32 v14, v2, v1, vcc
	v_add_u32_e32 v1, -1, v0
	v_fma_f32 v2, -v1, v0, v9
	v_cmp_ge_f32_e32 vcc, 0, v2
	v_fma_f32 v15, -v8, v0, v9
	s_nop 0
	v_cndmask_b32_e32 v2, v0, v1, vcc
	v_mul_f32_e32 v0, 0x3fb8aa3b, v3
	v_mul_f32_e32 v1, 0x3fb8aa3b, v18
	v_exp_f32_e32 v0, v0
	v_exp_f32_e32 v1, v1
	v_cmp_lt_f32_e32 vcc, 0, v15
	v_pk_add_f32 v[0:1], v[0:1], 1.0 op_sel_hi:[1,0]
	s_nop 0
	v_cndmask_b32_e32 v2, v2, v8, vcc
	v_cmp_gt_f32_e32 vcc, s15, v1
	v_mul_f32_e32 v8, 0x37800000, v2
	v_cndmask_b32_e64 v2, v2, v8, s[2:3]
	v_cndmask_b32_e32 v15, 1.0, v7, vcc
	v_mul_f32_e32 v1, v1, v15
	v_log_f32_e32 v1, v1
	v_cmp_class_f32_e64 s[2:3], v9, v17
	v_cmp_lt_f32_e64 s[4:5], |v1|, s14
	s_nop 0
	v_cndmask_b32_e64 v15, v2, v9, s[2:3]
	v_cmp_gt_f32_e64 s[2:3], s15, v0
	v_mul_f32_e32 v2, 0x3f317217, v1
	v_fma_f32 v2, v1, s13, -v2
	v_cndmask_b32_e64 v7, 1.0, v7, s[2:3]
	v_mul_f32_e32 v0, v0, v7
	v_log_f32_e32 v0, v0
	v_fmac_f32_e32 v2, 0x3377d1cf, v1
	v_fmac_f32_e32 v2, 0x3f317217, v1
	v_cndmask_b32_e64 v1, v1, v2, s[4:5]
	v_cndmask_b32_e32 v2, 0, v16, vcc
	v_sub_f32_e32 v1, v1, v2
	v_mul_f32_e32 v2, 0x3f317217, v0
	v_fma_f32 v2, v0, s13, -v2
	v_fmac_f32_e32 v2, 0x3377d1cf, v0
	v_fmac_f32_e32 v2, 0x3f317217, v0
	v_cmp_lt_f32_e64 vcc, |v0|, s14
	s_nop 1
	v_cndmask_b32_e32 v0, v0, v2, vcc
	v_cmp_lt_f32_e32 vcc, s9, v18
	v_cndmask_b32_e64 v2, 0, v16, s[2:3]
	v_sub_f32_e32 v0, v0, v2
	v_cndmask_b32_e32 v1, v1, v18, vcc
	v_mul_f32_e32 v7, 0x4f800000, v1
	v_cmp_gt_f32_e32 vcc, s12, v1
	v_cmp_lt_f32_e64 s[2:3], s9, v3
	s_nop 0
	v_cndmask_b32_e32 v1, v1, v7, vcc
	v_sqrt_f32_e32 v7, v1
	v_cndmask_b32_e64 v0, v0, v3, s[2:3]
	v_add_u32_e32 v2, -1, v7
	v_fma_f32 v3, -v2, v7, v1
	v_cmp_ge_f32_e64 s[2:3], 0, v3
	v_add_u32_e32 v3, 1, v7
	s_nop 0
	v_cndmask_b32_e64 v2, v7, v2, s[2:3]
	v_fma_f32 v7, -v3, v7, v1
	v_cmp_lt_f32_e64 s[2:3], 0, v7
	v_mul_f32_e32 v7, 0x4f800000, v0
	s_nop 0
	v_cndmask_b32_e64 v2, v2, v3, s[2:3]
	v_cmp_gt_f32_e64 s[2:3], s12, v0
	v_mul_f32_e32 v3, 0x37800000, v2
	v_cndmask_b32_e32 v2, v2, v3, vcc
	v_cndmask_b32_e64 v0, v0, v7, s[2:3]
	v_sqrt_f32_e32 v7, v0
	v_cmp_class_f32_e32 vcc, v1, v17
	s_nop 1
	v_cndmask_b32_e32 v16, v2, v1, vcc
	v_add_u32_e32 v1, -1, v7
	v_fma_f32 v2, -v1, v7, v0
	v_cmp_ge_f32_e32 vcc, 0, v2
	v_add_u32_e32 v2, 1, v7
	v_fma_f32 v3, -v2, v7, v0
	v_cndmask_b32_e32 v1, v7, v1, vcc
	v_cmp_lt_f32_e32 vcc, 0, v3
	s_nop 1
	v_cndmask_b32_e32 v1, v1, v2, vcc
	v_mul_f32_e32 v2, 0x37800000, v1
	v_cndmask_b32_e64 v1, v1, v2, s[2:3]
	v_cmp_class_f32_e32 vcc, v0, v17
	v_lshl_add_u64 v[2:3], v[4:5], 2, s[10:11]
	s_cselect_b64 s[2:3], -1, 0
	v_cndmask_b32_e32 v17, v1, v0, vcc
	s_cmp_lt_i32 s16, 1
	v_mul_lo_u32 v0, v6, s16
	s_cbranch_scc1 .LBB432_21
; %bb.2:
	s_load_dwordx2 s[4:5], s[0:1], 0x20
	s_cmp_lt_u32 s16, 4
	s_cbranch_scc1 .LBB432_22
; %bb.3:
	s_mov_b32 s7, 0
	s_and_b32 s8, s16, 0x7ffffffc
	v_ashrrev_i32_e32 v1, 31, v0
	v_mov_b32_e32 v18, 0
	s_mov_b32 s6, s7
	s_branch .LBB432_5
.LBB432_4:                              ;   in Loop: Header=BB432_5 Depth=1
	s_or_b64 exec, exec, s[12:13]
	s_add_i32 s6, s6, 4
	s_cmp_eq_u32 s6, s8
	s_cbranch_scc1 .LBB432_23
.LBB432_5:                              ; =>This Loop Header: Depth=1
                                        ;     Child Loop BB432_7 Depth 2
                                        ;     Child Loop BB432_11 Depth 2
	;; [unrolled: 1-line block ×4, first 2 shown]
	v_lshl_add_u64 v[6:7], s[6:7], 2, v[2:3]
	global_load_dword v19, v[6:7], off
	v_add_u32_e32 v8, s6, v0
	v_ashrrev_i32_e32 v9, 31, v8
	s_mov_b64 s[12:13], 0
	s_waitcnt lgkmcnt(0)
	v_lshl_add_u64 v[8:9], v[8:9], 2, s[4:5]
	s_mov_b32 s9, 0
	s_waitcnt vmcnt(0)
	v_cmp_eq_u32_e32 vcc, 1, v19
	s_nop 1
	v_cndmask_b32_e32 v21, v11, v10, vcc
	v_cmp_eq_u32_e32 vcc, 2, v19
	v_min_u32_e32 v20, 7, v19
	v_add_u32_e32 v20, 1, v20
	v_cndmask_b32_e32 v21, v21, v13, vcc
	v_cmp_eq_u32_e32 vcc, 3, v19
	s_nop 1
	v_cndmask_b32_e32 v21, v21, v12, vcc
	v_cmp_eq_u32_e32 vcc, 4, v19
	s_nop 1
	;; [unrolled: 3-line block ×5, first 2 shown]
	v_cndmask_b32_e32 v21, v21, v16, vcc
	s_branch .LBB432_7
.LBB432_6:                              ;   in Loop: Header=BB432_7 Depth=2
	s_or_b64 exec, exec, s[14:15]
	s_add_i32 s9, s9, 1
	v_cmp_eq_u32_e32 vcc, s9, v20
	s_or_b64 s[12:13], vcc, s[12:13]
	s_andn2_b64 exec, exec, s[12:13]
	s_cbranch_execz .LBB432_9
.LBB432_7:                              ;   Parent Loop BB432_5 Depth=1
                                        ; =>  This Inner Loop Header: Depth=2
	v_cmp_eq_u32_e32 vcc, s9, v19
	s_and_saveexec_b64 s[14:15], vcc
	s_cbranch_execz .LBB432_6
; %bb.8:                                ;   in Loop: Header=BB432_7 Depth=2
	v_add_f32_e32 v18, v18, v21
	global_store_dword v[8:9], v19, off
	s_branch .LBB432_6
.LBB432_9:                              ;   in Loop: Header=BB432_5 Depth=1
	s_or_b64 exec, exec, s[12:13]
	global_load_dword v19, v[6:7], off offset:4
	s_ashr_i32 s13, s6, 31
	s_mov_b32 s12, s6
	v_lshl_add_u64 v[8:9], s[12:13], 0, v[0:1]
	s_mov_b32 s9, 0
	v_lshl_add_u64 v[8:9], v[8:9], 2, s[4:5]
	s_mov_b64 s[12:13], 0
	s_waitcnt vmcnt(0)
	v_cmp_eq_u32_e32 vcc, 1, v19
	s_nop 1
	v_cndmask_b32_e32 v21, v11, v10, vcc
	v_cmp_eq_u32_e32 vcc, 2, v19
	v_min_u32_e32 v20, 7, v19
	v_add_u32_e32 v20, 1, v20
	v_cndmask_b32_e32 v21, v21, v13, vcc
	v_cmp_eq_u32_e32 vcc, 3, v19
	s_nop 1
	v_cndmask_b32_e32 v21, v21, v12, vcc
	v_cmp_eq_u32_e32 vcc, 4, v19
	s_nop 1
	;; [unrolled: 3-line block ×5, first 2 shown]
	v_cndmask_b32_e32 v21, v21, v16, vcc
	s_branch .LBB432_11
.LBB432_10:                             ;   in Loop: Header=BB432_11 Depth=2
	s_or_b64 exec, exec, s[14:15]
	s_add_i32 s9, s9, 1
	v_cmp_eq_u32_e32 vcc, s9, v20
	s_or_b64 s[12:13], vcc, s[12:13]
	s_andn2_b64 exec, exec, s[12:13]
	s_cbranch_execz .LBB432_13
.LBB432_11:                             ;   Parent Loop BB432_5 Depth=1
                                        ; =>  This Inner Loop Header: Depth=2
	v_cmp_eq_u32_e32 vcc, s9, v19
	s_and_saveexec_b64 s[14:15], vcc
	s_cbranch_execz .LBB432_10
; %bb.12:                               ;   in Loop: Header=BB432_11 Depth=2
	v_add_f32_e32 v18, v18, v21
	global_store_dword v[8:9], v19, off offset:4
	s_branch .LBB432_10
.LBB432_13:                             ;   in Loop: Header=BB432_5 Depth=1
	s_or_b64 exec, exec, s[12:13]
	global_load_dword v19, v[6:7], off offset:8
	s_mov_b32 s9, 0
	s_mov_b64 s[12:13], 0
	s_waitcnt vmcnt(0)
	v_cmp_eq_u32_e32 vcc, 1, v19
	s_nop 1
	v_cndmask_b32_e32 v21, v11, v10, vcc
	v_cmp_eq_u32_e32 vcc, 2, v19
	v_min_u32_e32 v20, 7, v19
	v_add_u32_e32 v20, 1, v20
	v_cndmask_b32_e32 v21, v21, v13, vcc
	v_cmp_eq_u32_e32 vcc, 3, v19
	s_nop 1
	v_cndmask_b32_e32 v21, v21, v12, vcc
	v_cmp_eq_u32_e32 vcc, 4, v19
	s_nop 1
	;; [unrolled: 3-line block ×5, first 2 shown]
	v_cndmask_b32_e32 v21, v21, v16, vcc
	s_branch .LBB432_15
.LBB432_14:                             ;   in Loop: Header=BB432_15 Depth=2
	s_or_b64 exec, exec, s[14:15]
	s_add_i32 s9, s9, 1
	v_cmp_eq_u32_e32 vcc, s9, v20
	s_or_b64 s[12:13], vcc, s[12:13]
	s_andn2_b64 exec, exec, s[12:13]
	s_cbranch_execz .LBB432_17
.LBB432_15:                             ;   Parent Loop BB432_5 Depth=1
                                        ; =>  This Inner Loop Header: Depth=2
	v_cmp_eq_u32_e32 vcc, s9, v19
	s_and_saveexec_b64 s[14:15], vcc
	s_cbranch_execz .LBB432_14
; %bb.16:                               ;   in Loop: Header=BB432_15 Depth=2
	v_add_f32_e32 v18, v18, v21
	global_store_dword v[8:9], v19, off offset:8
	s_branch .LBB432_14
.LBB432_17:                             ;   in Loop: Header=BB432_5 Depth=1
	s_or_b64 exec, exec, s[12:13]
	global_load_dword v6, v[6:7], off offset:12
	s_mov_b32 s9, 0
	s_mov_b64 s[12:13], 0
	s_waitcnt vmcnt(0)
	v_cmp_eq_u32_e32 vcc, 1, v6
	s_nop 1
	v_cndmask_b32_e32 v19, v11, v10, vcc
	v_cmp_eq_u32_e32 vcc, 2, v6
	v_min_u32_e32 v7, 7, v6
	v_add_u32_e32 v7, 1, v7
	v_cndmask_b32_e32 v19, v19, v13, vcc
	v_cmp_eq_u32_e32 vcc, 3, v6
	s_nop 1
	v_cndmask_b32_e32 v19, v19, v12, vcc
	v_cmp_eq_u32_e32 vcc, 4, v6
	s_nop 1
	v_cndmask_b32_e32 v19, v19, v15, vcc
	v_cmp_eq_u32_e32 vcc, 5, v6
	s_nop 1
	v_cndmask_b32_e32 v19, v19, v14, vcc
	v_cmp_eq_u32_e32 vcc, 6, v6
	s_nop 1
	v_cndmask_b32_e32 v19, v19, v17, vcc
	v_cmp_eq_u32_e32 vcc, 7, v6
	s_nop 1
	v_cndmask_b32_e32 v19, v19, v16, vcc
	s_branch .LBB432_19
.LBB432_18:                             ;   in Loop: Header=BB432_19 Depth=2
	s_or_b64 exec, exec, s[14:15]
	s_add_i32 s9, s9, 1
	v_cmp_eq_u32_e32 vcc, s9, v7
	s_or_b64 s[12:13], vcc, s[12:13]
	s_andn2_b64 exec, exec, s[12:13]
	s_cbranch_execz .LBB432_4
.LBB432_19:                             ;   Parent Loop BB432_5 Depth=1
                                        ; =>  This Inner Loop Header: Depth=2
	v_cmp_eq_u32_e32 vcc, s9, v6
	s_and_saveexec_b64 s[14:15], vcc
	s_cbranch_execz .LBB432_18
; %bb.20:                               ;   in Loop: Header=BB432_19 Depth=2
	v_add_f32_e32 v18, v18, v19
	global_store_dword v[8:9], v6, off offset:12
	s_branch .LBB432_18
.LBB432_21:
	v_mov_b32_e32 v18, v5
	s_branch .LBB432_30
.LBB432_22:
	v_mov_b32_e32 v18, v5
.LBB432_23:
	s_and_b32 s14, s16, 3
	s_cmp_eq_u32 s14, 0
	s_mov_b32 s9, 0
	s_cbranch_scc1 .LBB432_30
; %bb.24:
	s_mov_b32 s15, s9
	s_branch .LBB432_26
.LBB432_25:                             ;   in Loop: Header=BB432_26 Depth=1
	s_or_b64 exec, exec, s[6:7]
	s_add_i32 s8, s8, 1
	s_add_i32 s15, s15, 1
	s_cmp_lg_u32 s15, s14
	s_cbranch_scc0 .LBB432_30
.LBB432_26:                             ; =>This Loop Header: Depth=1
                                        ;     Child Loop BB432_28 Depth 2
	v_lshl_add_u64 v[6:7], s[8:9], 2, v[2:3]
	global_load_dword v1, v[6:7], off
	v_add_u32_e32 v6, s8, v0
	v_ashrrev_i32_e32 v7, 31, v6
	s_mov_b32 s17, 0
	s_waitcnt lgkmcnt(0)
	v_lshl_add_u64 v[6:7], v[6:7], 2, s[4:5]
	s_mov_b64 s[6:7], 0
	s_waitcnt vmcnt(0)
	v_cmp_eq_u32_e32 vcc, 1, v1
	s_nop 1
	v_cndmask_b32_e32 v9, v11, v10, vcc
	v_cmp_eq_u32_e32 vcc, 2, v1
	v_min_u32_e32 v8, 7, v1
	v_add_u32_e32 v8, 1, v8
	v_cndmask_b32_e32 v9, v9, v13, vcc
	v_cmp_eq_u32_e32 vcc, 3, v1
	s_nop 1
	v_cndmask_b32_e32 v9, v9, v12, vcc
	v_cmp_eq_u32_e32 vcc, 4, v1
	s_nop 1
	;; [unrolled: 3-line block ×5, first 2 shown]
	v_cndmask_b32_e32 v9, v9, v16, vcc
	s_branch .LBB432_28
.LBB432_27:                             ;   in Loop: Header=BB432_28 Depth=2
	s_or_b64 exec, exec, s[12:13]
	s_add_i32 s17, s17, 1
	v_cmp_eq_u32_e32 vcc, s17, v8
	s_or_b64 s[6:7], vcc, s[6:7]
	s_andn2_b64 exec, exec, s[6:7]
	s_cbranch_execz .LBB432_25
.LBB432_28:                             ;   Parent Loop BB432_26 Depth=1
                                        ; =>  This Inner Loop Header: Depth=2
	v_cmp_eq_u32_e32 vcc, s17, v1
	s_and_saveexec_b64 s[12:13], vcc
	s_cbranch_execz .LBB432_27
; %bb.29:                               ;   in Loop: Header=BB432_28 Depth=2
	v_add_f32_e32 v18, v18, v9
	global_store_dword v[6:7], v1, off
	s_branch .LBB432_27
.LBB432_30:
	s_load_dword s6, s[0:1], 0x3c
	s_waitcnt lgkmcnt(0)
	s_load_dwordx2 s[4:5], s[0:1], 0x40
	s_bitcmp1_b32 s6, 0
	s_cselect_b64 s[6:7], -1, 0
	s_waitcnt lgkmcnt(0)
	v_cvt_f32_f64_e32 v19, s[4:5]
	s_and_b64 vcc, exec, s[6:7]
	s_cbranch_vccz .LBB432_32
; %bb.31:
	v_cmp_lt_f32_e32 vcc, 0, v18
	s_nop 1
	v_cndmask_b32_e32 v1, 1.0, v18, vcc
	v_div_scale_f32 v6, s[4:5], v1, v1, v19
	v_rcp_f32_e32 v7, v6
	s_nop 0
	v_fma_f32 v8, -v6, v7, 1.0
	v_fmac_f32_e32 v7, v8, v7
	v_div_scale_f32 v8, vcc, v19, v1, v19
	v_mul_f32_e32 v9, v8, v7
	v_fma_f32 v18, -v6, v9, v8
	v_fmac_f32_e32 v9, v18, v7
	v_fma_f32 v6, -v6, v9, v8
	v_div_fmas_f32 v6, v6, v7, v9
	v_div_fixup_f32 v19, v6, v1, v19
.LBB432_32:
	s_andn2_b64 vcc, exec, s[2:3]
	s_cbranch_vccnz .LBB432_57
; %bb.33:
	s_load_dwordx2 s[0:1], s[0:1], 0x10
	s_cmp_lt_u32 s16, 8
	s_mov_b32 s2, 0
	s_cbranch_scc1 .LBB432_52
; %bb.34:
	v_ashrrev_i32_e32 v1, 31, v0
	s_and_b32 s2, s16, 0x7ffffff8
	s_waitcnt lgkmcnt(0)
	v_lshl_add_u64 v[6:7], v[0:1], 2, s[0:1]
	s_mov_b32 s3, 0
	s_mov_b64 s[4:5], 0
	s_branch .LBB432_36
.LBB432_35:                             ;   in Loop: Header=BB432_36 Depth=1
	s_or_b64 exec, exec, s[6:7]
	s_add_i32 s3, s3, 8
	s_add_u32 s4, s4, 32
	s_addc_u32 s5, s5, 0
	s_cmp_eq_u32 s2, s3
	s_cbranch_scc1 .LBB432_52
.LBB432_36:                             ; =>This Inner Loop Header: Depth=1
	v_lshl_add_u64 v[8:9], v[2:3], 0, s[4:5]
	global_load_dword v1, v[8:9], off
	s_waitcnt vmcnt(0)
	v_cmp_gt_u32_e32 vcc, 8, v1
	s_and_saveexec_b64 s[6:7], vcc
	s_cbranch_execz .LBB432_38
; %bb.37:                               ;   in Loop: Header=BB432_36 Depth=1
	v_cmp_eq_u32_e32 vcc, 1, v1
	v_add_u32_e32 v20, s3, v0
	v_ashrrev_i32_e32 v21, 31, v20
	v_cndmask_b32_e32 v18, v11, v10, vcc
	v_cmp_eq_u32_e32 vcc, 2, v1
	v_lshl_add_u64 v[20:21], v[20:21], 2, s[0:1]
	s_nop 0
	v_cndmask_b32_e32 v18, v18, v13, vcc
	v_cmp_eq_u32_e32 vcc, 3, v1
	s_nop 1
	v_cndmask_b32_e32 v18, v18, v12, vcc
	v_cmp_eq_u32_e32 vcc, 4, v1
	;; [unrolled: 3-line block ×5, first 2 shown]
	s_nop 1
	v_cndmask_b32_e32 v1, v18, v16, vcc
	v_mul_f32_e32 v1, v19, v1
	global_store_dword v[20:21], v1, off
.LBB432_38:                             ;   in Loop: Header=BB432_36 Depth=1
	s_or_b64 exec, exec, s[6:7]
	global_load_dword v1, v[8:9], off offset:4
	s_waitcnt vmcnt(0)
	v_cmp_gt_u32_e32 vcc, 8, v1
	s_and_saveexec_b64 s[6:7], vcc
	s_cbranch_execz .LBB432_40
; %bb.39:                               ;   in Loop: Header=BB432_36 Depth=1
	v_cmp_eq_u32_e32 vcc, 1, v1
	v_lshl_add_u64 v[20:21], v[6:7], 0, s[4:5]
	s_nop 0
	v_cndmask_b32_e32 v18, v11, v10, vcc
	v_cmp_eq_u32_e32 vcc, 2, v1
	s_nop 1
	v_cndmask_b32_e32 v18, v18, v13, vcc
	v_cmp_eq_u32_e32 vcc, 3, v1
	s_nop 1
	v_cndmask_b32_e32 v18, v18, v12, vcc
	v_cmp_eq_u32_e32 vcc, 4, v1
	s_nop 1
	v_cndmask_b32_e32 v18, v18, v15, vcc
	v_cmp_eq_u32_e32 vcc, 5, v1
	s_nop 1
	v_cndmask_b32_e32 v18, v18, v14, vcc
	v_cmp_eq_u32_e32 vcc, 6, v1
	s_nop 1
	v_cndmask_b32_e32 v18, v18, v17, vcc
	v_cmp_eq_u32_e32 vcc, 7, v1
	s_nop 1
	v_cndmask_b32_e32 v1, v18, v16, vcc
	v_mul_f32_e32 v1, v19, v1
	global_store_dword v[20:21], v1, off offset:4
.LBB432_40:                             ;   in Loop: Header=BB432_36 Depth=1
	s_or_b64 exec, exec, s[6:7]
	global_load_dword v1, v[8:9], off offset:8
	s_waitcnt vmcnt(0)
	v_cmp_gt_u32_e32 vcc, 8, v1
	s_and_saveexec_b64 s[6:7], vcc
	s_cbranch_execz .LBB432_42
; %bb.41:                               ;   in Loop: Header=BB432_36 Depth=1
	v_cmp_eq_u32_e32 vcc, 1, v1
	v_lshl_add_u64 v[20:21], v[6:7], 0, s[4:5]
	s_nop 0
	v_cndmask_b32_e32 v18, v11, v10, vcc
	v_cmp_eq_u32_e32 vcc, 2, v1
	s_nop 1
	v_cndmask_b32_e32 v18, v18, v13, vcc
	v_cmp_eq_u32_e32 vcc, 3, v1
	s_nop 1
	v_cndmask_b32_e32 v18, v18, v12, vcc
	v_cmp_eq_u32_e32 vcc, 4, v1
	s_nop 1
	v_cndmask_b32_e32 v18, v18, v15, vcc
	v_cmp_eq_u32_e32 vcc, 5, v1
	s_nop 1
	v_cndmask_b32_e32 v18, v18, v14, vcc
	v_cmp_eq_u32_e32 vcc, 6, v1
	s_nop 1
	v_cndmask_b32_e32 v18, v18, v17, vcc
	v_cmp_eq_u32_e32 vcc, 7, v1
	s_nop 1
	v_cndmask_b32_e32 v1, v18, v16, vcc
	v_mul_f32_e32 v1, v19, v1
	global_store_dword v[20:21], v1, off offset:8
.LBB432_42:                             ;   in Loop: Header=BB432_36 Depth=1
	;; [unrolled: 32-line block ×6, first 2 shown]
	s_or_b64 exec, exec, s[6:7]
	global_load_dword v1, v[8:9], off offset:28
	s_waitcnt vmcnt(0)
	v_cmp_gt_u32_e32 vcc, 8, v1
	s_and_saveexec_b64 s[6:7], vcc
	s_cbranch_execz .LBB432_35
; %bb.51:                               ;   in Loop: Header=BB432_36 Depth=1
	v_cmp_eq_u32_e32 vcc, 1, v1
	s_nop 1
	v_cndmask_b32_e32 v8, v11, v10, vcc
	v_cmp_eq_u32_e32 vcc, 2, v1
	s_nop 1
	v_cndmask_b32_e32 v8, v8, v13, vcc
	;; [unrolled: 3-line block ×7, first 2 shown]
	v_mul_f32_e32 v1, v19, v1
	v_lshl_add_u64 v[8:9], v[6:7], 0, s[4:5]
	global_store_dword v[8:9], v1, off offset:28
	s_branch .LBB432_35
.LBB432_52:
	s_and_b32 s4, s16, 7
	s_cmp_eq_u32 s4, 0
	s_mov_b32 s3, 0
	s_cbranch_scc1 .LBB432_57
; %bb.53:
	v_add_u32_e32 v0, s2, v0
	s_lshl_b64 s[2:3], s[2:3], 2
	s_add_u32 s2, s10, s2
	s_addc_u32 s3, s11, s3
	v_lshl_add_u64 v[2:3], v[4:5], 2, s[2:3]
	s_branch .LBB432_55
.LBB432_54:                             ;   in Loop: Header=BB432_55 Depth=1
	s_or_b64 exec, exec, s[2:3]
	s_add_i32 s4, s4, -1
	v_add_u32_e32 v0, 1, v0
	s_cmp_eq_u32 s4, 0
	v_lshl_add_u64 v[2:3], v[2:3], 0, 4
	s_cbranch_scc1 .LBB432_57
.LBB432_55:                             ; =>This Inner Loop Header: Depth=1
	global_load_dword v1, v[2:3], off
	s_waitcnt vmcnt(0)
	v_cmp_gt_u32_e32 vcc, 8, v1
	s_and_saveexec_b64 s[2:3], vcc
	s_cbranch_execz .LBB432_54
; %bb.56:                               ;   in Loop: Header=BB432_55 Depth=1
	v_cmp_eq_u32_e32 vcc, 1, v1
	s_nop 1
	v_cndmask_b32_e32 v4, v11, v10, vcc
	v_cmp_eq_u32_e32 vcc, 2, v1
	s_nop 1
	v_cndmask_b32_e32 v4, v4, v13, vcc
	;; [unrolled: 3-line block ×7, first 2 shown]
	v_mul_f32_e32 v6, v19, v1
	v_ashrrev_i32_e32 v1, 31, v0
	s_waitcnt lgkmcnt(0)
	v_lshl_add_u64 v[4:5], v[0:1], 2, s[0:1]
	global_store_dword v[4:5], v6, off
	s_branch .LBB432_54
.LBB432_57:
	s_endpgm
	.section	.rodata,"a",@progbits
	.p2align	6, 0x0
	.amdhsa_kernel _ZN4vllm3moe22topkGatingSoftplusSqrtILi8ELi8ELi4ELi16ELi64ELb1Ej14__hip_bfloat16EEvPKT6_PKbPfiPT5_PiiiibdPKfPKS9_SF_
		.amdhsa_group_segment_fixed_size 0
		.amdhsa_private_segment_fixed_size 0
		.amdhsa_kernarg_size 96
		.amdhsa_user_sgpr_count 2
		.amdhsa_user_sgpr_dispatch_ptr 0
		.amdhsa_user_sgpr_queue_ptr 0
		.amdhsa_user_sgpr_kernarg_segment_ptr 1
		.amdhsa_user_sgpr_dispatch_id 0
		.amdhsa_user_sgpr_kernarg_preload_length 0
		.amdhsa_user_sgpr_kernarg_preload_offset 0
		.amdhsa_user_sgpr_private_segment_size 0
		.amdhsa_uses_dynamic_stack 0
		.amdhsa_enable_private_segment 0
		.amdhsa_system_sgpr_workgroup_id_x 1
		.amdhsa_system_sgpr_workgroup_id_y 0
		.amdhsa_system_sgpr_workgroup_id_z 0
		.amdhsa_system_sgpr_workgroup_info 0
		.amdhsa_system_vgpr_workitem_id 1
		.amdhsa_next_free_vgpr 24
		.amdhsa_next_free_sgpr 18
		.amdhsa_accum_offset 24
		.amdhsa_reserve_vcc 1
		.amdhsa_float_round_mode_32 0
		.amdhsa_float_round_mode_16_64 0
		.amdhsa_float_denorm_mode_32 3
		.amdhsa_float_denorm_mode_16_64 3
		.amdhsa_dx10_clamp 1
		.amdhsa_ieee_mode 1
		.amdhsa_fp16_overflow 0
		.amdhsa_tg_split 0
		.amdhsa_exception_fp_ieee_invalid_op 0
		.amdhsa_exception_fp_denorm_src 0
		.amdhsa_exception_fp_ieee_div_zero 0
		.amdhsa_exception_fp_ieee_overflow 0
		.amdhsa_exception_fp_ieee_underflow 0
		.amdhsa_exception_fp_ieee_inexact 0
		.amdhsa_exception_int_div_zero 0
	.end_amdhsa_kernel
	.section	.text._ZN4vllm3moe22topkGatingSoftplusSqrtILi8ELi8ELi4ELi16ELi64ELb1Ej14__hip_bfloat16EEvPKT6_PKbPfiPT5_PiiiibdPKfPKS9_SF_,"axG",@progbits,_ZN4vllm3moe22topkGatingSoftplusSqrtILi8ELi8ELi4ELi16ELi64ELb1Ej14__hip_bfloat16EEvPKT6_PKbPfiPT5_PiiiibdPKfPKS9_SF_,comdat
.Lfunc_end432:
	.size	_ZN4vllm3moe22topkGatingSoftplusSqrtILi8ELi8ELi4ELi16ELi64ELb1Ej14__hip_bfloat16EEvPKT6_PKbPfiPT5_PiiiibdPKfPKS9_SF_, .Lfunc_end432-_ZN4vllm3moe22topkGatingSoftplusSqrtILi8ELi8ELi4ELi16ELi64ELb1Ej14__hip_bfloat16EEvPKT6_PKbPfiPT5_PiiiibdPKfPKS9_SF_
                                        ; -- End function
	.section	.AMDGPU.csdata,"",@progbits
; Kernel info:
; codeLenInByte = 4540
; NumSgprs: 24
; NumVgprs: 24
; NumAgprs: 0
; TotalNumVgprs: 24
; ScratchSize: 0
; MemoryBound: 0
; FloatMode: 240
; IeeeMode: 1
; LDSByteSize: 0 bytes/workgroup (compile time only)
; SGPRBlocks: 2
; VGPRBlocks: 2
; NumSGPRsForWavesPerEU: 24
; NumVGPRsForWavesPerEU: 24
; AccumOffset: 24
; Occupancy: 8
; WaveLimiterHint : 1
; COMPUTE_PGM_RSRC2:SCRATCH_EN: 0
; COMPUTE_PGM_RSRC2:USER_SGPR: 2
; COMPUTE_PGM_RSRC2:TRAP_HANDLER: 0
; COMPUTE_PGM_RSRC2:TGID_X_EN: 1
; COMPUTE_PGM_RSRC2:TGID_Y_EN: 0
; COMPUTE_PGM_RSRC2:TGID_Z_EN: 0
; COMPUTE_PGM_RSRC2:TIDIG_COMP_CNT: 1
; COMPUTE_PGM_RSRC3_GFX90A:ACCUM_OFFSET: 5
; COMPUTE_PGM_RSRC3_GFX90A:TG_SPLIT: 0
	.section	.text._ZN4vllm3moe22topkGatingSoftplusSqrtILi8ELi8ELi4ELi16ELi64ELb0Ej14__hip_bfloat16EEvPKT6_PKbPfiPT5_PiiiibdPKfPKS9_SF_,"axG",@progbits,_ZN4vllm3moe22topkGatingSoftplusSqrtILi8ELi8ELi4ELi16ELi64ELb0Ej14__hip_bfloat16EEvPKT6_PKbPfiPT5_PiiiibdPKfPKS9_SF_,comdat
	.protected	_ZN4vllm3moe22topkGatingSoftplusSqrtILi8ELi8ELi4ELi16ELi64ELb0Ej14__hip_bfloat16EEvPKT6_PKbPfiPT5_PiiiibdPKfPKS9_SF_ ; -- Begin function _ZN4vllm3moe22topkGatingSoftplusSqrtILi8ELi8ELi4ELi16ELi64ELb0Ej14__hip_bfloat16EEvPKT6_PKbPfiPT5_PiiiibdPKfPKS9_SF_
	.globl	_ZN4vllm3moe22topkGatingSoftplusSqrtILi8ELi8ELi4ELi16ELi64ELb0Ej14__hip_bfloat16EEvPKT6_PKbPfiPT5_PiiiibdPKfPKS9_SF_
	.p2align	8
	.type	_ZN4vllm3moe22topkGatingSoftplusSqrtILi8ELi8ELi4ELi16ELi64ELb0Ej14__hip_bfloat16EEvPKT6_PKbPfiPT5_PiiiibdPKfPKS9_SF_,@function
_ZN4vllm3moe22topkGatingSoftplusSqrtILi8ELi8ELi4ELi16ELi64ELb0Ej14__hip_bfloat16EEvPKT6_PKbPfiPT5_PiiiibdPKfPKS9_SF_: ; @_ZN4vllm3moe22topkGatingSoftplusSqrtILi8ELi8ELi4ELi16ELi64ELb0Ej14__hip_bfloat16EEvPKT6_PKbPfiPT5_PiiiibdPKfPKS9_SF_
; %bb.0:
	s_load_dword s24, s[0:1], 0x18
	v_bfe_u32 v1, v0, 10, 10
	s_lshl_b32 s2, s2, 8
	v_lshlrev_b32_e32 v1, 6, v1
	v_and_b32_e32 v0, 0x3ff, v0
	v_add3_u32 v8, v1, v0, s2
	s_waitcnt lgkmcnt(0)
	v_cmp_gt_i32_e32 vcc, s24, v8
	s_and_saveexec_b64 s[2:3], vcc
	s_cbranch_execz .LBB433_40
; %bb.1:
	s_load_dwordx4 s[4:7], s[0:1], 0x0
	s_load_dwordx2 s[20:21], s[0:1], 0x10
	s_waitcnt lgkmcnt(0)
	s_cmp_eq_u64 s[6:7], 0
	s_cbranch_scc1 .LBB433_3
; %bb.2:
	v_ashrrev_i32_e32 v9, 31, v8
	v_lshl_add_u64 v[0:1], s[6:7], 0, v[8:9]
	global_load_ubyte v0, v[0:1], off
	s_waitcnt vmcnt(0)
	v_and_b32_e32 v0, 1, v0
	v_cmp_eq_u32_e32 vcc, 1, v0
	s_xor_b64 s[2:3], vcc, -1
	s_orn2_b64 s[6:7], s[2:3], exec
	s_branch .LBB433_4
.LBB433_3:
	s_mov_b64 s[6:7], -1
.LBB433_4:
	v_lshlrev_b32_e32 v2, 3, v8
	v_mov_b32_e32 v0, s4
	v_mov_b32_e32 v1, s5
	v_ashrrev_i32_e32 v3, 31, v2
	v_lshl_add_u64 v[0:1], v[2:3], 1, v[0:1]
	global_load_dwordx4 v[4:7], v[0:1], off
	s_mov_b32 s18, 0x800000
	v_mov_b32_e32 v2, 0x4f800000
	s_mov_b32 s15, 0x3f317217
	s_mov_b32 s16, 0x7f800000
	v_mov_b32_e32 v3, 0x41b17218
	s_mov_b32 s14, 0x41a00000
	s_mov_b32 s17, 0xf800000
	s_load_dwordx4 s[8:11], s[0:1], 0x40
	s_waitcnt lgkmcnt(0)
	s_cmp_lg_u64 s[10:11], 0
	s_cselect_b64 s[12:13], -1, 0
	s_and_b64 s[2:3], exec, s[12:13]
	s_waitcnt vmcnt(0)
	v_lshlrev_b32_e32 v0, 16, v4
	v_mul_f32_e32 v1, 0x3fb8aa3b, v0
	v_exp_f32_e32 v1, v1
	s_nop 0
	v_add_f32_e32 v1, 1.0, v1
	v_cmp_gt_f32_e32 vcc, s18, v1
	s_nop 1
	v_cndmask_b32_e32 v9, 1.0, v2, vcc
	v_mul_f32_e32 v1, v1, v9
	v_log_f32_e32 v9, v1
	v_cndmask_b32_e32 v10, 0, v3, vcc
	v_mov_b32_e32 v1, 0x260
	v_mul_f32_e32 v11, 0x3f317217, v9
	v_fma_f32 v11, v9, s15, -v11
	v_fmac_f32_e32 v11, 0x3377d1cf, v9
	v_fmac_f32_e32 v11, 0x3f317217, v9
	v_cmp_lt_f32_e64 vcc, |v9|, s16
	s_nop 1
	v_cndmask_b32_e32 v9, v9, v11, vcc
	v_sub_f32_e32 v9, v9, v10
	v_cmp_lt_f32_e32 vcc, s14, v0
	s_nop 1
	v_cndmask_b32_e32 v0, v9, v0, vcc
	v_mul_f32_e32 v9, 0x4f800000, v0
	v_cmp_gt_f32_e32 vcc, s17, v0
	s_nop 1
	v_cndmask_b32_e32 v0, v0, v9, vcc
	v_sqrt_f32_e32 v9, v0
	s_nop 0
	v_add_u32_e32 v10, -1, v9
	v_add_u32_e32 v11, 1, v9
	v_fma_f32 v12, -v10, v9, v0
	v_fma_f32 v13, -v11, v9, v0
	v_cmp_ge_f32_e64 s[4:5], 0, v12
	s_nop 1
	v_cndmask_b32_e64 v9, v9, v10, s[4:5]
	v_cmp_lt_f32_e64 s[4:5], 0, v13
	s_nop 1
	v_cndmask_b32_e64 v9, v9, v11, s[4:5]
	v_mul_f32_e32 v10, 0x37800000, v9
	v_cndmask_b32_e32 v9, v9, v10, vcc
	v_cmp_class_f32_e32 vcc, v0, v1
	s_nop 1
	v_cndmask_b32_e32 v0, v9, v0, vcc
	s_mov_b64 vcc, s[2:3]
	s_cbranch_vccz .LBB433_6
; %bb.5:
	s_load_dword s2, s[10:11], 0x0
	s_waitcnt lgkmcnt(0)
	v_add_f32_e32 v0, s2, v0
.LBB433_6:
	v_and_b32_e32 v4, 0xffff0000, v4
	v_mul_f32_e32 v9, 0x3fb8aa3b, v4
	v_exp_f32_e32 v9, v9
	s_nop 0
	v_add_f32_e32 v9, 1.0, v9
	v_cmp_gt_f32_e32 vcc, s18, v9
	s_nop 1
	v_cndmask_b32_e32 v2, 1.0, v2, vcc
	v_mul_f32_e32 v2, v9, v2
	v_log_f32_e32 v2, v2
	v_cndmask_b32_e32 v3, 0, v3, vcc
	v_mul_f32_e32 v9, 0x3f317217, v2
	v_fma_f32 v9, v2, s15, -v9
	v_fmac_f32_e32 v9, 0x3377d1cf, v2
	v_fmac_f32_e32 v9, 0x3f317217, v2
	v_cmp_lt_f32_e64 vcc, |v2|, s16
	s_nop 1
	v_cndmask_b32_e32 v2, v2, v9, vcc
	v_sub_f32_e32 v2, v2, v3
	v_cmp_lt_f32_e32 vcc, s14, v4
	s_nop 1
	v_cndmask_b32_e32 v2, v2, v4, vcc
	v_mul_f32_e32 v3, 0x4f800000, v2
	v_cmp_gt_f32_e32 vcc, s17, v2
	s_nop 1
	v_cndmask_b32_e32 v2, v2, v3, vcc
	v_sqrt_f32_e32 v3, v2
	v_cmp_class_f32_e64 s[4:5], v2, v1
	v_add_u32_e32 v4, -1, v3
	v_add_u32_e32 v9, 1, v3
	v_fma_f32 v10, -v4, v3, v2
	v_fma_f32 v11, -v9, v3, v2
	v_cmp_ge_f32_e64 s[2:3], 0, v10
	s_nop 1
	v_cndmask_b32_e64 v3, v3, v4, s[2:3]
	v_cmp_lt_f32_e64 s[2:3], 0, v11
	s_nop 1
	v_cndmask_b32_e64 v3, v3, v9, s[2:3]
	v_mul_f32_e32 v4, 0x37800000, v3
	v_cndmask_b32_e32 v3, v3, v4, vcc
	v_cndmask_b32_e64 v4, 0, 1, s[12:13]
	v_cmp_ne_u32_e64 s[2:3], 1, v4
	s_andn2_b64 vcc, exec, s[12:13]
	v_cndmask_b32_e64 v1, v3, v2, s[4:5]
	s_cbranch_vccnz .LBB433_8
; %bb.7:
	s_load_dword s4, s[10:11], 0x4
	s_waitcnt lgkmcnt(0)
	v_add_f32_e32 v1, s4, v1
.LBB433_8:
	v_lshlrev_b32_e32 v2, 16, v5
	v_mul_f32_e32 v3, 0x3fb8aa3b, v2
	v_exp_f32_e32 v3, v3
	s_mov_b32 s16, 0x800000
	v_mov_b32_e32 v4, 0x4f800000
	s_mov_b32 s13, 0x3f317217
	v_add_f32_e32 v3, 1.0, v3
	v_cmp_gt_f32_e32 vcc, s16, v3
	s_mov_b32 s14, 0x7f800000
	s_mov_b32 s12, 0x41a00000
	v_cndmask_b32_e32 v9, 1.0, v4, vcc
	v_mul_f32_e32 v3, v3, v9
	v_log_f32_e32 v3, v3
	s_mov_b32 s15, 0xf800000
	v_mul_f32_e32 v9, 0x3f317217, v3
	v_fma_f32 v9, v3, s13, -v9
	v_fmac_f32_e32 v9, 0x3377d1cf, v3
	v_fmac_f32_e32 v9, 0x3f317217, v3
	v_cmp_lt_f32_e64 s[4:5], |v3|, s14
	s_nop 1
	v_cndmask_b32_e64 v3, v3, v9, s[4:5]
	v_mov_b32_e32 v9, 0x41b17218
	v_cndmask_b32_e32 v10, 0, v9, vcc
	v_sub_f32_e32 v3, v3, v10
	v_cmp_lt_f32_e32 vcc, s12, v2
	s_nop 1
	v_cndmask_b32_e32 v2, v3, v2, vcc
	v_mul_f32_e32 v3, 0x4f800000, v2
	v_cmp_gt_f32_e32 vcc, s15, v2
	s_nop 1
	v_cndmask_b32_e32 v2, v2, v3, vcc
	v_sqrt_f32_e32 v3, v2
	s_nop 0
	v_add_u32_e32 v10, -1, v3
	v_fma_f32 v11, -v10, v3, v2
	v_cmp_ge_f32_e64 s[4:5], 0, v11
	v_add_u32_e32 v11, 1, v3
	s_nop 0
	v_cndmask_b32_e64 v10, v3, v10, s[4:5]
	v_fma_f32 v3, -v11, v3, v2
	v_cmp_lt_f32_e64 s[4:5], 0, v3
	s_nop 1
	v_cndmask_b32_e64 v3, v10, v11, s[4:5]
	v_mul_f32_e32 v10, 0x37800000, v3
	v_cndmask_b32_e32 v10, v3, v10, vcc
	v_mov_b32_e32 v3, 0x260
	v_cmp_class_f32_e64 s[4:5], v2, v3
	s_and_b64 vcc, exec, s[2:3]
	s_nop 0
	v_cndmask_b32_e64 v2, v10, v2, s[4:5]
	s_cbranch_vccnz .LBB433_10
; %bb.9:
	s_load_dword s4, s[10:11], 0x8
	s_waitcnt lgkmcnt(0)
	v_add_f32_e32 v2, s4, v2
.LBB433_10:
	v_and_b32_e32 v5, 0xffff0000, v5
	v_mul_f32_e32 v10, 0x3fb8aa3b, v5
	v_exp_f32_e32 v10, v10
	s_nop 0
	v_add_f32_e32 v10, 1.0, v10
	v_cmp_gt_f32_e32 vcc, s16, v10
	s_nop 1
	v_cndmask_b32_e32 v4, 1.0, v4, vcc
	v_mul_f32_e32 v4, v10, v4
	v_log_f32_e32 v4, v4
	v_cndmask_b32_e32 v9, 0, v9, vcc
	v_mul_f32_e32 v10, 0x3f317217, v4
	v_fma_f32 v10, v4, s13, -v10
	v_fmac_f32_e32 v10, 0x3377d1cf, v4
	v_fmac_f32_e32 v10, 0x3f317217, v4
	v_cmp_lt_f32_e64 vcc, |v4|, s14
	s_nop 1
	v_cndmask_b32_e32 v4, v4, v10, vcc
	v_sub_f32_e32 v4, v4, v9
	v_cmp_lt_f32_e32 vcc, s12, v5
	s_nop 1
	v_cndmask_b32_e32 v4, v4, v5, vcc
	v_mul_f32_e32 v5, 0x4f800000, v4
	v_cmp_gt_f32_e32 vcc, s15, v4
	s_nop 1
	v_cndmask_b32_e32 v4, v4, v5, vcc
	v_sqrt_f32_e32 v5, v4
	s_nop 0
	v_add_u32_e32 v9, -1, v5
	v_add_u32_e32 v10, 1, v5
	v_fma_f32 v11, -v9, v5, v4
	v_fma_f32 v12, -v10, v5, v4
	v_cmp_ge_f32_e64 s[4:5], 0, v11
	s_nop 1
	v_cndmask_b32_e64 v5, v5, v9, s[4:5]
	v_cmp_lt_f32_e64 s[4:5], 0, v12
	s_nop 1
	v_cndmask_b32_e64 v5, v5, v10, s[4:5]
	v_mul_f32_e32 v9, 0x37800000, v5
	v_cndmask_b32_e32 v5, v5, v9, vcc
	v_cmp_class_f32_e64 s[4:5], v4, v3
	s_and_b64 vcc, exec, s[2:3]
	s_nop 0
	v_cndmask_b32_e64 v3, v5, v4, s[4:5]
	s_cbranch_vccnz .LBB433_12
; %bb.11:
	s_load_dword s4, s[10:11], 0xc
	s_waitcnt lgkmcnt(0)
	v_add_f32_e32 v3, s4, v3
.LBB433_12:
	v_lshlrev_b32_e32 v4, 16, v6
	v_mul_f32_e32 v5, 0x3fb8aa3b, v4
	v_exp_f32_e32 v5, v5
	v_mov_b32_e32 v9, 0x4f800000
	v_add_f32_e32 v5, 1.0, v5
	v_cmp_gt_f32_e32 vcc, s16, v5
	s_nop 1
	v_cndmask_b32_e32 v10, 1.0, v9, vcc
	v_mul_f32_e32 v5, v5, v10
	v_log_f32_e32 v5, v5
	s_nop 0
	v_mul_f32_e32 v10, 0x3f317217, v5
	v_fma_f32 v10, v5, s13, -v10
	v_fmac_f32_e32 v10, 0x3377d1cf, v5
	v_fmac_f32_e32 v10, 0x3f317217, v5
	v_cmp_lt_f32_e64 s[4:5], |v5|, s14
	s_nop 1
	v_cndmask_b32_e64 v5, v5, v10, s[4:5]
	v_mov_b32_e32 v10, 0x41b17218
	v_cndmask_b32_e32 v11, 0, v10, vcc
	v_sub_f32_e32 v5, v5, v11
	v_cmp_lt_f32_e32 vcc, s12, v4
	s_nop 1
	v_cndmask_b32_e32 v4, v5, v4, vcc
	v_mul_f32_e32 v5, 0x4f800000, v4
	v_cmp_gt_f32_e32 vcc, s15, v4
	s_nop 1
	v_cndmask_b32_e32 v4, v4, v5, vcc
	v_sqrt_f32_e32 v5, v4
	s_nop 0
	v_add_u32_e32 v11, -1, v5
	v_fma_f32 v12, -v11, v5, v4
	v_cmp_ge_f32_e64 s[4:5], 0, v12
	v_add_u32_e32 v12, 1, v5
	s_nop 0
	v_cndmask_b32_e64 v11, v5, v11, s[4:5]
	v_fma_f32 v5, -v12, v5, v4
	v_cmp_lt_f32_e64 s[4:5], 0, v5
	s_nop 1
	v_cndmask_b32_e64 v5, v11, v12, s[4:5]
	v_mul_f32_e32 v11, 0x37800000, v5
	v_cndmask_b32_e32 v11, v5, v11, vcc
	v_mov_b32_e32 v5, 0x260
	v_cmp_class_f32_e64 s[4:5], v4, v5
	s_and_b64 vcc, exec, s[2:3]
	s_nop 0
	v_cndmask_b32_e64 v4, v11, v4, s[4:5]
	s_cbranch_vccnz .LBB433_14
; %bb.13:
	s_load_dword s4, s[10:11], 0x10
	s_waitcnt lgkmcnt(0)
	v_add_f32_e32 v4, s4, v4
.LBB433_14:
	v_and_b32_e32 v6, 0xffff0000, v6
	v_mul_f32_e32 v11, 0x3fb8aa3b, v6
	v_exp_f32_e32 v11, v11
	s_nop 0
	v_add_f32_e32 v11, 1.0, v11
	v_cmp_gt_f32_e32 vcc, s16, v11
	s_nop 1
	v_cndmask_b32_e32 v9, 1.0, v9, vcc
	v_mul_f32_e32 v9, v11, v9
	v_log_f32_e32 v9, v9
	v_cndmask_b32_e32 v10, 0, v10, vcc
	v_mul_f32_e32 v11, 0x3f317217, v9
	v_fma_f32 v11, v9, s13, -v11
	v_fmac_f32_e32 v11, 0x3377d1cf, v9
	v_fmac_f32_e32 v11, 0x3f317217, v9
	v_cmp_lt_f32_e64 vcc, |v9|, s14
	s_nop 1
	v_cndmask_b32_e32 v9, v9, v11, vcc
	v_sub_f32_e32 v9, v9, v10
	v_cmp_lt_f32_e32 vcc, s12, v6
	s_nop 1
	v_cndmask_b32_e32 v6, v9, v6, vcc
	v_mul_f32_e32 v9, 0x4f800000, v6
	v_cmp_gt_f32_e32 vcc, s15, v6
	s_nop 1
	v_cndmask_b32_e32 v6, v6, v9, vcc
	v_sqrt_f32_e32 v9, v6
	s_nop 0
	v_add_u32_e32 v10, -1, v9
	v_add_u32_e32 v11, 1, v9
	v_fma_f32 v12, -v10, v9, v6
	v_fma_f32 v13, -v11, v9, v6
	v_cmp_ge_f32_e64 s[4:5], 0, v12
	s_nop 1
	v_cndmask_b32_e64 v9, v9, v10, s[4:5]
	v_cmp_lt_f32_e64 s[4:5], 0, v13
	s_nop 1
	v_cndmask_b32_e64 v9, v9, v11, s[4:5]
	v_mul_f32_e32 v10, 0x37800000, v9
	v_cndmask_b32_e32 v9, v9, v10, vcc
	v_cmp_class_f32_e64 s[4:5], v6, v5
	s_and_b64 vcc, exec, s[2:3]
	s_nop 0
	v_cndmask_b32_e64 v5, v9, v6, s[4:5]
	s_cbranch_vccnz .LBB433_16
; %bb.15:
	s_load_dword s4, s[10:11], 0x14
	s_waitcnt lgkmcnt(0)
	v_add_f32_e32 v5, s4, v5
.LBB433_16:
	v_lshlrev_b32_e32 v6, 16, v7
	v_mul_f32_e32 v9, 0x3fb8aa3b, v6
	v_exp_f32_e32 v9, v9
	v_mov_b32_e32 v10, 0x4f800000
	v_add_f32_e32 v9, 1.0, v9
	v_cmp_gt_f32_e32 vcc, s16, v9
	s_nop 1
	v_cndmask_b32_e32 v11, 1.0, v10, vcc
	v_mul_f32_e32 v9, v9, v11
	v_log_f32_e32 v9, v9
	s_nop 0
	v_mul_f32_e32 v11, 0x3f317217, v9
	v_fma_f32 v11, v9, s13, -v11
	v_fmac_f32_e32 v11, 0x3377d1cf, v9
	v_fmac_f32_e32 v11, 0x3f317217, v9
	v_cmp_lt_f32_e64 s[4:5], |v9|, s14
	s_nop 1
	v_cndmask_b32_e64 v9, v9, v11, s[4:5]
	v_mov_b32_e32 v11, 0x41b17218
	v_cndmask_b32_e32 v12, 0, v11, vcc
	v_sub_f32_e32 v9, v9, v12
	v_cmp_lt_f32_e32 vcc, s12, v6
	s_nop 1
	v_cndmask_b32_e32 v6, v9, v6, vcc
	v_mul_f32_e32 v9, 0x4f800000, v6
	v_cmp_gt_f32_e32 vcc, s15, v6
	s_nop 1
	v_cndmask_b32_e32 v6, v6, v9, vcc
	v_sqrt_f32_e32 v9, v6
	s_nop 0
	v_add_u32_e32 v12, -1, v9
	v_fma_f32 v13, -v12, v9, v6
	v_cmp_ge_f32_e64 s[4:5], 0, v13
	v_add_u32_e32 v13, 1, v9
	s_nop 0
	v_cndmask_b32_e64 v12, v9, v12, s[4:5]
	v_fma_f32 v9, -v13, v9, v6
	v_cmp_lt_f32_e64 s[4:5], 0, v9
	s_nop 1
	v_cndmask_b32_e64 v9, v12, v13, s[4:5]
	v_mul_f32_e32 v12, 0x37800000, v9
	v_cndmask_b32_e32 v12, v9, v12, vcc
	v_mov_b32_e32 v9, 0x260
	v_cmp_class_f32_e64 s[4:5], v6, v9
	s_and_b64 vcc, exec, s[2:3]
	s_nop 0
	v_cndmask_b32_e64 v6, v12, v6, s[4:5]
	s_cbranch_vccnz .LBB433_18
; %bb.17:
	s_load_dword s4, s[10:11], 0x18
	s_waitcnt lgkmcnt(0)
	v_add_f32_e32 v6, s4, v6
.LBB433_18:
	v_and_b32_e32 v7, 0xffff0000, v7
	v_mul_f32_e32 v12, 0x3fb8aa3b, v7
	v_exp_f32_e32 v12, v12
	s_nop 0
	v_add_f32_e32 v12, 1.0, v12
	v_cmp_gt_f32_e32 vcc, s16, v12
	s_nop 1
	v_cndmask_b32_e32 v10, 1.0, v10, vcc
	v_mul_f32_e32 v10, v12, v10
	v_log_f32_e32 v10, v10
	v_cndmask_b32_e32 v11, 0, v11, vcc
	v_mul_f32_e32 v12, 0x3f317217, v10
	v_fma_f32 v12, v10, s13, -v12
	v_fmac_f32_e32 v12, 0x3377d1cf, v10
	v_fmac_f32_e32 v12, 0x3f317217, v10
	v_cmp_lt_f32_e64 vcc, |v10|, s14
	s_nop 1
	v_cndmask_b32_e32 v10, v10, v12, vcc
	v_sub_f32_e32 v10, v10, v11
	v_cmp_lt_f32_e32 vcc, s12, v7
	s_nop 1
	v_cndmask_b32_e32 v7, v10, v7, vcc
	v_mul_f32_e32 v10, 0x4f800000, v7
	v_cmp_gt_f32_e32 vcc, s15, v7
	s_nop 1
	v_cndmask_b32_e32 v7, v7, v10, vcc
	v_sqrt_f32_e32 v10, v7
	s_nop 0
	v_add_u32_e32 v11, -1, v10
	v_add_u32_e32 v12, 1, v10
	v_fma_f32 v13, -v11, v10, v7
	v_fma_f32 v14, -v12, v10, v7
	v_cmp_ge_f32_e64 s[4:5], 0, v13
	s_nop 1
	v_cndmask_b32_e64 v10, v10, v11, s[4:5]
	v_cmp_lt_f32_e64 s[4:5], 0, v14
	s_nop 1
	v_cndmask_b32_e64 v10, v10, v12, s[4:5]
	v_mul_f32_e32 v11, 0x37800000, v10
	v_cndmask_b32_e32 v10, v10, v11, vcc
	v_cmp_class_f32_e64 s[4:5], v7, v9
	s_and_b64 vcc, exec, s[2:3]
	s_nop 0
	v_cndmask_b32_e64 v7, v10, v7, s[4:5]
	s_cbranch_vccnz .LBB433_20
; %bb.19:
	s_load_dword s4, s[10:11], 0x1c
	s_waitcnt lgkmcnt(0)
	v_add_f32_e32 v7, s4, v7
.LBB433_20:
	s_load_dwordx4 s[12:15], s[0:1], 0x30
	s_mov_b32 s25, 0
	s_waitcnt lgkmcnt(0)
	s_bitcmp1_b32 s15, 0
	s_cselect_b64 s[4:5], -1, 0
	s_cmp_gt_i32 s12, 0
	s_cselect_b64 s[22:23], -1, 0
	s_and_b64 vcc, exec, s[22:23]
	v_mul_lo_u32 v10, v8, s12
	s_cbranch_vccz .LBB433_27
; %bb.21:
	s_load_dwordx4 s[16:19], s[0:1], 0x20
	v_mov_b32_e32 v13, 0
	v_mov_b32_e32 v11, 0xc61c4000
	;; [unrolled: 1-line block ×3, first 2 shown]
	s_branch .LBB433_23
.LBB433_22:                             ;   in Loop: Header=BB433_23 Depth=1
	v_add_f32_e32 v12, v9, v14
	v_cndmask_b32_e64 v9, v9, v12, s[4:5]
	s_cmp_lg_u32 s12, s25
	v_add_u32_e32 v8, s24, v8
	s_cbranch_scc0 .LBB433_28
.LBB433_23:                             ; =>This Inner Loop Header: Depth=1
	v_cmp_gt_f32_e32 vcc, v1, v0
	s_nop 1
	v_cndmask_b32_e32 v14, v0, v1, vcc
	v_cndmask_b32_e64 v12, 0, 1, vcc
	v_cmp_gt_f32_e32 vcc, v2, v14
	s_nop 1
	v_cndmask_b32_e32 v14, v14, v2, vcc
	v_cndmask_b32_e64 v12, v12, 2, vcc
	;; [unrolled: 4-line block ×6, first 2 shown]
	v_cmp_gt_f32_e64 s[0:1], v7, v14
	s_and_b64 vcc, exec, s[2:3]
	s_nop 0
	v_cndmask_b32_e64 v12, v12, 7, s[0:1]
	v_cndmask_b32_e64 v14, v14, v7, s[0:1]
	s_cbranch_vccnz .LBB433_25
; %bb.24:                               ;   in Loop: Header=BB433_23 Depth=1
	v_lshl_add_u64 v[16:17], v[12:13], 2, s[10:11]
	global_load_dword v15, v[16:17], off
	s_waitcnt vmcnt(0)
	v_sub_f32_e32 v14, v14, v15
.LBB433_25:                             ;   in Loop: Header=BB433_23 Depth=1
	v_add_u32_e32 v16, s25, v10
	v_cmp_le_i32_e32 vcc, s13, v12
	v_cmp_gt_i32_e64 s[0:1], s14, v12
	v_ashrrev_i32_e32 v17, 31, v16
	s_and_b64 s[0:1], vcc, s[0:1]
	v_lshlrev_b64 v[16:17], 2, v[16:17]
	v_lshl_add_u64 v[18:19], s[20:21], 0, v[16:17]
	v_subrev_u32_e32 v15, s13, v12
	s_and_b64 vcc, s[6:7], s[0:1]
	s_add_i32 s25, s25, 1
	global_store_dword v[18:19], v14, off
	v_cndmask_b32_e32 v15, 8, v15, vcc
	s_waitcnt lgkmcnt(0)
	v_lshl_add_u64 v[18:19], s[16:17], 0, v[16:17]
	v_lshl_add_u64 v[16:17], s[18:19], 0, v[16:17]
	s_cmp_ge_i32 s25, s12
	global_store_dword v[18:19], v15, off
	global_store_dword v[16:17], v8, off
	s_cbranch_scc1 .LBB433_22
; %bb.26:                               ;   in Loop: Header=BB433_23 Depth=1
	v_cmp_ne_u32_e32 vcc, 7, v12
	s_nop 1
	v_cndmask_b32_e32 v7, v11, v7, vcc
	v_cmp_ne_u32_e32 vcc, 6, v12
	s_nop 1
	v_cndmask_b32_e32 v6, v11, v6, vcc
	;; [unrolled: 3-line block ×8, first 2 shown]
	s_branch .LBB433_22
.LBB433_27:
	v_mov_b32_e32 v9, 0
.LBB433_28:
	s_andn2_b64 vcc, exec, s[4:5]
	v_cvt_f32_f64_e32 v0, s[8:9]
	s_cbranch_vccnz .LBB433_30
; %bb.29:
	v_cmp_lt_f32_e32 vcc, 0, v9
	s_nop 1
	v_cndmask_b32_e32 v1, 1.0, v9, vcc
	v_div_scale_f32 v2, s[0:1], v1, v1, v0
	v_rcp_f32_e32 v3, v2
	s_nop 0
	v_fma_f32 v4, -v2, v3, 1.0
	v_fmac_f32_e32 v3, v4, v3
	v_div_scale_f32 v4, vcc, v0, v1, v0
	v_mul_f32_e32 v5, v4, v3
	v_fma_f32 v6, -v2, v5, v4
	v_fmac_f32_e32 v5, v6, v3
	v_fma_f32 v2, -v2, v5, v4
	v_div_fmas_f32 v2, v2, v3, v5
	v_div_fixup_f32 v0, v2, v1, v0
.LBB433_30:
	s_andn2_b64 vcc, exec, s[22:23]
	s_cbranch_vccnz .LBB433_40
; %bb.31:
	s_cmp_gt_u32 s12, 3
	v_ashrrev_i32_e32 v11, 31, v10
	s_cbranch_scc0 .LBB433_35
; %bb.32:
	s_and_b32 s0, s12, 0x7ffffffc
	v_lshl_add_u64 v[2:3], v[10:11], 2, s[20:21]
	v_mov_b32_e32 v1, v0
	v_lshl_add_u64 v[2:3], v[2:3], 0, 8
	s_mov_b32 s1, s0
.LBB433_33:                             ; =>This Inner Loop Header: Depth=1
	global_load_dwordx4 v[4:7], v[2:3], off offset:-8
	s_add_i32 s1, s1, -4
	s_cmp_lg_u32 s1, 0
	s_waitcnt vmcnt(0)
	v_pk_mul_f32 v[4:5], v[0:1], v[4:5]
	v_pk_mul_f32 v[6:7], v[0:1], v[6:7]
	global_store_dwordx4 v[2:3], v[4:7], off offset:-8
	v_lshl_add_u64 v[2:3], v[2:3], 0, 16
	s_cbranch_scc1 .LBB433_33
; %bb.34:
	s_cmp_lg_u32 s0, s12
	s_cselect_b64 s[2:3], -1, 0
	s_branch .LBB433_37
.LBB433_35:
	s_mov_b64 s[2:3], 0
                                        ; implicit-def: $sgpr0
	s_cbranch_execz .LBB433_37
; %bb.36:
	s_mov_b64 s[2:3], -1
	s_mov_b32 s0, 0
.LBB433_37:
	s_andn2_b64 vcc, exec, s[2:3]
	s_cbranch_vccnz .LBB433_40
; %bb.38:
	s_mov_b32 s1, 0
	v_lshl_add_u64 v[2:3], v[10:11], 0, s[0:1]
	s_sub_i32 s2, s12, s0
	v_lshl_add_u64 v[2:3], v[2:3], 2, s[20:21]
.LBB433_39:                             ; =>This Inner Loop Header: Depth=1
	global_load_dword v1, v[2:3], off
	s_add_i32 s2, s2, -1
	s_cmp_lg_u32 s2, 0
	s_waitcnt vmcnt(0)
	v_mul_f32_e32 v1, v0, v1
	global_store_dword v[2:3], v1, off
	v_lshl_add_u64 v[2:3], v[2:3], 0, 4
	s_cbranch_scc1 .LBB433_39
.LBB433_40:
	s_endpgm
	.section	.rodata,"a",@progbits
	.p2align	6, 0x0
	.amdhsa_kernel _ZN4vllm3moe22topkGatingSoftplusSqrtILi8ELi8ELi4ELi16ELi64ELb0Ej14__hip_bfloat16EEvPKT6_PKbPfiPT5_PiiiibdPKfPKS9_SF_
		.amdhsa_group_segment_fixed_size 0
		.amdhsa_private_segment_fixed_size 0
		.amdhsa_kernarg_size 96
		.amdhsa_user_sgpr_count 2
		.amdhsa_user_sgpr_dispatch_ptr 0
		.amdhsa_user_sgpr_queue_ptr 0
		.amdhsa_user_sgpr_kernarg_segment_ptr 1
		.amdhsa_user_sgpr_dispatch_id 0
		.amdhsa_user_sgpr_kernarg_preload_length 0
		.amdhsa_user_sgpr_kernarg_preload_offset 0
		.amdhsa_user_sgpr_private_segment_size 0
		.amdhsa_uses_dynamic_stack 0
		.amdhsa_enable_private_segment 0
		.amdhsa_system_sgpr_workgroup_id_x 1
		.amdhsa_system_sgpr_workgroup_id_y 0
		.amdhsa_system_sgpr_workgroup_id_z 0
		.amdhsa_system_sgpr_workgroup_info 0
		.amdhsa_system_vgpr_workitem_id 1
		.amdhsa_next_free_vgpr 20
		.amdhsa_next_free_sgpr 26
		.amdhsa_accum_offset 20
		.amdhsa_reserve_vcc 1
		.amdhsa_float_round_mode_32 0
		.amdhsa_float_round_mode_16_64 0
		.amdhsa_float_denorm_mode_32 3
		.amdhsa_float_denorm_mode_16_64 3
		.amdhsa_dx10_clamp 1
		.amdhsa_ieee_mode 1
		.amdhsa_fp16_overflow 0
		.amdhsa_tg_split 0
		.amdhsa_exception_fp_ieee_invalid_op 0
		.amdhsa_exception_fp_denorm_src 0
		.amdhsa_exception_fp_ieee_div_zero 0
		.amdhsa_exception_fp_ieee_overflow 0
		.amdhsa_exception_fp_ieee_underflow 0
		.amdhsa_exception_fp_ieee_inexact 0
		.amdhsa_exception_int_div_zero 0
	.end_amdhsa_kernel
	.section	.text._ZN4vllm3moe22topkGatingSoftplusSqrtILi8ELi8ELi4ELi16ELi64ELb0Ej14__hip_bfloat16EEvPKT6_PKbPfiPT5_PiiiibdPKfPKS9_SF_,"axG",@progbits,_ZN4vllm3moe22topkGatingSoftplusSqrtILi8ELi8ELi4ELi16ELi64ELb0Ej14__hip_bfloat16EEvPKT6_PKbPfiPT5_PiiiibdPKfPKS9_SF_,comdat
.Lfunc_end433:
	.size	_ZN4vllm3moe22topkGatingSoftplusSqrtILi8ELi8ELi4ELi16ELi64ELb0Ej14__hip_bfloat16EEvPKT6_PKbPfiPT5_PiiiibdPKfPKS9_SF_, .Lfunc_end433-_ZN4vllm3moe22topkGatingSoftplusSqrtILi8ELi8ELi4ELi16ELi64ELb0Ej14__hip_bfloat16EEvPKT6_PKbPfiPT5_PiiiibdPKfPKS9_SF_
                                        ; -- End function
	.section	.AMDGPU.csdata,"",@progbits
; Kernel info:
; codeLenInByte = 3276
; NumSgprs: 32
; NumVgprs: 20
; NumAgprs: 0
; TotalNumVgprs: 20
; ScratchSize: 0
; MemoryBound: 0
; FloatMode: 240
; IeeeMode: 1
; LDSByteSize: 0 bytes/workgroup (compile time only)
; SGPRBlocks: 3
; VGPRBlocks: 2
; NumSGPRsForWavesPerEU: 32
; NumVGPRsForWavesPerEU: 20
; AccumOffset: 20
; Occupancy: 8
; WaveLimiterHint : 0
; COMPUTE_PGM_RSRC2:SCRATCH_EN: 0
; COMPUTE_PGM_RSRC2:USER_SGPR: 2
; COMPUTE_PGM_RSRC2:TRAP_HANDLER: 0
; COMPUTE_PGM_RSRC2:TGID_X_EN: 1
; COMPUTE_PGM_RSRC2:TGID_Y_EN: 0
; COMPUTE_PGM_RSRC2:TGID_Z_EN: 0
; COMPUTE_PGM_RSRC2:TIDIG_COMP_CNT: 1
; COMPUTE_PGM_RSRC3_GFX90A:ACCUM_OFFSET: 4
; COMPUTE_PGM_RSRC3_GFX90A:TG_SPLIT: 0
	.section	.text._ZN4vllm3moe22topkGatingSoftplusSqrtILi8ELi8ELi4ELi16ELi32ELb1Ej14__hip_bfloat16EEvPKT6_PKbPfiPT5_PiiiibdPKfPKS9_SF_,"axG",@progbits,_ZN4vllm3moe22topkGatingSoftplusSqrtILi8ELi8ELi4ELi16ELi32ELb1Ej14__hip_bfloat16EEvPKT6_PKbPfiPT5_PiiiibdPKfPKS9_SF_,comdat
	.protected	_ZN4vllm3moe22topkGatingSoftplusSqrtILi8ELi8ELi4ELi16ELi32ELb1Ej14__hip_bfloat16EEvPKT6_PKbPfiPT5_PiiiibdPKfPKS9_SF_ ; -- Begin function _ZN4vllm3moe22topkGatingSoftplusSqrtILi8ELi8ELi4ELi16ELi32ELb1Ej14__hip_bfloat16EEvPKT6_PKbPfiPT5_PiiiibdPKfPKS9_SF_
	.globl	_ZN4vllm3moe22topkGatingSoftplusSqrtILi8ELi8ELi4ELi16ELi32ELb1Ej14__hip_bfloat16EEvPKT6_PKbPfiPT5_PiiiibdPKfPKS9_SF_
	.p2align	8
	.type	_ZN4vllm3moe22topkGatingSoftplusSqrtILi8ELi8ELi4ELi16ELi32ELb1Ej14__hip_bfloat16EEvPKT6_PKbPfiPT5_PiiiibdPKfPKS9_SF_,@function
_ZN4vllm3moe22topkGatingSoftplusSqrtILi8ELi8ELi4ELi16ELi32ELb1Ej14__hip_bfloat16EEvPKT6_PKbPfiPT5_PiiiibdPKfPKS9_SF_: ; @_ZN4vllm3moe22topkGatingSoftplusSqrtILi8ELi8ELi4ELi16ELi32ELb1Ej14__hip_bfloat16EEvPKT6_PKbPfiPT5_PiiiibdPKfPKS9_SF_
; %bb.0:
	s_load_dword s3, s[0:1], 0x18
	v_bfe_u32 v1, v0, 10, 10
	s_lshl_b32 s2, s2, 7
	v_lshlrev_b32_e32 v1, 5, v1
	v_and_b32_e32 v0, 0x3ff, v0
	v_add3_u32 v6, v1, v0, s2
	s_waitcnt lgkmcnt(0)
	v_cmp_gt_i32_e32 vcc, s3, v6
	s_and_saveexec_b64 s[2:3], vcc
	s_cbranch_execz .LBB434_57
; %bb.1:
	s_load_dwordx2 s[2:3], s[0:1], 0x0
	s_load_dword s16, s[0:1], 0x30
	v_lshlrev_b32_e32 v0, 3, v6
	v_ashrrev_i32_e32 v1, 31, v0
	s_load_dwordx4 s[8:11], s[0:1], 0x50
	s_waitcnt lgkmcnt(0)
	v_lshl_add_u64 v[0:1], v[0:1], 1, s[2:3]
	global_load_dwordx4 v[0:3], v[0:1], off
	v_ashrrev_i32_e32 v7, 31, v6
	s_mov_b32 s15, 0x800000
	v_mov_b32_e32 v4, s8
	v_mov_b32_e32 v5, s9
	v_lshl_add_u64 v[4:5], v[6:7], 2, v[4:5]
	v_mov_b32_e32 v7, 0x4f800000
	s_mov_b32 s13, 0x3f317217
	s_mov_b32 s14, 0x7f800000
	v_mov_b32_e32 v16, 0x41b17218
	s_mov_b32 s9, 0x41a00000
	s_mov_b32 s12, 0xf800000
	v_mov_b32_e32 v17, 0x260
	global_load_dword v4, v[4:5], off
	v_mov_b32_e32 v5, 0
	s_cmp_gt_i32 s16, 0
	s_mov_b32 s8, 0
	s_waitcnt vmcnt(1)
	v_and_b32_e32 v10, 0xffff0000, v0
	v_lshlrev_b32_e32 v11, 16, v0
	v_and_b32_e32 v12, 0xffff0000, v1
	v_lshlrev_b32_e32 v13, 16, v1
	v_mul_f32_e32 v0, 0x3fb8aa3b, v11
	v_mul_f32_e32 v1, 0x3fb8aa3b, v10
	v_exp_f32_e32 v0, v0
	v_exp_f32_e32 v1, v1
	v_mul_f32_e32 v8, 0x3fb8aa3b, v13
	v_mul_f32_e32 v9, 0x3fb8aa3b, v12
	v_exp_f32_e32 v8, v8
	v_exp_f32_e32 v9, v9
	v_pk_add_f32 v[0:1], v[0:1], 1.0 op_sel_hi:[1,0]
	s_waitcnt vmcnt(0)
	v_mul_lo_u32 v4, v4, s16
	v_cmp_gt_f32_e32 vcc, s15, v1
	v_pk_add_f32 v[8:9], v[8:9], 1.0 op_sel_hi:[1,0]
	v_cmp_gt_f32_e64 s[2:3], s15, v0
	v_cndmask_b32_e32 v14, 1.0, v7, vcc
	v_cmp_gt_f32_e64 s[4:5], s15, v9
	v_cndmask_b32_e64 v15, 1.0, v7, s[2:3]
	v_mul_f32_e32 v1, v1, v14
	v_cndmask_b32_e64 v18, 1.0, v7, s[4:5]
	v_cmp_gt_f32_e64 s[6:7], s15, v8
	v_mul_f32_e32 v0, v0, v15
	v_log_f32_e32 v1, v1
	v_cndmask_b32_e64 v19, 1.0, v7, s[6:7]
	v_mul_f32_e32 v9, v9, v18
	v_log_f32_e32 v0, v0
	v_mul_f32_e32 v8, v8, v19
	v_log_f32_e32 v9, v9
	v_log_f32_e32 v8, v8
	v_mul_f32_e32 v19, 0x3f317217, v1
	v_mul_f32_e32 v20, 0x3f317217, v0
	v_fma_f32 v19, v1, s13, -v19
	v_mul_f32_e32 v21, 0x3f317217, v9
	v_fma_f32 v20, v0, s13, -v20
	v_fmac_f32_e32 v19, 0x3377d1cf, v1
	v_cndmask_b32_e32 v14, 0, v16, vcc
	v_mul_f32_e32 v22, 0x3f317217, v8
	v_fma_f32 v21, v9, s13, -v21
	v_fmac_f32_e32 v20, 0x3377d1cf, v0
	v_fmac_f32_e32 v19, 0x3f317217, v1
	v_cmp_lt_f32_e64 vcc, |v1|, s14
	v_fma_f32 v22, v8, s13, -v22
	v_fmac_f32_e32 v21, 0x3377d1cf, v9
	v_fmac_f32_e32 v20, 0x3f317217, v0
	v_cndmask_b32_e32 v1, v1, v19, vcc
	v_cmp_lt_f32_e64 vcc, |v0|, s14
	v_fmac_f32_e32 v22, 0x3377d1cf, v8
	v_fmac_f32_e32 v21, 0x3f317217, v9
	v_cndmask_b32_e32 v0, v0, v20, vcc
	v_cmp_lt_f32_e64 vcc, |v9|, s14
	v_cndmask_b32_e64 v15, 0, v16, s[2:3]
	v_fmac_f32_e32 v22, 0x3f317217, v8
	v_cndmask_b32_e32 v9, v9, v21, vcc
	v_cmp_lt_f32_e64 vcc, |v8|, s14
	v_sub_f32_e32 v0, v0, v15
	v_sub_f32_e32 v1, v1, v14
	v_cndmask_b32_e32 v8, v8, v22, vcc
	v_cmp_lt_f32_e32 vcc, s9, v11
	v_cndmask_b32_e64 v18, 0, v16, s[4:5]
	v_sub_f32_e32 v9, v9, v18
	v_cndmask_b32_e32 v0, v0, v11, vcc
	v_cmp_lt_f32_e32 vcc, s9, v10
	v_mul_f32_e32 v11, 0x4f800000, v0
	v_cmp_gt_f32_e64 s[2:3], s12, v0
	v_cndmask_b32_e32 v1, v1, v10, vcc
	v_mul_f32_e32 v10, 0x4f800000, v1
	v_cmp_gt_f32_e32 vcc, s12, v1
	v_cndmask_b32_e64 v0, v0, v11, s[2:3]
	v_sqrt_f32_e32 v11, v0
	v_cndmask_b32_e32 v1, v1, v10, vcc
	v_sqrt_f32_e32 v10, v1
	v_add_u32_e32 v18, -1, v11
	v_fma_f32 v22, -v18, v11, v0
	v_add_u32_e32 v14, -1, v10
	v_fma_f32 v20, -v14, v10, v1
	v_add_u32_e32 v15, 1, v10
	v_cmp_ge_f32_e64 s[4:5], 0, v20
	v_add_u32_e32 v19, 1, v11
	v_fma_f32 v21, -v15, v10, v1
	v_cndmask_b32_e64 v10, v10, v14, s[4:5]
	v_cmp_ge_f32_e64 s[4:5], 0, v22
	v_fma_f32 v23, -v19, v11, v0
	s_nop 0
	v_cndmask_b32_e64 v11, v11, v18, s[4:5]
	v_cmp_lt_f32_e64 s[4:5], 0, v21
	v_and_b32_e32 v18, 0xffff0000, v3
	v_lshlrev_b32_e32 v3, 16, v3
	v_cndmask_b32_e64 v10, v10, v15, s[4:5]
	v_cmp_lt_f32_e64 s[4:5], 0, v23
	v_mul_f32_e32 v14, 0x37800000, v10
	v_cndmask_b32_e32 v10, v10, v14, vcc
	v_cndmask_b32_e64 v11, v11, v19, s[4:5]
	v_mul_f32_e32 v15, 0x37800000, v11
	v_cmp_class_f32_e32 vcc, v1, v17
	v_cndmask_b32_e64 v11, v11, v15, s[2:3]
	v_cmp_lt_f32_e64 s[2:3], s9, v13
	v_cndmask_b32_e32 v10, v10, v1, vcc
	v_cmp_class_f32_e32 vcc, v0, v17
	v_and_b32_e32 v15, 0xffff0000, v2
	v_lshlrev_b32_e32 v2, 16, v2
	v_cndmask_b32_e32 v11, v11, v0, vcc
	v_cmp_lt_f32_e32 vcc, s9, v12
	v_cndmask_b32_e64 v0, 0, v16, s[6:7]
	v_sub_f32_e32 v0, v8, v0
	v_cndmask_b32_e32 v1, v9, v12, vcc
	v_mul_f32_e32 v9, 0x4f800000, v1
	v_cmp_gt_f32_e32 vcc, s12, v1
	v_cndmask_b32_e64 v0, v0, v13, s[2:3]
	s_nop 0
	v_cndmask_b32_e32 v1, v1, v9, vcc
	v_sqrt_f32_e32 v9, v1
	s_nop 0
	v_add_u32_e32 v8, -1, v9
	v_fma_f32 v12, -v8, v9, v1
	v_cmp_ge_f32_e64 s[2:3], 0, v12
	v_add_u32_e32 v12, 1, v9
	s_nop 0
	v_cndmask_b32_e64 v8, v9, v8, s[2:3]
	v_fma_f32 v9, -v12, v9, v1
	v_cmp_lt_f32_e64 s[2:3], 0, v9
	s_nop 1
	v_cndmask_b32_e64 v8, v8, v12, s[2:3]
	v_mul_f32_e32 v12, 0x4f800000, v0
	v_cmp_gt_f32_e64 s[2:3], s12, v0
	v_mul_f32_e32 v9, 0x37800000, v8
	v_cndmask_b32_e32 v8, v8, v9, vcc
	v_cndmask_b32_e64 v13, v0, v12, s[2:3]
	v_sqrt_f32_e32 v0, v13
	v_cmp_class_f32_e32 vcc, v1, v17
	v_add_u32_e32 v9, 1, v0
	s_nop 0
	v_cndmask_b32_e32 v12, v8, v1, vcc
	v_add_u32_e32 v1, -1, v0
	v_fma_f32 v8, -v1, v0, v13
	v_cmp_ge_f32_e32 vcc, 0, v8
	v_fma_f32 v14, -v9, v0, v13
	s_nop 0
	v_cndmask_b32_e32 v8, v0, v1, vcc
	v_mul_f32_e32 v0, 0x3fb8aa3b, v2
	v_mul_f32_e32 v1, 0x3fb8aa3b, v15
	v_exp_f32_e32 v0, v0
	v_exp_f32_e32 v1, v1
	v_cmp_lt_f32_e32 vcc, 0, v14
	v_pk_add_f32 v[0:1], v[0:1], 1.0 op_sel_hi:[1,0]
	s_nop 0
	v_cndmask_b32_e32 v8, v8, v9, vcc
	v_cmp_gt_f32_e32 vcc, s15, v1
	v_mul_f32_e32 v9, 0x37800000, v8
	v_cndmask_b32_e64 v8, v8, v9, s[2:3]
	v_cndmask_b32_e32 v14, 1.0, v7, vcc
	v_mul_f32_e32 v1, v1, v14
	v_log_f32_e32 v1, v1
	v_cmp_class_f32_e64 s[2:3], v13, v17
	v_cmp_lt_f32_e64 s[4:5], |v1|, s14
	s_nop 0
	v_cndmask_b32_e64 v13, v8, v13, s[2:3]
	v_cmp_gt_f32_e64 s[2:3], s15, v0
	v_mul_f32_e32 v8, 0x3f317217, v1
	v_fma_f32 v8, v1, s13, -v8
	v_cndmask_b32_e64 v9, 1.0, v7, s[2:3]
	v_mul_f32_e32 v0, v0, v9
	v_log_f32_e32 v0, v0
	v_fmac_f32_e32 v8, 0x3377d1cf, v1
	v_fmac_f32_e32 v8, 0x3f317217, v1
	v_cndmask_b32_e64 v1, v1, v8, s[4:5]
	v_cndmask_b32_e32 v8, 0, v16, vcc
	v_sub_f32_e32 v1, v1, v8
	v_mul_f32_e32 v8, 0x3f317217, v0
	v_fma_f32 v8, v0, s13, -v8
	v_fmac_f32_e32 v8, 0x3377d1cf, v0
	v_fmac_f32_e32 v8, 0x3f317217, v0
	v_cmp_lt_f32_e64 vcc, |v0|, s14
	s_nop 1
	v_cndmask_b32_e32 v0, v0, v8, vcc
	v_cmp_lt_f32_e32 vcc, s9, v15
	v_cndmask_b32_e64 v8, 0, v16, s[2:3]
	v_sub_f32_e32 v0, v0, v8
	v_cndmask_b32_e32 v1, v1, v15, vcc
	v_mul_f32_e32 v9, 0x4f800000, v1
	v_cmp_gt_f32_e32 vcc, s12, v1
	v_cmp_lt_f32_e64 s[2:3], s9, v2
	s_nop 0
	v_cndmask_b32_e32 v1, v1, v9, vcc
	v_sqrt_f32_e32 v9, v1
	v_cndmask_b32_e64 v0, v0, v2, s[2:3]
	v_add_u32_e32 v2, -1, v9
	v_fma_f32 v8, -v2, v9, v1
	v_cmp_ge_f32_e64 s[2:3], 0, v8
	v_add_u32_e32 v8, 1, v9
	s_nop 0
	v_cndmask_b32_e64 v2, v9, v2, s[2:3]
	v_fma_f32 v9, -v8, v9, v1
	v_cmp_lt_f32_e64 s[2:3], 0, v9
	v_mul_f32_e32 v9, 0x4f800000, v0
	s_nop 0
	v_cndmask_b32_e64 v2, v2, v8, s[2:3]
	v_cmp_gt_f32_e64 s[2:3], s12, v0
	v_mul_f32_e32 v8, 0x37800000, v2
	v_cndmask_b32_e32 v2, v2, v8, vcc
	v_cndmask_b32_e64 v9, v0, v9, s[2:3]
	v_sqrt_f32_e32 v0, v9
	v_cmp_class_f32_e32 vcc, v1, v17
	v_add_u32_e32 v8, 1, v0
	s_nop 0
	v_cndmask_b32_e32 v14, v2, v1, vcc
	v_add_u32_e32 v1, -1, v0
	v_fma_f32 v2, -v1, v0, v9
	v_cmp_ge_f32_e32 vcc, 0, v2
	v_fma_f32 v15, -v8, v0, v9
	s_nop 0
	v_cndmask_b32_e32 v2, v0, v1, vcc
	v_mul_f32_e32 v0, 0x3fb8aa3b, v3
	v_mul_f32_e32 v1, 0x3fb8aa3b, v18
	v_exp_f32_e32 v0, v0
	v_exp_f32_e32 v1, v1
	v_cmp_lt_f32_e32 vcc, 0, v15
	v_pk_add_f32 v[0:1], v[0:1], 1.0 op_sel_hi:[1,0]
	s_nop 0
	v_cndmask_b32_e32 v2, v2, v8, vcc
	v_cmp_gt_f32_e32 vcc, s15, v1
	v_mul_f32_e32 v8, 0x37800000, v2
	v_cndmask_b32_e64 v2, v2, v8, s[2:3]
	v_cndmask_b32_e32 v15, 1.0, v7, vcc
	v_mul_f32_e32 v1, v1, v15
	v_log_f32_e32 v1, v1
	v_cmp_class_f32_e64 s[2:3], v9, v17
	v_cmp_lt_f32_e64 s[4:5], |v1|, s14
	s_nop 0
	v_cndmask_b32_e64 v15, v2, v9, s[2:3]
	v_cmp_gt_f32_e64 s[2:3], s15, v0
	v_mul_f32_e32 v2, 0x3f317217, v1
	v_fma_f32 v2, v1, s13, -v2
	v_cndmask_b32_e64 v7, 1.0, v7, s[2:3]
	v_mul_f32_e32 v0, v0, v7
	v_log_f32_e32 v0, v0
	v_fmac_f32_e32 v2, 0x3377d1cf, v1
	v_fmac_f32_e32 v2, 0x3f317217, v1
	v_cndmask_b32_e64 v1, v1, v2, s[4:5]
	v_cndmask_b32_e32 v2, 0, v16, vcc
	v_sub_f32_e32 v1, v1, v2
	v_mul_f32_e32 v2, 0x3f317217, v0
	v_fma_f32 v2, v0, s13, -v2
	v_fmac_f32_e32 v2, 0x3377d1cf, v0
	v_fmac_f32_e32 v2, 0x3f317217, v0
	v_cmp_lt_f32_e64 vcc, |v0|, s14
	s_nop 1
	v_cndmask_b32_e32 v0, v0, v2, vcc
	v_cmp_lt_f32_e32 vcc, s9, v18
	v_cndmask_b32_e64 v2, 0, v16, s[2:3]
	v_sub_f32_e32 v0, v0, v2
	v_cndmask_b32_e32 v1, v1, v18, vcc
	v_mul_f32_e32 v7, 0x4f800000, v1
	v_cmp_gt_f32_e32 vcc, s12, v1
	v_cmp_lt_f32_e64 s[2:3], s9, v3
	s_nop 0
	v_cndmask_b32_e32 v1, v1, v7, vcc
	v_sqrt_f32_e32 v7, v1
	v_cndmask_b32_e64 v0, v0, v3, s[2:3]
	v_add_u32_e32 v2, -1, v7
	v_fma_f32 v3, -v2, v7, v1
	v_cmp_ge_f32_e64 s[2:3], 0, v3
	v_add_u32_e32 v3, 1, v7
	s_nop 0
	v_cndmask_b32_e64 v2, v7, v2, s[2:3]
	v_fma_f32 v7, -v3, v7, v1
	v_cmp_lt_f32_e64 s[2:3], 0, v7
	v_mul_f32_e32 v7, 0x4f800000, v0
	s_nop 0
	v_cndmask_b32_e64 v2, v2, v3, s[2:3]
	v_cmp_gt_f32_e64 s[2:3], s12, v0
	v_mul_f32_e32 v3, 0x37800000, v2
	v_cndmask_b32_e32 v2, v2, v3, vcc
	v_cndmask_b32_e64 v0, v0, v7, s[2:3]
	v_sqrt_f32_e32 v7, v0
	v_cmp_class_f32_e32 vcc, v1, v17
	s_nop 1
	v_cndmask_b32_e32 v16, v2, v1, vcc
	v_add_u32_e32 v1, -1, v7
	v_fma_f32 v2, -v1, v7, v0
	v_cmp_ge_f32_e32 vcc, 0, v2
	v_add_u32_e32 v2, 1, v7
	v_fma_f32 v3, -v2, v7, v0
	v_cndmask_b32_e32 v1, v7, v1, vcc
	v_cmp_lt_f32_e32 vcc, 0, v3
	s_nop 1
	v_cndmask_b32_e32 v1, v1, v2, vcc
	v_mul_f32_e32 v2, 0x37800000, v1
	v_cndmask_b32_e64 v1, v1, v2, s[2:3]
	v_cmp_class_f32_e32 vcc, v0, v17
	v_lshl_add_u64 v[2:3], v[4:5], 2, s[10:11]
	s_cselect_b64 s[2:3], -1, 0
	v_cndmask_b32_e32 v17, v1, v0, vcc
	s_cmp_lt_i32 s16, 1
	v_mul_lo_u32 v0, v6, s16
	s_cbranch_scc1 .LBB434_21
; %bb.2:
	s_load_dwordx2 s[4:5], s[0:1], 0x20
	s_cmp_lt_u32 s16, 4
	s_cbranch_scc1 .LBB434_22
; %bb.3:
	s_mov_b32 s7, 0
	s_and_b32 s8, s16, 0x7ffffffc
	v_ashrrev_i32_e32 v1, 31, v0
	v_mov_b32_e32 v18, 0
	s_mov_b32 s6, s7
	s_branch .LBB434_5
.LBB434_4:                              ;   in Loop: Header=BB434_5 Depth=1
	s_or_b64 exec, exec, s[12:13]
	s_add_i32 s6, s6, 4
	s_cmp_eq_u32 s6, s8
	s_cbranch_scc1 .LBB434_23
.LBB434_5:                              ; =>This Loop Header: Depth=1
                                        ;     Child Loop BB434_7 Depth 2
                                        ;     Child Loop BB434_11 Depth 2
	;; [unrolled: 1-line block ×4, first 2 shown]
	v_lshl_add_u64 v[6:7], s[6:7], 2, v[2:3]
	global_load_dword v19, v[6:7], off
	v_add_u32_e32 v8, s6, v0
	v_ashrrev_i32_e32 v9, 31, v8
	s_mov_b64 s[12:13], 0
	s_waitcnt lgkmcnt(0)
	v_lshl_add_u64 v[8:9], v[8:9], 2, s[4:5]
	s_mov_b32 s9, 0
	s_waitcnt vmcnt(0)
	v_cmp_eq_u32_e32 vcc, 1, v19
	s_nop 1
	v_cndmask_b32_e32 v21, v11, v10, vcc
	v_cmp_eq_u32_e32 vcc, 2, v19
	v_min_u32_e32 v20, 7, v19
	v_add_u32_e32 v20, 1, v20
	v_cndmask_b32_e32 v21, v21, v13, vcc
	v_cmp_eq_u32_e32 vcc, 3, v19
	s_nop 1
	v_cndmask_b32_e32 v21, v21, v12, vcc
	v_cmp_eq_u32_e32 vcc, 4, v19
	s_nop 1
	;; [unrolled: 3-line block ×5, first 2 shown]
	v_cndmask_b32_e32 v21, v21, v16, vcc
	s_branch .LBB434_7
.LBB434_6:                              ;   in Loop: Header=BB434_7 Depth=2
	s_or_b64 exec, exec, s[14:15]
	s_add_i32 s9, s9, 1
	v_cmp_eq_u32_e32 vcc, s9, v20
	s_or_b64 s[12:13], vcc, s[12:13]
	s_andn2_b64 exec, exec, s[12:13]
	s_cbranch_execz .LBB434_9
.LBB434_7:                              ;   Parent Loop BB434_5 Depth=1
                                        ; =>  This Inner Loop Header: Depth=2
	v_cmp_eq_u32_e32 vcc, s9, v19
	s_and_saveexec_b64 s[14:15], vcc
	s_cbranch_execz .LBB434_6
; %bb.8:                                ;   in Loop: Header=BB434_7 Depth=2
	v_add_f32_e32 v18, v18, v21
	global_store_dword v[8:9], v19, off
	s_branch .LBB434_6
.LBB434_9:                              ;   in Loop: Header=BB434_5 Depth=1
	s_or_b64 exec, exec, s[12:13]
	global_load_dword v19, v[6:7], off offset:4
	s_ashr_i32 s13, s6, 31
	s_mov_b32 s12, s6
	v_lshl_add_u64 v[8:9], s[12:13], 0, v[0:1]
	s_mov_b32 s9, 0
	v_lshl_add_u64 v[8:9], v[8:9], 2, s[4:5]
	s_mov_b64 s[12:13], 0
	s_waitcnt vmcnt(0)
	v_cmp_eq_u32_e32 vcc, 1, v19
	s_nop 1
	v_cndmask_b32_e32 v21, v11, v10, vcc
	v_cmp_eq_u32_e32 vcc, 2, v19
	v_min_u32_e32 v20, 7, v19
	v_add_u32_e32 v20, 1, v20
	v_cndmask_b32_e32 v21, v21, v13, vcc
	v_cmp_eq_u32_e32 vcc, 3, v19
	s_nop 1
	v_cndmask_b32_e32 v21, v21, v12, vcc
	v_cmp_eq_u32_e32 vcc, 4, v19
	s_nop 1
	;; [unrolled: 3-line block ×5, first 2 shown]
	v_cndmask_b32_e32 v21, v21, v16, vcc
	s_branch .LBB434_11
.LBB434_10:                             ;   in Loop: Header=BB434_11 Depth=2
	s_or_b64 exec, exec, s[14:15]
	s_add_i32 s9, s9, 1
	v_cmp_eq_u32_e32 vcc, s9, v20
	s_or_b64 s[12:13], vcc, s[12:13]
	s_andn2_b64 exec, exec, s[12:13]
	s_cbranch_execz .LBB434_13
.LBB434_11:                             ;   Parent Loop BB434_5 Depth=1
                                        ; =>  This Inner Loop Header: Depth=2
	v_cmp_eq_u32_e32 vcc, s9, v19
	s_and_saveexec_b64 s[14:15], vcc
	s_cbranch_execz .LBB434_10
; %bb.12:                               ;   in Loop: Header=BB434_11 Depth=2
	v_add_f32_e32 v18, v18, v21
	global_store_dword v[8:9], v19, off offset:4
	s_branch .LBB434_10
.LBB434_13:                             ;   in Loop: Header=BB434_5 Depth=1
	s_or_b64 exec, exec, s[12:13]
	global_load_dword v19, v[6:7], off offset:8
	s_mov_b32 s9, 0
	s_mov_b64 s[12:13], 0
	s_waitcnt vmcnt(0)
	v_cmp_eq_u32_e32 vcc, 1, v19
	s_nop 1
	v_cndmask_b32_e32 v21, v11, v10, vcc
	v_cmp_eq_u32_e32 vcc, 2, v19
	v_min_u32_e32 v20, 7, v19
	v_add_u32_e32 v20, 1, v20
	v_cndmask_b32_e32 v21, v21, v13, vcc
	v_cmp_eq_u32_e32 vcc, 3, v19
	s_nop 1
	v_cndmask_b32_e32 v21, v21, v12, vcc
	v_cmp_eq_u32_e32 vcc, 4, v19
	s_nop 1
	;; [unrolled: 3-line block ×5, first 2 shown]
	v_cndmask_b32_e32 v21, v21, v16, vcc
	s_branch .LBB434_15
.LBB434_14:                             ;   in Loop: Header=BB434_15 Depth=2
	s_or_b64 exec, exec, s[14:15]
	s_add_i32 s9, s9, 1
	v_cmp_eq_u32_e32 vcc, s9, v20
	s_or_b64 s[12:13], vcc, s[12:13]
	s_andn2_b64 exec, exec, s[12:13]
	s_cbranch_execz .LBB434_17
.LBB434_15:                             ;   Parent Loop BB434_5 Depth=1
                                        ; =>  This Inner Loop Header: Depth=2
	v_cmp_eq_u32_e32 vcc, s9, v19
	s_and_saveexec_b64 s[14:15], vcc
	s_cbranch_execz .LBB434_14
; %bb.16:                               ;   in Loop: Header=BB434_15 Depth=2
	v_add_f32_e32 v18, v18, v21
	global_store_dword v[8:9], v19, off offset:8
	s_branch .LBB434_14
.LBB434_17:                             ;   in Loop: Header=BB434_5 Depth=1
	s_or_b64 exec, exec, s[12:13]
	global_load_dword v6, v[6:7], off offset:12
	s_mov_b32 s9, 0
	s_mov_b64 s[12:13], 0
	s_waitcnt vmcnt(0)
	v_cmp_eq_u32_e32 vcc, 1, v6
	s_nop 1
	v_cndmask_b32_e32 v19, v11, v10, vcc
	v_cmp_eq_u32_e32 vcc, 2, v6
	v_min_u32_e32 v7, 7, v6
	v_add_u32_e32 v7, 1, v7
	v_cndmask_b32_e32 v19, v19, v13, vcc
	v_cmp_eq_u32_e32 vcc, 3, v6
	s_nop 1
	v_cndmask_b32_e32 v19, v19, v12, vcc
	v_cmp_eq_u32_e32 vcc, 4, v6
	s_nop 1
	;; [unrolled: 3-line block ×5, first 2 shown]
	v_cndmask_b32_e32 v19, v19, v16, vcc
	s_branch .LBB434_19
.LBB434_18:                             ;   in Loop: Header=BB434_19 Depth=2
	s_or_b64 exec, exec, s[14:15]
	s_add_i32 s9, s9, 1
	v_cmp_eq_u32_e32 vcc, s9, v7
	s_or_b64 s[12:13], vcc, s[12:13]
	s_andn2_b64 exec, exec, s[12:13]
	s_cbranch_execz .LBB434_4
.LBB434_19:                             ;   Parent Loop BB434_5 Depth=1
                                        ; =>  This Inner Loop Header: Depth=2
	v_cmp_eq_u32_e32 vcc, s9, v6
	s_and_saveexec_b64 s[14:15], vcc
	s_cbranch_execz .LBB434_18
; %bb.20:                               ;   in Loop: Header=BB434_19 Depth=2
	v_add_f32_e32 v18, v18, v19
	global_store_dword v[8:9], v6, off offset:12
	s_branch .LBB434_18
.LBB434_21:
	v_mov_b32_e32 v18, v5
	s_branch .LBB434_30
.LBB434_22:
	v_mov_b32_e32 v18, v5
.LBB434_23:
	s_and_b32 s14, s16, 3
	s_cmp_eq_u32 s14, 0
	s_mov_b32 s9, 0
	s_cbranch_scc1 .LBB434_30
; %bb.24:
	s_mov_b32 s15, s9
	s_branch .LBB434_26
.LBB434_25:                             ;   in Loop: Header=BB434_26 Depth=1
	s_or_b64 exec, exec, s[6:7]
	s_add_i32 s8, s8, 1
	s_add_i32 s15, s15, 1
	s_cmp_lg_u32 s15, s14
	s_cbranch_scc0 .LBB434_30
.LBB434_26:                             ; =>This Loop Header: Depth=1
                                        ;     Child Loop BB434_28 Depth 2
	v_lshl_add_u64 v[6:7], s[8:9], 2, v[2:3]
	global_load_dword v1, v[6:7], off
	v_add_u32_e32 v6, s8, v0
	v_ashrrev_i32_e32 v7, 31, v6
	s_mov_b32 s17, 0
	s_waitcnt lgkmcnt(0)
	v_lshl_add_u64 v[6:7], v[6:7], 2, s[4:5]
	s_mov_b64 s[6:7], 0
	s_waitcnt vmcnt(0)
	v_cmp_eq_u32_e32 vcc, 1, v1
	s_nop 1
	v_cndmask_b32_e32 v9, v11, v10, vcc
	v_cmp_eq_u32_e32 vcc, 2, v1
	v_min_u32_e32 v8, 7, v1
	v_add_u32_e32 v8, 1, v8
	v_cndmask_b32_e32 v9, v9, v13, vcc
	v_cmp_eq_u32_e32 vcc, 3, v1
	s_nop 1
	v_cndmask_b32_e32 v9, v9, v12, vcc
	v_cmp_eq_u32_e32 vcc, 4, v1
	s_nop 1
	;; [unrolled: 3-line block ×5, first 2 shown]
	v_cndmask_b32_e32 v9, v9, v16, vcc
	s_branch .LBB434_28
.LBB434_27:                             ;   in Loop: Header=BB434_28 Depth=2
	s_or_b64 exec, exec, s[12:13]
	s_add_i32 s17, s17, 1
	v_cmp_eq_u32_e32 vcc, s17, v8
	s_or_b64 s[6:7], vcc, s[6:7]
	s_andn2_b64 exec, exec, s[6:7]
	s_cbranch_execz .LBB434_25
.LBB434_28:                             ;   Parent Loop BB434_26 Depth=1
                                        ; =>  This Inner Loop Header: Depth=2
	v_cmp_eq_u32_e32 vcc, s17, v1
	s_and_saveexec_b64 s[12:13], vcc
	s_cbranch_execz .LBB434_27
; %bb.29:                               ;   in Loop: Header=BB434_28 Depth=2
	v_add_f32_e32 v18, v18, v9
	global_store_dword v[6:7], v1, off
	s_branch .LBB434_27
.LBB434_30:
	s_load_dword s6, s[0:1], 0x3c
	s_waitcnt lgkmcnt(0)
	s_load_dwordx2 s[4:5], s[0:1], 0x40
	s_bitcmp1_b32 s6, 0
	s_cselect_b64 s[6:7], -1, 0
	s_waitcnt lgkmcnt(0)
	v_cvt_f32_f64_e32 v19, s[4:5]
	s_and_b64 vcc, exec, s[6:7]
	s_cbranch_vccz .LBB434_32
; %bb.31:
	v_cmp_lt_f32_e32 vcc, 0, v18
	s_nop 1
	v_cndmask_b32_e32 v1, 1.0, v18, vcc
	v_div_scale_f32 v6, s[4:5], v1, v1, v19
	v_rcp_f32_e32 v7, v6
	s_nop 0
	v_fma_f32 v8, -v6, v7, 1.0
	v_fmac_f32_e32 v7, v8, v7
	v_div_scale_f32 v8, vcc, v19, v1, v19
	v_mul_f32_e32 v9, v8, v7
	v_fma_f32 v18, -v6, v9, v8
	v_fmac_f32_e32 v9, v18, v7
	v_fma_f32 v6, -v6, v9, v8
	v_div_fmas_f32 v6, v6, v7, v9
	v_div_fixup_f32 v19, v6, v1, v19
.LBB434_32:
	s_andn2_b64 vcc, exec, s[2:3]
	s_cbranch_vccnz .LBB434_57
; %bb.33:
	s_load_dwordx2 s[0:1], s[0:1], 0x10
	s_cmp_lt_u32 s16, 8
	s_mov_b32 s2, 0
	s_cbranch_scc1 .LBB434_52
; %bb.34:
	v_ashrrev_i32_e32 v1, 31, v0
	s_and_b32 s2, s16, 0x7ffffff8
	s_waitcnt lgkmcnt(0)
	v_lshl_add_u64 v[6:7], v[0:1], 2, s[0:1]
	s_mov_b32 s3, 0
	s_mov_b64 s[4:5], 0
	s_branch .LBB434_36
.LBB434_35:                             ;   in Loop: Header=BB434_36 Depth=1
	s_or_b64 exec, exec, s[6:7]
	s_add_i32 s3, s3, 8
	s_add_u32 s4, s4, 32
	s_addc_u32 s5, s5, 0
	s_cmp_eq_u32 s2, s3
	s_cbranch_scc1 .LBB434_52
.LBB434_36:                             ; =>This Inner Loop Header: Depth=1
	v_lshl_add_u64 v[8:9], v[2:3], 0, s[4:5]
	global_load_dword v1, v[8:9], off
	s_waitcnt vmcnt(0)
	v_cmp_gt_u32_e32 vcc, 8, v1
	s_and_saveexec_b64 s[6:7], vcc
	s_cbranch_execz .LBB434_38
; %bb.37:                               ;   in Loop: Header=BB434_36 Depth=1
	v_cmp_eq_u32_e32 vcc, 1, v1
	v_add_u32_e32 v20, s3, v0
	v_ashrrev_i32_e32 v21, 31, v20
	v_cndmask_b32_e32 v18, v11, v10, vcc
	v_cmp_eq_u32_e32 vcc, 2, v1
	v_lshl_add_u64 v[20:21], v[20:21], 2, s[0:1]
	s_nop 0
	v_cndmask_b32_e32 v18, v18, v13, vcc
	v_cmp_eq_u32_e32 vcc, 3, v1
	s_nop 1
	v_cndmask_b32_e32 v18, v18, v12, vcc
	v_cmp_eq_u32_e32 vcc, 4, v1
	;; [unrolled: 3-line block ×5, first 2 shown]
	s_nop 1
	v_cndmask_b32_e32 v1, v18, v16, vcc
	v_mul_f32_e32 v1, v19, v1
	global_store_dword v[20:21], v1, off
.LBB434_38:                             ;   in Loop: Header=BB434_36 Depth=1
	s_or_b64 exec, exec, s[6:7]
	global_load_dword v1, v[8:9], off offset:4
	s_waitcnt vmcnt(0)
	v_cmp_gt_u32_e32 vcc, 8, v1
	s_and_saveexec_b64 s[6:7], vcc
	s_cbranch_execz .LBB434_40
; %bb.39:                               ;   in Loop: Header=BB434_36 Depth=1
	v_cmp_eq_u32_e32 vcc, 1, v1
	v_lshl_add_u64 v[20:21], v[6:7], 0, s[4:5]
	s_nop 0
	v_cndmask_b32_e32 v18, v11, v10, vcc
	v_cmp_eq_u32_e32 vcc, 2, v1
	s_nop 1
	v_cndmask_b32_e32 v18, v18, v13, vcc
	v_cmp_eq_u32_e32 vcc, 3, v1
	s_nop 1
	v_cndmask_b32_e32 v18, v18, v12, vcc
	v_cmp_eq_u32_e32 vcc, 4, v1
	s_nop 1
	v_cndmask_b32_e32 v18, v18, v15, vcc
	v_cmp_eq_u32_e32 vcc, 5, v1
	s_nop 1
	v_cndmask_b32_e32 v18, v18, v14, vcc
	v_cmp_eq_u32_e32 vcc, 6, v1
	s_nop 1
	v_cndmask_b32_e32 v18, v18, v17, vcc
	v_cmp_eq_u32_e32 vcc, 7, v1
	s_nop 1
	v_cndmask_b32_e32 v1, v18, v16, vcc
	v_mul_f32_e32 v1, v19, v1
	global_store_dword v[20:21], v1, off offset:4
.LBB434_40:                             ;   in Loop: Header=BB434_36 Depth=1
	s_or_b64 exec, exec, s[6:7]
	global_load_dword v1, v[8:9], off offset:8
	s_waitcnt vmcnt(0)
	v_cmp_gt_u32_e32 vcc, 8, v1
	s_and_saveexec_b64 s[6:7], vcc
	s_cbranch_execz .LBB434_42
; %bb.41:                               ;   in Loop: Header=BB434_36 Depth=1
	v_cmp_eq_u32_e32 vcc, 1, v1
	v_lshl_add_u64 v[20:21], v[6:7], 0, s[4:5]
	s_nop 0
	v_cndmask_b32_e32 v18, v11, v10, vcc
	v_cmp_eq_u32_e32 vcc, 2, v1
	s_nop 1
	v_cndmask_b32_e32 v18, v18, v13, vcc
	v_cmp_eq_u32_e32 vcc, 3, v1
	s_nop 1
	v_cndmask_b32_e32 v18, v18, v12, vcc
	v_cmp_eq_u32_e32 vcc, 4, v1
	s_nop 1
	v_cndmask_b32_e32 v18, v18, v15, vcc
	v_cmp_eq_u32_e32 vcc, 5, v1
	s_nop 1
	v_cndmask_b32_e32 v18, v18, v14, vcc
	v_cmp_eq_u32_e32 vcc, 6, v1
	s_nop 1
	v_cndmask_b32_e32 v18, v18, v17, vcc
	v_cmp_eq_u32_e32 vcc, 7, v1
	s_nop 1
	v_cndmask_b32_e32 v1, v18, v16, vcc
	v_mul_f32_e32 v1, v19, v1
	global_store_dword v[20:21], v1, off offset:8
.LBB434_42:                             ;   in Loop: Header=BB434_36 Depth=1
	;; [unrolled: 32-line block ×6, first 2 shown]
	s_or_b64 exec, exec, s[6:7]
	global_load_dword v1, v[8:9], off offset:28
	s_waitcnt vmcnt(0)
	v_cmp_gt_u32_e32 vcc, 8, v1
	s_and_saveexec_b64 s[6:7], vcc
	s_cbranch_execz .LBB434_35
; %bb.51:                               ;   in Loop: Header=BB434_36 Depth=1
	v_cmp_eq_u32_e32 vcc, 1, v1
	s_nop 1
	v_cndmask_b32_e32 v8, v11, v10, vcc
	v_cmp_eq_u32_e32 vcc, 2, v1
	s_nop 1
	v_cndmask_b32_e32 v8, v8, v13, vcc
	;; [unrolled: 3-line block ×7, first 2 shown]
	v_mul_f32_e32 v1, v19, v1
	v_lshl_add_u64 v[8:9], v[6:7], 0, s[4:5]
	global_store_dword v[8:9], v1, off offset:28
	s_branch .LBB434_35
.LBB434_52:
	s_and_b32 s4, s16, 7
	s_cmp_eq_u32 s4, 0
	s_mov_b32 s3, 0
	s_cbranch_scc1 .LBB434_57
; %bb.53:
	v_add_u32_e32 v0, s2, v0
	s_lshl_b64 s[2:3], s[2:3], 2
	s_add_u32 s2, s10, s2
	s_addc_u32 s3, s11, s3
	v_lshl_add_u64 v[2:3], v[4:5], 2, s[2:3]
	s_branch .LBB434_55
.LBB434_54:                             ;   in Loop: Header=BB434_55 Depth=1
	s_or_b64 exec, exec, s[2:3]
	s_add_i32 s4, s4, -1
	v_add_u32_e32 v0, 1, v0
	s_cmp_eq_u32 s4, 0
	v_lshl_add_u64 v[2:3], v[2:3], 0, 4
	s_cbranch_scc1 .LBB434_57
.LBB434_55:                             ; =>This Inner Loop Header: Depth=1
	global_load_dword v1, v[2:3], off
	s_waitcnt vmcnt(0)
	v_cmp_gt_u32_e32 vcc, 8, v1
	s_and_saveexec_b64 s[2:3], vcc
	s_cbranch_execz .LBB434_54
; %bb.56:                               ;   in Loop: Header=BB434_55 Depth=1
	v_cmp_eq_u32_e32 vcc, 1, v1
	s_nop 1
	v_cndmask_b32_e32 v4, v11, v10, vcc
	v_cmp_eq_u32_e32 vcc, 2, v1
	s_nop 1
	v_cndmask_b32_e32 v4, v4, v13, vcc
	v_cmp_eq_u32_e32 vcc, 3, v1
	s_nop 1
	v_cndmask_b32_e32 v4, v4, v12, vcc
	v_cmp_eq_u32_e32 vcc, 4, v1
	s_nop 1
	v_cndmask_b32_e32 v4, v4, v15, vcc
	v_cmp_eq_u32_e32 vcc, 5, v1
	s_nop 1
	v_cndmask_b32_e32 v4, v4, v14, vcc
	v_cmp_eq_u32_e32 vcc, 6, v1
	s_nop 1
	v_cndmask_b32_e32 v4, v4, v17, vcc
	v_cmp_eq_u32_e32 vcc, 7, v1
	s_nop 1
	v_cndmask_b32_e32 v1, v4, v16, vcc
	v_mul_f32_e32 v6, v19, v1
	v_ashrrev_i32_e32 v1, 31, v0
	s_waitcnt lgkmcnt(0)
	v_lshl_add_u64 v[4:5], v[0:1], 2, s[0:1]
	global_store_dword v[4:5], v6, off
	s_branch .LBB434_54
.LBB434_57:
	s_endpgm
	.section	.rodata,"a",@progbits
	.p2align	6, 0x0
	.amdhsa_kernel _ZN4vllm3moe22topkGatingSoftplusSqrtILi8ELi8ELi4ELi16ELi32ELb1Ej14__hip_bfloat16EEvPKT6_PKbPfiPT5_PiiiibdPKfPKS9_SF_
		.amdhsa_group_segment_fixed_size 0
		.amdhsa_private_segment_fixed_size 0
		.amdhsa_kernarg_size 96
		.amdhsa_user_sgpr_count 2
		.amdhsa_user_sgpr_dispatch_ptr 0
		.amdhsa_user_sgpr_queue_ptr 0
		.amdhsa_user_sgpr_kernarg_segment_ptr 1
		.amdhsa_user_sgpr_dispatch_id 0
		.amdhsa_user_sgpr_kernarg_preload_length 0
		.amdhsa_user_sgpr_kernarg_preload_offset 0
		.amdhsa_user_sgpr_private_segment_size 0
		.amdhsa_uses_dynamic_stack 0
		.amdhsa_enable_private_segment 0
		.amdhsa_system_sgpr_workgroup_id_x 1
		.amdhsa_system_sgpr_workgroup_id_y 0
		.amdhsa_system_sgpr_workgroup_id_z 0
		.amdhsa_system_sgpr_workgroup_info 0
		.amdhsa_system_vgpr_workitem_id 1
		.amdhsa_next_free_vgpr 24
		.amdhsa_next_free_sgpr 18
		.amdhsa_accum_offset 24
		.amdhsa_reserve_vcc 1
		.amdhsa_float_round_mode_32 0
		.amdhsa_float_round_mode_16_64 0
		.amdhsa_float_denorm_mode_32 3
		.amdhsa_float_denorm_mode_16_64 3
		.amdhsa_dx10_clamp 1
		.amdhsa_ieee_mode 1
		.amdhsa_fp16_overflow 0
		.amdhsa_tg_split 0
		.amdhsa_exception_fp_ieee_invalid_op 0
		.amdhsa_exception_fp_denorm_src 0
		.amdhsa_exception_fp_ieee_div_zero 0
		.amdhsa_exception_fp_ieee_overflow 0
		.amdhsa_exception_fp_ieee_underflow 0
		.amdhsa_exception_fp_ieee_inexact 0
		.amdhsa_exception_int_div_zero 0
	.end_amdhsa_kernel
	.section	.text._ZN4vllm3moe22topkGatingSoftplusSqrtILi8ELi8ELi4ELi16ELi32ELb1Ej14__hip_bfloat16EEvPKT6_PKbPfiPT5_PiiiibdPKfPKS9_SF_,"axG",@progbits,_ZN4vllm3moe22topkGatingSoftplusSqrtILi8ELi8ELi4ELi16ELi32ELb1Ej14__hip_bfloat16EEvPKT6_PKbPfiPT5_PiiiibdPKfPKS9_SF_,comdat
.Lfunc_end434:
	.size	_ZN4vllm3moe22topkGatingSoftplusSqrtILi8ELi8ELi4ELi16ELi32ELb1Ej14__hip_bfloat16EEvPKT6_PKbPfiPT5_PiiiibdPKfPKS9_SF_, .Lfunc_end434-_ZN4vllm3moe22topkGatingSoftplusSqrtILi8ELi8ELi4ELi16ELi32ELb1Ej14__hip_bfloat16EEvPKT6_PKbPfiPT5_PiiiibdPKfPKS9_SF_
                                        ; -- End function
	.section	.AMDGPU.csdata,"",@progbits
; Kernel info:
; codeLenInByte = 4540
; NumSgprs: 24
; NumVgprs: 24
; NumAgprs: 0
; TotalNumVgprs: 24
; ScratchSize: 0
; MemoryBound: 0
; FloatMode: 240
; IeeeMode: 1
; LDSByteSize: 0 bytes/workgroup (compile time only)
; SGPRBlocks: 2
; VGPRBlocks: 2
; NumSGPRsForWavesPerEU: 24
; NumVGPRsForWavesPerEU: 24
; AccumOffset: 24
; Occupancy: 8
; WaveLimiterHint : 1
; COMPUTE_PGM_RSRC2:SCRATCH_EN: 0
; COMPUTE_PGM_RSRC2:USER_SGPR: 2
; COMPUTE_PGM_RSRC2:TRAP_HANDLER: 0
; COMPUTE_PGM_RSRC2:TGID_X_EN: 1
; COMPUTE_PGM_RSRC2:TGID_Y_EN: 0
; COMPUTE_PGM_RSRC2:TGID_Z_EN: 0
; COMPUTE_PGM_RSRC2:TIDIG_COMP_CNT: 1
; COMPUTE_PGM_RSRC3_GFX90A:ACCUM_OFFSET: 5
; COMPUTE_PGM_RSRC3_GFX90A:TG_SPLIT: 0
	.section	.text._ZN4vllm3moe22topkGatingSoftplusSqrtILi8ELi8ELi4ELi16ELi32ELb0Ej14__hip_bfloat16EEvPKT6_PKbPfiPT5_PiiiibdPKfPKS9_SF_,"axG",@progbits,_ZN4vllm3moe22topkGatingSoftplusSqrtILi8ELi8ELi4ELi16ELi32ELb0Ej14__hip_bfloat16EEvPKT6_PKbPfiPT5_PiiiibdPKfPKS9_SF_,comdat
	.protected	_ZN4vllm3moe22topkGatingSoftplusSqrtILi8ELi8ELi4ELi16ELi32ELb0Ej14__hip_bfloat16EEvPKT6_PKbPfiPT5_PiiiibdPKfPKS9_SF_ ; -- Begin function _ZN4vllm3moe22topkGatingSoftplusSqrtILi8ELi8ELi4ELi16ELi32ELb0Ej14__hip_bfloat16EEvPKT6_PKbPfiPT5_PiiiibdPKfPKS9_SF_
	.globl	_ZN4vllm3moe22topkGatingSoftplusSqrtILi8ELi8ELi4ELi16ELi32ELb0Ej14__hip_bfloat16EEvPKT6_PKbPfiPT5_PiiiibdPKfPKS9_SF_
	.p2align	8
	.type	_ZN4vllm3moe22topkGatingSoftplusSqrtILi8ELi8ELi4ELi16ELi32ELb0Ej14__hip_bfloat16EEvPKT6_PKbPfiPT5_PiiiibdPKfPKS9_SF_,@function
_ZN4vllm3moe22topkGatingSoftplusSqrtILi8ELi8ELi4ELi16ELi32ELb0Ej14__hip_bfloat16EEvPKT6_PKbPfiPT5_PiiiibdPKfPKS9_SF_: ; @_ZN4vllm3moe22topkGatingSoftplusSqrtILi8ELi8ELi4ELi16ELi32ELb0Ej14__hip_bfloat16EEvPKT6_PKbPfiPT5_PiiiibdPKfPKS9_SF_
; %bb.0:
	s_load_dword s24, s[0:1], 0x18
	v_bfe_u32 v1, v0, 10, 10
	s_lshl_b32 s2, s2, 7
	v_lshlrev_b32_e32 v1, 5, v1
	v_and_b32_e32 v0, 0x3ff, v0
	v_add3_u32 v8, v1, v0, s2
	s_waitcnt lgkmcnt(0)
	v_cmp_gt_i32_e32 vcc, s24, v8
	s_and_saveexec_b64 s[2:3], vcc
	s_cbranch_execz .LBB435_40
; %bb.1:
	s_load_dwordx4 s[4:7], s[0:1], 0x0
	s_load_dwordx2 s[20:21], s[0:1], 0x10
	s_waitcnt lgkmcnt(0)
	s_cmp_eq_u64 s[6:7], 0
	s_cbranch_scc1 .LBB435_3
; %bb.2:
	v_ashrrev_i32_e32 v9, 31, v8
	v_lshl_add_u64 v[0:1], s[6:7], 0, v[8:9]
	global_load_ubyte v0, v[0:1], off
	s_waitcnt vmcnt(0)
	v_and_b32_e32 v0, 1, v0
	v_cmp_eq_u32_e32 vcc, 1, v0
	s_xor_b64 s[2:3], vcc, -1
	s_orn2_b64 s[6:7], s[2:3], exec
	s_branch .LBB435_4
.LBB435_3:
	s_mov_b64 s[6:7], -1
.LBB435_4:
	v_lshlrev_b32_e32 v2, 3, v8
	v_mov_b32_e32 v0, s4
	v_mov_b32_e32 v1, s5
	v_ashrrev_i32_e32 v3, 31, v2
	v_lshl_add_u64 v[0:1], v[2:3], 1, v[0:1]
	global_load_dwordx4 v[4:7], v[0:1], off
	s_mov_b32 s18, 0x800000
	v_mov_b32_e32 v2, 0x4f800000
	s_mov_b32 s15, 0x3f317217
	s_mov_b32 s16, 0x7f800000
	v_mov_b32_e32 v3, 0x41b17218
	s_mov_b32 s14, 0x41a00000
	s_mov_b32 s17, 0xf800000
	s_load_dwordx4 s[8:11], s[0:1], 0x40
	s_waitcnt lgkmcnt(0)
	s_cmp_lg_u64 s[10:11], 0
	s_cselect_b64 s[12:13], -1, 0
	s_and_b64 s[2:3], exec, s[12:13]
	s_waitcnt vmcnt(0)
	v_lshlrev_b32_e32 v0, 16, v4
	v_mul_f32_e32 v1, 0x3fb8aa3b, v0
	v_exp_f32_e32 v1, v1
	s_nop 0
	v_add_f32_e32 v1, 1.0, v1
	v_cmp_gt_f32_e32 vcc, s18, v1
	s_nop 1
	v_cndmask_b32_e32 v9, 1.0, v2, vcc
	v_mul_f32_e32 v1, v1, v9
	v_log_f32_e32 v9, v1
	v_cndmask_b32_e32 v10, 0, v3, vcc
	v_mov_b32_e32 v1, 0x260
	v_mul_f32_e32 v11, 0x3f317217, v9
	v_fma_f32 v11, v9, s15, -v11
	v_fmac_f32_e32 v11, 0x3377d1cf, v9
	v_fmac_f32_e32 v11, 0x3f317217, v9
	v_cmp_lt_f32_e64 vcc, |v9|, s16
	s_nop 1
	v_cndmask_b32_e32 v9, v9, v11, vcc
	v_sub_f32_e32 v9, v9, v10
	v_cmp_lt_f32_e32 vcc, s14, v0
	s_nop 1
	v_cndmask_b32_e32 v0, v9, v0, vcc
	v_mul_f32_e32 v9, 0x4f800000, v0
	v_cmp_gt_f32_e32 vcc, s17, v0
	s_nop 1
	v_cndmask_b32_e32 v0, v0, v9, vcc
	v_sqrt_f32_e32 v9, v0
	s_nop 0
	v_add_u32_e32 v10, -1, v9
	v_add_u32_e32 v11, 1, v9
	v_fma_f32 v12, -v10, v9, v0
	v_fma_f32 v13, -v11, v9, v0
	v_cmp_ge_f32_e64 s[4:5], 0, v12
	s_nop 1
	v_cndmask_b32_e64 v9, v9, v10, s[4:5]
	v_cmp_lt_f32_e64 s[4:5], 0, v13
	s_nop 1
	v_cndmask_b32_e64 v9, v9, v11, s[4:5]
	v_mul_f32_e32 v10, 0x37800000, v9
	v_cndmask_b32_e32 v9, v9, v10, vcc
	v_cmp_class_f32_e32 vcc, v0, v1
	s_nop 1
	v_cndmask_b32_e32 v0, v9, v0, vcc
	s_mov_b64 vcc, s[2:3]
	s_cbranch_vccz .LBB435_6
; %bb.5:
	s_load_dword s2, s[10:11], 0x0
	s_waitcnt lgkmcnt(0)
	v_add_f32_e32 v0, s2, v0
.LBB435_6:
	v_and_b32_e32 v4, 0xffff0000, v4
	v_mul_f32_e32 v9, 0x3fb8aa3b, v4
	v_exp_f32_e32 v9, v9
	s_nop 0
	v_add_f32_e32 v9, 1.0, v9
	v_cmp_gt_f32_e32 vcc, s18, v9
	s_nop 1
	v_cndmask_b32_e32 v2, 1.0, v2, vcc
	v_mul_f32_e32 v2, v9, v2
	v_log_f32_e32 v2, v2
	v_cndmask_b32_e32 v3, 0, v3, vcc
	v_mul_f32_e32 v9, 0x3f317217, v2
	v_fma_f32 v9, v2, s15, -v9
	v_fmac_f32_e32 v9, 0x3377d1cf, v2
	v_fmac_f32_e32 v9, 0x3f317217, v2
	v_cmp_lt_f32_e64 vcc, |v2|, s16
	s_nop 1
	v_cndmask_b32_e32 v2, v2, v9, vcc
	v_sub_f32_e32 v2, v2, v3
	v_cmp_lt_f32_e32 vcc, s14, v4
	s_nop 1
	v_cndmask_b32_e32 v2, v2, v4, vcc
	v_mul_f32_e32 v3, 0x4f800000, v2
	v_cmp_gt_f32_e32 vcc, s17, v2
	s_nop 1
	v_cndmask_b32_e32 v2, v2, v3, vcc
	v_sqrt_f32_e32 v3, v2
	v_cmp_class_f32_e64 s[4:5], v2, v1
	v_add_u32_e32 v4, -1, v3
	v_add_u32_e32 v9, 1, v3
	v_fma_f32 v10, -v4, v3, v2
	v_fma_f32 v11, -v9, v3, v2
	v_cmp_ge_f32_e64 s[2:3], 0, v10
	s_nop 1
	v_cndmask_b32_e64 v3, v3, v4, s[2:3]
	v_cmp_lt_f32_e64 s[2:3], 0, v11
	s_nop 1
	v_cndmask_b32_e64 v3, v3, v9, s[2:3]
	v_mul_f32_e32 v4, 0x37800000, v3
	v_cndmask_b32_e32 v3, v3, v4, vcc
	v_cndmask_b32_e64 v4, 0, 1, s[12:13]
	v_cmp_ne_u32_e64 s[2:3], 1, v4
	s_andn2_b64 vcc, exec, s[12:13]
	v_cndmask_b32_e64 v1, v3, v2, s[4:5]
	s_cbranch_vccnz .LBB435_8
; %bb.7:
	s_load_dword s4, s[10:11], 0x4
	s_waitcnt lgkmcnt(0)
	v_add_f32_e32 v1, s4, v1
.LBB435_8:
	v_lshlrev_b32_e32 v2, 16, v5
	v_mul_f32_e32 v3, 0x3fb8aa3b, v2
	v_exp_f32_e32 v3, v3
	s_mov_b32 s16, 0x800000
	v_mov_b32_e32 v4, 0x4f800000
	s_mov_b32 s13, 0x3f317217
	v_add_f32_e32 v3, 1.0, v3
	v_cmp_gt_f32_e32 vcc, s16, v3
	s_mov_b32 s14, 0x7f800000
	s_mov_b32 s12, 0x41a00000
	v_cndmask_b32_e32 v9, 1.0, v4, vcc
	v_mul_f32_e32 v3, v3, v9
	v_log_f32_e32 v3, v3
	s_mov_b32 s15, 0xf800000
	v_mul_f32_e32 v9, 0x3f317217, v3
	v_fma_f32 v9, v3, s13, -v9
	v_fmac_f32_e32 v9, 0x3377d1cf, v3
	v_fmac_f32_e32 v9, 0x3f317217, v3
	v_cmp_lt_f32_e64 s[4:5], |v3|, s14
	s_nop 1
	v_cndmask_b32_e64 v3, v3, v9, s[4:5]
	v_mov_b32_e32 v9, 0x41b17218
	v_cndmask_b32_e32 v10, 0, v9, vcc
	v_sub_f32_e32 v3, v3, v10
	v_cmp_lt_f32_e32 vcc, s12, v2
	s_nop 1
	v_cndmask_b32_e32 v2, v3, v2, vcc
	v_mul_f32_e32 v3, 0x4f800000, v2
	v_cmp_gt_f32_e32 vcc, s15, v2
	s_nop 1
	v_cndmask_b32_e32 v2, v2, v3, vcc
	v_sqrt_f32_e32 v3, v2
	s_nop 0
	v_add_u32_e32 v10, -1, v3
	v_fma_f32 v11, -v10, v3, v2
	v_cmp_ge_f32_e64 s[4:5], 0, v11
	v_add_u32_e32 v11, 1, v3
	s_nop 0
	v_cndmask_b32_e64 v10, v3, v10, s[4:5]
	v_fma_f32 v3, -v11, v3, v2
	v_cmp_lt_f32_e64 s[4:5], 0, v3
	s_nop 1
	v_cndmask_b32_e64 v3, v10, v11, s[4:5]
	v_mul_f32_e32 v10, 0x37800000, v3
	v_cndmask_b32_e32 v10, v3, v10, vcc
	v_mov_b32_e32 v3, 0x260
	v_cmp_class_f32_e64 s[4:5], v2, v3
	s_and_b64 vcc, exec, s[2:3]
	s_nop 0
	v_cndmask_b32_e64 v2, v10, v2, s[4:5]
	s_cbranch_vccnz .LBB435_10
; %bb.9:
	s_load_dword s4, s[10:11], 0x8
	s_waitcnt lgkmcnt(0)
	v_add_f32_e32 v2, s4, v2
.LBB435_10:
	v_and_b32_e32 v5, 0xffff0000, v5
	v_mul_f32_e32 v10, 0x3fb8aa3b, v5
	v_exp_f32_e32 v10, v10
	s_nop 0
	v_add_f32_e32 v10, 1.0, v10
	v_cmp_gt_f32_e32 vcc, s16, v10
	s_nop 1
	v_cndmask_b32_e32 v4, 1.0, v4, vcc
	v_mul_f32_e32 v4, v10, v4
	v_log_f32_e32 v4, v4
	v_cndmask_b32_e32 v9, 0, v9, vcc
	v_mul_f32_e32 v10, 0x3f317217, v4
	v_fma_f32 v10, v4, s13, -v10
	v_fmac_f32_e32 v10, 0x3377d1cf, v4
	v_fmac_f32_e32 v10, 0x3f317217, v4
	v_cmp_lt_f32_e64 vcc, |v4|, s14
	s_nop 1
	v_cndmask_b32_e32 v4, v4, v10, vcc
	v_sub_f32_e32 v4, v4, v9
	v_cmp_lt_f32_e32 vcc, s12, v5
	s_nop 1
	v_cndmask_b32_e32 v4, v4, v5, vcc
	v_mul_f32_e32 v5, 0x4f800000, v4
	v_cmp_gt_f32_e32 vcc, s15, v4
	s_nop 1
	v_cndmask_b32_e32 v4, v4, v5, vcc
	v_sqrt_f32_e32 v5, v4
	s_nop 0
	v_add_u32_e32 v9, -1, v5
	v_add_u32_e32 v10, 1, v5
	v_fma_f32 v11, -v9, v5, v4
	v_fma_f32 v12, -v10, v5, v4
	v_cmp_ge_f32_e64 s[4:5], 0, v11
	s_nop 1
	v_cndmask_b32_e64 v5, v5, v9, s[4:5]
	v_cmp_lt_f32_e64 s[4:5], 0, v12
	s_nop 1
	v_cndmask_b32_e64 v5, v5, v10, s[4:5]
	v_mul_f32_e32 v9, 0x37800000, v5
	v_cndmask_b32_e32 v5, v5, v9, vcc
	v_cmp_class_f32_e64 s[4:5], v4, v3
	s_and_b64 vcc, exec, s[2:3]
	s_nop 0
	v_cndmask_b32_e64 v3, v5, v4, s[4:5]
	s_cbranch_vccnz .LBB435_12
; %bb.11:
	s_load_dword s4, s[10:11], 0xc
	s_waitcnt lgkmcnt(0)
	v_add_f32_e32 v3, s4, v3
.LBB435_12:
	v_lshlrev_b32_e32 v4, 16, v6
	v_mul_f32_e32 v5, 0x3fb8aa3b, v4
	v_exp_f32_e32 v5, v5
	v_mov_b32_e32 v9, 0x4f800000
	v_add_f32_e32 v5, 1.0, v5
	v_cmp_gt_f32_e32 vcc, s16, v5
	s_nop 1
	v_cndmask_b32_e32 v10, 1.0, v9, vcc
	v_mul_f32_e32 v5, v5, v10
	v_log_f32_e32 v5, v5
	s_nop 0
	v_mul_f32_e32 v10, 0x3f317217, v5
	v_fma_f32 v10, v5, s13, -v10
	v_fmac_f32_e32 v10, 0x3377d1cf, v5
	v_fmac_f32_e32 v10, 0x3f317217, v5
	v_cmp_lt_f32_e64 s[4:5], |v5|, s14
	s_nop 1
	v_cndmask_b32_e64 v5, v5, v10, s[4:5]
	v_mov_b32_e32 v10, 0x41b17218
	v_cndmask_b32_e32 v11, 0, v10, vcc
	v_sub_f32_e32 v5, v5, v11
	v_cmp_lt_f32_e32 vcc, s12, v4
	s_nop 1
	v_cndmask_b32_e32 v4, v5, v4, vcc
	v_mul_f32_e32 v5, 0x4f800000, v4
	v_cmp_gt_f32_e32 vcc, s15, v4
	s_nop 1
	v_cndmask_b32_e32 v4, v4, v5, vcc
	v_sqrt_f32_e32 v5, v4
	s_nop 0
	v_add_u32_e32 v11, -1, v5
	v_fma_f32 v12, -v11, v5, v4
	v_cmp_ge_f32_e64 s[4:5], 0, v12
	v_add_u32_e32 v12, 1, v5
	s_nop 0
	v_cndmask_b32_e64 v11, v5, v11, s[4:5]
	v_fma_f32 v5, -v12, v5, v4
	v_cmp_lt_f32_e64 s[4:5], 0, v5
	s_nop 1
	v_cndmask_b32_e64 v5, v11, v12, s[4:5]
	v_mul_f32_e32 v11, 0x37800000, v5
	v_cndmask_b32_e32 v11, v5, v11, vcc
	v_mov_b32_e32 v5, 0x260
	v_cmp_class_f32_e64 s[4:5], v4, v5
	s_and_b64 vcc, exec, s[2:3]
	s_nop 0
	v_cndmask_b32_e64 v4, v11, v4, s[4:5]
	s_cbranch_vccnz .LBB435_14
; %bb.13:
	s_load_dword s4, s[10:11], 0x10
	s_waitcnt lgkmcnt(0)
	v_add_f32_e32 v4, s4, v4
.LBB435_14:
	v_and_b32_e32 v6, 0xffff0000, v6
	v_mul_f32_e32 v11, 0x3fb8aa3b, v6
	v_exp_f32_e32 v11, v11
	s_nop 0
	v_add_f32_e32 v11, 1.0, v11
	v_cmp_gt_f32_e32 vcc, s16, v11
	s_nop 1
	v_cndmask_b32_e32 v9, 1.0, v9, vcc
	v_mul_f32_e32 v9, v11, v9
	v_log_f32_e32 v9, v9
	v_cndmask_b32_e32 v10, 0, v10, vcc
	v_mul_f32_e32 v11, 0x3f317217, v9
	v_fma_f32 v11, v9, s13, -v11
	v_fmac_f32_e32 v11, 0x3377d1cf, v9
	v_fmac_f32_e32 v11, 0x3f317217, v9
	v_cmp_lt_f32_e64 vcc, |v9|, s14
	s_nop 1
	v_cndmask_b32_e32 v9, v9, v11, vcc
	v_sub_f32_e32 v9, v9, v10
	v_cmp_lt_f32_e32 vcc, s12, v6
	s_nop 1
	v_cndmask_b32_e32 v6, v9, v6, vcc
	v_mul_f32_e32 v9, 0x4f800000, v6
	v_cmp_gt_f32_e32 vcc, s15, v6
	s_nop 1
	v_cndmask_b32_e32 v6, v6, v9, vcc
	v_sqrt_f32_e32 v9, v6
	s_nop 0
	v_add_u32_e32 v10, -1, v9
	v_add_u32_e32 v11, 1, v9
	v_fma_f32 v12, -v10, v9, v6
	v_fma_f32 v13, -v11, v9, v6
	v_cmp_ge_f32_e64 s[4:5], 0, v12
	s_nop 1
	v_cndmask_b32_e64 v9, v9, v10, s[4:5]
	v_cmp_lt_f32_e64 s[4:5], 0, v13
	s_nop 1
	v_cndmask_b32_e64 v9, v9, v11, s[4:5]
	v_mul_f32_e32 v10, 0x37800000, v9
	v_cndmask_b32_e32 v9, v9, v10, vcc
	v_cmp_class_f32_e64 s[4:5], v6, v5
	s_and_b64 vcc, exec, s[2:3]
	s_nop 0
	v_cndmask_b32_e64 v5, v9, v6, s[4:5]
	s_cbranch_vccnz .LBB435_16
; %bb.15:
	s_load_dword s4, s[10:11], 0x14
	s_waitcnt lgkmcnt(0)
	v_add_f32_e32 v5, s4, v5
.LBB435_16:
	v_lshlrev_b32_e32 v6, 16, v7
	v_mul_f32_e32 v9, 0x3fb8aa3b, v6
	v_exp_f32_e32 v9, v9
	v_mov_b32_e32 v10, 0x4f800000
	v_add_f32_e32 v9, 1.0, v9
	v_cmp_gt_f32_e32 vcc, s16, v9
	s_nop 1
	v_cndmask_b32_e32 v11, 1.0, v10, vcc
	v_mul_f32_e32 v9, v9, v11
	v_log_f32_e32 v9, v9
	s_nop 0
	v_mul_f32_e32 v11, 0x3f317217, v9
	v_fma_f32 v11, v9, s13, -v11
	v_fmac_f32_e32 v11, 0x3377d1cf, v9
	v_fmac_f32_e32 v11, 0x3f317217, v9
	v_cmp_lt_f32_e64 s[4:5], |v9|, s14
	s_nop 1
	v_cndmask_b32_e64 v9, v9, v11, s[4:5]
	v_mov_b32_e32 v11, 0x41b17218
	v_cndmask_b32_e32 v12, 0, v11, vcc
	v_sub_f32_e32 v9, v9, v12
	v_cmp_lt_f32_e32 vcc, s12, v6
	s_nop 1
	v_cndmask_b32_e32 v6, v9, v6, vcc
	v_mul_f32_e32 v9, 0x4f800000, v6
	v_cmp_gt_f32_e32 vcc, s15, v6
	s_nop 1
	v_cndmask_b32_e32 v6, v6, v9, vcc
	v_sqrt_f32_e32 v9, v6
	s_nop 0
	v_add_u32_e32 v12, -1, v9
	v_fma_f32 v13, -v12, v9, v6
	v_cmp_ge_f32_e64 s[4:5], 0, v13
	v_add_u32_e32 v13, 1, v9
	s_nop 0
	v_cndmask_b32_e64 v12, v9, v12, s[4:5]
	v_fma_f32 v9, -v13, v9, v6
	v_cmp_lt_f32_e64 s[4:5], 0, v9
	s_nop 1
	v_cndmask_b32_e64 v9, v12, v13, s[4:5]
	v_mul_f32_e32 v12, 0x37800000, v9
	v_cndmask_b32_e32 v12, v9, v12, vcc
	v_mov_b32_e32 v9, 0x260
	v_cmp_class_f32_e64 s[4:5], v6, v9
	s_and_b64 vcc, exec, s[2:3]
	s_nop 0
	v_cndmask_b32_e64 v6, v12, v6, s[4:5]
	s_cbranch_vccnz .LBB435_18
; %bb.17:
	s_load_dword s4, s[10:11], 0x18
	s_waitcnt lgkmcnt(0)
	v_add_f32_e32 v6, s4, v6
.LBB435_18:
	v_and_b32_e32 v7, 0xffff0000, v7
	v_mul_f32_e32 v12, 0x3fb8aa3b, v7
	v_exp_f32_e32 v12, v12
	s_nop 0
	v_add_f32_e32 v12, 1.0, v12
	v_cmp_gt_f32_e32 vcc, s16, v12
	s_nop 1
	v_cndmask_b32_e32 v10, 1.0, v10, vcc
	v_mul_f32_e32 v10, v12, v10
	v_log_f32_e32 v10, v10
	v_cndmask_b32_e32 v11, 0, v11, vcc
	v_mul_f32_e32 v12, 0x3f317217, v10
	v_fma_f32 v12, v10, s13, -v12
	v_fmac_f32_e32 v12, 0x3377d1cf, v10
	v_fmac_f32_e32 v12, 0x3f317217, v10
	v_cmp_lt_f32_e64 vcc, |v10|, s14
	s_nop 1
	v_cndmask_b32_e32 v10, v10, v12, vcc
	v_sub_f32_e32 v10, v10, v11
	v_cmp_lt_f32_e32 vcc, s12, v7
	s_nop 1
	v_cndmask_b32_e32 v7, v10, v7, vcc
	v_mul_f32_e32 v10, 0x4f800000, v7
	v_cmp_gt_f32_e32 vcc, s15, v7
	s_nop 1
	v_cndmask_b32_e32 v7, v7, v10, vcc
	v_sqrt_f32_e32 v10, v7
	s_nop 0
	v_add_u32_e32 v11, -1, v10
	v_add_u32_e32 v12, 1, v10
	v_fma_f32 v13, -v11, v10, v7
	v_fma_f32 v14, -v12, v10, v7
	v_cmp_ge_f32_e64 s[4:5], 0, v13
	s_nop 1
	v_cndmask_b32_e64 v10, v10, v11, s[4:5]
	v_cmp_lt_f32_e64 s[4:5], 0, v14
	s_nop 1
	v_cndmask_b32_e64 v10, v10, v12, s[4:5]
	v_mul_f32_e32 v11, 0x37800000, v10
	v_cndmask_b32_e32 v10, v10, v11, vcc
	v_cmp_class_f32_e64 s[4:5], v7, v9
	s_and_b64 vcc, exec, s[2:3]
	s_nop 0
	v_cndmask_b32_e64 v7, v10, v7, s[4:5]
	s_cbranch_vccnz .LBB435_20
; %bb.19:
	s_load_dword s4, s[10:11], 0x1c
	s_waitcnt lgkmcnt(0)
	v_add_f32_e32 v7, s4, v7
.LBB435_20:
	s_load_dwordx4 s[12:15], s[0:1], 0x30
	s_mov_b32 s25, 0
	s_waitcnt lgkmcnt(0)
	s_bitcmp1_b32 s15, 0
	s_cselect_b64 s[4:5], -1, 0
	s_cmp_gt_i32 s12, 0
	s_cselect_b64 s[22:23], -1, 0
	s_and_b64 vcc, exec, s[22:23]
	v_mul_lo_u32 v10, v8, s12
	s_cbranch_vccz .LBB435_27
; %bb.21:
	s_load_dwordx4 s[16:19], s[0:1], 0x20
	v_mov_b32_e32 v13, 0
	v_mov_b32_e32 v11, 0xc61c4000
	v_mov_b32_e32 v9, 0
	s_branch .LBB435_23
.LBB435_22:                             ;   in Loop: Header=BB435_23 Depth=1
	v_add_f32_e32 v12, v9, v14
	v_cndmask_b32_e64 v9, v9, v12, s[4:5]
	s_cmp_lg_u32 s12, s25
	v_add_u32_e32 v8, s24, v8
	s_cbranch_scc0 .LBB435_28
.LBB435_23:                             ; =>This Inner Loop Header: Depth=1
	v_cmp_gt_f32_e32 vcc, v1, v0
	s_nop 1
	v_cndmask_b32_e32 v14, v0, v1, vcc
	v_cndmask_b32_e64 v12, 0, 1, vcc
	v_cmp_gt_f32_e32 vcc, v2, v14
	s_nop 1
	v_cndmask_b32_e32 v14, v14, v2, vcc
	v_cndmask_b32_e64 v12, v12, 2, vcc
	;; [unrolled: 4-line block ×6, first 2 shown]
	v_cmp_gt_f32_e64 s[0:1], v7, v14
	s_and_b64 vcc, exec, s[2:3]
	s_nop 0
	v_cndmask_b32_e64 v12, v12, 7, s[0:1]
	v_cndmask_b32_e64 v14, v14, v7, s[0:1]
	s_cbranch_vccnz .LBB435_25
; %bb.24:                               ;   in Loop: Header=BB435_23 Depth=1
	v_lshl_add_u64 v[16:17], v[12:13], 2, s[10:11]
	global_load_dword v15, v[16:17], off
	s_waitcnt vmcnt(0)
	v_sub_f32_e32 v14, v14, v15
.LBB435_25:                             ;   in Loop: Header=BB435_23 Depth=1
	v_add_u32_e32 v16, s25, v10
	v_cmp_le_i32_e32 vcc, s13, v12
	v_cmp_gt_i32_e64 s[0:1], s14, v12
	v_ashrrev_i32_e32 v17, 31, v16
	s_and_b64 s[0:1], vcc, s[0:1]
	v_lshlrev_b64 v[16:17], 2, v[16:17]
	v_lshl_add_u64 v[18:19], s[20:21], 0, v[16:17]
	v_subrev_u32_e32 v15, s13, v12
	s_and_b64 vcc, s[6:7], s[0:1]
	s_add_i32 s25, s25, 1
	global_store_dword v[18:19], v14, off
	v_cndmask_b32_e32 v15, 8, v15, vcc
	s_waitcnt lgkmcnt(0)
	v_lshl_add_u64 v[18:19], s[16:17], 0, v[16:17]
	v_lshl_add_u64 v[16:17], s[18:19], 0, v[16:17]
	s_cmp_ge_i32 s25, s12
	global_store_dword v[18:19], v15, off
	global_store_dword v[16:17], v8, off
	s_cbranch_scc1 .LBB435_22
; %bb.26:                               ;   in Loop: Header=BB435_23 Depth=1
	v_cmp_ne_u32_e32 vcc, 7, v12
	s_nop 1
	v_cndmask_b32_e32 v7, v11, v7, vcc
	v_cmp_ne_u32_e32 vcc, 6, v12
	s_nop 1
	v_cndmask_b32_e32 v6, v11, v6, vcc
	;; [unrolled: 3-line block ×8, first 2 shown]
	s_branch .LBB435_22
.LBB435_27:
	v_mov_b32_e32 v9, 0
.LBB435_28:
	s_andn2_b64 vcc, exec, s[4:5]
	v_cvt_f32_f64_e32 v0, s[8:9]
	s_cbranch_vccnz .LBB435_30
; %bb.29:
	v_cmp_lt_f32_e32 vcc, 0, v9
	s_nop 1
	v_cndmask_b32_e32 v1, 1.0, v9, vcc
	v_div_scale_f32 v2, s[0:1], v1, v1, v0
	v_rcp_f32_e32 v3, v2
	s_nop 0
	v_fma_f32 v4, -v2, v3, 1.0
	v_fmac_f32_e32 v3, v4, v3
	v_div_scale_f32 v4, vcc, v0, v1, v0
	v_mul_f32_e32 v5, v4, v3
	v_fma_f32 v6, -v2, v5, v4
	v_fmac_f32_e32 v5, v6, v3
	v_fma_f32 v2, -v2, v5, v4
	v_div_fmas_f32 v2, v2, v3, v5
	v_div_fixup_f32 v0, v2, v1, v0
.LBB435_30:
	s_andn2_b64 vcc, exec, s[22:23]
	s_cbranch_vccnz .LBB435_40
; %bb.31:
	s_cmp_gt_u32 s12, 3
	v_ashrrev_i32_e32 v11, 31, v10
	s_cbranch_scc0 .LBB435_35
; %bb.32:
	s_and_b32 s0, s12, 0x7ffffffc
	v_lshl_add_u64 v[2:3], v[10:11], 2, s[20:21]
	v_mov_b32_e32 v1, v0
	v_lshl_add_u64 v[2:3], v[2:3], 0, 8
	s_mov_b32 s1, s0
.LBB435_33:                             ; =>This Inner Loop Header: Depth=1
	global_load_dwordx4 v[4:7], v[2:3], off offset:-8
	s_add_i32 s1, s1, -4
	s_cmp_lg_u32 s1, 0
	s_waitcnt vmcnt(0)
	v_pk_mul_f32 v[4:5], v[0:1], v[4:5]
	v_pk_mul_f32 v[6:7], v[0:1], v[6:7]
	global_store_dwordx4 v[2:3], v[4:7], off offset:-8
	v_lshl_add_u64 v[2:3], v[2:3], 0, 16
	s_cbranch_scc1 .LBB435_33
; %bb.34:
	s_cmp_lg_u32 s0, s12
	s_cselect_b64 s[2:3], -1, 0
	s_branch .LBB435_37
.LBB435_35:
	s_mov_b64 s[2:3], 0
                                        ; implicit-def: $sgpr0
	s_cbranch_execz .LBB435_37
; %bb.36:
	s_mov_b64 s[2:3], -1
	s_mov_b32 s0, 0
.LBB435_37:
	s_andn2_b64 vcc, exec, s[2:3]
	s_cbranch_vccnz .LBB435_40
; %bb.38:
	s_mov_b32 s1, 0
	v_lshl_add_u64 v[2:3], v[10:11], 0, s[0:1]
	s_sub_i32 s2, s12, s0
	v_lshl_add_u64 v[2:3], v[2:3], 2, s[20:21]
.LBB435_39:                             ; =>This Inner Loop Header: Depth=1
	global_load_dword v1, v[2:3], off
	s_add_i32 s2, s2, -1
	s_cmp_lg_u32 s2, 0
	s_waitcnt vmcnt(0)
	v_mul_f32_e32 v1, v0, v1
	global_store_dword v[2:3], v1, off
	v_lshl_add_u64 v[2:3], v[2:3], 0, 4
	s_cbranch_scc1 .LBB435_39
.LBB435_40:
	s_endpgm
	.section	.rodata,"a",@progbits
	.p2align	6, 0x0
	.amdhsa_kernel _ZN4vllm3moe22topkGatingSoftplusSqrtILi8ELi8ELi4ELi16ELi32ELb0Ej14__hip_bfloat16EEvPKT6_PKbPfiPT5_PiiiibdPKfPKS9_SF_
		.amdhsa_group_segment_fixed_size 0
		.amdhsa_private_segment_fixed_size 0
		.amdhsa_kernarg_size 96
		.amdhsa_user_sgpr_count 2
		.amdhsa_user_sgpr_dispatch_ptr 0
		.amdhsa_user_sgpr_queue_ptr 0
		.amdhsa_user_sgpr_kernarg_segment_ptr 1
		.amdhsa_user_sgpr_dispatch_id 0
		.amdhsa_user_sgpr_kernarg_preload_length 0
		.amdhsa_user_sgpr_kernarg_preload_offset 0
		.amdhsa_user_sgpr_private_segment_size 0
		.amdhsa_uses_dynamic_stack 0
		.amdhsa_enable_private_segment 0
		.amdhsa_system_sgpr_workgroup_id_x 1
		.amdhsa_system_sgpr_workgroup_id_y 0
		.amdhsa_system_sgpr_workgroup_id_z 0
		.amdhsa_system_sgpr_workgroup_info 0
		.amdhsa_system_vgpr_workitem_id 1
		.amdhsa_next_free_vgpr 20
		.amdhsa_next_free_sgpr 26
		.amdhsa_accum_offset 20
		.amdhsa_reserve_vcc 1
		.amdhsa_float_round_mode_32 0
		.amdhsa_float_round_mode_16_64 0
		.amdhsa_float_denorm_mode_32 3
		.amdhsa_float_denorm_mode_16_64 3
		.amdhsa_dx10_clamp 1
		.amdhsa_ieee_mode 1
		.amdhsa_fp16_overflow 0
		.amdhsa_tg_split 0
		.amdhsa_exception_fp_ieee_invalid_op 0
		.amdhsa_exception_fp_denorm_src 0
		.amdhsa_exception_fp_ieee_div_zero 0
		.amdhsa_exception_fp_ieee_overflow 0
		.amdhsa_exception_fp_ieee_underflow 0
		.amdhsa_exception_fp_ieee_inexact 0
		.amdhsa_exception_int_div_zero 0
	.end_amdhsa_kernel
	.section	.text._ZN4vllm3moe22topkGatingSoftplusSqrtILi8ELi8ELi4ELi16ELi32ELb0Ej14__hip_bfloat16EEvPKT6_PKbPfiPT5_PiiiibdPKfPKS9_SF_,"axG",@progbits,_ZN4vllm3moe22topkGatingSoftplusSqrtILi8ELi8ELi4ELi16ELi32ELb0Ej14__hip_bfloat16EEvPKT6_PKbPfiPT5_PiiiibdPKfPKS9_SF_,comdat
.Lfunc_end435:
	.size	_ZN4vllm3moe22topkGatingSoftplusSqrtILi8ELi8ELi4ELi16ELi32ELb0Ej14__hip_bfloat16EEvPKT6_PKbPfiPT5_PiiiibdPKfPKS9_SF_, .Lfunc_end435-_ZN4vllm3moe22topkGatingSoftplusSqrtILi8ELi8ELi4ELi16ELi32ELb0Ej14__hip_bfloat16EEvPKT6_PKbPfiPT5_PiiiibdPKfPKS9_SF_
                                        ; -- End function
	.section	.AMDGPU.csdata,"",@progbits
; Kernel info:
; codeLenInByte = 3276
; NumSgprs: 32
; NumVgprs: 20
; NumAgprs: 0
; TotalNumVgprs: 20
; ScratchSize: 0
; MemoryBound: 0
; FloatMode: 240
; IeeeMode: 1
; LDSByteSize: 0 bytes/workgroup (compile time only)
; SGPRBlocks: 3
; VGPRBlocks: 2
; NumSGPRsForWavesPerEU: 32
; NumVGPRsForWavesPerEU: 20
; AccumOffset: 20
; Occupancy: 8
; WaveLimiterHint : 0
; COMPUTE_PGM_RSRC2:SCRATCH_EN: 0
; COMPUTE_PGM_RSRC2:USER_SGPR: 2
; COMPUTE_PGM_RSRC2:TRAP_HANDLER: 0
; COMPUTE_PGM_RSRC2:TGID_X_EN: 1
; COMPUTE_PGM_RSRC2:TGID_Y_EN: 0
; COMPUTE_PGM_RSRC2:TGID_Z_EN: 0
; COMPUTE_PGM_RSRC2:TIDIG_COMP_CNT: 1
; COMPUTE_PGM_RSRC3_GFX90A:ACCUM_OFFSET: 4
; COMPUTE_PGM_RSRC3_GFX90A:TG_SPLIT: 0
	.section	.text._ZN4vllm3moe22topkGatingSoftplusSqrtILi8ELi16ELi4ELi16ELi64ELb1Ej14__hip_bfloat16EEvPKT6_PKbPfiPT5_PiiiibdPKfPKS9_SF_,"axG",@progbits,_ZN4vllm3moe22topkGatingSoftplusSqrtILi8ELi16ELi4ELi16ELi64ELb1Ej14__hip_bfloat16EEvPKT6_PKbPfiPT5_PiiiibdPKfPKS9_SF_,comdat
	.protected	_ZN4vllm3moe22topkGatingSoftplusSqrtILi8ELi16ELi4ELi16ELi64ELb1Ej14__hip_bfloat16EEvPKT6_PKbPfiPT5_PiiiibdPKfPKS9_SF_ ; -- Begin function _ZN4vllm3moe22topkGatingSoftplusSqrtILi8ELi16ELi4ELi16ELi64ELb1Ej14__hip_bfloat16EEvPKT6_PKbPfiPT5_PiiiibdPKfPKS9_SF_
	.globl	_ZN4vllm3moe22topkGatingSoftplusSqrtILi8ELi16ELi4ELi16ELi64ELb1Ej14__hip_bfloat16EEvPKT6_PKbPfiPT5_PiiiibdPKfPKS9_SF_
	.p2align	8
	.type	_ZN4vllm3moe22topkGatingSoftplusSqrtILi8ELi16ELi4ELi16ELi64ELb1Ej14__hip_bfloat16EEvPKT6_PKbPfiPT5_PiiiibdPKfPKS9_SF_,@function
_ZN4vllm3moe22topkGatingSoftplusSqrtILi8ELi16ELi4ELi16ELi64ELb1Ej14__hip_bfloat16EEvPKT6_PKbPfiPT5_PiiiibdPKfPKS9_SF_: ; @_ZN4vllm3moe22topkGatingSoftplusSqrtILi8ELi16ELi4ELi16ELi64ELb1Ej14__hip_bfloat16EEvPKT6_PKbPfiPT5_PiiiibdPKfPKS9_SF_
; %bb.0:
	s_load_dword s3, s[0:1], 0x18
	v_bfe_u32 v1, v0, 10, 10
	v_and_b32_e32 v8, 0x3ff, v0
	s_lshl_b32 s2, s2, 7
	v_lshlrev_b32_e32 v1, 5, v1
	v_lshrrev_b32_e32 v0, 1, v8
	v_add3_u32 v6, s2, v1, v0
	s_waitcnt lgkmcnt(0)
	v_cmp_gt_i32_e32 vcc, s3, v6
	s_and_saveexec_b64 s[2:3], vcc
	s_cbranch_execz .LBB436_32
; %bb.1:
	s_load_dwordx2 s[2:3], s[0:1], 0x0
	s_load_dword s33, s[0:1], 0x30
	v_lshlrev_b32_e32 v0, 4, v6
	v_lshlrev_b32_e32 v2, 3, v8
	v_ashrrev_i32_e32 v1, 31, v0
	v_and_b32_e32 v10, 8, v2
	s_waitcnt lgkmcnt(0)
	v_lshl_add_u64 v[0:1], v[0:1], 1, s[2:3]
	v_lshlrev_b32_e32 v4, 1, v10
	v_mov_b32_e32 v5, 0
	v_lshl_add_u64 v[0:1], v[0:1], 0, v[4:5]
	global_load_dwordx4 v[0:3], v[0:1], off
	s_load_dwordx4 s[8:11], s[0:1], 0x50
	v_ashrrev_i32_e32 v7, 31, v6
	s_mov_b32 s15, 0x800000
	s_mov_b32 s13, 0x3f317217
	;; [unrolled: 1-line block ×3, first 2 shown]
	s_waitcnt lgkmcnt(0)
	v_mov_b32_e32 v12, s8
	v_mov_b32_e32 v13, s9
	v_lshl_add_u64 v[12:13], v[6:7], 2, v[12:13]
	global_load_dword v4, v[12:13], off
	v_mov_b32_e32 v7, 0x4f800000
	v_mov_b32_e32 v9, 0x41b17218
	s_mov_b32 s9, 0x41a00000
	s_mov_b32 s12, 0xf800000
	v_mov_b32_e32 v17, 0x260
	s_cmp_gt_i32 s33, 0
	s_mov_b32 s8, 0
	s_waitcnt vmcnt(1)
	v_and_b32_e32 v11, 0xffff0000, v0
	v_lshlrev_b32_e32 v14, 16, v0
	v_and_b32_e32 v15, 0xffff0000, v1
	v_lshlrev_b32_e32 v16, 16, v1
	v_mul_f32_e32 v0, 0x3fb8aa3b, v14
	v_mul_f32_e32 v1, 0x3fb8aa3b, v11
	v_exp_f32_e32 v0, v0
	v_exp_f32_e32 v1, v1
	v_mul_f32_e32 v12, 0x3fb8aa3b, v16
	v_mul_f32_e32 v13, 0x3fb8aa3b, v15
	v_exp_f32_e32 v12, v12
	v_exp_f32_e32 v13, v13
	v_pk_add_f32 v[0:1], v[0:1], 1.0 op_sel_hi:[1,0]
	s_waitcnt vmcnt(0)
	v_mul_lo_u32 v4, v4, s33
	v_cmp_gt_f32_e32 vcc, s15, v1
	v_pk_add_f32 v[12:13], v[12:13], 1.0 op_sel_hi:[1,0]
	v_cmp_gt_f32_e64 s[2:3], s15, v0
	v_cndmask_b32_e32 v18, 1.0, v7, vcc
	v_cmp_gt_f32_e64 s[4:5], s15, v13
	v_cndmask_b32_e64 v19, 1.0, v7, s[2:3]
	v_mul_f32_e32 v1, v1, v18
	v_cndmask_b32_e64 v20, 1.0, v7, s[4:5]
	v_mul_f32_e32 v0, v0, v19
	v_log_f32_e32 v1, v1
	v_cmp_gt_f32_e64 s[6:7], s15, v12
	v_mul_f32_e32 v13, v13, v20
	v_log_f32_e32 v0, v0
	v_cndmask_b32_e64 v21, 1.0, v7, s[6:7]
	v_log_f32_e32 v13, v13
	v_mul_f32_e32 v12, v12, v21
	v_log_f32_e32 v21, v12
	v_mul_f32_e32 v12, 0x3f317217, v1
	v_mul_f32_e32 v22, 0x3f317217, v0
	v_fma_f32 v12, v1, s13, -v12
	v_mul_f32_e32 v23, 0x3f317217, v13
	v_fma_f32 v22, v0, s13, -v22
	v_fmac_f32_e32 v12, 0x3377d1cf, v1
	v_cndmask_b32_e32 v18, 0, v9, vcc
	v_fma_f32 v23, v13, s13, -v23
	v_fmac_f32_e32 v22, 0x3377d1cf, v0
	v_fmac_f32_e32 v12, 0x3f317217, v1
	v_cmp_lt_f32_e64 vcc, |v1|, s14
	v_fmac_f32_e32 v23, 0x3377d1cf, v13
	v_fmac_f32_e32 v22, 0x3f317217, v0
	v_cndmask_b32_e32 v1, v1, v12, vcc
	v_cmp_lt_f32_e64 vcc, |v0|, s14
	v_cndmask_b32_e64 v19, 0, v9, s[2:3]
	v_fmac_f32_e32 v23, 0x3f317217, v13
	v_cndmask_b32_e32 v0, v0, v22, vcc
	v_cmp_lt_f32_e64 vcc, |v13|, s14
	v_sub_f32_e32 v0, v0, v19
	v_sub_f32_e32 v1, v1, v18
	v_cndmask_b32_e32 v12, v13, v23, vcc
	v_cmp_lt_f32_e32 vcc, s9, v14
	v_cndmask_b32_e64 v20, 0, v9, s[4:5]
	v_mul_f32_e32 v24, 0x3f317217, v21
	v_cndmask_b32_e32 v0, v0, v14, vcc
	v_cmp_lt_f32_e32 vcc, s9, v11
	v_mul_f32_e32 v13, 0x4f800000, v0
	v_cmp_gt_f32_e64 s[2:3], s12, v0
	v_cndmask_b32_e32 v1, v1, v11, vcc
	v_mul_f32_e32 v11, 0x4f800000, v1
	v_cmp_gt_f32_e32 vcc, s12, v1
	v_cndmask_b32_e64 v0, v0, v13, s[2:3]
	v_sqrt_f32_e32 v13, v0
	v_cndmask_b32_e32 v1, v1, v11, vcc
	v_sqrt_f32_e32 v11, v1
	v_sub_f32_e32 v14, v12, v20
	v_add_u32_e32 v19, -1, v13
	v_fma_f32 v25, -v19, v13, v0
	v_add_u32_e32 v12, -1, v11
	v_fma_f32 v22, -v12, v11, v1
	v_add_u32_e32 v18, 1, v11
	v_cmp_ge_f32_e64 s[4:5], 0, v22
	v_add_u32_e32 v20, 1, v13
	v_fma_f32 v23, -v18, v11, v1
	v_cndmask_b32_e64 v11, v11, v12, s[4:5]
	v_cmp_ge_f32_e64 s[4:5], 0, v25
	v_fma_f32 v26, -v20, v13, v0
	v_fma_f32 v24, v21, s13, -v24
	v_cndmask_b32_e64 v12, v13, v19, s[4:5]
	v_cmp_lt_f32_e64 s[4:5], 0, v23
	v_fmac_f32_e32 v24, 0x3377d1cf, v21
	v_fmac_f32_e32 v24, 0x3f317217, v21
	v_cndmask_b32_e64 v11, v11, v18, s[4:5]
	v_cmp_lt_f32_e64 s[4:5], 0, v26
	v_mul_f32_e32 v13, 0x37800000, v11
	v_cndmask_b32_e32 v11, v11, v13, vcc
	v_cndmask_b32_e64 v12, v12, v20, s[4:5]
	v_mul_f32_e32 v18, 0x37800000, v12
	v_cmp_class_f32_e32 vcc, v1, v17
	v_cndmask_b32_e64 v12, v12, v18, s[2:3]
	v_cmp_lt_f32_e64 s[2:3], s9, v16
	v_cndmask_b32_e32 v13, v11, v1, vcc
	v_cmp_class_f32_e32 vcc, v0, v17
	v_cndmask_b32_e64 v1, 0, v9, s[6:7]
	v_and_b32_e32 v19, 0xffff0000, v2
	v_cndmask_b32_e32 v12, v12, v0, vcc
	v_cmp_lt_f32_e64 vcc, |v21|, s14
	v_lshlrev_b32_e32 v2, 16, v2
	s_nop 0
	v_cndmask_b32_e32 v0, v21, v24, vcc
	v_cmp_lt_f32_e32 vcc, s9, v15
	v_sub_f32_e32 v0, v0, v1
	v_cndmask_b32_e64 v0, v0, v16, s[2:3]
	v_cndmask_b32_e32 v11, v14, v15, vcc
	v_mul_f32_e32 v14, 0x4f800000, v11
	v_cmp_gt_f32_e32 vcc, s12, v11
	s_nop 1
	v_cndmask_b32_e32 v11, v11, v14, vcc
	v_sqrt_f32_e32 v14, v11
	s_nop 0
	v_add_u32_e32 v1, -1, v14
	v_fma_f32 v15, -v1, v14, v11
	v_cmp_ge_f32_e64 s[2:3], 0, v15
	v_add_u32_e32 v15, 1, v14
	s_nop 0
	v_cndmask_b32_e64 v1, v14, v1, s[2:3]
	v_fma_f32 v14, -v15, v14, v11
	v_cmp_lt_f32_e64 s[2:3], 0, v14
	s_nop 1
	v_cndmask_b32_e64 v1, v1, v15, s[2:3]
	v_mul_f32_e32 v15, 0x4f800000, v0
	v_cmp_gt_f32_e64 s[2:3], s12, v0
	v_mul_f32_e32 v14, 0x37800000, v1
	v_cndmask_b32_e32 v1, v1, v14, vcc
	v_cndmask_b32_e64 v16, v0, v15, s[2:3]
	v_sqrt_f32_e32 v0, v16
	v_cmp_class_f32_e32 vcc, v11, v17
	v_add_u32_e32 v14, 1, v0
	s_nop 0
	v_cndmask_b32_e32 v15, v1, v11, vcc
	v_add_u32_e32 v1, -1, v0
	v_fma_f32 v11, -v1, v0, v16
	v_cmp_ge_f32_e32 vcc, 0, v11
	v_fma_f32 v18, -v14, v0, v16
	s_nop 0
	v_cndmask_b32_e32 v11, v0, v1, vcc
	v_mul_f32_e32 v0, 0x3fb8aa3b, v2
	v_mul_f32_e32 v1, 0x3fb8aa3b, v19
	v_exp_f32_e32 v0, v0
	v_exp_f32_e32 v1, v1
	v_cmp_lt_f32_e32 vcc, 0, v18
	v_pk_add_f32 v[0:1], v[0:1], 1.0 op_sel_hi:[1,0]
	s_nop 0
	v_cndmask_b32_e32 v11, v11, v14, vcc
	v_mul_f32_e32 v14, 0x37800000, v11
	v_cmp_gt_f32_e32 vcc, s15, v1
	v_cndmask_b32_e64 v11, v11, v14, s[2:3]
	v_cmp_class_f32_e64 s[2:3], v16, v17
	v_cndmask_b32_e32 v14, 1.0, v7, vcc
	v_mul_f32_e32 v1, v1, v14
	v_log_f32_e32 v1, v1
	v_cndmask_b32_e64 v14, v11, v16, s[2:3]
	v_cmp_gt_f32_e64 s[2:3], s15, v0
	scratch_store_dwordx4 off, v[12:15], off
	v_mul_f32_e32 v11, 0x3f317217, v1
	v_fma_f32 v11, v1, s13, -v11
	v_cndmask_b32_e64 v12, 1.0, v7, s[2:3]
	v_mul_f32_e32 v0, v0, v12
	v_log_f32_e32 v0, v0
	v_fmac_f32_e32 v11, 0x3377d1cf, v1
	v_fmac_f32_e32 v11, 0x3f317217, v1
	v_cmp_lt_f32_e64 s[4:5], |v1|, s14
	v_and_b32_e32 v14, 0xffff0000, v3
	v_lshlrev_b32_e32 v15, 16, v3
	v_cndmask_b32_e64 v1, v1, v11, s[4:5]
	v_cndmask_b32_e32 v11, 0, v9, vcc
	v_sub_f32_e32 v1, v1, v11
	v_mul_f32_e32 v11, 0x3f317217, v0
	v_fma_f32 v11, v0, s13, -v11
	v_fmac_f32_e32 v11, 0x3377d1cf, v0
	v_fmac_f32_e32 v11, 0x3f317217, v0
	v_cmp_lt_f32_e64 vcc, |v0|, s14
	v_mul_f32_e32 v3, 0x3fb8aa3b, v14
	v_exp_f32_e32 v3, v3
	v_cndmask_b32_e32 v0, v0, v11, vcc
	v_cmp_lt_f32_e32 vcc, s9, v19
	v_cndmask_b32_e64 v11, 0, v9, s[2:3]
	v_sub_f32_e32 v0, v0, v11
	v_cndmask_b32_e32 v1, v1, v19, vcc
	v_mul_f32_e32 v12, 0x4f800000, v1
	v_cmp_gt_f32_e32 vcc, s12, v1
	v_cmp_lt_f32_e64 s[2:3], s9, v2
	s_nop 0
	v_cndmask_b32_e32 v1, v1, v12, vcc
	v_sqrt_f32_e32 v12, v1
	v_cndmask_b32_e64 v0, v0, v2, s[2:3]
	v_add_u32_e32 v2, -1, v12
	v_fma_f32 v11, -v2, v12, v1
	v_cmp_ge_f32_e64 s[2:3], 0, v11
	v_add_u32_e32 v11, 1, v12
	s_nop 0
	v_cndmask_b32_e64 v2, v12, v2, s[2:3]
	v_fma_f32 v12, -v11, v12, v1
	v_cmp_lt_f32_e64 s[2:3], 0, v12
	v_mul_f32_e32 v12, 0x4f800000, v0
	s_nop 0
	v_cndmask_b32_e64 v2, v2, v11, s[2:3]
	v_cmp_gt_f32_e64 s[2:3], s12, v0
	v_mul_f32_e32 v11, 0x37800000, v2
	v_cndmask_b32_e32 v2, v2, v11, vcc
	v_cndmask_b32_e64 v0, v0, v12, s[2:3]
	v_sqrt_f32_e32 v12, v0
	v_cmp_class_f32_e32 vcc, v1, v17
	v_add_u32_e32 v13, 1, v12
	s_nop 0
	v_cndmask_b32_e32 v1, v2, v1, vcc
	v_add_u32_e32 v2, -1, v12
	v_fma_f32 v11, -v2, v12, v0
	v_cmp_ge_f32_e32 vcc, 0, v11
	s_nop 1
	v_cndmask_b32_e32 v11, v12, v2, vcc
	v_mul_f32_e32 v2, 0x3fb8aa3b, v15
	v_exp_f32_e32 v2, v2
	v_fma_f32 v12, -v13, v12, v0
	v_cmp_lt_f32_e32 vcc, 0, v12
	v_pk_add_f32 v[2:3], v[2:3], 1.0 op_sel_hi:[1,0]
	s_nop 0
	v_cndmask_b32_e32 v11, v11, v13, vcc
	v_cmp_gt_f32_e32 vcc, s15, v3
	v_mul_f32_e32 v12, 0x37800000, v11
	v_cndmask_b32_e64 v11, v11, v12, s[2:3]
	v_cndmask_b32_e32 v13, 1.0, v7, vcc
	v_mul_f32_e32 v3, v3, v13
	v_log_f32_e32 v3, v3
	v_cmp_class_f32_e64 s[2:3], v0, v17
	v_cmp_lt_f32_e64 s[4:5], |v3|, s14
	s_nop 0
	v_cndmask_b32_e64 v0, v11, v0, s[2:3]
	v_cmp_gt_f32_e64 s[2:3], s15, v2
	v_mul_f32_e32 v11, 0x3f317217, v3
	v_fma_f32 v11, v3, s13, -v11
	v_cndmask_b32_e64 v7, 1.0, v7, s[2:3]
	v_mul_f32_e32 v2, v2, v7
	v_log_f32_e32 v2, v2
	v_fmac_f32_e32 v11, 0x3377d1cf, v3
	v_fmac_f32_e32 v11, 0x3f317217, v3
	v_cndmask_b32_e64 v3, v3, v11, s[4:5]
	v_cndmask_b32_e32 v7, 0, v9, vcc
	v_sub_f32_e32 v3, v3, v7
	v_mul_f32_e32 v7, 0x3f317217, v2
	v_fma_f32 v7, v2, s13, -v7
	v_fmac_f32_e32 v7, 0x3377d1cf, v2
	v_fmac_f32_e32 v7, 0x3f317217, v2
	v_cmp_lt_f32_e64 vcc, |v2|, s14
	s_cselect_b64 s[4:5], -1, 0
	s_cmp_lt_i32 s33, 1
	v_cndmask_b32_e32 v2, v2, v7, vcc
	v_cmp_lt_f32_e32 vcc, s9, v14
	v_cndmask_b32_e64 v7, 0, v9, s[2:3]
	v_sub_f32_e32 v2, v2, v7
	v_cndmask_b32_e32 v3, v3, v14, vcc
	v_mul_f32_e32 v9, 0x4f800000, v3
	v_cmp_gt_f32_e32 vcc, s12, v3
	v_cmp_lt_f32_e64 s[2:3], s9, v15
	s_nop 0
	v_cndmask_b32_e32 v3, v3, v9, vcc
	v_sqrt_f32_e32 v9, v3
	v_cndmask_b32_e64 v2, v2, v15, s[2:3]
	v_add_u32_e32 v7, -1, v9
	v_fma_f32 v11, -v7, v9, v3
	v_cmp_ge_f32_e64 s[2:3], 0, v11
	v_add_u32_e32 v11, 1, v9
	s_nop 0
	v_cndmask_b32_e64 v7, v9, v7, s[2:3]
	v_fma_f32 v9, -v11, v9, v3
	v_cmp_lt_f32_e64 s[2:3], 0, v9
	s_nop 1
	v_cndmask_b32_e64 v7, v7, v11, s[2:3]
	v_mul_f32_e32 v11, 0x4f800000, v2
	v_cmp_gt_f32_e64 s[2:3], s12, v2
	v_mul_f32_e32 v9, 0x37800000, v7
	v_cndmask_b32_e32 v7, v7, v9, vcc
	v_cndmask_b32_e64 v2, v2, v11, s[2:3]
	v_sqrt_f32_e32 v11, v2
	v_cmp_class_f32_e32 vcc, v3, v17
	s_nop 1
	v_cndmask_b32_e32 v3, v7, v3, vcc
	v_add_u32_e32 v7, -1, v11
	v_fma_f32 v9, -v7, v11, v2
	v_cmp_ge_f32_e32 vcc, 0, v9
	v_add_u32_e32 v9, 1, v11
	s_nop 0
	v_cndmask_b32_e32 v7, v11, v7, vcc
	v_fma_f32 v11, -v9, v11, v2
	v_cmp_lt_f32_e32 vcc, 0, v11
	s_nop 1
	v_cndmask_b32_e32 v7, v7, v9, vcc
	v_mul_f32_e32 v9, 0x37800000, v7
	v_cndmask_b32_e64 v7, v7, v9, s[2:3]
	v_cmp_class_f32_e32 vcc, v2, v17
	s_nop 1
	v_cndmask_b32_e32 v2, v7, v2, vcc
	scratch_store_dwordx4 off, v[0:3], off offset:16
	s_nop 1
	v_lshl_add_u64 v[2:3], v[4:5], 2, s[10:11]
	v_mul_lo_u32 v0, v6, s33
	s_cbranch_scc1 .LBB436_29
; %bb.2:
	s_load_dwordx2 s[6:7], s[0:1], 0x20
	s_cmp_lt_u32 s33, 4
	v_and_b32_e32 v4, 1, v8
	s_cbranch_scc1 .LBB436_21
; %bb.3:
	v_lshlrev_b32_e32 v5, 3, v4
	s_mov_b32 s11, 0
	s_and_b32 s8, s33, 0x7ffffffc
	v_ashrrev_i32_e32 v1, 31, v0
	v_sub_u32_e32 v11, 0, v5
	v_mov_b32_e32 v5, 0
	s_mov_b32 s10, s11
	s_branch .LBB436_5
.LBB436_4:                              ;   in Loop: Header=BB436_5 Depth=1
	s_or_b64 exec, exec, s[12:13]
	s_add_i32 s10, s10, 4
	s_cmp_eq_u32 s10, s8
	s_cbranch_scc1 .LBB436_22
.LBB436_5:                              ; =>This Loop Header: Depth=1
                                        ;     Child Loop BB436_7 Depth 2
                                        ;     Child Loop BB436_11 Depth 2
	;; [unrolled: 1-line block ×4, first 2 shown]
	v_lshl_add_u64 v[6:7], s[10:11], 2, v[2:3]
	global_load_dword v12, v[6:7], off
	v_add_u32_e32 v8, s10, v0
	v_ashrrev_i32_e32 v9, 31, v8
	v_mov_b32_e32 v13, 0
	s_mov_b64 s[12:13], 0
	s_waitcnt lgkmcnt(0)
	v_lshl_add_u64 v[8:9], v[8:9], 2, s[6:7]
	s_mov_b32 s9, 0
	s_waitcnt vmcnt(0)
	v_add_u32_e32 v14, v11, v12
	s_branch .LBB436_7
.LBB436_6:                              ;   in Loop: Header=BB436_7 Depth=2
	s_or_b64 exec, exec, s[14:15]
	s_add_i32 s16, s9, 1
	s_cmp_gt_u32 s9, 6
	s_cselect_b64 s[2:3], -1, 0
	s_xor_b64 s[14:15], vcc, -1
	s_or_b64 s[2:3], s[14:15], s[2:3]
	s_and_b64 s[2:3], exec, s[2:3]
	v_add_u32_e32 v13, 4, v13
	s_or_b64 s[12:13], s[2:3], s[12:13]
	s_mov_b32 s9, s16
	s_andn2_b64 exec, exec, s[12:13]
	s_cbranch_execz .LBB436_9
.LBB436_7:                              ;   Parent Loop BB436_5 Depth=1
                                        ; =>  This Inner Loop Header: Depth=2
	v_cmp_ne_u32_e32 vcc, s9, v14
	v_cmp_eq_u32_e64 s[2:3], s9, v14
	s_and_saveexec_b64 s[14:15], s[2:3]
	s_cbranch_execz .LBB436_6
; %bb.8:                                ;   in Loop: Header=BB436_7 Depth=2
	scratch_load_dword v15, v13, off
	s_waitcnt vmcnt(0)
	v_add_f32_e32 v5, v5, v15
	global_store_dword v[8:9], v12, off
	s_branch .LBB436_6
.LBB436_9:                              ;   in Loop: Header=BB436_5 Depth=1
	s_or_b64 exec, exec, s[12:13]
	global_load_dword v12, v[6:7], off offset:4
	s_ashr_i32 s3, s10, 31
	s_mov_b32 s2, s10
	v_lshl_add_u64 v[8:9], s[2:3], 0, v[0:1]
	v_mov_b32_e32 v13, 0
	s_mov_b32 s9, 0
	v_lshl_add_u64 v[8:9], v[8:9], 2, s[6:7]
	s_mov_b64 s[12:13], 0
	s_waitcnt vmcnt(0)
	v_add_u32_e32 v14, v11, v12
	s_branch .LBB436_11
.LBB436_10:                             ;   in Loop: Header=BB436_11 Depth=2
	s_or_b64 exec, exec, s[14:15]
	s_add_i32 s16, s9, 1
	s_cmp_gt_u32 s9, 6
	s_cselect_b64 s[2:3], -1, 0
	s_xor_b64 s[14:15], vcc, -1
	s_or_b64 s[2:3], s[14:15], s[2:3]
	s_and_b64 s[2:3], exec, s[2:3]
	v_add_u32_e32 v13, 4, v13
	s_or_b64 s[12:13], s[2:3], s[12:13]
	s_mov_b32 s9, s16
	s_andn2_b64 exec, exec, s[12:13]
	s_cbranch_execz .LBB436_13
.LBB436_11:                             ;   Parent Loop BB436_5 Depth=1
                                        ; =>  This Inner Loop Header: Depth=2
	v_cmp_ne_u32_e32 vcc, s9, v14
	v_cmp_eq_u32_e64 s[2:3], s9, v14
	s_and_saveexec_b64 s[14:15], s[2:3]
	s_cbranch_execz .LBB436_10
; %bb.12:                               ;   in Loop: Header=BB436_11 Depth=2
	scratch_load_dword v15, v13, off
	s_waitcnt vmcnt(0)
	v_add_f32_e32 v5, v5, v15
	global_store_dword v[8:9], v12, off offset:4
	s_branch .LBB436_10
.LBB436_13:                             ;   in Loop: Header=BB436_5 Depth=1
	s_or_b64 exec, exec, s[12:13]
	global_load_dword v12, v[6:7], off offset:8
	v_mov_b32_e32 v13, 0
	s_mov_b32 s9, 0
	s_mov_b64 s[12:13], 0
	s_waitcnt vmcnt(0)
	v_add_u32_e32 v14, v11, v12
	s_branch .LBB436_15
.LBB436_14:                             ;   in Loop: Header=BB436_15 Depth=2
	s_or_b64 exec, exec, s[14:15]
	s_add_i32 s16, s9, 1
	s_cmp_gt_u32 s9, 6
	s_cselect_b64 s[2:3], -1, 0
	s_xor_b64 s[14:15], vcc, -1
	s_or_b64 s[2:3], s[14:15], s[2:3]
	s_and_b64 s[2:3], exec, s[2:3]
	v_add_u32_e32 v13, 4, v13
	s_or_b64 s[12:13], s[2:3], s[12:13]
	s_mov_b32 s9, s16
	s_andn2_b64 exec, exec, s[12:13]
	s_cbranch_execz .LBB436_17
.LBB436_15:                             ;   Parent Loop BB436_5 Depth=1
                                        ; =>  This Inner Loop Header: Depth=2
	v_cmp_ne_u32_e32 vcc, s9, v14
	v_cmp_eq_u32_e64 s[2:3], s9, v14
	s_and_saveexec_b64 s[14:15], s[2:3]
	s_cbranch_execz .LBB436_14
; %bb.16:                               ;   in Loop: Header=BB436_15 Depth=2
	scratch_load_dword v15, v13, off
	s_waitcnt vmcnt(0)
	v_add_f32_e32 v5, v5, v15
	global_store_dword v[8:9], v12, off offset:8
	s_branch .LBB436_14
.LBB436_17:                             ;   in Loop: Header=BB436_5 Depth=1
	s_or_b64 exec, exec, s[12:13]
	global_load_dword v6, v[6:7], off offset:12
	v_mov_b32_e32 v7, 0
	s_mov_b32 s9, 0
	s_mov_b64 s[12:13], 0
	s_waitcnt vmcnt(0)
	v_add_u32_e32 v12, v11, v6
	s_branch .LBB436_19
.LBB436_18:                             ;   in Loop: Header=BB436_19 Depth=2
	s_or_b64 exec, exec, s[14:15]
	s_add_i32 s16, s9, 1
	s_cmp_gt_u32 s9, 6
	s_cselect_b64 s[2:3], -1, 0
	s_xor_b64 s[14:15], vcc, -1
	s_or_b64 s[2:3], s[14:15], s[2:3]
	s_and_b64 s[2:3], exec, s[2:3]
	v_add_u32_e32 v7, 4, v7
	s_or_b64 s[12:13], s[2:3], s[12:13]
	s_mov_b32 s9, s16
	s_andn2_b64 exec, exec, s[12:13]
	s_cbranch_execz .LBB436_4
.LBB436_19:                             ;   Parent Loop BB436_5 Depth=1
                                        ; =>  This Inner Loop Header: Depth=2
	v_cmp_ne_u32_e32 vcc, s9, v12
	v_cmp_eq_u32_e64 s[2:3], s9, v12
	s_and_saveexec_b64 s[14:15], s[2:3]
	s_cbranch_execz .LBB436_18
; %bb.20:                               ;   in Loop: Header=BB436_19 Depth=2
	scratch_load_dword v13, v7, off
	s_waitcnt vmcnt(0)
	v_add_f32_e32 v5, v5, v13
	global_store_dword v[8:9], v6, off offset:12
	s_branch .LBB436_18
.LBB436_21:
	v_mov_b32_e32 v5, 0
.LBB436_22:
	s_and_b32 s14, s33, 3
	s_cmp_eq_u32 s14, 0
	s_mov_b32 s9, 0
	s_cbranch_scc1 .LBB436_29
; %bb.23:
	v_lshlrev_b32_e32 v1, 3, v4
	v_sub_u32_e32 v1, 0, v1
	s_mov_b32 s15, s9
	s_branch .LBB436_25
.LBB436_24:                             ;   in Loop: Header=BB436_25 Depth=1
	s_or_b64 exec, exec, s[10:11]
	s_add_i32 s8, s8, 1
	s_add_i32 s15, s15, 1
	s_cmp_lg_u32 s15, s14
	s_cbranch_scc0 .LBB436_29
.LBB436_25:                             ; =>This Loop Header: Depth=1
                                        ;     Child Loop BB436_27 Depth 2
	v_lshl_add_u64 v[6:7], s[8:9], 2, v[2:3]
	global_load_dword v4, v[6:7], off
	v_add_u32_e32 v6, s8, v0
	v_ashrrev_i32_e32 v7, 31, v6
	v_mov_b32_e32 v8, 0
	s_mov_b32 s16, 0
	s_waitcnt lgkmcnt(0)
	v_lshl_add_u64 v[6:7], v[6:7], 2, s[6:7]
	s_mov_b64 s[10:11], 0
	s_waitcnt vmcnt(0)
	v_add_u32_e32 v9, v1, v4
	s_branch .LBB436_27
.LBB436_26:                             ;   in Loop: Header=BB436_27 Depth=2
	s_or_b64 exec, exec, s[12:13]
	s_add_i32 s17, s16, 1
	s_cmp_gt_u32 s16, 6
	s_cselect_b64 s[2:3], -1, 0
	s_xor_b64 s[12:13], vcc, -1
	s_or_b64 s[2:3], s[12:13], s[2:3]
	s_and_b64 s[2:3], exec, s[2:3]
	v_add_u32_e32 v8, 4, v8
	s_or_b64 s[10:11], s[2:3], s[10:11]
	s_mov_b32 s16, s17
	s_andn2_b64 exec, exec, s[10:11]
	s_cbranch_execz .LBB436_24
.LBB436_27:                             ;   Parent Loop BB436_25 Depth=1
                                        ; =>  This Inner Loop Header: Depth=2
	v_cmp_ne_u32_e32 vcc, s16, v9
	v_cmp_eq_u32_e64 s[2:3], s16, v9
	s_and_saveexec_b64 s[12:13], s[2:3]
	s_cbranch_execz .LBB436_26
; %bb.28:                               ;   in Loop: Header=BB436_27 Depth=2
	scratch_load_dword v11, v8, off
	s_waitcnt vmcnt(0)
	v_add_f32_e32 v5, v5, v11
	global_store_dword v[6:7], v4, off
	s_branch .LBB436_26
.LBB436_29:
	s_waitcnt lgkmcnt(0)
	s_load_dword s6, s[0:1], 0x3c
	s_waitcnt lgkmcnt(0)
	s_bitcmp1_b32 s6, 0
	s_cselect_b64 s[2:3], -1, 0
	s_bitcmp0_b32 s6, 0
	s_cbranch_scc0 .LBB436_33
; %bb.30:
	s_load_dwordx2 s[6:7], s[0:1], 0x40
	s_andn2_b64 vcc, exec, s[2:3]
	s_waitcnt lgkmcnt(0)
	v_cvt_f32_f64_e32 v8, s[6:7]
	s_cbranch_vccz .LBB436_34
.LBB436_31:
	s_andn2_b64 vcc, exec, s[4:5]
	s_cbranch_vccz .LBB436_35
.LBB436_32:
	s_endpgm
.LBB436_33:
	v_mbcnt_lo_u32_b32 v1, -1, 0
	v_mbcnt_hi_u32_b32 v1, -1, v1
	v_and_b32_e32 v6, 0x7e, v1
	v_xor_b32_e32 v4, 1, v1
	v_add_u32_e32 v6, 2, v6
	v_cmp_lt_i32_e32 vcc, v4, v6
	s_nop 1
	v_cndmask_b32_e32 v1, v1, v4, vcc
	v_lshlrev_b32_e32 v1, 2, v1
	ds_bpermute_b32 v1, v1, v5
	s_waitcnt lgkmcnt(0)
	v_add_f32_e32 v5, v5, v1
	s_load_dwordx2 s[6:7], s[0:1], 0x40
	s_andn2_b64 vcc, exec, s[2:3]
	s_waitcnt lgkmcnt(0)
	v_cvt_f32_f64_e32 v8, s[6:7]
	s_cbranch_vccnz .LBB436_31
.LBB436_34:
	v_cmp_lt_f32_e32 vcc, 0, v5
	s_nop 1
	v_cndmask_b32_e32 v1, 1.0, v5, vcc
	v_div_scale_f32 v4, s[2:3], v1, v1, v8
	v_rcp_f32_e32 v5, v4
	s_nop 0
	v_fma_f32 v6, -v4, v5, 1.0
	v_fmac_f32_e32 v5, v6, v5
	v_div_scale_f32 v6, vcc, v8, v1, v8
	v_mul_f32_e32 v7, v6, v5
	v_fma_f32 v9, -v4, v7, v6
	v_fmac_f32_e32 v7, v9, v5
	v_fma_f32 v4, -v4, v7, v6
	v_div_fmas_f32 v4, v4, v5, v7
	v_div_fixup_f32 v8, v4, v1, v8
	s_andn2_b64 vcc, exec, s[4:5]
	s_cbranch_vccnz .LBB436_32
.LBB436_35:
	s_load_dwordx2 s[12:13], s[0:1], 0x10
	v_mov_b32_e32 v1, 0
	v_or_b32_e32 v20, 4, v1
	v_or_b32_e32 v18, 8, v1
	;; [unrolled: 1-line block ×3, first 2 shown]
	v_add_u32_e32 v14, 16, v1
	v_add_u32_e32 v12, 20, v1
	;; [unrolled: 1-line block ×4, first 2 shown]
	v_or_b32_e32 v23, 1, v10
	v_or_b32_e32 v22, 2, v10
	;; [unrolled: 1-line block ×7, first 2 shown]
	s_cmp_eq_u32 s33, 1
	s_mov_b32 s14, 0
	s_cbranch_scc1 .LBB436_70
; %bb.36:
	v_ashrrev_i32_e32 v1, 31, v0
	s_waitcnt lgkmcnt(0)
	v_lshl_add_u64 v[4:5], v[0:1], 2, s[12:13]
	s_and_b32 s14, s33, 0x7ffffffe
	v_lshl_add_u64 v[4:5], v[4:5], 0, 4
	v_lshl_add_u64 v[6:7], v[2:3], 0, 4
	s_mov_b32 s15, 0
	s_branch .LBB436_38
.LBB436_37:                             ;   in Loop: Header=BB436_38 Depth=1
	s_or_b64 exec, exec, s[0:1]
	s_add_i32 s15, s15, 2
	v_lshl_add_u64 v[4:5], v[4:5], 0, 8
	s_cmp_eq_u32 s14, s15
	v_lshl_add_u64 v[6:7], v[6:7], 0, 8
	s_cbranch_scc1 .LBB436_70
.LBB436_38:                             ; =>This Inner Loop Header: Depth=1
	global_load_dword v24, v[6:7], off offset:-4
	v_mov_b32_e32 v1, 0
	s_waitcnt vmcnt(0)
	v_cmp_eq_u32_e32 vcc, v24, v10
	v_cmp_ne_u32_e64 s[0:1], v24, v10
	s_and_saveexec_b64 s[16:17], s[0:1]
	s_cbranch_execz .LBB436_52
; %bb.39:                               ;   in Loop: Header=BB436_38 Depth=1
	v_cmp_eq_u32_e64 s[0:1], v24, v23
	v_cmp_ne_u32_e64 s[2:3], v24, v23
	v_mov_b32_e32 v1, v20
	s_and_saveexec_b64 s[18:19], s[2:3]
	s_cbranch_execz .LBB436_51
; %bb.40:                               ;   in Loop: Header=BB436_38 Depth=1
	v_cmp_eq_u32_e64 s[2:3], v24, v22
	v_cmp_ne_u32_e64 s[4:5], v24, v22
	v_mov_b32_e32 v1, v18
	;; [unrolled: 6-line block ×6, first 2 shown]
	s_and_saveexec_b64 s[30:31], s[10:11]
	s_xor_b64 s[30:31], exec, s[30:31]
; %bb.45:                               ;   in Loop: Header=BB436_38 Depth=1
	v_cmp_eq_u32_e64 s[10:11], v24, v13
	s_andn2_b64 s[28:29], s[28:29], exec
	s_and_b64 s[10:11], s[10:11], exec
	s_or_b64 s[28:29], s[28:29], s[10:11]
	v_mov_b32_e32 v1, v11
; %bb.46:                               ;   in Loop: Header=BB436_38 Depth=1
	s_or_b64 exec, exec, s[30:31]
	s_andn2_b64 s[8:9], s[8:9], exec
	s_and_b64 s[10:11], s[28:29], exec
	s_or_b64 s[8:9], s[8:9], s[10:11]
.LBB436_47:                             ;   in Loop: Header=BB436_38 Depth=1
	s_or_b64 exec, exec, s[26:27]
	s_andn2_b64 s[6:7], s[6:7], exec
	s_and_b64 s[8:9], s[8:9], exec
	s_or_b64 s[6:7], s[6:7], s[8:9]
.LBB436_48:                             ;   in Loop: Header=BB436_38 Depth=1
	s_or_b64 exec, exec, s[24:25]
	s_andn2_b64 s[4:5], s[4:5], exec
	s_and_b64 s[6:7], s[6:7], exec
	s_or_b64 s[4:5], s[4:5], s[6:7]
.LBB436_49:                             ;   in Loop: Header=BB436_38 Depth=1
	s_or_b64 exec, exec, s[22:23]
	s_andn2_b64 s[2:3], s[2:3], exec
	s_and_b64 s[4:5], s[4:5], exec
	s_or_b64 s[2:3], s[2:3], s[4:5]
.LBB436_50:                             ;   in Loop: Header=BB436_38 Depth=1
	s_or_b64 exec, exec, s[20:21]
	s_andn2_b64 s[0:1], s[0:1], exec
	s_and_b64 s[2:3], s[2:3], exec
	s_or_b64 s[0:1], s[0:1], s[2:3]
.LBB436_51:                             ;   in Loop: Header=BB436_38 Depth=1
	s_or_b64 exec, exec, s[18:19]
	s_andn2_b64 s[2:3], vcc, exec
	s_and_b64 s[0:1], s[0:1], exec
	s_or_b64 vcc, s[2:3], s[0:1]
.LBB436_52:                             ;   in Loop: Header=BB436_38 Depth=1
	s_or_b64 exec, exec, s[16:17]
	s_and_saveexec_b64 s[0:1], vcc
	s_cbranch_execz .LBB436_54
; %bb.53:                               ;   in Loop: Header=BB436_38 Depth=1
	scratch_load_dword v1, v1, off
	v_add_u32_e32 v24, s15, v0
	v_ashrrev_i32_e32 v25, 31, v24
	v_lshl_add_u64 v[24:25], v[24:25], 2, s[12:13]
	s_waitcnt vmcnt(0)
	v_mul_f32_e32 v1, v8, v1
	global_store_dword v[24:25], v1, off
.LBB436_54:                             ;   in Loop: Header=BB436_38 Depth=1
	s_or_b64 exec, exec, s[0:1]
	global_load_dword v24, v[6:7], off
	v_mov_b32_e32 v1, 0
	s_waitcnt vmcnt(0)
	v_cmp_eq_u32_e64 s[8:9], v24, v10
	v_cmp_ne_u32_e32 vcc, v24, v10
	s_and_saveexec_b64 s[10:11], vcc
	s_cbranch_execz .LBB436_68
; %bb.55:                               ;   in Loop: Header=BB436_38 Depth=1
	v_cmp_eq_u32_e32 vcc, v24, v23
	v_cmp_ne_u32_e64 s[0:1], v24, v23
	v_mov_b32_e32 v1, v20
	s_and_saveexec_b64 s[16:17], s[0:1]
	s_cbranch_execz .LBB436_67
; %bb.56:                               ;   in Loop: Header=BB436_38 Depth=1
	v_cmp_eq_u32_e64 s[0:1], v24, v22
	v_cmp_ne_u32_e64 s[2:3], v24, v22
	v_mov_b32_e32 v1, v18
	s_and_saveexec_b64 s[18:19], s[2:3]
	s_cbranch_execz .LBB436_66
; %bb.57:                               ;   in Loop: Header=BB436_38 Depth=1
	v_cmp_eq_u32_e64 s[2:3], v24, v21
	;; [unrolled: 6-line block ×5, first 2 shown]
	v_cmp_ne_u32_e64 s[6:7], v24, v15
	v_mov_b32_e32 v1, v9
	s_and_saveexec_b64 s[30:31], s[6:7]
; %bb.61:                               ;   in Loop: Header=BB436_38 Depth=1
	v_cmp_eq_u32_e64 s[6:7], v24, v13
	s_andn2_b64 s[28:29], s[28:29], exec
	s_and_b64 s[6:7], s[6:7], exec
	s_or_b64 s[28:29], s[28:29], s[6:7]
	v_mov_b32_e32 v1, v11
; %bb.62:                               ;   in Loop: Header=BB436_38 Depth=1
	s_or_b64 exec, exec, s[30:31]
	s_andn2_b64 s[6:7], s[24:25], exec
	s_and_b64 s[24:25], s[28:29], exec
	s_or_b64 s[24:25], s[6:7], s[24:25]
.LBB436_63:                             ;   in Loop: Header=BB436_38 Depth=1
	s_or_b64 exec, exec, s[26:27]
	s_andn2_b64 s[4:5], s[4:5], exec
	s_and_b64 s[6:7], s[24:25], exec
	s_or_b64 s[4:5], s[4:5], s[6:7]
.LBB436_64:                             ;   in Loop: Header=BB436_38 Depth=1
	s_or_b64 exec, exec, s[22:23]
	s_andn2_b64 s[2:3], s[2:3], exec
	s_and_b64 s[4:5], s[4:5], exec
	s_or_b64 s[2:3], s[2:3], s[4:5]
.LBB436_65:                             ;   in Loop: Header=BB436_38 Depth=1
	s_or_b64 exec, exec, s[20:21]
	s_andn2_b64 s[0:1], s[0:1], exec
	s_and_b64 s[2:3], s[2:3], exec
	s_or_b64 s[0:1], s[0:1], s[2:3]
.LBB436_66:                             ;   in Loop: Header=BB436_38 Depth=1
	s_or_b64 exec, exec, s[18:19]
	s_andn2_b64 s[2:3], vcc, exec
	s_and_b64 s[0:1], s[0:1], exec
	s_or_b64 vcc, s[2:3], s[0:1]
.LBB436_67:                             ;   in Loop: Header=BB436_38 Depth=1
	s_or_b64 exec, exec, s[16:17]
	s_andn2_b64 s[0:1], s[8:9], exec
	s_and_b64 s[2:3], vcc, exec
	s_or_b64 s[8:9], s[0:1], s[2:3]
.LBB436_68:                             ;   in Loop: Header=BB436_38 Depth=1
	s_or_b64 exec, exec, s[10:11]
	s_and_saveexec_b64 s[0:1], s[8:9]
	s_cbranch_execz .LBB436_37
; %bb.69:                               ;   in Loop: Header=BB436_38 Depth=1
	scratch_load_dword v1, v1, off
	s_waitcnt vmcnt(0)
	v_mul_f32_e32 v1, v8, v1
	global_store_dword v[4:5], v1, off
	s_branch .LBB436_37
.LBB436_70:
	s_bitcmp0_b32 s33, 0
	s_mov_b32 s15, 0
	s_cbranch_scc1 .LBB436_32
; %bb.71:
	v_lshl_add_u64 v[2:3], s[14:15], 2, v[2:3]
	global_load_dword v1, v[2:3], off
	v_mov_b32_e32 v2, 0
	s_waitcnt vmcnt(0)
	v_cmp_eq_u32_e64 s[8:9], v1, v10
	v_cmp_ne_u32_e32 vcc, v1, v10
	s_and_saveexec_b64 s[10:11], vcc
	s_cbranch_execz .LBB436_85
; %bb.72:
	v_cmp_eq_u32_e32 vcc, v1, v23
	v_cmp_ne_u32_e64 s[0:1], v1, v23
	s_and_saveexec_b64 s[16:17], s[0:1]
	s_cbranch_execz .LBB436_84
; %bb.73:
	v_cmp_eq_u32_e64 s[0:1], v1, v22
	v_cmp_ne_u32_e64 s[2:3], v1, v22
	s_and_saveexec_b64 s[18:19], s[2:3]
	s_cbranch_execz .LBB436_83
; %bb.74:
	v_cmp_eq_u32_e64 s[2:3], v1, v21
	;; [unrolled: 5-line block ×5, first 2 shown]
	v_cmp_ne_u32_e64 s[6:7], v1, v15
	s_and_saveexec_b64 s[30:31], s[6:7]
; %bb.78:
	v_cmp_eq_u32_e64 s[6:7], v1, v13
	s_andn2_b64 s[28:29], s[28:29], exec
	s_and_b64 s[6:7], s[6:7], exec
	s_or_b64 s[28:29], s[28:29], s[6:7]
	v_mov_b32_e32 v9, v11
; %bb.79:
	s_or_b64 exec, exec, s[30:31]
	s_andn2_b64 s[6:7], s[24:25], exec
	s_and_b64 s[24:25], s[28:29], exec
	s_or_b64 s[24:25], s[6:7], s[24:25]
	v_mov_b32_e32 v12, v9
.LBB436_80:
	s_or_b64 exec, exec, s[26:27]
	s_andn2_b64 s[4:5], s[4:5], exec
	s_and_b64 s[6:7], s[24:25], exec
	s_or_b64 s[4:5], s[4:5], s[6:7]
	v_mov_b32_e32 v14, v12
.LBB436_81:
	s_or_b64 exec, exec, s[22:23]
	s_andn2_b64 s[2:3], s[2:3], exec
	s_and_b64 s[4:5], s[4:5], exec
	s_or_b64 s[2:3], s[2:3], s[4:5]
	v_mov_b32_e32 v16, v14
.LBB436_82:
	s_or_b64 exec, exec, s[20:21]
	s_andn2_b64 s[0:1], s[0:1], exec
	s_and_b64 s[2:3], s[2:3], exec
	s_or_b64 s[0:1], s[0:1], s[2:3]
	v_mov_b32_e32 v18, v16
.LBB436_83:
	s_or_b64 exec, exec, s[18:19]
	s_andn2_b64 s[2:3], vcc, exec
	s_and_b64 s[0:1], s[0:1], exec
	s_or_b64 vcc, s[2:3], s[0:1]
	v_mov_b32_e32 v20, v18
.LBB436_84:
	s_or_b64 exec, exec, s[16:17]
	s_andn2_b64 s[0:1], s[8:9], exec
	s_and_b64 s[2:3], vcc, exec
	s_or_b64 s[8:9], s[0:1], s[2:3]
	v_mov_b32_e32 v2, v20
.LBB436_85:
	s_or_b64 exec, exec, s[10:11]
	s_and_b64 exec, exec, s[8:9]
	s_cbranch_execz .LBB436_32
; %bb.86:
	scratch_load_dword v2, v2, off
	v_add_u32_e32 v0, s14, v0
	v_ashrrev_i32_e32 v1, 31, v0
	s_waitcnt lgkmcnt(0)
	v_lshl_add_u64 v[0:1], v[0:1], 2, s[12:13]
	s_waitcnt vmcnt(0)
	v_mul_f32_e32 v2, v8, v2
	global_store_dword v[0:1], v2, off
	s_endpgm
	.section	.rodata,"a",@progbits
	.p2align	6, 0x0
	.amdhsa_kernel _ZN4vllm3moe22topkGatingSoftplusSqrtILi8ELi16ELi4ELi16ELi64ELb1Ej14__hip_bfloat16EEvPKT6_PKbPfiPT5_PiiiibdPKfPKS9_SF_
		.amdhsa_group_segment_fixed_size 0
		.amdhsa_private_segment_fixed_size 48
		.amdhsa_kernarg_size 96
		.amdhsa_user_sgpr_count 2
		.amdhsa_user_sgpr_dispatch_ptr 0
		.amdhsa_user_sgpr_queue_ptr 0
		.amdhsa_user_sgpr_kernarg_segment_ptr 1
		.amdhsa_user_sgpr_dispatch_id 0
		.amdhsa_user_sgpr_kernarg_preload_length 0
		.amdhsa_user_sgpr_kernarg_preload_offset 0
		.amdhsa_user_sgpr_private_segment_size 0
		.amdhsa_uses_dynamic_stack 0
		.amdhsa_enable_private_segment 1
		.amdhsa_system_sgpr_workgroup_id_x 1
		.amdhsa_system_sgpr_workgroup_id_y 0
		.amdhsa_system_sgpr_workgroup_id_z 0
		.amdhsa_system_sgpr_workgroup_info 0
		.amdhsa_system_vgpr_workitem_id 1
		.amdhsa_next_free_vgpr 27
		.amdhsa_next_free_sgpr 34
		.amdhsa_accum_offset 28
		.amdhsa_reserve_vcc 1
		.amdhsa_float_round_mode_32 0
		.amdhsa_float_round_mode_16_64 0
		.amdhsa_float_denorm_mode_32 3
		.amdhsa_float_denorm_mode_16_64 3
		.amdhsa_dx10_clamp 1
		.amdhsa_ieee_mode 1
		.amdhsa_fp16_overflow 0
		.amdhsa_tg_split 0
		.amdhsa_exception_fp_ieee_invalid_op 0
		.amdhsa_exception_fp_denorm_src 0
		.amdhsa_exception_fp_ieee_div_zero 0
		.amdhsa_exception_fp_ieee_overflow 0
		.amdhsa_exception_fp_ieee_underflow 0
		.amdhsa_exception_fp_ieee_inexact 0
		.amdhsa_exception_int_div_zero 0
	.end_amdhsa_kernel
	.section	.text._ZN4vllm3moe22topkGatingSoftplusSqrtILi8ELi16ELi4ELi16ELi64ELb1Ej14__hip_bfloat16EEvPKT6_PKbPfiPT5_PiiiibdPKfPKS9_SF_,"axG",@progbits,_ZN4vllm3moe22topkGatingSoftplusSqrtILi8ELi16ELi4ELi16ELi64ELb1Ej14__hip_bfloat16EEvPKT6_PKbPfiPT5_PiiiibdPKfPKS9_SF_,comdat
.Lfunc_end436:
	.size	_ZN4vllm3moe22topkGatingSoftplusSqrtILi8ELi16ELi4ELi16ELi64ELb1Ej14__hip_bfloat16EEvPKT6_PKbPfiPT5_PiiiibdPKfPKS9_SF_, .Lfunc_end436-_ZN4vllm3moe22topkGatingSoftplusSqrtILi8ELi16ELi4ELi16ELi64ELb1Ej14__hip_bfloat16EEvPKT6_PKbPfiPT5_PiiiibdPKfPKS9_SF_
                                        ; -- End function
	.section	.AMDGPU.csdata,"",@progbits
; Kernel info:
; codeLenInByte = 4456
; NumSgprs: 40
; NumVgprs: 27
; NumAgprs: 0
; TotalNumVgprs: 27
; ScratchSize: 48
; MemoryBound: 0
; FloatMode: 240
; IeeeMode: 1
; LDSByteSize: 0 bytes/workgroup (compile time only)
; SGPRBlocks: 4
; VGPRBlocks: 3
; NumSGPRsForWavesPerEU: 40
; NumVGPRsForWavesPerEU: 27
; AccumOffset: 28
; Occupancy: 8
; WaveLimiterHint : 1
; COMPUTE_PGM_RSRC2:SCRATCH_EN: 1
; COMPUTE_PGM_RSRC2:USER_SGPR: 2
; COMPUTE_PGM_RSRC2:TRAP_HANDLER: 0
; COMPUTE_PGM_RSRC2:TGID_X_EN: 1
; COMPUTE_PGM_RSRC2:TGID_Y_EN: 0
; COMPUTE_PGM_RSRC2:TGID_Z_EN: 0
; COMPUTE_PGM_RSRC2:TIDIG_COMP_CNT: 1
; COMPUTE_PGM_RSRC3_GFX90A:ACCUM_OFFSET: 6
; COMPUTE_PGM_RSRC3_GFX90A:TG_SPLIT: 0
	.section	.text._ZN4vllm3moe22topkGatingSoftplusSqrtILi8ELi16ELi4ELi16ELi64ELb0Ej14__hip_bfloat16EEvPKT6_PKbPfiPT5_PiiiibdPKfPKS9_SF_,"axG",@progbits,_ZN4vllm3moe22topkGatingSoftplusSqrtILi8ELi16ELi4ELi16ELi64ELb0Ej14__hip_bfloat16EEvPKT6_PKbPfiPT5_PiiiibdPKfPKS9_SF_,comdat
	.protected	_ZN4vllm3moe22topkGatingSoftplusSqrtILi8ELi16ELi4ELi16ELi64ELb0Ej14__hip_bfloat16EEvPKT6_PKbPfiPT5_PiiiibdPKfPKS9_SF_ ; -- Begin function _ZN4vllm3moe22topkGatingSoftplusSqrtILi8ELi16ELi4ELi16ELi64ELb0Ej14__hip_bfloat16EEvPKT6_PKbPfiPT5_PiiiibdPKfPKS9_SF_
	.globl	_ZN4vllm3moe22topkGatingSoftplusSqrtILi8ELi16ELi4ELi16ELi64ELb0Ej14__hip_bfloat16EEvPKT6_PKbPfiPT5_PiiiibdPKfPKS9_SF_
	.p2align	8
	.type	_ZN4vllm3moe22topkGatingSoftplusSqrtILi8ELi16ELi4ELi16ELi64ELb0Ej14__hip_bfloat16EEvPKT6_PKbPfiPT5_PiiiibdPKfPKS9_SF_,@function
_ZN4vllm3moe22topkGatingSoftplusSqrtILi8ELi16ELi4ELi16ELi64ELb0Ej14__hip_bfloat16EEvPKT6_PKbPfiPT5_PiiiibdPKfPKS9_SF_: ; @_ZN4vllm3moe22topkGatingSoftplusSqrtILi8ELi16ELi4ELi16ELi64ELb0Ej14__hip_bfloat16EEvPKT6_PKbPfiPT5_PiiiibdPKfPKS9_SF_
; %bb.0:
	s_load_dword s33, s[0:1], 0x18
	v_bfe_u32 v1, v0, 10, 10
	v_and_b32_e32 v0, 0x3ff, v0
	s_lshl_b32 s2, s2, 7
	v_lshlrev_b32_e32 v1, 5, v1
	v_lshrrev_b32_e32 v2, 1, v0
	v_add3_u32 v8, s2, v1, v2
	s_waitcnt lgkmcnt(0)
	v_cmp_gt_i32_e32 vcc, s33, v8
	s_and_saveexec_b64 s[2:3], vcc
	s_cbranch_execz .LBB437_49
; %bb.1:
	s_load_dwordx4 s[4:7], s[0:1], 0x0
	s_load_dwordx2 s[34:35], s[0:1], 0x10
	s_waitcnt lgkmcnt(0)
	s_cmp_eq_u64 s[6:7], 0
	s_cbranch_scc1 .LBB437_3
; %bb.2:
	v_ashrrev_i32_e32 v9, 31, v8
	v_lshl_add_u64 v[2:3], s[6:7], 0, v[8:9]
	global_load_ubyte v1, v[2:3], off
	s_waitcnt vmcnt(0)
	v_and_b32_e32 v1, 1, v1
	v_cmp_eq_u32_e32 vcc, 1, v1
	s_xor_b64 s[2:3], vcc, -1
	s_orn2_b64 s[36:37], s[2:3], exec
	s_branch .LBB437_4
.LBB437_3:
	s_mov_b64 s[36:37], -1
.LBB437_4:
	v_lshlrev_b32_e32 v4, 4, v8
	v_mov_b32_e32 v2, s4
	v_mov_b32_e32 v3, s5
	v_ashrrev_i32_e32 v5, 31, v4
	v_and_b32_e32 v9, 1, v0
	v_lshl_add_u64 v[2:3], v[4:5], 1, v[2:3]
	v_mov_b32_e32 v1, 0
	v_lshlrev_b32_e32 v0, 4, v9
	v_lshl_add_u64 v[0:1], v[2:3], 0, v[0:1]
	global_load_dwordx4 v[4:7], v[0:1], off
	s_mov_b32 s12, 0x800000
	v_mov_b32_e32 v2, 0x4f800000
	s_mov_b32 s9, 0x3f317217
	s_mov_b32 s10, 0x7f800000
	v_mov_b32_e32 v3, 0x41b17218
	s_mov_b32 s8, 0x41a00000
	s_mov_b32 s11, 0xf800000
	s_load_dwordx4 s[20:23], s[0:1], 0x40
	v_lshlrev_b32_e32 v12, 3, v9
	s_waitcnt lgkmcnt(0)
	s_cmp_lg_u64 s[22:23], 0
	s_cselect_b64 s[6:7], -1, 0
	s_and_b64 s[2:3], exec, s[6:7]
	s_waitcnt vmcnt(0)
	v_lshlrev_b32_e32 v0, 16, v4
	v_mul_f32_e32 v1, 0x3fb8aa3b, v0
	v_exp_f32_e32 v10, v1
	v_mov_b32_e32 v1, 0x260
	v_add_f32_e32 v10, 1.0, v10
	v_cmp_gt_f32_e32 vcc, s12, v10
	s_nop 1
	v_cndmask_b32_e32 v11, 1.0, v2, vcc
	v_mul_f32_e32 v10, v10, v11
	v_log_f32_e32 v11, v10
	v_cndmask_b32_e32 v13, 0, v3, vcc
	v_lshlrev_b32_e32 v10, 2, v12
	v_mul_f32_e32 v14, 0x3f317217, v11
	v_fma_f32 v14, v11, s9, -v14
	v_fmac_f32_e32 v14, 0x3377d1cf, v11
	v_fmac_f32_e32 v14, 0x3f317217, v11
	v_cmp_lt_f32_e64 vcc, |v11|, s10
	s_nop 1
	v_cndmask_b32_e32 v11, v11, v14, vcc
	v_sub_f32_e32 v11, v11, v13
	v_cmp_lt_f32_e32 vcc, s8, v0
	s_nop 1
	v_cndmask_b32_e32 v0, v11, v0, vcc
	v_mul_f32_e32 v11, 0x4f800000, v0
	v_cmp_gt_f32_e32 vcc, s11, v0
	s_nop 1
	v_cndmask_b32_e32 v0, v0, v11, vcc
	v_sqrt_f32_e32 v11, v0
	s_nop 0
	v_add_u32_e32 v13, -1, v11
	v_add_u32_e32 v14, 1, v11
	v_fma_f32 v15, -v13, v11, v0
	v_fma_f32 v16, -v14, v11, v0
	v_cmp_ge_f32_e64 s[4:5], 0, v15
	s_nop 1
	v_cndmask_b32_e64 v11, v11, v13, s[4:5]
	v_cmp_lt_f32_e64 s[4:5], 0, v16
	s_nop 1
	v_cndmask_b32_e64 v11, v11, v14, s[4:5]
	v_mul_f32_e32 v13, 0x37800000, v11
	v_cndmask_b32_e32 v11, v11, v13, vcc
	v_cmp_class_f32_e32 vcc, v0, v1
	s_nop 1
	v_cndmask_b32_e32 v0, v11, v0, vcc
	s_mov_b64 vcc, s[2:3]
	s_cbranch_vccz .LBB437_6
; %bb.5:
	global_load_dword v11, v10, s[22:23]
	s_waitcnt vmcnt(0)
	v_add_f32_e32 v0, v0, v11
.LBB437_6:
	v_and_b32_e32 v4, 0xffff0000, v4
	v_mul_f32_e32 v11, 0x3fb8aa3b, v4
	v_exp_f32_e32 v11, v11
	s_nop 0
	v_add_f32_e32 v11, 1.0, v11
	v_cmp_gt_f32_e32 vcc, s12, v11
	s_nop 1
	v_cndmask_b32_e32 v2, 1.0, v2, vcc
	v_mul_f32_e32 v2, v11, v2
	v_log_f32_e32 v2, v2
	v_cndmask_b32_e32 v3, 0, v3, vcc
	v_mul_f32_e32 v11, 0x3f317217, v2
	v_fma_f32 v11, v2, s9, -v11
	v_fmac_f32_e32 v11, 0x3377d1cf, v2
	v_fmac_f32_e32 v11, 0x3f317217, v2
	v_cmp_lt_f32_e64 vcc, |v2|, s10
	s_nop 1
	v_cndmask_b32_e32 v2, v2, v11, vcc
	v_sub_f32_e32 v2, v2, v3
	v_cmp_lt_f32_e32 vcc, s8, v4
	s_nop 1
	v_cndmask_b32_e32 v2, v2, v4, vcc
	v_mul_f32_e32 v3, 0x4f800000, v2
	v_cmp_gt_f32_e32 vcc, s11, v2
	s_nop 1
	v_cndmask_b32_e32 v2, v2, v3, vcc
	v_sqrt_f32_e32 v3, v2
	v_cmp_class_f32_e64 s[4:5], v2, v1
	v_add_u32_e32 v4, -1, v3
	v_add_u32_e32 v11, 1, v3
	v_fma_f32 v13, -v4, v3, v2
	v_fma_f32 v14, -v11, v3, v2
	v_cmp_ge_f32_e64 s[2:3], 0, v13
	s_nop 1
	v_cndmask_b32_e64 v3, v3, v4, s[2:3]
	v_cmp_lt_f32_e64 s[2:3], 0, v14
	s_nop 1
	v_cndmask_b32_e64 v3, v3, v11, s[2:3]
	v_mul_f32_e32 v4, 0x37800000, v3
	v_cndmask_b32_e32 v3, v3, v4, vcc
	v_cndmask_b32_e64 v4, 0, 1, s[6:7]
	v_cmp_ne_u32_e64 s[2:3], 1, v4
	s_andn2_b64 vcc, exec, s[6:7]
	v_cndmask_b32_e64 v1, v3, v2, s[4:5]
	s_cbranch_vccnz .LBB437_8
; %bb.7:
	global_load_dword v2, v10, s[22:23] offset:4
	s_waitcnt vmcnt(0)
	v_add_f32_e32 v1, v1, v2
.LBB437_8:
	v_lshlrev_b32_e32 v2, 16, v5
	v_mul_f32_e32 v3, 0x3fb8aa3b, v2
	v_exp_f32_e32 v3, v3
	s_mov_b32 s10, 0x800000
	v_mov_b32_e32 v4, 0x4f800000
	s_mov_b32 s7, 0x3f317217
	v_add_f32_e32 v3, 1.0, v3
	v_cmp_gt_f32_e32 vcc, s10, v3
	s_mov_b32 s8, 0x7f800000
	s_mov_b32 s6, 0x41a00000
	v_cndmask_b32_e32 v11, 1.0, v4, vcc
	v_mul_f32_e32 v3, v3, v11
	v_log_f32_e32 v3, v3
	s_mov_b32 s9, 0xf800000
	v_mul_f32_e32 v11, 0x3f317217, v3
	v_fma_f32 v11, v3, s7, -v11
	v_fmac_f32_e32 v11, 0x3377d1cf, v3
	v_fmac_f32_e32 v11, 0x3f317217, v3
	v_cmp_lt_f32_e64 s[4:5], |v3|, s8
	s_nop 1
	v_cndmask_b32_e64 v3, v3, v11, s[4:5]
	v_mov_b32_e32 v11, 0x41b17218
	v_cndmask_b32_e32 v13, 0, v11, vcc
	v_sub_f32_e32 v3, v3, v13
	v_cmp_lt_f32_e32 vcc, s6, v2
	s_nop 1
	v_cndmask_b32_e32 v2, v3, v2, vcc
	v_mul_f32_e32 v3, 0x4f800000, v2
	v_cmp_gt_f32_e32 vcc, s9, v2
	s_nop 1
	v_cndmask_b32_e32 v2, v2, v3, vcc
	v_sqrt_f32_e32 v3, v2
	s_nop 0
	v_add_u32_e32 v13, -1, v3
	v_fma_f32 v14, -v13, v3, v2
	v_cmp_ge_f32_e64 s[4:5], 0, v14
	v_add_u32_e32 v14, 1, v3
	s_nop 0
	v_cndmask_b32_e64 v13, v3, v13, s[4:5]
	v_fma_f32 v3, -v14, v3, v2
	v_cmp_lt_f32_e64 s[4:5], 0, v3
	s_nop 1
	v_cndmask_b32_e64 v3, v13, v14, s[4:5]
	v_mul_f32_e32 v13, 0x37800000, v3
	v_cndmask_b32_e32 v13, v3, v13, vcc
	v_mov_b32_e32 v3, 0x260
	v_cmp_class_f32_e64 s[4:5], v2, v3
	s_and_b64 vcc, exec, s[2:3]
	s_nop 0
	v_cndmask_b32_e64 v2, v13, v2, s[4:5]
	s_cbranch_vccnz .LBB437_10
; %bb.9:
	global_load_dword v13, v10, s[22:23] offset:8
	s_waitcnt vmcnt(0)
	v_add_f32_e32 v2, v2, v13
.LBB437_10:
	v_and_b32_e32 v5, 0xffff0000, v5
	v_mul_f32_e32 v13, 0x3fb8aa3b, v5
	v_exp_f32_e32 v13, v13
	s_nop 0
	v_add_f32_e32 v13, 1.0, v13
	v_cmp_gt_f32_e32 vcc, s10, v13
	s_nop 1
	v_cndmask_b32_e32 v4, 1.0, v4, vcc
	v_mul_f32_e32 v4, v13, v4
	v_log_f32_e32 v4, v4
	v_cndmask_b32_e32 v11, 0, v11, vcc
	v_mul_f32_e32 v13, 0x3f317217, v4
	v_fma_f32 v13, v4, s7, -v13
	v_fmac_f32_e32 v13, 0x3377d1cf, v4
	v_fmac_f32_e32 v13, 0x3f317217, v4
	v_cmp_lt_f32_e64 vcc, |v4|, s8
	s_nop 1
	v_cndmask_b32_e32 v4, v4, v13, vcc
	v_sub_f32_e32 v4, v4, v11
	v_cmp_lt_f32_e32 vcc, s6, v5
	s_nop 1
	v_cndmask_b32_e32 v4, v4, v5, vcc
	v_mul_f32_e32 v5, 0x4f800000, v4
	v_cmp_gt_f32_e32 vcc, s9, v4
	s_nop 1
	v_cndmask_b32_e32 v4, v4, v5, vcc
	v_sqrt_f32_e32 v5, v4
	s_nop 0
	v_add_u32_e32 v11, -1, v5
	v_add_u32_e32 v13, 1, v5
	v_fma_f32 v14, -v11, v5, v4
	v_fma_f32 v15, -v13, v5, v4
	v_cmp_ge_f32_e64 s[4:5], 0, v14
	s_nop 1
	v_cndmask_b32_e64 v5, v5, v11, s[4:5]
	v_cmp_lt_f32_e64 s[4:5], 0, v15
	s_nop 1
	v_cndmask_b32_e64 v5, v5, v13, s[4:5]
	v_mul_f32_e32 v11, 0x37800000, v5
	v_cndmask_b32_e32 v5, v5, v11, vcc
	v_cmp_class_f32_e64 s[4:5], v4, v3
	s_and_b64 vcc, exec, s[2:3]
	s_nop 0
	v_cndmask_b32_e64 v3, v5, v4, s[4:5]
	s_cbranch_vccnz .LBB437_12
; %bb.11:
	global_load_dword v4, v10, s[22:23] offset:12
	s_waitcnt vmcnt(0)
	v_add_f32_e32 v3, v3, v4
.LBB437_12:
	v_lshlrev_b32_e32 v4, 16, v6
	v_mul_f32_e32 v5, 0x3fb8aa3b, v4
	v_exp_f32_e32 v5, v5
	v_mov_b32_e32 v11, 0x4f800000
	v_add_f32_e32 v5, 1.0, v5
	v_cmp_gt_f32_e32 vcc, s10, v5
	s_nop 1
	v_cndmask_b32_e32 v13, 1.0, v11, vcc
	v_mul_f32_e32 v5, v5, v13
	v_log_f32_e32 v5, v5
	s_nop 0
	v_mul_f32_e32 v13, 0x3f317217, v5
	v_fma_f32 v13, v5, s7, -v13
	v_fmac_f32_e32 v13, 0x3377d1cf, v5
	v_fmac_f32_e32 v13, 0x3f317217, v5
	v_cmp_lt_f32_e64 s[4:5], |v5|, s8
	s_nop 1
	v_cndmask_b32_e64 v5, v5, v13, s[4:5]
	v_mov_b32_e32 v13, 0x41b17218
	v_cndmask_b32_e32 v14, 0, v13, vcc
	v_sub_f32_e32 v5, v5, v14
	v_cmp_lt_f32_e32 vcc, s6, v4
	s_nop 1
	v_cndmask_b32_e32 v4, v5, v4, vcc
	v_mul_f32_e32 v5, 0x4f800000, v4
	v_cmp_gt_f32_e32 vcc, s9, v4
	s_nop 1
	v_cndmask_b32_e32 v4, v4, v5, vcc
	v_sqrt_f32_e32 v5, v4
	s_nop 0
	v_add_u32_e32 v14, -1, v5
	v_fma_f32 v15, -v14, v5, v4
	v_cmp_ge_f32_e64 s[4:5], 0, v15
	v_add_u32_e32 v15, 1, v5
	s_nop 0
	v_cndmask_b32_e64 v14, v5, v14, s[4:5]
	v_fma_f32 v5, -v15, v5, v4
	v_cmp_lt_f32_e64 s[4:5], 0, v5
	s_nop 1
	v_cndmask_b32_e64 v5, v14, v15, s[4:5]
	v_mul_f32_e32 v14, 0x37800000, v5
	v_cndmask_b32_e32 v14, v5, v14, vcc
	v_mov_b32_e32 v5, 0x260
	v_cmp_class_f32_e64 s[4:5], v4, v5
	s_and_b64 vcc, exec, s[2:3]
	s_nop 0
	v_cndmask_b32_e64 v4, v14, v4, s[4:5]
	s_cbranch_vccnz .LBB437_14
; %bb.13:
	global_load_dword v14, v10, s[22:23] offset:16
	s_waitcnt vmcnt(0)
	v_add_f32_e32 v4, v4, v14
.LBB437_14:
	v_and_b32_e32 v6, 0xffff0000, v6
	v_mul_f32_e32 v14, 0x3fb8aa3b, v6
	v_exp_f32_e32 v14, v14
	s_nop 0
	v_add_f32_e32 v14, 1.0, v14
	v_cmp_gt_f32_e32 vcc, s10, v14
	s_nop 1
	v_cndmask_b32_e32 v11, 1.0, v11, vcc
	v_mul_f32_e32 v11, v14, v11
	v_log_f32_e32 v11, v11
	v_cndmask_b32_e32 v13, 0, v13, vcc
	v_mul_f32_e32 v14, 0x3f317217, v11
	v_fma_f32 v14, v11, s7, -v14
	v_fmac_f32_e32 v14, 0x3377d1cf, v11
	v_fmac_f32_e32 v14, 0x3f317217, v11
	v_cmp_lt_f32_e64 vcc, |v11|, s8
	s_nop 1
	v_cndmask_b32_e32 v11, v11, v14, vcc
	v_sub_f32_e32 v11, v11, v13
	v_cmp_lt_f32_e32 vcc, s6, v6
	s_nop 1
	v_cndmask_b32_e32 v6, v11, v6, vcc
	v_mul_f32_e32 v11, 0x4f800000, v6
	v_cmp_gt_f32_e32 vcc, s9, v6
	s_nop 1
	v_cndmask_b32_e32 v6, v6, v11, vcc
	v_sqrt_f32_e32 v11, v6
	s_nop 0
	v_add_u32_e32 v13, -1, v11
	v_add_u32_e32 v14, 1, v11
	v_fma_f32 v15, -v13, v11, v6
	v_fma_f32 v16, -v14, v11, v6
	v_cmp_ge_f32_e64 s[4:5], 0, v15
	s_nop 1
	v_cndmask_b32_e64 v11, v11, v13, s[4:5]
	v_cmp_lt_f32_e64 s[4:5], 0, v16
	s_nop 1
	v_cndmask_b32_e64 v11, v11, v14, s[4:5]
	v_mul_f32_e32 v13, 0x37800000, v11
	v_cndmask_b32_e32 v11, v11, v13, vcc
	v_cmp_class_f32_e64 s[4:5], v6, v5
	s_and_b64 vcc, exec, s[2:3]
	s_nop 0
	v_cndmask_b32_e64 v5, v11, v6, s[4:5]
	s_cbranch_vccnz .LBB437_16
; %bb.15:
	global_load_dword v6, v10, s[22:23] offset:20
	s_waitcnt vmcnt(0)
	v_add_f32_e32 v5, v5, v6
.LBB437_16:
	v_lshlrev_b32_e32 v6, 16, v7
	v_mul_f32_e32 v11, 0x3fb8aa3b, v6
	v_exp_f32_e32 v11, v11
	v_mov_b32_e32 v13, 0x4f800000
	v_add_f32_e32 v11, 1.0, v11
	v_cmp_gt_f32_e32 vcc, s10, v11
	s_nop 1
	v_cndmask_b32_e32 v14, 1.0, v13, vcc
	v_mul_f32_e32 v11, v11, v14
	v_log_f32_e32 v11, v11
	s_nop 0
	v_mul_f32_e32 v14, 0x3f317217, v11
	v_fma_f32 v14, v11, s7, -v14
	v_fmac_f32_e32 v14, 0x3377d1cf, v11
	v_fmac_f32_e32 v14, 0x3f317217, v11
	v_cmp_lt_f32_e64 s[4:5], |v11|, s8
	s_nop 1
	v_cndmask_b32_e64 v11, v11, v14, s[4:5]
	v_mov_b32_e32 v14, 0x41b17218
	v_cndmask_b32_e32 v15, 0, v14, vcc
	v_sub_f32_e32 v11, v11, v15
	v_cmp_lt_f32_e32 vcc, s6, v6
	s_nop 1
	v_cndmask_b32_e32 v6, v11, v6, vcc
	v_mul_f32_e32 v11, 0x4f800000, v6
	v_cmp_gt_f32_e32 vcc, s9, v6
	s_nop 1
	v_cndmask_b32_e32 v6, v6, v11, vcc
	v_sqrt_f32_e32 v11, v6
	s_nop 0
	v_add_u32_e32 v15, -1, v11
	v_fma_f32 v16, -v15, v11, v6
	v_cmp_ge_f32_e64 s[4:5], 0, v16
	v_add_u32_e32 v16, 1, v11
	s_nop 0
	v_cndmask_b32_e64 v15, v11, v15, s[4:5]
	v_fma_f32 v11, -v16, v11, v6
	v_cmp_lt_f32_e64 s[4:5], 0, v11
	s_nop 1
	v_cndmask_b32_e64 v11, v15, v16, s[4:5]
	v_mul_f32_e32 v15, 0x37800000, v11
	v_cndmask_b32_e32 v15, v11, v15, vcc
	v_mov_b32_e32 v11, 0x260
	v_cmp_class_f32_e64 s[4:5], v6, v11
	s_and_b64 vcc, exec, s[2:3]
	s_nop 0
	v_cndmask_b32_e64 v6, v15, v6, s[4:5]
	s_cbranch_vccnz .LBB437_18
; %bb.17:
	global_load_dword v15, v10, s[22:23] offset:24
	s_waitcnt vmcnt(0)
	v_add_f32_e32 v6, v6, v15
.LBB437_18:
	v_and_b32_e32 v7, 0xffff0000, v7
	v_mul_f32_e32 v15, 0x3fb8aa3b, v7
	v_exp_f32_e32 v15, v15
	s_nop 0
	v_add_f32_e32 v15, 1.0, v15
	v_cmp_gt_f32_e32 vcc, s10, v15
	s_nop 1
	v_cndmask_b32_e32 v13, 1.0, v13, vcc
	v_mul_f32_e32 v13, v15, v13
	v_log_f32_e32 v13, v13
	v_cndmask_b32_e32 v14, 0, v14, vcc
	v_mul_f32_e32 v15, 0x3f317217, v13
	v_fma_f32 v15, v13, s7, -v15
	v_fmac_f32_e32 v15, 0x3377d1cf, v13
	v_fmac_f32_e32 v15, 0x3f317217, v13
	v_cmp_lt_f32_e64 vcc, |v13|, s8
	s_nop 1
	v_cndmask_b32_e32 v13, v13, v15, vcc
	v_sub_f32_e32 v13, v13, v14
	v_cmp_lt_f32_e32 vcc, s6, v7
	s_nop 1
	v_cndmask_b32_e32 v7, v13, v7, vcc
	v_mul_f32_e32 v13, 0x4f800000, v7
	v_cmp_gt_f32_e32 vcc, s9, v7
	s_nop 1
	v_cndmask_b32_e32 v7, v7, v13, vcc
	v_sqrt_f32_e32 v13, v7
	s_nop 0
	v_add_u32_e32 v14, -1, v13
	v_add_u32_e32 v15, 1, v13
	v_fma_f32 v16, -v14, v13, v7
	v_fma_f32 v17, -v15, v13, v7
	v_cmp_ge_f32_e64 s[4:5], 0, v16
	s_nop 1
	v_cndmask_b32_e64 v13, v13, v14, s[4:5]
	v_cmp_lt_f32_e64 s[4:5], 0, v17
	s_nop 1
	v_cndmask_b32_e64 v13, v13, v15, s[4:5]
	v_mul_f32_e32 v14, 0x37800000, v13
	v_cndmask_b32_e32 v13, v13, v14, vcc
	v_cmp_class_f32_e64 s[4:5], v7, v11
	s_and_b64 vcc, exec, s[2:3]
	s_nop 0
	v_cndmask_b32_e64 v7, v13, v7, s[4:5]
	s_cbranch_vccnz .LBB437_20
; %bb.19:
	global_load_dword v10, v10, s[22:23] offset:28
	s_waitcnt vmcnt(0)
	v_add_f32_e32 v7, v7, v10
.LBB437_20:
	s_load_dwordx4 s[24:27], s[0:1], 0x30
	s_mov_b32 s42, 0
	v_cmp_eq_u32_e64 s[6:7], 0, v9
	s_waitcnt lgkmcnt(0)
	s_bitcmp1_b32 s27, 0
	s_cselect_b64 s[4:5], -1, 0
	s_cmp_gt_i32 s24, 0
	s_cselect_b64 s[38:39], -1, 0
	s_and_b64 vcc, exec, s[38:39]
	s_cbranch_vccz .LBB437_35
; %bb.21:
	v_mbcnt_lo_u32_b32 v10, -1, 0
	v_mbcnt_hi_u32_b32 v10, -1, v10
	s_load_dwordx4 s[28:31], s[0:1], 0x20
	v_and_b32_e32 v13, 0x7e, v10
	v_xor_b32_e32 v11, 1, v10
	v_add_u32_e32 v13, 2, v13
	v_cmp_lt_i32_e32 vcc, v11, v13
	v_mul_lo_u32 v15, v8, s24
	v_mov_b32_e32 v13, 0
	v_cndmask_b32_e32 v10, v10, v11, vcc
	v_lshlrev_b32_e32 v14, 2, v10
	v_mov_b32_e32 v16, 0xc61c4000
	v_mov_b32_e32 v17, v8
	s_branch .LBB437_24
.LBB437_22:                             ;   in Loop: Header=BB437_24 Depth=1
	s_or_b64 exec, exec, s[40:41]
.LBB437_23:                             ;   in Loop: Header=BB437_24 Depth=1
	s_cmp_eq_u32 s24, s42
	v_add_u32_e32 v17, s33, v17
	s_cbranch_scc1 .LBB437_36
.LBB437_24:                             ; =>This Inner Loop Header: Depth=1
	v_cmp_gt_f32_e32 vcc, v1, v0
	s_nop 1
	v_cndmask_b32_e32 v11, v0, v1, vcc
	v_cndmask_b32_e64 v10, 0, 1, vcc
	v_cmp_gt_f32_e32 vcc, v2, v11
	s_nop 1
	v_cndmask_b32_e32 v11, v11, v2, vcc
	v_cndmask_b32_e64 v10, v10, 2, vcc
	;; [unrolled: 4-line block ×6, first 2 shown]
	v_cmp_gt_f32_e32 vcc, v7, v11
	s_nop 1
	v_cndmask_b32_e64 v10, v10, 7, vcc
	v_cndmask_b32_e32 v18, v11, v7, vcc
	ds_bpermute_b32 v11, v14, v18
	v_or_b32_e32 v10, v12, v10
	ds_bpermute_b32 v19, v14, v10
	s_waitcnt lgkmcnt(0)
	v_cmp_lt_f32_e64 s[8:9], v18, v11
	v_cmp_nlt_f32_e32 vcc, v18, v11
	s_and_saveexec_b64 s[10:11], vcc
	s_cbranch_execnz .LBB437_28
; %bb.25:                               ;   in Loop: Header=BB437_24 Depth=1
	s_or_b64 exec, exec, s[10:11]
	s_and_saveexec_b64 s[0:1], s[8:9]
	s_cbranch_execnz .LBB437_29
.LBB437_26:                             ;   in Loop: Header=BB437_24 Depth=1
	s_or_b64 exec, exec, s[0:1]
	s_and_saveexec_b64 s[8:9], s[6:7]
	s_cbranch_execnz .LBB437_30
.LBB437_27:                             ;   in Loop: Header=BB437_24 Depth=1
	s_or_b64 exec, exec, s[8:9]
	s_add_i32 s42, s42, 1
	s_cmp_ge_i32 s42, s24
	s_cbranch_scc1 .LBB437_23
	s_branch .LBB437_33
.LBB437_28:                             ;   in Loop: Header=BB437_24 Depth=1
	v_cmp_eq_f32_e32 vcc, v18, v11
	v_cmp_lt_i32_e64 s[0:1], v19, v10
	s_and_b64 s[0:1], vcc, s[0:1]
	s_andn2_b64 s[8:9], s[8:9], exec
	s_and_b64 s[0:1], s[0:1], exec
	s_or_b64 s[8:9], s[8:9], s[0:1]
	s_or_b64 exec, exec, s[10:11]
	s_and_saveexec_b64 s[0:1], s[8:9]
	s_cbranch_execz .LBB437_26
.LBB437_29:                             ;   in Loop: Header=BB437_24 Depth=1
	v_mov_b32_e32 v10, v19
	v_mov_b32_e32 v18, v11
	s_or_b64 exec, exec, s[0:1]
	s_and_saveexec_b64 s[8:9], s[6:7]
	s_cbranch_execz .LBB437_27
.LBB437_30:                             ;   in Loop: Header=BB437_24 Depth=1
	s_and_b64 vcc, exec, s[2:3]
	s_cbranch_vccnz .LBB437_32
; %bb.31:                               ;   in Loop: Header=BB437_24 Depth=1
	v_ashrrev_i32_e32 v11, 31, v10
	v_lshl_add_u64 v[20:21], v[10:11], 2, s[22:23]
	global_load_dword v11, v[20:21], off
	s_waitcnt vmcnt(0)
	v_sub_f32_e32 v18, v18, v11
.LBB437_32:                             ;   in Loop: Header=BB437_24 Depth=1
	v_add_u32_e32 v20, s42, v15
	v_cmp_le_i32_e32 vcc, s25, v10
	v_cmp_gt_i32_e64 s[0:1], s26, v10
	v_ashrrev_i32_e32 v21, 31, v20
	s_and_b64 s[0:1], vcc, s[0:1]
	v_lshlrev_b64 v[20:21], 2, v[20:21]
	v_lshl_add_u64 v[22:23], s[34:35], 0, v[20:21]
	v_subrev_u32_e32 v11, s25, v10
	s_and_b64 vcc, s[36:37], s[0:1]
	global_store_dword v[22:23], v18, off
	v_cndmask_b32_e32 v11, 16, v11, vcc
	v_lshl_add_u64 v[22:23], s[28:29], 0, v[20:21]
	global_store_dword v[22:23], v11, off
	v_add_f32_e32 v11, v13, v18
	v_lshl_add_u64 v[20:21], s[30:31], 0, v[20:21]
	v_cndmask_b32_e64 v13, v13, v11, s[4:5]
	global_store_dword v[20:21], v17, off
	s_or_b64 exec, exec, s[8:9]
	s_add_i32 s42, s42, 1
	s_cmp_ge_i32 s42, s24
	s_cbranch_scc1 .LBB437_23
.LBB437_33:                             ;   in Loop: Header=BB437_24 Depth=1
	v_ashrrev_i32_e32 v18, 31, v10
	v_lshrrev_b32_e32 v11, 29, v18
	v_add_u32_e32 v19, v10, v11
	v_ashrrev_i32_e32 v11, 3, v19
	v_lshrrev_b32_e32 v19, 31, v19
	v_add_u32_e32 v19, v11, v19
	v_and_b32_e32 v19, -2, v19
	v_sub_u32_e32 v19, v11, v19
	v_cmp_eq_u32_e32 vcc, v9, v19
	s_and_saveexec_b64 s[40:41], vcc
	s_cbranch_execz .LBB437_22
; %bb.34:                               ;   in Loop: Header=BB437_24 Depth=1
	v_lshrrev_b32_e32 v18, 28, v18
	v_add_u32_e32 v18, v10, v18
	v_lshlrev_b32_e32 v11, 3, v11
	v_sub_u32_e32 v10, v10, v11
	v_ashrrev_i32_e32 v11, 4, v18
	v_lshl_add_u32 v10, v11, 3, v10
	v_cmp_ne_u32_e32 vcc, 6, v10
	v_cmp_ne_u32_e64 s[0:1], 5, v10
	v_cmp_ne_u32_e64 s[8:9], 4, v10
	;; [unrolled: 1-line block ×7, first 2 shown]
	v_cndmask_b32_e32 v6, v16, v6, vcc
	v_cndmask_b32_e64 v5, v16, v5, s[0:1]
	v_cndmask_b32_e64 v7, v16, v7, s[18:19]
	;; [unrolled: 1-line block ×7, first 2 shown]
	s_branch .LBB437_22
.LBB437_35:
	v_mov_b32_e32 v13, 0
.LBB437_36:
	v_cmp_eq_u32_e32 vcc, 0, v9
	s_and_b64 exec, exec, vcc
	s_cbranch_execz .LBB437_49
; %bb.37:
	s_andn2_b64 vcc, exec, s[4:5]
	v_cvt_f32_f64_e32 v0, s[20:21]
	s_cbranch_vccnz .LBB437_39
; %bb.38:
	v_cmp_lt_f32_e32 vcc, 0, v13
	s_nop 1
	v_cndmask_b32_e32 v1, 1.0, v13, vcc
	v_div_scale_f32 v2, s[0:1], v1, v1, v0
	v_rcp_f32_e32 v3, v2
	s_nop 0
	v_fma_f32 v4, -v2, v3, 1.0
	v_fmac_f32_e32 v3, v4, v3
	v_div_scale_f32 v4, vcc, v0, v1, v0
	v_mul_f32_e32 v5, v4, v3
	v_fma_f32 v6, -v2, v5, v4
	v_fmac_f32_e32 v5, v6, v3
	v_fma_f32 v2, -v2, v5, v4
	v_div_fmas_f32 v2, v2, v3, v5
	v_div_fixup_f32 v0, v2, v1, v0
.LBB437_39:
	s_andn2_b64 vcc, exec, s[38:39]
	s_cbranch_vccnz .LBB437_49
; %bb.40:
	v_mul_lo_u32 v2, v8, s24
	s_cmp_gt_u32 s24, 3
	v_ashrrev_i32_e32 v3, 31, v2
	s_cbranch_scc0 .LBB437_44
; %bb.41:
	s_and_b32 s0, s24, 0x7ffffffc
	v_lshl_add_u64 v[4:5], v[2:3], 2, s[34:35]
	v_mov_b32_e32 v1, v0
	v_lshl_add_u64 v[4:5], v[4:5], 0, 8
	s_mov_b32 s1, s0
.LBB437_42:                             ; =>This Inner Loop Header: Depth=1
	global_load_dwordx4 v[6:9], v[4:5], off offset:-8
	s_add_i32 s1, s1, -4
	s_cmp_lg_u32 s1, 0
	s_waitcnt vmcnt(0)
	v_pk_mul_f32 v[6:7], v[0:1], v[6:7]
	v_pk_mul_f32 v[8:9], v[0:1], v[8:9]
	global_store_dwordx4 v[4:5], v[6:9], off offset:-8
	v_lshl_add_u64 v[4:5], v[4:5], 0, 16
	s_cbranch_scc1 .LBB437_42
; %bb.43:
	s_cmp_lg_u32 s0, s24
	s_cselect_b64 s[2:3], -1, 0
	s_branch .LBB437_46
.LBB437_44:
	s_mov_b64 s[2:3], 0
                                        ; implicit-def: $sgpr0
	s_cbranch_execz .LBB437_46
; %bb.45:
	s_mov_b64 s[2:3], -1
	s_mov_b32 s0, 0
.LBB437_46:
	s_andn2_b64 vcc, exec, s[2:3]
	s_cbranch_vccnz .LBB437_49
; %bb.47:
	s_mov_b32 s1, 0
	v_lshl_add_u64 v[2:3], v[2:3], 0, s[0:1]
	s_sub_i32 s2, s24, s0
	v_lshl_add_u64 v[2:3], v[2:3], 2, s[34:35]
.LBB437_48:                             ; =>This Inner Loop Header: Depth=1
	global_load_dword v1, v[2:3], off
	s_add_i32 s2, s2, -1
	s_cmp_lg_u32 s2, 0
	s_waitcnt vmcnt(0)
	v_mul_f32_e32 v1, v0, v1
	global_store_dword v[2:3], v1, off
	v_lshl_add_u64 v[2:3], v[2:3], 0, 4
	s_cbranch_scc1 .LBB437_48
.LBB437_49:
	s_endpgm
	.section	.rodata,"a",@progbits
	.p2align	6, 0x0
	.amdhsa_kernel _ZN4vllm3moe22topkGatingSoftplusSqrtILi8ELi16ELi4ELi16ELi64ELb0Ej14__hip_bfloat16EEvPKT6_PKbPfiPT5_PiiiibdPKfPKS9_SF_
		.amdhsa_group_segment_fixed_size 0
		.amdhsa_private_segment_fixed_size 0
		.amdhsa_kernarg_size 96
		.amdhsa_user_sgpr_count 2
		.amdhsa_user_sgpr_dispatch_ptr 0
		.amdhsa_user_sgpr_queue_ptr 0
		.amdhsa_user_sgpr_kernarg_segment_ptr 1
		.amdhsa_user_sgpr_dispatch_id 0
		.amdhsa_user_sgpr_kernarg_preload_length 0
		.amdhsa_user_sgpr_kernarg_preload_offset 0
		.amdhsa_user_sgpr_private_segment_size 0
		.amdhsa_uses_dynamic_stack 0
		.amdhsa_enable_private_segment 0
		.amdhsa_system_sgpr_workgroup_id_x 1
		.amdhsa_system_sgpr_workgroup_id_y 0
		.amdhsa_system_sgpr_workgroup_id_z 0
		.amdhsa_system_sgpr_workgroup_info 0
		.amdhsa_system_vgpr_workitem_id 1
		.amdhsa_next_free_vgpr 24
		.amdhsa_next_free_sgpr 43
		.amdhsa_accum_offset 24
		.amdhsa_reserve_vcc 1
		.amdhsa_float_round_mode_32 0
		.amdhsa_float_round_mode_16_64 0
		.amdhsa_float_denorm_mode_32 3
		.amdhsa_float_denorm_mode_16_64 3
		.amdhsa_dx10_clamp 1
		.amdhsa_ieee_mode 1
		.amdhsa_fp16_overflow 0
		.amdhsa_tg_split 0
		.amdhsa_exception_fp_ieee_invalid_op 0
		.amdhsa_exception_fp_denorm_src 0
		.amdhsa_exception_fp_ieee_div_zero 0
		.amdhsa_exception_fp_ieee_overflow 0
		.amdhsa_exception_fp_ieee_underflow 0
		.amdhsa_exception_fp_ieee_inexact 0
		.amdhsa_exception_int_div_zero 0
	.end_amdhsa_kernel
	.section	.text._ZN4vllm3moe22topkGatingSoftplusSqrtILi8ELi16ELi4ELi16ELi64ELb0Ej14__hip_bfloat16EEvPKT6_PKbPfiPT5_PiiiibdPKfPKS9_SF_,"axG",@progbits,_ZN4vllm3moe22topkGatingSoftplusSqrtILi8ELi16ELi4ELi16ELi64ELb0Ej14__hip_bfloat16EEvPKT6_PKbPfiPT5_PiiiibdPKfPKS9_SF_,comdat
.Lfunc_end437:
	.size	_ZN4vllm3moe22topkGatingSoftplusSqrtILi8ELi16ELi4ELi16ELi64ELb0Ej14__hip_bfloat16EEvPKT6_PKbPfiPT5_PiiiibdPKfPKS9_SF_, .Lfunc_end437-_ZN4vllm3moe22topkGatingSoftplusSqrtILi8ELi16ELi4ELi16ELi64ELb0Ej14__hip_bfloat16EEvPKT6_PKbPfiPT5_PiiiibdPKfPKS9_SF_
                                        ; -- End function
	.section	.AMDGPU.csdata,"",@progbits
; Kernel info:
; codeLenInByte = 3620
; NumSgprs: 49
; NumVgprs: 24
; NumAgprs: 0
; TotalNumVgprs: 24
; ScratchSize: 0
; MemoryBound: 0
; FloatMode: 240
; IeeeMode: 1
; LDSByteSize: 0 bytes/workgroup (compile time only)
; SGPRBlocks: 6
; VGPRBlocks: 2
; NumSGPRsForWavesPerEU: 49
; NumVGPRsForWavesPerEU: 24
; AccumOffset: 24
; Occupancy: 8
; WaveLimiterHint : 0
; COMPUTE_PGM_RSRC2:SCRATCH_EN: 0
; COMPUTE_PGM_RSRC2:USER_SGPR: 2
; COMPUTE_PGM_RSRC2:TRAP_HANDLER: 0
; COMPUTE_PGM_RSRC2:TGID_X_EN: 1
; COMPUTE_PGM_RSRC2:TGID_Y_EN: 0
; COMPUTE_PGM_RSRC2:TGID_Z_EN: 0
; COMPUTE_PGM_RSRC2:TIDIG_COMP_CNT: 1
; COMPUTE_PGM_RSRC3_GFX90A:ACCUM_OFFSET: 5
; COMPUTE_PGM_RSRC3_GFX90A:TG_SPLIT: 0
	.section	.text._ZN4vllm3moe22topkGatingSoftplusSqrtILi8ELi16ELi4ELi16ELi32ELb1Ej14__hip_bfloat16EEvPKT6_PKbPfiPT5_PiiiibdPKfPKS9_SF_,"axG",@progbits,_ZN4vllm3moe22topkGatingSoftplusSqrtILi8ELi16ELi4ELi16ELi32ELb1Ej14__hip_bfloat16EEvPKT6_PKbPfiPT5_PiiiibdPKfPKS9_SF_,comdat
	.protected	_ZN4vllm3moe22topkGatingSoftplusSqrtILi8ELi16ELi4ELi16ELi32ELb1Ej14__hip_bfloat16EEvPKT6_PKbPfiPT5_PiiiibdPKfPKS9_SF_ ; -- Begin function _ZN4vllm3moe22topkGatingSoftplusSqrtILi8ELi16ELi4ELi16ELi32ELb1Ej14__hip_bfloat16EEvPKT6_PKbPfiPT5_PiiiibdPKfPKS9_SF_
	.globl	_ZN4vllm3moe22topkGatingSoftplusSqrtILi8ELi16ELi4ELi16ELi32ELb1Ej14__hip_bfloat16EEvPKT6_PKbPfiPT5_PiiiibdPKfPKS9_SF_
	.p2align	8
	.type	_ZN4vllm3moe22topkGatingSoftplusSqrtILi8ELi16ELi4ELi16ELi32ELb1Ej14__hip_bfloat16EEvPKT6_PKbPfiPT5_PiiiibdPKfPKS9_SF_,@function
_ZN4vllm3moe22topkGatingSoftplusSqrtILi8ELi16ELi4ELi16ELi32ELb1Ej14__hip_bfloat16EEvPKT6_PKbPfiPT5_PiiiibdPKfPKS9_SF_: ; @_ZN4vllm3moe22topkGatingSoftplusSqrtILi8ELi16ELi4ELi16ELi32ELb1Ej14__hip_bfloat16EEvPKT6_PKbPfiPT5_PiiiibdPKfPKS9_SF_
; %bb.0:
	s_load_dword s3, s[0:1], 0x18
	v_bfe_u32 v1, v0, 10, 10
	v_and_b32_e32 v8, 0x3ff, v0
	s_lshl_b32 s2, s2, 6
	v_lshlrev_b32_e32 v1, 4, v1
	v_lshrrev_b32_e32 v0, 1, v8
	v_add3_u32 v6, s2, v1, v0
	s_waitcnt lgkmcnt(0)
	v_cmp_gt_i32_e32 vcc, s3, v6
	s_and_saveexec_b64 s[2:3], vcc
	s_cbranch_execz .LBB438_32
; %bb.1:
	s_load_dwordx2 s[2:3], s[0:1], 0x0
	s_load_dword s33, s[0:1], 0x30
	v_lshlrev_b32_e32 v0, 4, v6
	v_lshlrev_b32_e32 v2, 3, v8
	v_ashrrev_i32_e32 v1, 31, v0
	v_and_b32_e32 v10, 8, v2
	s_waitcnt lgkmcnt(0)
	v_lshl_add_u64 v[0:1], v[0:1], 1, s[2:3]
	v_lshlrev_b32_e32 v4, 1, v10
	v_mov_b32_e32 v5, 0
	v_lshl_add_u64 v[0:1], v[0:1], 0, v[4:5]
	global_load_dwordx4 v[0:3], v[0:1], off
	s_load_dwordx4 s[8:11], s[0:1], 0x50
	v_ashrrev_i32_e32 v7, 31, v6
	s_mov_b32 s15, 0x800000
	s_mov_b32 s13, 0x3f317217
	;; [unrolled: 1-line block ×3, first 2 shown]
	s_waitcnt lgkmcnt(0)
	v_mov_b32_e32 v12, s8
	v_mov_b32_e32 v13, s9
	v_lshl_add_u64 v[12:13], v[6:7], 2, v[12:13]
	global_load_dword v4, v[12:13], off
	v_mov_b32_e32 v7, 0x4f800000
	v_mov_b32_e32 v9, 0x41b17218
	s_mov_b32 s9, 0x41a00000
	s_mov_b32 s12, 0xf800000
	v_mov_b32_e32 v17, 0x260
	s_cmp_gt_i32 s33, 0
	s_mov_b32 s8, 0
	s_waitcnt vmcnt(1)
	v_and_b32_e32 v11, 0xffff0000, v0
	v_lshlrev_b32_e32 v14, 16, v0
	v_and_b32_e32 v15, 0xffff0000, v1
	v_lshlrev_b32_e32 v16, 16, v1
	v_mul_f32_e32 v0, 0x3fb8aa3b, v14
	v_mul_f32_e32 v1, 0x3fb8aa3b, v11
	v_exp_f32_e32 v0, v0
	v_exp_f32_e32 v1, v1
	v_mul_f32_e32 v12, 0x3fb8aa3b, v16
	v_mul_f32_e32 v13, 0x3fb8aa3b, v15
	v_exp_f32_e32 v12, v12
	v_exp_f32_e32 v13, v13
	v_pk_add_f32 v[0:1], v[0:1], 1.0 op_sel_hi:[1,0]
	s_waitcnt vmcnt(0)
	v_mul_lo_u32 v4, v4, s33
	v_cmp_gt_f32_e32 vcc, s15, v1
	v_pk_add_f32 v[12:13], v[12:13], 1.0 op_sel_hi:[1,0]
	v_cmp_gt_f32_e64 s[2:3], s15, v0
	v_cndmask_b32_e32 v18, 1.0, v7, vcc
	v_cmp_gt_f32_e64 s[4:5], s15, v13
	v_cndmask_b32_e64 v19, 1.0, v7, s[2:3]
	v_mul_f32_e32 v1, v1, v18
	v_cndmask_b32_e64 v20, 1.0, v7, s[4:5]
	v_mul_f32_e32 v0, v0, v19
	v_log_f32_e32 v1, v1
	v_cmp_gt_f32_e64 s[6:7], s15, v12
	v_mul_f32_e32 v13, v13, v20
	v_log_f32_e32 v0, v0
	v_cndmask_b32_e64 v21, 1.0, v7, s[6:7]
	v_log_f32_e32 v13, v13
	v_mul_f32_e32 v12, v12, v21
	v_log_f32_e32 v21, v12
	v_mul_f32_e32 v12, 0x3f317217, v1
	v_mul_f32_e32 v22, 0x3f317217, v0
	v_fma_f32 v12, v1, s13, -v12
	v_mul_f32_e32 v23, 0x3f317217, v13
	v_fma_f32 v22, v0, s13, -v22
	v_fmac_f32_e32 v12, 0x3377d1cf, v1
	v_cndmask_b32_e32 v18, 0, v9, vcc
	v_fma_f32 v23, v13, s13, -v23
	v_fmac_f32_e32 v22, 0x3377d1cf, v0
	v_fmac_f32_e32 v12, 0x3f317217, v1
	v_cmp_lt_f32_e64 vcc, |v1|, s14
	v_fmac_f32_e32 v23, 0x3377d1cf, v13
	v_fmac_f32_e32 v22, 0x3f317217, v0
	v_cndmask_b32_e32 v1, v1, v12, vcc
	v_cmp_lt_f32_e64 vcc, |v0|, s14
	v_cndmask_b32_e64 v19, 0, v9, s[2:3]
	v_fmac_f32_e32 v23, 0x3f317217, v13
	v_cndmask_b32_e32 v0, v0, v22, vcc
	v_cmp_lt_f32_e64 vcc, |v13|, s14
	v_sub_f32_e32 v0, v0, v19
	v_sub_f32_e32 v1, v1, v18
	v_cndmask_b32_e32 v12, v13, v23, vcc
	v_cmp_lt_f32_e32 vcc, s9, v14
	v_cndmask_b32_e64 v20, 0, v9, s[4:5]
	v_mul_f32_e32 v24, 0x3f317217, v21
	v_cndmask_b32_e32 v0, v0, v14, vcc
	v_cmp_lt_f32_e32 vcc, s9, v11
	v_mul_f32_e32 v13, 0x4f800000, v0
	v_cmp_gt_f32_e64 s[2:3], s12, v0
	v_cndmask_b32_e32 v1, v1, v11, vcc
	v_mul_f32_e32 v11, 0x4f800000, v1
	v_cmp_gt_f32_e32 vcc, s12, v1
	v_cndmask_b32_e64 v0, v0, v13, s[2:3]
	v_sqrt_f32_e32 v13, v0
	v_cndmask_b32_e32 v1, v1, v11, vcc
	v_sqrt_f32_e32 v11, v1
	v_sub_f32_e32 v14, v12, v20
	v_add_u32_e32 v19, -1, v13
	v_fma_f32 v25, -v19, v13, v0
	v_add_u32_e32 v12, -1, v11
	v_fma_f32 v22, -v12, v11, v1
	v_add_u32_e32 v18, 1, v11
	v_cmp_ge_f32_e64 s[4:5], 0, v22
	v_add_u32_e32 v20, 1, v13
	v_fma_f32 v23, -v18, v11, v1
	v_cndmask_b32_e64 v11, v11, v12, s[4:5]
	v_cmp_ge_f32_e64 s[4:5], 0, v25
	v_fma_f32 v26, -v20, v13, v0
	v_fma_f32 v24, v21, s13, -v24
	v_cndmask_b32_e64 v12, v13, v19, s[4:5]
	v_cmp_lt_f32_e64 s[4:5], 0, v23
	v_fmac_f32_e32 v24, 0x3377d1cf, v21
	v_fmac_f32_e32 v24, 0x3f317217, v21
	v_cndmask_b32_e64 v11, v11, v18, s[4:5]
	v_cmp_lt_f32_e64 s[4:5], 0, v26
	v_mul_f32_e32 v13, 0x37800000, v11
	v_cndmask_b32_e32 v11, v11, v13, vcc
	v_cndmask_b32_e64 v12, v12, v20, s[4:5]
	v_mul_f32_e32 v18, 0x37800000, v12
	v_cmp_class_f32_e32 vcc, v1, v17
	v_cndmask_b32_e64 v12, v12, v18, s[2:3]
	v_cmp_lt_f32_e64 s[2:3], s9, v16
	v_cndmask_b32_e32 v13, v11, v1, vcc
	v_cmp_class_f32_e32 vcc, v0, v17
	v_cndmask_b32_e64 v1, 0, v9, s[6:7]
	v_and_b32_e32 v19, 0xffff0000, v2
	v_cndmask_b32_e32 v12, v12, v0, vcc
	v_cmp_lt_f32_e64 vcc, |v21|, s14
	v_lshlrev_b32_e32 v2, 16, v2
	s_nop 0
	v_cndmask_b32_e32 v0, v21, v24, vcc
	v_cmp_lt_f32_e32 vcc, s9, v15
	v_sub_f32_e32 v0, v0, v1
	v_cndmask_b32_e64 v0, v0, v16, s[2:3]
	v_cndmask_b32_e32 v11, v14, v15, vcc
	v_mul_f32_e32 v14, 0x4f800000, v11
	v_cmp_gt_f32_e32 vcc, s12, v11
	s_nop 1
	v_cndmask_b32_e32 v11, v11, v14, vcc
	v_sqrt_f32_e32 v14, v11
	s_nop 0
	v_add_u32_e32 v1, -1, v14
	v_fma_f32 v15, -v1, v14, v11
	v_cmp_ge_f32_e64 s[2:3], 0, v15
	v_add_u32_e32 v15, 1, v14
	s_nop 0
	v_cndmask_b32_e64 v1, v14, v1, s[2:3]
	v_fma_f32 v14, -v15, v14, v11
	v_cmp_lt_f32_e64 s[2:3], 0, v14
	s_nop 1
	v_cndmask_b32_e64 v1, v1, v15, s[2:3]
	v_mul_f32_e32 v15, 0x4f800000, v0
	v_cmp_gt_f32_e64 s[2:3], s12, v0
	v_mul_f32_e32 v14, 0x37800000, v1
	v_cndmask_b32_e32 v1, v1, v14, vcc
	v_cndmask_b32_e64 v16, v0, v15, s[2:3]
	v_sqrt_f32_e32 v0, v16
	v_cmp_class_f32_e32 vcc, v11, v17
	v_add_u32_e32 v14, 1, v0
	s_nop 0
	v_cndmask_b32_e32 v15, v1, v11, vcc
	v_add_u32_e32 v1, -1, v0
	v_fma_f32 v11, -v1, v0, v16
	v_cmp_ge_f32_e32 vcc, 0, v11
	v_fma_f32 v18, -v14, v0, v16
	s_nop 0
	v_cndmask_b32_e32 v11, v0, v1, vcc
	v_mul_f32_e32 v0, 0x3fb8aa3b, v2
	v_mul_f32_e32 v1, 0x3fb8aa3b, v19
	v_exp_f32_e32 v0, v0
	v_exp_f32_e32 v1, v1
	v_cmp_lt_f32_e32 vcc, 0, v18
	v_pk_add_f32 v[0:1], v[0:1], 1.0 op_sel_hi:[1,0]
	s_nop 0
	v_cndmask_b32_e32 v11, v11, v14, vcc
	v_mul_f32_e32 v14, 0x37800000, v11
	v_cmp_gt_f32_e32 vcc, s15, v1
	v_cndmask_b32_e64 v11, v11, v14, s[2:3]
	v_cmp_class_f32_e64 s[2:3], v16, v17
	v_cndmask_b32_e32 v14, 1.0, v7, vcc
	v_mul_f32_e32 v1, v1, v14
	v_log_f32_e32 v1, v1
	v_cndmask_b32_e64 v14, v11, v16, s[2:3]
	v_cmp_gt_f32_e64 s[2:3], s15, v0
	scratch_store_dwordx4 off, v[12:15], off
	v_mul_f32_e32 v11, 0x3f317217, v1
	v_fma_f32 v11, v1, s13, -v11
	v_cndmask_b32_e64 v12, 1.0, v7, s[2:3]
	v_mul_f32_e32 v0, v0, v12
	v_log_f32_e32 v0, v0
	v_fmac_f32_e32 v11, 0x3377d1cf, v1
	v_fmac_f32_e32 v11, 0x3f317217, v1
	v_cmp_lt_f32_e64 s[4:5], |v1|, s14
	v_and_b32_e32 v14, 0xffff0000, v3
	v_lshlrev_b32_e32 v15, 16, v3
	v_cndmask_b32_e64 v1, v1, v11, s[4:5]
	v_cndmask_b32_e32 v11, 0, v9, vcc
	v_sub_f32_e32 v1, v1, v11
	v_mul_f32_e32 v11, 0x3f317217, v0
	v_fma_f32 v11, v0, s13, -v11
	v_fmac_f32_e32 v11, 0x3377d1cf, v0
	v_fmac_f32_e32 v11, 0x3f317217, v0
	v_cmp_lt_f32_e64 vcc, |v0|, s14
	v_mul_f32_e32 v3, 0x3fb8aa3b, v14
	v_exp_f32_e32 v3, v3
	v_cndmask_b32_e32 v0, v0, v11, vcc
	v_cmp_lt_f32_e32 vcc, s9, v19
	v_cndmask_b32_e64 v11, 0, v9, s[2:3]
	v_sub_f32_e32 v0, v0, v11
	v_cndmask_b32_e32 v1, v1, v19, vcc
	v_mul_f32_e32 v12, 0x4f800000, v1
	v_cmp_gt_f32_e32 vcc, s12, v1
	v_cmp_lt_f32_e64 s[2:3], s9, v2
	s_nop 0
	v_cndmask_b32_e32 v1, v1, v12, vcc
	v_sqrt_f32_e32 v12, v1
	v_cndmask_b32_e64 v0, v0, v2, s[2:3]
	v_add_u32_e32 v2, -1, v12
	v_fma_f32 v11, -v2, v12, v1
	v_cmp_ge_f32_e64 s[2:3], 0, v11
	v_add_u32_e32 v11, 1, v12
	s_nop 0
	v_cndmask_b32_e64 v2, v12, v2, s[2:3]
	v_fma_f32 v12, -v11, v12, v1
	v_cmp_lt_f32_e64 s[2:3], 0, v12
	v_mul_f32_e32 v12, 0x4f800000, v0
	s_nop 0
	v_cndmask_b32_e64 v2, v2, v11, s[2:3]
	v_cmp_gt_f32_e64 s[2:3], s12, v0
	v_mul_f32_e32 v11, 0x37800000, v2
	v_cndmask_b32_e32 v2, v2, v11, vcc
	v_cndmask_b32_e64 v0, v0, v12, s[2:3]
	v_sqrt_f32_e32 v12, v0
	v_cmp_class_f32_e32 vcc, v1, v17
	v_add_u32_e32 v13, 1, v12
	s_nop 0
	v_cndmask_b32_e32 v1, v2, v1, vcc
	v_add_u32_e32 v2, -1, v12
	v_fma_f32 v11, -v2, v12, v0
	v_cmp_ge_f32_e32 vcc, 0, v11
	s_nop 1
	v_cndmask_b32_e32 v11, v12, v2, vcc
	v_mul_f32_e32 v2, 0x3fb8aa3b, v15
	v_exp_f32_e32 v2, v2
	v_fma_f32 v12, -v13, v12, v0
	v_cmp_lt_f32_e32 vcc, 0, v12
	v_pk_add_f32 v[2:3], v[2:3], 1.0 op_sel_hi:[1,0]
	s_nop 0
	v_cndmask_b32_e32 v11, v11, v13, vcc
	v_cmp_gt_f32_e32 vcc, s15, v3
	v_mul_f32_e32 v12, 0x37800000, v11
	v_cndmask_b32_e64 v11, v11, v12, s[2:3]
	v_cndmask_b32_e32 v13, 1.0, v7, vcc
	v_mul_f32_e32 v3, v3, v13
	v_log_f32_e32 v3, v3
	v_cmp_class_f32_e64 s[2:3], v0, v17
	v_cmp_lt_f32_e64 s[4:5], |v3|, s14
	s_nop 0
	v_cndmask_b32_e64 v0, v11, v0, s[2:3]
	v_cmp_gt_f32_e64 s[2:3], s15, v2
	v_mul_f32_e32 v11, 0x3f317217, v3
	v_fma_f32 v11, v3, s13, -v11
	v_cndmask_b32_e64 v7, 1.0, v7, s[2:3]
	v_mul_f32_e32 v2, v2, v7
	v_log_f32_e32 v2, v2
	v_fmac_f32_e32 v11, 0x3377d1cf, v3
	v_fmac_f32_e32 v11, 0x3f317217, v3
	v_cndmask_b32_e64 v3, v3, v11, s[4:5]
	v_cndmask_b32_e32 v7, 0, v9, vcc
	v_sub_f32_e32 v3, v3, v7
	v_mul_f32_e32 v7, 0x3f317217, v2
	v_fma_f32 v7, v2, s13, -v7
	v_fmac_f32_e32 v7, 0x3377d1cf, v2
	v_fmac_f32_e32 v7, 0x3f317217, v2
	v_cmp_lt_f32_e64 vcc, |v2|, s14
	s_cselect_b64 s[4:5], -1, 0
	s_cmp_lt_i32 s33, 1
	v_cndmask_b32_e32 v2, v2, v7, vcc
	v_cmp_lt_f32_e32 vcc, s9, v14
	v_cndmask_b32_e64 v7, 0, v9, s[2:3]
	v_sub_f32_e32 v2, v2, v7
	v_cndmask_b32_e32 v3, v3, v14, vcc
	v_mul_f32_e32 v9, 0x4f800000, v3
	v_cmp_gt_f32_e32 vcc, s12, v3
	v_cmp_lt_f32_e64 s[2:3], s9, v15
	s_nop 0
	v_cndmask_b32_e32 v3, v3, v9, vcc
	v_sqrt_f32_e32 v9, v3
	v_cndmask_b32_e64 v2, v2, v15, s[2:3]
	v_add_u32_e32 v7, -1, v9
	v_fma_f32 v11, -v7, v9, v3
	v_cmp_ge_f32_e64 s[2:3], 0, v11
	v_add_u32_e32 v11, 1, v9
	s_nop 0
	v_cndmask_b32_e64 v7, v9, v7, s[2:3]
	v_fma_f32 v9, -v11, v9, v3
	v_cmp_lt_f32_e64 s[2:3], 0, v9
	s_nop 1
	v_cndmask_b32_e64 v7, v7, v11, s[2:3]
	v_mul_f32_e32 v11, 0x4f800000, v2
	v_cmp_gt_f32_e64 s[2:3], s12, v2
	v_mul_f32_e32 v9, 0x37800000, v7
	v_cndmask_b32_e32 v7, v7, v9, vcc
	v_cndmask_b32_e64 v2, v2, v11, s[2:3]
	v_sqrt_f32_e32 v11, v2
	v_cmp_class_f32_e32 vcc, v3, v17
	s_nop 1
	v_cndmask_b32_e32 v3, v7, v3, vcc
	v_add_u32_e32 v7, -1, v11
	v_fma_f32 v9, -v7, v11, v2
	v_cmp_ge_f32_e32 vcc, 0, v9
	v_add_u32_e32 v9, 1, v11
	s_nop 0
	v_cndmask_b32_e32 v7, v11, v7, vcc
	v_fma_f32 v11, -v9, v11, v2
	v_cmp_lt_f32_e32 vcc, 0, v11
	s_nop 1
	v_cndmask_b32_e32 v7, v7, v9, vcc
	v_mul_f32_e32 v9, 0x37800000, v7
	v_cndmask_b32_e64 v7, v7, v9, s[2:3]
	v_cmp_class_f32_e32 vcc, v2, v17
	s_nop 1
	v_cndmask_b32_e32 v2, v7, v2, vcc
	scratch_store_dwordx4 off, v[0:3], off offset:16
	s_nop 1
	v_lshl_add_u64 v[2:3], v[4:5], 2, s[10:11]
	v_mul_lo_u32 v0, v6, s33
	s_cbranch_scc1 .LBB438_29
; %bb.2:
	s_load_dwordx2 s[6:7], s[0:1], 0x20
	s_cmp_lt_u32 s33, 4
	v_and_b32_e32 v4, 1, v8
	s_cbranch_scc1 .LBB438_21
; %bb.3:
	v_lshlrev_b32_e32 v5, 3, v4
	s_mov_b32 s11, 0
	s_and_b32 s8, s33, 0x7ffffffc
	v_ashrrev_i32_e32 v1, 31, v0
	v_sub_u32_e32 v11, 0, v5
	v_mov_b32_e32 v5, 0
	s_mov_b32 s10, s11
	s_branch .LBB438_5
.LBB438_4:                              ;   in Loop: Header=BB438_5 Depth=1
	s_or_b64 exec, exec, s[12:13]
	s_add_i32 s10, s10, 4
	s_cmp_eq_u32 s10, s8
	s_cbranch_scc1 .LBB438_22
.LBB438_5:                              ; =>This Loop Header: Depth=1
                                        ;     Child Loop BB438_7 Depth 2
                                        ;     Child Loop BB438_11 Depth 2
	;; [unrolled: 1-line block ×4, first 2 shown]
	v_lshl_add_u64 v[6:7], s[10:11], 2, v[2:3]
	global_load_dword v12, v[6:7], off
	v_add_u32_e32 v8, s10, v0
	v_ashrrev_i32_e32 v9, 31, v8
	v_mov_b32_e32 v13, 0
	s_mov_b64 s[12:13], 0
	s_waitcnt lgkmcnt(0)
	v_lshl_add_u64 v[8:9], v[8:9], 2, s[6:7]
	s_mov_b32 s9, 0
	s_waitcnt vmcnt(0)
	v_add_u32_e32 v14, v11, v12
	s_branch .LBB438_7
.LBB438_6:                              ;   in Loop: Header=BB438_7 Depth=2
	s_or_b64 exec, exec, s[14:15]
	s_add_i32 s16, s9, 1
	s_cmp_gt_u32 s9, 6
	s_cselect_b64 s[2:3], -1, 0
	s_xor_b64 s[14:15], vcc, -1
	s_or_b64 s[2:3], s[14:15], s[2:3]
	s_and_b64 s[2:3], exec, s[2:3]
	v_add_u32_e32 v13, 4, v13
	s_or_b64 s[12:13], s[2:3], s[12:13]
	s_mov_b32 s9, s16
	s_andn2_b64 exec, exec, s[12:13]
	s_cbranch_execz .LBB438_9
.LBB438_7:                              ;   Parent Loop BB438_5 Depth=1
                                        ; =>  This Inner Loop Header: Depth=2
	v_cmp_ne_u32_e32 vcc, s9, v14
	v_cmp_eq_u32_e64 s[2:3], s9, v14
	s_and_saveexec_b64 s[14:15], s[2:3]
	s_cbranch_execz .LBB438_6
; %bb.8:                                ;   in Loop: Header=BB438_7 Depth=2
	scratch_load_dword v15, v13, off
	s_waitcnt vmcnt(0)
	v_add_f32_e32 v5, v5, v15
	global_store_dword v[8:9], v12, off
	s_branch .LBB438_6
.LBB438_9:                              ;   in Loop: Header=BB438_5 Depth=1
	s_or_b64 exec, exec, s[12:13]
	global_load_dword v12, v[6:7], off offset:4
	s_ashr_i32 s3, s10, 31
	s_mov_b32 s2, s10
	v_lshl_add_u64 v[8:9], s[2:3], 0, v[0:1]
	v_mov_b32_e32 v13, 0
	s_mov_b32 s9, 0
	v_lshl_add_u64 v[8:9], v[8:9], 2, s[6:7]
	s_mov_b64 s[12:13], 0
	s_waitcnt vmcnt(0)
	v_add_u32_e32 v14, v11, v12
	s_branch .LBB438_11
.LBB438_10:                             ;   in Loop: Header=BB438_11 Depth=2
	s_or_b64 exec, exec, s[14:15]
	s_add_i32 s16, s9, 1
	s_cmp_gt_u32 s9, 6
	s_cselect_b64 s[2:3], -1, 0
	s_xor_b64 s[14:15], vcc, -1
	s_or_b64 s[2:3], s[14:15], s[2:3]
	s_and_b64 s[2:3], exec, s[2:3]
	v_add_u32_e32 v13, 4, v13
	s_or_b64 s[12:13], s[2:3], s[12:13]
	s_mov_b32 s9, s16
	s_andn2_b64 exec, exec, s[12:13]
	s_cbranch_execz .LBB438_13
.LBB438_11:                             ;   Parent Loop BB438_5 Depth=1
                                        ; =>  This Inner Loop Header: Depth=2
	v_cmp_ne_u32_e32 vcc, s9, v14
	v_cmp_eq_u32_e64 s[2:3], s9, v14
	s_and_saveexec_b64 s[14:15], s[2:3]
	s_cbranch_execz .LBB438_10
; %bb.12:                               ;   in Loop: Header=BB438_11 Depth=2
	scratch_load_dword v15, v13, off
	s_waitcnt vmcnt(0)
	v_add_f32_e32 v5, v5, v15
	global_store_dword v[8:9], v12, off offset:4
	s_branch .LBB438_10
.LBB438_13:                             ;   in Loop: Header=BB438_5 Depth=1
	s_or_b64 exec, exec, s[12:13]
	global_load_dword v12, v[6:7], off offset:8
	v_mov_b32_e32 v13, 0
	s_mov_b32 s9, 0
	s_mov_b64 s[12:13], 0
	s_waitcnt vmcnt(0)
	v_add_u32_e32 v14, v11, v12
	s_branch .LBB438_15
.LBB438_14:                             ;   in Loop: Header=BB438_15 Depth=2
	s_or_b64 exec, exec, s[14:15]
	s_add_i32 s16, s9, 1
	s_cmp_gt_u32 s9, 6
	s_cselect_b64 s[2:3], -1, 0
	s_xor_b64 s[14:15], vcc, -1
	s_or_b64 s[2:3], s[14:15], s[2:3]
	s_and_b64 s[2:3], exec, s[2:3]
	v_add_u32_e32 v13, 4, v13
	s_or_b64 s[12:13], s[2:3], s[12:13]
	s_mov_b32 s9, s16
	s_andn2_b64 exec, exec, s[12:13]
	s_cbranch_execz .LBB438_17
.LBB438_15:                             ;   Parent Loop BB438_5 Depth=1
                                        ; =>  This Inner Loop Header: Depth=2
	v_cmp_ne_u32_e32 vcc, s9, v14
	v_cmp_eq_u32_e64 s[2:3], s9, v14
	s_and_saveexec_b64 s[14:15], s[2:3]
	s_cbranch_execz .LBB438_14
; %bb.16:                               ;   in Loop: Header=BB438_15 Depth=2
	scratch_load_dword v15, v13, off
	s_waitcnt vmcnt(0)
	v_add_f32_e32 v5, v5, v15
	global_store_dword v[8:9], v12, off offset:8
	s_branch .LBB438_14
.LBB438_17:                             ;   in Loop: Header=BB438_5 Depth=1
	s_or_b64 exec, exec, s[12:13]
	global_load_dword v6, v[6:7], off offset:12
	v_mov_b32_e32 v7, 0
	s_mov_b32 s9, 0
	s_mov_b64 s[12:13], 0
	s_waitcnt vmcnt(0)
	v_add_u32_e32 v12, v11, v6
	s_branch .LBB438_19
.LBB438_18:                             ;   in Loop: Header=BB438_19 Depth=2
	s_or_b64 exec, exec, s[14:15]
	s_add_i32 s16, s9, 1
	s_cmp_gt_u32 s9, 6
	s_cselect_b64 s[2:3], -1, 0
	s_xor_b64 s[14:15], vcc, -1
	s_or_b64 s[2:3], s[14:15], s[2:3]
	s_and_b64 s[2:3], exec, s[2:3]
	v_add_u32_e32 v7, 4, v7
	s_or_b64 s[12:13], s[2:3], s[12:13]
	s_mov_b32 s9, s16
	s_andn2_b64 exec, exec, s[12:13]
	s_cbranch_execz .LBB438_4
.LBB438_19:                             ;   Parent Loop BB438_5 Depth=1
                                        ; =>  This Inner Loop Header: Depth=2
	v_cmp_ne_u32_e32 vcc, s9, v12
	v_cmp_eq_u32_e64 s[2:3], s9, v12
	s_and_saveexec_b64 s[14:15], s[2:3]
	s_cbranch_execz .LBB438_18
; %bb.20:                               ;   in Loop: Header=BB438_19 Depth=2
	scratch_load_dword v13, v7, off
	s_waitcnt vmcnt(0)
	v_add_f32_e32 v5, v5, v13
	global_store_dword v[8:9], v6, off offset:12
	s_branch .LBB438_18
.LBB438_21:
	v_mov_b32_e32 v5, 0
.LBB438_22:
	s_and_b32 s14, s33, 3
	s_cmp_eq_u32 s14, 0
	s_mov_b32 s9, 0
	s_cbranch_scc1 .LBB438_29
; %bb.23:
	v_lshlrev_b32_e32 v1, 3, v4
	v_sub_u32_e32 v1, 0, v1
	s_mov_b32 s15, s9
	s_branch .LBB438_25
.LBB438_24:                             ;   in Loop: Header=BB438_25 Depth=1
	s_or_b64 exec, exec, s[10:11]
	s_add_i32 s8, s8, 1
	s_add_i32 s15, s15, 1
	s_cmp_lg_u32 s15, s14
	s_cbranch_scc0 .LBB438_29
.LBB438_25:                             ; =>This Loop Header: Depth=1
                                        ;     Child Loop BB438_27 Depth 2
	v_lshl_add_u64 v[6:7], s[8:9], 2, v[2:3]
	global_load_dword v4, v[6:7], off
	v_add_u32_e32 v6, s8, v0
	v_ashrrev_i32_e32 v7, 31, v6
	v_mov_b32_e32 v8, 0
	s_mov_b32 s16, 0
	s_waitcnt lgkmcnt(0)
	v_lshl_add_u64 v[6:7], v[6:7], 2, s[6:7]
	s_mov_b64 s[10:11], 0
	s_waitcnt vmcnt(0)
	v_add_u32_e32 v9, v1, v4
	s_branch .LBB438_27
.LBB438_26:                             ;   in Loop: Header=BB438_27 Depth=2
	s_or_b64 exec, exec, s[12:13]
	s_add_i32 s17, s16, 1
	s_cmp_gt_u32 s16, 6
	s_cselect_b64 s[2:3], -1, 0
	s_xor_b64 s[12:13], vcc, -1
	s_or_b64 s[2:3], s[12:13], s[2:3]
	s_and_b64 s[2:3], exec, s[2:3]
	v_add_u32_e32 v8, 4, v8
	s_or_b64 s[10:11], s[2:3], s[10:11]
	s_mov_b32 s16, s17
	s_andn2_b64 exec, exec, s[10:11]
	s_cbranch_execz .LBB438_24
.LBB438_27:                             ;   Parent Loop BB438_25 Depth=1
                                        ; =>  This Inner Loop Header: Depth=2
	v_cmp_ne_u32_e32 vcc, s16, v9
	v_cmp_eq_u32_e64 s[2:3], s16, v9
	s_and_saveexec_b64 s[12:13], s[2:3]
	s_cbranch_execz .LBB438_26
; %bb.28:                               ;   in Loop: Header=BB438_27 Depth=2
	scratch_load_dword v11, v8, off
	s_waitcnt vmcnt(0)
	v_add_f32_e32 v5, v5, v11
	global_store_dword v[6:7], v4, off
	s_branch .LBB438_26
.LBB438_29:
	s_waitcnt lgkmcnt(0)
	s_load_dword s6, s[0:1], 0x3c
	s_waitcnt lgkmcnt(0)
	s_bitcmp1_b32 s6, 0
	s_cselect_b64 s[2:3], -1, 0
	s_bitcmp0_b32 s6, 0
	s_cbranch_scc0 .LBB438_33
; %bb.30:
	s_load_dwordx2 s[6:7], s[0:1], 0x40
	s_andn2_b64 vcc, exec, s[2:3]
	s_waitcnt lgkmcnt(0)
	v_cvt_f32_f64_e32 v8, s[6:7]
	s_cbranch_vccz .LBB438_34
.LBB438_31:
	s_andn2_b64 vcc, exec, s[4:5]
	s_cbranch_vccz .LBB438_35
.LBB438_32:
	s_endpgm
.LBB438_33:
	v_mbcnt_lo_u32_b32 v1, -1, 0
	v_mbcnt_hi_u32_b32 v1, -1, v1
	v_and_b32_e32 v6, 0x7e, v1
	v_xor_b32_e32 v4, 1, v1
	v_add_u32_e32 v6, 2, v6
	v_cmp_lt_i32_e32 vcc, v4, v6
	s_nop 1
	v_cndmask_b32_e32 v1, v1, v4, vcc
	v_lshlrev_b32_e32 v1, 2, v1
	ds_bpermute_b32 v1, v1, v5
	s_waitcnt lgkmcnt(0)
	v_add_f32_e32 v5, v5, v1
	s_load_dwordx2 s[6:7], s[0:1], 0x40
	s_andn2_b64 vcc, exec, s[2:3]
	s_waitcnt lgkmcnt(0)
	v_cvt_f32_f64_e32 v8, s[6:7]
	s_cbranch_vccnz .LBB438_31
.LBB438_34:
	v_cmp_lt_f32_e32 vcc, 0, v5
	s_nop 1
	v_cndmask_b32_e32 v1, 1.0, v5, vcc
	v_div_scale_f32 v4, s[2:3], v1, v1, v8
	v_rcp_f32_e32 v5, v4
	s_nop 0
	v_fma_f32 v6, -v4, v5, 1.0
	v_fmac_f32_e32 v5, v6, v5
	v_div_scale_f32 v6, vcc, v8, v1, v8
	v_mul_f32_e32 v7, v6, v5
	v_fma_f32 v9, -v4, v7, v6
	v_fmac_f32_e32 v7, v9, v5
	v_fma_f32 v4, -v4, v7, v6
	v_div_fmas_f32 v4, v4, v5, v7
	v_div_fixup_f32 v8, v4, v1, v8
	s_andn2_b64 vcc, exec, s[4:5]
	s_cbranch_vccnz .LBB438_32
.LBB438_35:
	s_load_dwordx2 s[12:13], s[0:1], 0x10
	v_mov_b32_e32 v1, 0
	v_or_b32_e32 v20, 4, v1
	v_or_b32_e32 v18, 8, v1
	;; [unrolled: 1-line block ×3, first 2 shown]
	v_add_u32_e32 v14, 16, v1
	v_add_u32_e32 v12, 20, v1
	v_add_u32_e32 v9, 24, v1
	v_add_u32_e32 v11, 28, v1
	v_or_b32_e32 v23, 1, v10
	v_or_b32_e32 v22, 2, v10
	;; [unrolled: 1-line block ×7, first 2 shown]
	s_cmp_eq_u32 s33, 1
	s_mov_b32 s14, 0
	s_cbranch_scc1 .LBB438_70
; %bb.36:
	v_ashrrev_i32_e32 v1, 31, v0
	s_waitcnt lgkmcnt(0)
	v_lshl_add_u64 v[4:5], v[0:1], 2, s[12:13]
	s_and_b32 s14, s33, 0x7ffffffe
	v_lshl_add_u64 v[4:5], v[4:5], 0, 4
	v_lshl_add_u64 v[6:7], v[2:3], 0, 4
	s_mov_b32 s15, 0
	s_branch .LBB438_38
.LBB438_37:                             ;   in Loop: Header=BB438_38 Depth=1
	s_or_b64 exec, exec, s[0:1]
	s_add_i32 s15, s15, 2
	v_lshl_add_u64 v[4:5], v[4:5], 0, 8
	s_cmp_eq_u32 s14, s15
	v_lshl_add_u64 v[6:7], v[6:7], 0, 8
	s_cbranch_scc1 .LBB438_70
.LBB438_38:                             ; =>This Inner Loop Header: Depth=1
	global_load_dword v24, v[6:7], off offset:-4
	v_mov_b32_e32 v1, 0
	s_waitcnt vmcnt(0)
	v_cmp_eq_u32_e32 vcc, v24, v10
	v_cmp_ne_u32_e64 s[0:1], v24, v10
	s_and_saveexec_b64 s[16:17], s[0:1]
	s_cbranch_execz .LBB438_52
; %bb.39:                               ;   in Loop: Header=BB438_38 Depth=1
	v_cmp_eq_u32_e64 s[0:1], v24, v23
	v_cmp_ne_u32_e64 s[2:3], v24, v23
	v_mov_b32_e32 v1, v20
	s_and_saveexec_b64 s[18:19], s[2:3]
	s_cbranch_execz .LBB438_51
; %bb.40:                               ;   in Loop: Header=BB438_38 Depth=1
	v_cmp_eq_u32_e64 s[2:3], v24, v22
	v_cmp_ne_u32_e64 s[4:5], v24, v22
	v_mov_b32_e32 v1, v18
	;; [unrolled: 6-line block ×6, first 2 shown]
	s_and_saveexec_b64 s[30:31], s[10:11]
	s_xor_b64 s[30:31], exec, s[30:31]
; %bb.45:                               ;   in Loop: Header=BB438_38 Depth=1
	v_cmp_eq_u32_e64 s[10:11], v24, v13
	s_andn2_b64 s[28:29], s[28:29], exec
	s_and_b64 s[10:11], s[10:11], exec
	s_or_b64 s[28:29], s[28:29], s[10:11]
	v_mov_b32_e32 v1, v11
; %bb.46:                               ;   in Loop: Header=BB438_38 Depth=1
	s_or_b64 exec, exec, s[30:31]
	s_andn2_b64 s[8:9], s[8:9], exec
	s_and_b64 s[10:11], s[28:29], exec
	s_or_b64 s[8:9], s[8:9], s[10:11]
.LBB438_47:                             ;   in Loop: Header=BB438_38 Depth=1
	s_or_b64 exec, exec, s[26:27]
	s_andn2_b64 s[6:7], s[6:7], exec
	s_and_b64 s[8:9], s[8:9], exec
	s_or_b64 s[6:7], s[6:7], s[8:9]
.LBB438_48:                             ;   in Loop: Header=BB438_38 Depth=1
	s_or_b64 exec, exec, s[24:25]
	s_andn2_b64 s[4:5], s[4:5], exec
	s_and_b64 s[6:7], s[6:7], exec
	s_or_b64 s[4:5], s[4:5], s[6:7]
.LBB438_49:                             ;   in Loop: Header=BB438_38 Depth=1
	s_or_b64 exec, exec, s[22:23]
	s_andn2_b64 s[2:3], s[2:3], exec
	s_and_b64 s[4:5], s[4:5], exec
	s_or_b64 s[2:3], s[2:3], s[4:5]
.LBB438_50:                             ;   in Loop: Header=BB438_38 Depth=1
	s_or_b64 exec, exec, s[20:21]
	s_andn2_b64 s[0:1], s[0:1], exec
	s_and_b64 s[2:3], s[2:3], exec
	s_or_b64 s[0:1], s[0:1], s[2:3]
.LBB438_51:                             ;   in Loop: Header=BB438_38 Depth=1
	s_or_b64 exec, exec, s[18:19]
	s_andn2_b64 s[2:3], vcc, exec
	s_and_b64 s[0:1], s[0:1], exec
	s_or_b64 vcc, s[2:3], s[0:1]
.LBB438_52:                             ;   in Loop: Header=BB438_38 Depth=1
	s_or_b64 exec, exec, s[16:17]
	s_and_saveexec_b64 s[0:1], vcc
	s_cbranch_execz .LBB438_54
; %bb.53:                               ;   in Loop: Header=BB438_38 Depth=1
	scratch_load_dword v1, v1, off
	v_add_u32_e32 v24, s15, v0
	v_ashrrev_i32_e32 v25, 31, v24
	v_lshl_add_u64 v[24:25], v[24:25], 2, s[12:13]
	s_waitcnt vmcnt(0)
	v_mul_f32_e32 v1, v8, v1
	global_store_dword v[24:25], v1, off
.LBB438_54:                             ;   in Loop: Header=BB438_38 Depth=1
	s_or_b64 exec, exec, s[0:1]
	global_load_dword v24, v[6:7], off
	v_mov_b32_e32 v1, 0
	s_waitcnt vmcnt(0)
	v_cmp_eq_u32_e64 s[8:9], v24, v10
	v_cmp_ne_u32_e32 vcc, v24, v10
	s_and_saveexec_b64 s[10:11], vcc
	s_cbranch_execz .LBB438_68
; %bb.55:                               ;   in Loop: Header=BB438_38 Depth=1
	v_cmp_eq_u32_e32 vcc, v24, v23
	v_cmp_ne_u32_e64 s[0:1], v24, v23
	v_mov_b32_e32 v1, v20
	s_and_saveexec_b64 s[16:17], s[0:1]
	s_cbranch_execz .LBB438_67
; %bb.56:                               ;   in Loop: Header=BB438_38 Depth=1
	v_cmp_eq_u32_e64 s[0:1], v24, v22
	v_cmp_ne_u32_e64 s[2:3], v24, v22
	v_mov_b32_e32 v1, v18
	s_and_saveexec_b64 s[18:19], s[2:3]
	s_cbranch_execz .LBB438_66
; %bb.57:                               ;   in Loop: Header=BB438_38 Depth=1
	v_cmp_eq_u32_e64 s[2:3], v24, v21
	;; [unrolled: 6-line block ×5, first 2 shown]
	v_cmp_ne_u32_e64 s[6:7], v24, v15
	v_mov_b32_e32 v1, v9
	s_and_saveexec_b64 s[30:31], s[6:7]
; %bb.61:                               ;   in Loop: Header=BB438_38 Depth=1
	v_cmp_eq_u32_e64 s[6:7], v24, v13
	s_andn2_b64 s[28:29], s[28:29], exec
	s_and_b64 s[6:7], s[6:7], exec
	s_or_b64 s[28:29], s[28:29], s[6:7]
	v_mov_b32_e32 v1, v11
; %bb.62:                               ;   in Loop: Header=BB438_38 Depth=1
	s_or_b64 exec, exec, s[30:31]
	s_andn2_b64 s[6:7], s[24:25], exec
	s_and_b64 s[24:25], s[28:29], exec
	s_or_b64 s[24:25], s[6:7], s[24:25]
.LBB438_63:                             ;   in Loop: Header=BB438_38 Depth=1
	s_or_b64 exec, exec, s[26:27]
	s_andn2_b64 s[4:5], s[4:5], exec
	s_and_b64 s[6:7], s[24:25], exec
	s_or_b64 s[4:5], s[4:5], s[6:7]
.LBB438_64:                             ;   in Loop: Header=BB438_38 Depth=1
	s_or_b64 exec, exec, s[22:23]
	s_andn2_b64 s[2:3], s[2:3], exec
	s_and_b64 s[4:5], s[4:5], exec
	s_or_b64 s[2:3], s[2:3], s[4:5]
.LBB438_65:                             ;   in Loop: Header=BB438_38 Depth=1
	s_or_b64 exec, exec, s[20:21]
	s_andn2_b64 s[0:1], s[0:1], exec
	s_and_b64 s[2:3], s[2:3], exec
	s_or_b64 s[0:1], s[0:1], s[2:3]
.LBB438_66:                             ;   in Loop: Header=BB438_38 Depth=1
	s_or_b64 exec, exec, s[18:19]
	s_andn2_b64 s[2:3], vcc, exec
	s_and_b64 s[0:1], s[0:1], exec
	s_or_b64 vcc, s[2:3], s[0:1]
.LBB438_67:                             ;   in Loop: Header=BB438_38 Depth=1
	s_or_b64 exec, exec, s[16:17]
	s_andn2_b64 s[0:1], s[8:9], exec
	s_and_b64 s[2:3], vcc, exec
	s_or_b64 s[8:9], s[0:1], s[2:3]
.LBB438_68:                             ;   in Loop: Header=BB438_38 Depth=1
	s_or_b64 exec, exec, s[10:11]
	s_and_saveexec_b64 s[0:1], s[8:9]
	s_cbranch_execz .LBB438_37
; %bb.69:                               ;   in Loop: Header=BB438_38 Depth=1
	scratch_load_dword v1, v1, off
	s_waitcnt vmcnt(0)
	v_mul_f32_e32 v1, v8, v1
	global_store_dword v[4:5], v1, off
	s_branch .LBB438_37
.LBB438_70:
	s_bitcmp0_b32 s33, 0
	s_mov_b32 s15, 0
	s_cbranch_scc1 .LBB438_32
; %bb.71:
	v_lshl_add_u64 v[2:3], s[14:15], 2, v[2:3]
	global_load_dword v1, v[2:3], off
	v_mov_b32_e32 v2, 0
	s_waitcnt vmcnt(0)
	v_cmp_eq_u32_e64 s[8:9], v1, v10
	v_cmp_ne_u32_e32 vcc, v1, v10
	s_and_saveexec_b64 s[10:11], vcc
	s_cbranch_execz .LBB438_85
; %bb.72:
	v_cmp_eq_u32_e32 vcc, v1, v23
	v_cmp_ne_u32_e64 s[0:1], v1, v23
	s_and_saveexec_b64 s[16:17], s[0:1]
	s_cbranch_execz .LBB438_84
; %bb.73:
	v_cmp_eq_u32_e64 s[0:1], v1, v22
	v_cmp_ne_u32_e64 s[2:3], v1, v22
	s_and_saveexec_b64 s[18:19], s[2:3]
	s_cbranch_execz .LBB438_83
; %bb.74:
	v_cmp_eq_u32_e64 s[2:3], v1, v21
	;; [unrolled: 5-line block ×5, first 2 shown]
	v_cmp_ne_u32_e64 s[6:7], v1, v15
	s_and_saveexec_b64 s[30:31], s[6:7]
; %bb.78:
	v_cmp_eq_u32_e64 s[6:7], v1, v13
	s_andn2_b64 s[28:29], s[28:29], exec
	s_and_b64 s[6:7], s[6:7], exec
	s_or_b64 s[28:29], s[28:29], s[6:7]
	v_mov_b32_e32 v9, v11
; %bb.79:
	s_or_b64 exec, exec, s[30:31]
	s_andn2_b64 s[6:7], s[24:25], exec
	s_and_b64 s[24:25], s[28:29], exec
	s_or_b64 s[24:25], s[6:7], s[24:25]
	v_mov_b32_e32 v12, v9
.LBB438_80:
	s_or_b64 exec, exec, s[26:27]
	s_andn2_b64 s[4:5], s[4:5], exec
	s_and_b64 s[6:7], s[24:25], exec
	s_or_b64 s[4:5], s[4:5], s[6:7]
	v_mov_b32_e32 v14, v12
.LBB438_81:
	s_or_b64 exec, exec, s[22:23]
	s_andn2_b64 s[2:3], s[2:3], exec
	s_and_b64 s[4:5], s[4:5], exec
	s_or_b64 s[2:3], s[2:3], s[4:5]
	v_mov_b32_e32 v16, v14
.LBB438_82:
	s_or_b64 exec, exec, s[20:21]
	s_andn2_b64 s[0:1], s[0:1], exec
	s_and_b64 s[2:3], s[2:3], exec
	s_or_b64 s[0:1], s[0:1], s[2:3]
	v_mov_b32_e32 v18, v16
.LBB438_83:
	s_or_b64 exec, exec, s[18:19]
	s_andn2_b64 s[2:3], vcc, exec
	s_and_b64 s[0:1], s[0:1], exec
	s_or_b64 vcc, s[2:3], s[0:1]
	v_mov_b32_e32 v20, v18
.LBB438_84:
	s_or_b64 exec, exec, s[16:17]
	s_andn2_b64 s[0:1], s[8:9], exec
	s_and_b64 s[2:3], vcc, exec
	s_or_b64 s[8:9], s[0:1], s[2:3]
	v_mov_b32_e32 v2, v20
.LBB438_85:
	s_or_b64 exec, exec, s[10:11]
	s_and_b64 exec, exec, s[8:9]
	s_cbranch_execz .LBB438_32
; %bb.86:
	scratch_load_dword v2, v2, off
	v_add_u32_e32 v0, s14, v0
	v_ashrrev_i32_e32 v1, 31, v0
	s_waitcnt lgkmcnt(0)
	v_lshl_add_u64 v[0:1], v[0:1], 2, s[12:13]
	s_waitcnt vmcnt(0)
	v_mul_f32_e32 v2, v8, v2
	global_store_dword v[0:1], v2, off
	s_endpgm
	.section	.rodata,"a",@progbits
	.p2align	6, 0x0
	.amdhsa_kernel _ZN4vllm3moe22topkGatingSoftplusSqrtILi8ELi16ELi4ELi16ELi32ELb1Ej14__hip_bfloat16EEvPKT6_PKbPfiPT5_PiiiibdPKfPKS9_SF_
		.amdhsa_group_segment_fixed_size 0
		.amdhsa_private_segment_fixed_size 48
		.amdhsa_kernarg_size 96
		.amdhsa_user_sgpr_count 2
		.amdhsa_user_sgpr_dispatch_ptr 0
		.amdhsa_user_sgpr_queue_ptr 0
		.amdhsa_user_sgpr_kernarg_segment_ptr 1
		.amdhsa_user_sgpr_dispatch_id 0
		.amdhsa_user_sgpr_kernarg_preload_length 0
		.amdhsa_user_sgpr_kernarg_preload_offset 0
		.amdhsa_user_sgpr_private_segment_size 0
		.amdhsa_uses_dynamic_stack 0
		.amdhsa_enable_private_segment 1
		.amdhsa_system_sgpr_workgroup_id_x 1
		.amdhsa_system_sgpr_workgroup_id_y 0
		.amdhsa_system_sgpr_workgroup_id_z 0
		.amdhsa_system_sgpr_workgroup_info 0
		.amdhsa_system_vgpr_workitem_id 1
		.amdhsa_next_free_vgpr 27
		.amdhsa_next_free_sgpr 34
		.amdhsa_accum_offset 28
		.amdhsa_reserve_vcc 1
		.amdhsa_float_round_mode_32 0
		.amdhsa_float_round_mode_16_64 0
		.amdhsa_float_denorm_mode_32 3
		.amdhsa_float_denorm_mode_16_64 3
		.amdhsa_dx10_clamp 1
		.amdhsa_ieee_mode 1
		.amdhsa_fp16_overflow 0
		.amdhsa_tg_split 0
		.amdhsa_exception_fp_ieee_invalid_op 0
		.amdhsa_exception_fp_denorm_src 0
		.amdhsa_exception_fp_ieee_div_zero 0
		.amdhsa_exception_fp_ieee_overflow 0
		.amdhsa_exception_fp_ieee_underflow 0
		.amdhsa_exception_fp_ieee_inexact 0
		.amdhsa_exception_int_div_zero 0
	.end_amdhsa_kernel
	.section	.text._ZN4vllm3moe22topkGatingSoftplusSqrtILi8ELi16ELi4ELi16ELi32ELb1Ej14__hip_bfloat16EEvPKT6_PKbPfiPT5_PiiiibdPKfPKS9_SF_,"axG",@progbits,_ZN4vllm3moe22topkGatingSoftplusSqrtILi8ELi16ELi4ELi16ELi32ELb1Ej14__hip_bfloat16EEvPKT6_PKbPfiPT5_PiiiibdPKfPKS9_SF_,comdat
.Lfunc_end438:
	.size	_ZN4vllm3moe22topkGatingSoftplusSqrtILi8ELi16ELi4ELi16ELi32ELb1Ej14__hip_bfloat16EEvPKT6_PKbPfiPT5_PiiiibdPKfPKS9_SF_, .Lfunc_end438-_ZN4vllm3moe22topkGatingSoftplusSqrtILi8ELi16ELi4ELi16ELi32ELb1Ej14__hip_bfloat16EEvPKT6_PKbPfiPT5_PiiiibdPKfPKS9_SF_
                                        ; -- End function
	.section	.AMDGPU.csdata,"",@progbits
; Kernel info:
; codeLenInByte = 4456
; NumSgprs: 40
; NumVgprs: 27
; NumAgprs: 0
; TotalNumVgprs: 27
; ScratchSize: 48
; MemoryBound: 0
; FloatMode: 240
; IeeeMode: 1
; LDSByteSize: 0 bytes/workgroup (compile time only)
; SGPRBlocks: 4
; VGPRBlocks: 3
; NumSGPRsForWavesPerEU: 40
; NumVGPRsForWavesPerEU: 27
; AccumOffset: 28
; Occupancy: 8
; WaveLimiterHint : 1
; COMPUTE_PGM_RSRC2:SCRATCH_EN: 1
; COMPUTE_PGM_RSRC2:USER_SGPR: 2
; COMPUTE_PGM_RSRC2:TRAP_HANDLER: 0
; COMPUTE_PGM_RSRC2:TGID_X_EN: 1
; COMPUTE_PGM_RSRC2:TGID_Y_EN: 0
; COMPUTE_PGM_RSRC2:TGID_Z_EN: 0
; COMPUTE_PGM_RSRC2:TIDIG_COMP_CNT: 1
; COMPUTE_PGM_RSRC3_GFX90A:ACCUM_OFFSET: 6
; COMPUTE_PGM_RSRC3_GFX90A:TG_SPLIT: 0
	.section	.text._ZN4vllm3moe22topkGatingSoftplusSqrtILi8ELi16ELi4ELi16ELi32ELb0Ej14__hip_bfloat16EEvPKT6_PKbPfiPT5_PiiiibdPKfPKS9_SF_,"axG",@progbits,_ZN4vllm3moe22topkGatingSoftplusSqrtILi8ELi16ELi4ELi16ELi32ELb0Ej14__hip_bfloat16EEvPKT6_PKbPfiPT5_PiiiibdPKfPKS9_SF_,comdat
	.protected	_ZN4vllm3moe22topkGatingSoftplusSqrtILi8ELi16ELi4ELi16ELi32ELb0Ej14__hip_bfloat16EEvPKT6_PKbPfiPT5_PiiiibdPKfPKS9_SF_ ; -- Begin function _ZN4vllm3moe22topkGatingSoftplusSqrtILi8ELi16ELi4ELi16ELi32ELb0Ej14__hip_bfloat16EEvPKT6_PKbPfiPT5_PiiiibdPKfPKS9_SF_
	.globl	_ZN4vllm3moe22topkGatingSoftplusSqrtILi8ELi16ELi4ELi16ELi32ELb0Ej14__hip_bfloat16EEvPKT6_PKbPfiPT5_PiiiibdPKfPKS9_SF_
	.p2align	8
	.type	_ZN4vllm3moe22topkGatingSoftplusSqrtILi8ELi16ELi4ELi16ELi32ELb0Ej14__hip_bfloat16EEvPKT6_PKbPfiPT5_PiiiibdPKfPKS9_SF_,@function
_ZN4vllm3moe22topkGatingSoftplusSqrtILi8ELi16ELi4ELi16ELi32ELb0Ej14__hip_bfloat16EEvPKT6_PKbPfiPT5_PiiiibdPKfPKS9_SF_: ; @_ZN4vllm3moe22topkGatingSoftplusSqrtILi8ELi16ELi4ELi16ELi32ELb0Ej14__hip_bfloat16EEvPKT6_PKbPfiPT5_PiiiibdPKfPKS9_SF_
; %bb.0:
	s_load_dword s33, s[0:1], 0x18
	v_bfe_u32 v1, v0, 10, 10
	v_and_b32_e32 v0, 0x3ff, v0
	s_lshl_b32 s2, s2, 6
	v_lshlrev_b32_e32 v1, 4, v1
	v_lshrrev_b32_e32 v2, 1, v0
	v_add3_u32 v8, s2, v1, v2
	s_waitcnt lgkmcnt(0)
	v_cmp_gt_i32_e32 vcc, s33, v8
	s_and_saveexec_b64 s[2:3], vcc
	s_cbranch_execz .LBB439_49
; %bb.1:
	s_load_dwordx4 s[4:7], s[0:1], 0x0
	s_load_dwordx2 s[34:35], s[0:1], 0x10
	s_waitcnt lgkmcnt(0)
	s_cmp_eq_u64 s[6:7], 0
	s_cbranch_scc1 .LBB439_3
; %bb.2:
	v_ashrrev_i32_e32 v9, 31, v8
	v_lshl_add_u64 v[2:3], s[6:7], 0, v[8:9]
	global_load_ubyte v1, v[2:3], off
	s_waitcnt vmcnt(0)
	v_and_b32_e32 v1, 1, v1
	v_cmp_eq_u32_e32 vcc, 1, v1
	s_xor_b64 s[2:3], vcc, -1
	s_orn2_b64 s[36:37], s[2:3], exec
	s_branch .LBB439_4
.LBB439_3:
	s_mov_b64 s[36:37], -1
.LBB439_4:
	v_lshlrev_b32_e32 v4, 4, v8
	v_mov_b32_e32 v2, s4
	v_mov_b32_e32 v3, s5
	v_ashrrev_i32_e32 v5, 31, v4
	v_and_b32_e32 v9, 1, v0
	v_lshl_add_u64 v[2:3], v[4:5], 1, v[2:3]
	v_mov_b32_e32 v1, 0
	v_lshlrev_b32_e32 v0, 4, v9
	v_lshl_add_u64 v[0:1], v[2:3], 0, v[0:1]
	global_load_dwordx4 v[4:7], v[0:1], off
	s_mov_b32 s12, 0x800000
	v_mov_b32_e32 v2, 0x4f800000
	s_mov_b32 s9, 0x3f317217
	s_mov_b32 s10, 0x7f800000
	v_mov_b32_e32 v3, 0x41b17218
	s_mov_b32 s8, 0x41a00000
	s_mov_b32 s11, 0xf800000
	s_load_dwordx4 s[20:23], s[0:1], 0x40
	v_lshlrev_b32_e32 v12, 3, v9
	s_waitcnt lgkmcnt(0)
	s_cmp_lg_u64 s[22:23], 0
	s_cselect_b64 s[6:7], -1, 0
	s_and_b64 s[2:3], exec, s[6:7]
	s_waitcnt vmcnt(0)
	v_lshlrev_b32_e32 v0, 16, v4
	v_mul_f32_e32 v1, 0x3fb8aa3b, v0
	v_exp_f32_e32 v10, v1
	v_mov_b32_e32 v1, 0x260
	v_add_f32_e32 v10, 1.0, v10
	v_cmp_gt_f32_e32 vcc, s12, v10
	s_nop 1
	v_cndmask_b32_e32 v11, 1.0, v2, vcc
	v_mul_f32_e32 v10, v10, v11
	v_log_f32_e32 v11, v10
	v_cndmask_b32_e32 v13, 0, v3, vcc
	v_lshlrev_b32_e32 v10, 2, v12
	v_mul_f32_e32 v14, 0x3f317217, v11
	v_fma_f32 v14, v11, s9, -v14
	v_fmac_f32_e32 v14, 0x3377d1cf, v11
	v_fmac_f32_e32 v14, 0x3f317217, v11
	v_cmp_lt_f32_e64 vcc, |v11|, s10
	s_nop 1
	v_cndmask_b32_e32 v11, v11, v14, vcc
	v_sub_f32_e32 v11, v11, v13
	v_cmp_lt_f32_e32 vcc, s8, v0
	s_nop 1
	v_cndmask_b32_e32 v0, v11, v0, vcc
	v_mul_f32_e32 v11, 0x4f800000, v0
	v_cmp_gt_f32_e32 vcc, s11, v0
	s_nop 1
	v_cndmask_b32_e32 v0, v0, v11, vcc
	v_sqrt_f32_e32 v11, v0
	s_nop 0
	v_add_u32_e32 v13, -1, v11
	v_add_u32_e32 v14, 1, v11
	v_fma_f32 v15, -v13, v11, v0
	v_fma_f32 v16, -v14, v11, v0
	v_cmp_ge_f32_e64 s[4:5], 0, v15
	s_nop 1
	v_cndmask_b32_e64 v11, v11, v13, s[4:5]
	v_cmp_lt_f32_e64 s[4:5], 0, v16
	s_nop 1
	v_cndmask_b32_e64 v11, v11, v14, s[4:5]
	v_mul_f32_e32 v13, 0x37800000, v11
	v_cndmask_b32_e32 v11, v11, v13, vcc
	v_cmp_class_f32_e32 vcc, v0, v1
	s_nop 1
	v_cndmask_b32_e32 v0, v11, v0, vcc
	s_mov_b64 vcc, s[2:3]
	s_cbranch_vccz .LBB439_6
; %bb.5:
	global_load_dword v11, v10, s[22:23]
	s_waitcnt vmcnt(0)
	v_add_f32_e32 v0, v0, v11
.LBB439_6:
	v_and_b32_e32 v4, 0xffff0000, v4
	v_mul_f32_e32 v11, 0x3fb8aa3b, v4
	v_exp_f32_e32 v11, v11
	s_nop 0
	v_add_f32_e32 v11, 1.0, v11
	v_cmp_gt_f32_e32 vcc, s12, v11
	s_nop 1
	v_cndmask_b32_e32 v2, 1.0, v2, vcc
	v_mul_f32_e32 v2, v11, v2
	v_log_f32_e32 v2, v2
	v_cndmask_b32_e32 v3, 0, v3, vcc
	v_mul_f32_e32 v11, 0x3f317217, v2
	v_fma_f32 v11, v2, s9, -v11
	v_fmac_f32_e32 v11, 0x3377d1cf, v2
	v_fmac_f32_e32 v11, 0x3f317217, v2
	v_cmp_lt_f32_e64 vcc, |v2|, s10
	s_nop 1
	v_cndmask_b32_e32 v2, v2, v11, vcc
	v_sub_f32_e32 v2, v2, v3
	v_cmp_lt_f32_e32 vcc, s8, v4
	s_nop 1
	v_cndmask_b32_e32 v2, v2, v4, vcc
	v_mul_f32_e32 v3, 0x4f800000, v2
	v_cmp_gt_f32_e32 vcc, s11, v2
	s_nop 1
	v_cndmask_b32_e32 v2, v2, v3, vcc
	v_sqrt_f32_e32 v3, v2
	v_cmp_class_f32_e64 s[4:5], v2, v1
	v_add_u32_e32 v4, -1, v3
	v_add_u32_e32 v11, 1, v3
	v_fma_f32 v13, -v4, v3, v2
	v_fma_f32 v14, -v11, v3, v2
	v_cmp_ge_f32_e64 s[2:3], 0, v13
	s_nop 1
	v_cndmask_b32_e64 v3, v3, v4, s[2:3]
	v_cmp_lt_f32_e64 s[2:3], 0, v14
	s_nop 1
	v_cndmask_b32_e64 v3, v3, v11, s[2:3]
	v_mul_f32_e32 v4, 0x37800000, v3
	v_cndmask_b32_e32 v3, v3, v4, vcc
	v_cndmask_b32_e64 v4, 0, 1, s[6:7]
	v_cmp_ne_u32_e64 s[2:3], 1, v4
	s_andn2_b64 vcc, exec, s[6:7]
	v_cndmask_b32_e64 v1, v3, v2, s[4:5]
	s_cbranch_vccnz .LBB439_8
; %bb.7:
	global_load_dword v2, v10, s[22:23] offset:4
	s_waitcnt vmcnt(0)
	v_add_f32_e32 v1, v1, v2
.LBB439_8:
	v_lshlrev_b32_e32 v2, 16, v5
	v_mul_f32_e32 v3, 0x3fb8aa3b, v2
	v_exp_f32_e32 v3, v3
	s_mov_b32 s10, 0x800000
	v_mov_b32_e32 v4, 0x4f800000
	s_mov_b32 s7, 0x3f317217
	v_add_f32_e32 v3, 1.0, v3
	v_cmp_gt_f32_e32 vcc, s10, v3
	s_mov_b32 s8, 0x7f800000
	s_mov_b32 s6, 0x41a00000
	v_cndmask_b32_e32 v11, 1.0, v4, vcc
	v_mul_f32_e32 v3, v3, v11
	v_log_f32_e32 v3, v3
	s_mov_b32 s9, 0xf800000
	v_mul_f32_e32 v11, 0x3f317217, v3
	v_fma_f32 v11, v3, s7, -v11
	v_fmac_f32_e32 v11, 0x3377d1cf, v3
	v_fmac_f32_e32 v11, 0x3f317217, v3
	v_cmp_lt_f32_e64 s[4:5], |v3|, s8
	s_nop 1
	v_cndmask_b32_e64 v3, v3, v11, s[4:5]
	v_mov_b32_e32 v11, 0x41b17218
	v_cndmask_b32_e32 v13, 0, v11, vcc
	v_sub_f32_e32 v3, v3, v13
	v_cmp_lt_f32_e32 vcc, s6, v2
	s_nop 1
	v_cndmask_b32_e32 v2, v3, v2, vcc
	v_mul_f32_e32 v3, 0x4f800000, v2
	v_cmp_gt_f32_e32 vcc, s9, v2
	s_nop 1
	v_cndmask_b32_e32 v2, v2, v3, vcc
	v_sqrt_f32_e32 v3, v2
	s_nop 0
	v_add_u32_e32 v13, -1, v3
	v_fma_f32 v14, -v13, v3, v2
	v_cmp_ge_f32_e64 s[4:5], 0, v14
	v_add_u32_e32 v14, 1, v3
	s_nop 0
	v_cndmask_b32_e64 v13, v3, v13, s[4:5]
	v_fma_f32 v3, -v14, v3, v2
	v_cmp_lt_f32_e64 s[4:5], 0, v3
	s_nop 1
	v_cndmask_b32_e64 v3, v13, v14, s[4:5]
	v_mul_f32_e32 v13, 0x37800000, v3
	v_cndmask_b32_e32 v13, v3, v13, vcc
	v_mov_b32_e32 v3, 0x260
	v_cmp_class_f32_e64 s[4:5], v2, v3
	s_and_b64 vcc, exec, s[2:3]
	s_nop 0
	v_cndmask_b32_e64 v2, v13, v2, s[4:5]
	s_cbranch_vccnz .LBB439_10
; %bb.9:
	global_load_dword v13, v10, s[22:23] offset:8
	s_waitcnt vmcnt(0)
	v_add_f32_e32 v2, v2, v13
.LBB439_10:
	v_and_b32_e32 v5, 0xffff0000, v5
	v_mul_f32_e32 v13, 0x3fb8aa3b, v5
	v_exp_f32_e32 v13, v13
	s_nop 0
	v_add_f32_e32 v13, 1.0, v13
	v_cmp_gt_f32_e32 vcc, s10, v13
	s_nop 1
	v_cndmask_b32_e32 v4, 1.0, v4, vcc
	v_mul_f32_e32 v4, v13, v4
	v_log_f32_e32 v4, v4
	v_cndmask_b32_e32 v11, 0, v11, vcc
	v_mul_f32_e32 v13, 0x3f317217, v4
	v_fma_f32 v13, v4, s7, -v13
	v_fmac_f32_e32 v13, 0x3377d1cf, v4
	v_fmac_f32_e32 v13, 0x3f317217, v4
	v_cmp_lt_f32_e64 vcc, |v4|, s8
	s_nop 1
	v_cndmask_b32_e32 v4, v4, v13, vcc
	v_sub_f32_e32 v4, v4, v11
	v_cmp_lt_f32_e32 vcc, s6, v5
	s_nop 1
	v_cndmask_b32_e32 v4, v4, v5, vcc
	v_mul_f32_e32 v5, 0x4f800000, v4
	v_cmp_gt_f32_e32 vcc, s9, v4
	s_nop 1
	v_cndmask_b32_e32 v4, v4, v5, vcc
	v_sqrt_f32_e32 v5, v4
	s_nop 0
	v_add_u32_e32 v11, -1, v5
	v_add_u32_e32 v13, 1, v5
	v_fma_f32 v14, -v11, v5, v4
	v_fma_f32 v15, -v13, v5, v4
	v_cmp_ge_f32_e64 s[4:5], 0, v14
	s_nop 1
	v_cndmask_b32_e64 v5, v5, v11, s[4:5]
	v_cmp_lt_f32_e64 s[4:5], 0, v15
	s_nop 1
	v_cndmask_b32_e64 v5, v5, v13, s[4:5]
	v_mul_f32_e32 v11, 0x37800000, v5
	v_cndmask_b32_e32 v5, v5, v11, vcc
	v_cmp_class_f32_e64 s[4:5], v4, v3
	s_and_b64 vcc, exec, s[2:3]
	s_nop 0
	v_cndmask_b32_e64 v3, v5, v4, s[4:5]
	s_cbranch_vccnz .LBB439_12
; %bb.11:
	global_load_dword v4, v10, s[22:23] offset:12
	s_waitcnt vmcnt(0)
	v_add_f32_e32 v3, v3, v4
.LBB439_12:
	v_lshlrev_b32_e32 v4, 16, v6
	v_mul_f32_e32 v5, 0x3fb8aa3b, v4
	v_exp_f32_e32 v5, v5
	v_mov_b32_e32 v11, 0x4f800000
	v_add_f32_e32 v5, 1.0, v5
	v_cmp_gt_f32_e32 vcc, s10, v5
	s_nop 1
	v_cndmask_b32_e32 v13, 1.0, v11, vcc
	v_mul_f32_e32 v5, v5, v13
	v_log_f32_e32 v5, v5
	s_nop 0
	v_mul_f32_e32 v13, 0x3f317217, v5
	v_fma_f32 v13, v5, s7, -v13
	v_fmac_f32_e32 v13, 0x3377d1cf, v5
	v_fmac_f32_e32 v13, 0x3f317217, v5
	v_cmp_lt_f32_e64 s[4:5], |v5|, s8
	s_nop 1
	v_cndmask_b32_e64 v5, v5, v13, s[4:5]
	v_mov_b32_e32 v13, 0x41b17218
	v_cndmask_b32_e32 v14, 0, v13, vcc
	v_sub_f32_e32 v5, v5, v14
	v_cmp_lt_f32_e32 vcc, s6, v4
	s_nop 1
	v_cndmask_b32_e32 v4, v5, v4, vcc
	v_mul_f32_e32 v5, 0x4f800000, v4
	v_cmp_gt_f32_e32 vcc, s9, v4
	s_nop 1
	v_cndmask_b32_e32 v4, v4, v5, vcc
	v_sqrt_f32_e32 v5, v4
	s_nop 0
	v_add_u32_e32 v14, -1, v5
	v_fma_f32 v15, -v14, v5, v4
	v_cmp_ge_f32_e64 s[4:5], 0, v15
	v_add_u32_e32 v15, 1, v5
	s_nop 0
	v_cndmask_b32_e64 v14, v5, v14, s[4:5]
	v_fma_f32 v5, -v15, v5, v4
	v_cmp_lt_f32_e64 s[4:5], 0, v5
	s_nop 1
	v_cndmask_b32_e64 v5, v14, v15, s[4:5]
	v_mul_f32_e32 v14, 0x37800000, v5
	v_cndmask_b32_e32 v14, v5, v14, vcc
	v_mov_b32_e32 v5, 0x260
	v_cmp_class_f32_e64 s[4:5], v4, v5
	s_and_b64 vcc, exec, s[2:3]
	s_nop 0
	v_cndmask_b32_e64 v4, v14, v4, s[4:5]
	s_cbranch_vccnz .LBB439_14
; %bb.13:
	global_load_dword v14, v10, s[22:23] offset:16
	s_waitcnt vmcnt(0)
	v_add_f32_e32 v4, v4, v14
.LBB439_14:
	v_and_b32_e32 v6, 0xffff0000, v6
	v_mul_f32_e32 v14, 0x3fb8aa3b, v6
	v_exp_f32_e32 v14, v14
	s_nop 0
	v_add_f32_e32 v14, 1.0, v14
	v_cmp_gt_f32_e32 vcc, s10, v14
	s_nop 1
	v_cndmask_b32_e32 v11, 1.0, v11, vcc
	v_mul_f32_e32 v11, v14, v11
	v_log_f32_e32 v11, v11
	v_cndmask_b32_e32 v13, 0, v13, vcc
	v_mul_f32_e32 v14, 0x3f317217, v11
	v_fma_f32 v14, v11, s7, -v14
	v_fmac_f32_e32 v14, 0x3377d1cf, v11
	v_fmac_f32_e32 v14, 0x3f317217, v11
	v_cmp_lt_f32_e64 vcc, |v11|, s8
	s_nop 1
	v_cndmask_b32_e32 v11, v11, v14, vcc
	v_sub_f32_e32 v11, v11, v13
	v_cmp_lt_f32_e32 vcc, s6, v6
	s_nop 1
	v_cndmask_b32_e32 v6, v11, v6, vcc
	v_mul_f32_e32 v11, 0x4f800000, v6
	v_cmp_gt_f32_e32 vcc, s9, v6
	s_nop 1
	v_cndmask_b32_e32 v6, v6, v11, vcc
	v_sqrt_f32_e32 v11, v6
	s_nop 0
	v_add_u32_e32 v13, -1, v11
	v_add_u32_e32 v14, 1, v11
	v_fma_f32 v15, -v13, v11, v6
	v_fma_f32 v16, -v14, v11, v6
	v_cmp_ge_f32_e64 s[4:5], 0, v15
	s_nop 1
	v_cndmask_b32_e64 v11, v11, v13, s[4:5]
	v_cmp_lt_f32_e64 s[4:5], 0, v16
	s_nop 1
	v_cndmask_b32_e64 v11, v11, v14, s[4:5]
	v_mul_f32_e32 v13, 0x37800000, v11
	v_cndmask_b32_e32 v11, v11, v13, vcc
	v_cmp_class_f32_e64 s[4:5], v6, v5
	s_and_b64 vcc, exec, s[2:3]
	s_nop 0
	v_cndmask_b32_e64 v5, v11, v6, s[4:5]
	s_cbranch_vccnz .LBB439_16
; %bb.15:
	global_load_dword v6, v10, s[22:23] offset:20
	s_waitcnt vmcnt(0)
	v_add_f32_e32 v5, v5, v6
.LBB439_16:
	v_lshlrev_b32_e32 v6, 16, v7
	v_mul_f32_e32 v11, 0x3fb8aa3b, v6
	v_exp_f32_e32 v11, v11
	v_mov_b32_e32 v13, 0x4f800000
	v_add_f32_e32 v11, 1.0, v11
	v_cmp_gt_f32_e32 vcc, s10, v11
	s_nop 1
	v_cndmask_b32_e32 v14, 1.0, v13, vcc
	v_mul_f32_e32 v11, v11, v14
	v_log_f32_e32 v11, v11
	s_nop 0
	v_mul_f32_e32 v14, 0x3f317217, v11
	v_fma_f32 v14, v11, s7, -v14
	v_fmac_f32_e32 v14, 0x3377d1cf, v11
	v_fmac_f32_e32 v14, 0x3f317217, v11
	v_cmp_lt_f32_e64 s[4:5], |v11|, s8
	s_nop 1
	v_cndmask_b32_e64 v11, v11, v14, s[4:5]
	v_mov_b32_e32 v14, 0x41b17218
	v_cndmask_b32_e32 v15, 0, v14, vcc
	v_sub_f32_e32 v11, v11, v15
	v_cmp_lt_f32_e32 vcc, s6, v6
	s_nop 1
	v_cndmask_b32_e32 v6, v11, v6, vcc
	v_mul_f32_e32 v11, 0x4f800000, v6
	v_cmp_gt_f32_e32 vcc, s9, v6
	s_nop 1
	v_cndmask_b32_e32 v6, v6, v11, vcc
	v_sqrt_f32_e32 v11, v6
	s_nop 0
	v_add_u32_e32 v15, -1, v11
	v_fma_f32 v16, -v15, v11, v6
	v_cmp_ge_f32_e64 s[4:5], 0, v16
	v_add_u32_e32 v16, 1, v11
	s_nop 0
	v_cndmask_b32_e64 v15, v11, v15, s[4:5]
	v_fma_f32 v11, -v16, v11, v6
	v_cmp_lt_f32_e64 s[4:5], 0, v11
	s_nop 1
	v_cndmask_b32_e64 v11, v15, v16, s[4:5]
	v_mul_f32_e32 v15, 0x37800000, v11
	v_cndmask_b32_e32 v15, v11, v15, vcc
	v_mov_b32_e32 v11, 0x260
	v_cmp_class_f32_e64 s[4:5], v6, v11
	s_and_b64 vcc, exec, s[2:3]
	s_nop 0
	v_cndmask_b32_e64 v6, v15, v6, s[4:5]
	s_cbranch_vccnz .LBB439_18
; %bb.17:
	global_load_dword v15, v10, s[22:23] offset:24
	s_waitcnt vmcnt(0)
	v_add_f32_e32 v6, v6, v15
.LBB439_18:
	v_and_b32_e32 v7, 0xffff0000, v7
	v_mul_f32_e32 v15, 0x3fb8aa3b, v7
	v_exp_f32_e32 v15, v15
	s_nop 0
	v_add_f32_e32 v15, 1.0, v15
	v_cmp_gt_f32_e32 vcc, s10, v15
	s_nop 1
	v_cndmask_b32_e32 v13, 1.0, v13, vcc
	v_mul_f32_e32 v13, v15, v13
	v_log_f32_e32 v13, v13
	v_cndmask_b32_e32 v14, 0, v14, vcc
	v_mul_f32_e32 v15, 0x3f317217, v13
	v_fma_f32 v15, v13, s7, -v15
	v_fmac_f32_e32 v15, 0x3377d1cf, v13
	v_fmac_f32_e32 v15, 0x3f317217, v13
	v_cmp_lt_f32_e64 vcc, |v13|, s8
	s_nop 1
	v_cndmask_b32_e32 v13, v13, v15, vcc
	v_sub_f32_e32 v13, v13, v14
	v_cmp_lt_f32_e32 vcc, s6, v7
	s_nop 1
	v_cndmask_b32_e32 v7, v13, v7, vcc
	v_mul_f32_e32 v13, 0x4f800000, v7
	v_cmp_gt_f32_e32 vcc, s9, v7
	s_nop 1
	v_cndmask_b32_e32 v7, v7, v13, vcc
	v_sqrt_f32_e32 v13, v7
	s_nop 0
	v_add_u32_e32 v14, -1, v13
	v_add_u32_e32 v15, 1, v13
	v_fma_f32 v16, -v14, v13, v7
	v_fma_f32 v17, -v15, v13, v7
	v_cmp_ge_f32_e64 s[4:5], 0, v16
	s_nop 1
	v_cndmask_b32_e64 v13, v13, v14, s[4:5]
	v_cmp_lt_f32_e64 s[4:5], 0, v17
	s_nop 1
	v_cndmask_b32_e64 v13, v13, v15, s[4:5]
	v_mul_f32_e32 v14, 0x37800000, v13
	v_cndmask_b32_e32 v13, v13, v14, vcc
	v_cmp_class_f32_e64 s[4:5], v7, v11
	s_and_b64 vcc, exec, s[2:3]
	s_nop 0
	v_cndmask_b32_e64 v7, v13, v7, s[4:5]
	s_cbranch_vccnz .LBB439_20
; %bb.19:
	global_load_dword v10, v10, s[22:23] offset:28
	s_waitcnt vmcnt(0)
	v_add_f32_e32 v7, v7, v10
.LBB439_20:
	s_load_dwordx4 s[24:27], s[0:1], 0x30
	s_mov_b32 s42, 0
	v_cmp_eq_u32_e64 s[6:7], 0, v9
	s_waitcnt lgkmcnt(0)
	s_bitcmp1_b32 s27, 0
	s_cselect_b64 s[4:5], -1, 0
	s_cmp_gt_i32 s24, 0
	s_cselect_b64 s[38:39], -1, 0
	s_and_b64 vcc, exec, s[38:39]
	s_cbranch_vccz .LBB439_35
; %bb.21:
	v_mbcnt_lo_u32_b32 v10, -1, 0
	v_mbcnt_hi_u32_b32 v10, -1, v10
	s_load_dwordx4 s[28:31], s[0:1], 0x20
	v_and_b32_e32 v13, 0x7e, v10
	v_xor_b32_e32 v11, 1, v10
	v_add_u32_e32 v13, 2, v13
	v_cmp_lt_i32_e32 vcc, v11, v13
	v_mul_lo_u32 v15, v8, s24
	v_mov_b32_e32 v13, 0
	v_cndmask_b32_e32 v10, v10, v11, vcc
	v_lshlrev_b32_e32 v14, 2, v10
	v_mov_b32_e32 v16, 0xc61c4000
	v_mov_b32_e32 v17, v8
	s_branch .LBB439_24
.LBB439_22:                             ;   in Loop: Header=BB439_24 Depth=1
	s_or_b64 exec, exec, s[40:41]
.LBB439_23:                             ;   in Loop: Header=BB439_24 Depth=1
	s_cmp_eq_u32 s24, s42
	v_add_u32_e32 v17, s33, v17
	s_cbranch_scc1 .LBB439_36
.LBB439_24:                             ; =>This Inner Loop Header: Depth=1
	v_cmp_gt_f32_e32 vcc, v1, v0
	s_nop 1
	v_cndmask_b32_e32 v11, v0, v1, vcc
	v_cndmask_b32_e64 v10, 0, 1, vcc
	v_cmp_gt_f32_e32 vcc, v2, v11
	s_nop 1
	v_cndmask_b32_e32 v11, v11, v2, vcc
	v_cndmask_b32_e64 v10, v10, 2, vcc
	;; [unrolled: 4-line block ×6, first 2 shown]
	v_cmp_gt_f32_e32 vcc, v7, v11
	s_nop 1
	v_cndmask_b32_e64 v10, v10, 7, vcc
	v_cndmask_b32_e32 v18, v11, v7, vcc
	ds_bpermute_b32 v11, v14, v18
	v_or_b32_e32 v10, v12, v10
	ds_bpermute_b32 v19, v14, v10
	s_waitcnt lgkmcnt(0)
	v_cmp_lt_f32_e64 s[8:9], v18, v11
	v_cmp_nlt_f32_e32 vcc, v18, v11
	s_and_saveexec_b64 s[10:11], vcc
	s_cbranch_execnz .LBB439_28
; %bb.25:                               ;   in Loop: Header=BB439_24 Depth=1
	s_or_b64 exec, exec, s[10:11]
	s_and_saveexec_b64 s[0:1], s[8:9]
	s_cbranch_execnz .LBB439_29
.LBB439_26:                             ;   in Loop: Header=BB439_24 Depth=1
	s_or_b64 exec, exec, s[0:1]
	s_and_saveexec_b64 s[8:9], s[6:7]
	s_cbranch_execnz .LBB439_30
.LBB439_27:                             ;   in Loop: Header=BB439_24 Depth=1
	s_or_b64 exec, exec, s[8:9]
	s_add_i32 s42, s42, 1
	s_cmp_ge_i32 s42, s24
	s_cbranch_scc1 .LBB439_23
	s_branch .LBB439_33
.LBB439_28:                             ;   in Loop: Header=BB439_24 Depth=1
	v_cmp_eq_f32_e32 vcc, v18, v11
	v_cmp_lt_i32_e64 s[0:1], v19, v10
	s_and_b64 s[0:1], vcc, s[0:1]
	s_andn2_b64 s[8:9], s[8:9], exec
	s_and_b64 s[0:1], s[0:1], exec
	s_or_b64 s[8:9], s[8:9], s[0:1]
	s_or_b64 exec, exec, s[10:11]
	s_and_saveexec_b64 s[0:1], s[8:9]
	s_cbranch_execz .LBB439_26
.LBB439_29:                             ;   in Loop: Header=BB439_24 Depth=1
	v_mov_b32_e32 v10, v19
	v_mov_b32_e32 v18, v11
	s_or_b64 exec, exec, s[0:1]
	s_and_saveexec_b64 s[8:9], s[6:7]
	s_cbranch_execz .LBB439_27
.LBB439_30:                             ;   in Loop: Header=BB439_24 Depth=1
	s_and_b64 vcc, exec, s[2:3]
	s_cbranch_vccnz .LBB439_32
; %bb.31:                               ;   in Loop: Header=BB439_24 Depth=1
	v_ashrrev_i32_e32 v11, 31, v10
	v_lshl_add_u64 v[20:21], v[10:11], 2, s[22:23]
	global_load_dword v11, v[20:21], off
	s_waitcnt vmcnt(0)
	v_sub_f32_e32 v18, v18, v11
.LBB439_32:                             ;   in Loop: Header=BB439_24 Depth=1
	v_add_u32_e32 v20, s42, v15
	v_cmp_le_i32_e32 vcc, s25, v10
	v_cmp_gt_i32_e64 s[0:1], s26, v10
	v_ashrrev_i32_e32 v21, 31, v20
	s_and_b64 s[0:1], vcc, s[0:1]
	v_lshlrev_b64 v[20:21], 2, v[20:21]
	v_lshl_add_u64 v[22:23], s[34:35], 0, v[20:21]
	v_subrev_u32_e32 v11, s25, v10
	s_and_b64 vcc, s[36:37], s[0:1]
	global_store_dword v[22:23], v18, off
	v_cndmask_b32_e32 v11, 16, v11, vcc
	v_lshl_add_u64 v[22:23], s[28:29], 0, v[20:21]
	global_store_dword v[22:23], v11, off
	v_add_f32_e32 v11, v13, v18
	v_lshl_add_u64 v[20:21], s[30:31], 0, v[20:21]
	v_cndmask_b32_e64 v13, v13, v11, s[4:5]
	global_store_dword v[20:21], v17, off
	s_or_b64 exec, exec, s[8:9]
	s_add_i32 s42, s42, 1
	s_cmp_ge_i32 s42, s24
	s_cbranch_scc1 .LBB439_23
.LBB439_33:                             ;   in Loop: Header=BB439_24 Depth=1
	v_ashrrev_i32_e32 v18, 31, v10
	v_lshrrev_b32_e32 v11, 29, v18
	v_add_u32_e32 v19, v10, v11
	v_ashrrev_i32_e32 v11, 3, v19
	v_lshrrev_b32_e32 v19, 31, v19
	v_add_u32_e32 v19, v11, v19
	v_and_b32_e32 v19, -2, v19
	v_sub_u32_e32 v19, v11, v19
	v_cmp_eq_u32_e32 vcc, v9, v19
	s_and_saveexec_b64 s[40:41], vcc
	s_cbranch_execz .LBB439_22
; %bb.34:                               ;   in Loop: Header=BB439_24 Depth=1
	v_lshrrev_b32_e32 v18, 28, v18
	v_add_u32_e32 v18, v10, v18
	v_lshlrev_b32_e32 v11, 3, v11
	v_sub_u32_e32 v10, v10, v11
	v_ashrrev_i32_e32 v11, 4, v18
	v_lshl_add_u32 v10, v11, 3, v10
	v_cmp_ne_u32_e32 vcc, 6, v10
	v_cmp_ne_u32_e64 s[0:1], 5, v10
	v_cmp_ne_u32_e64 s[8:9], 4, v10
	;; [unrolled: 1-line block ×7, first 2 shown]
	v_cndmask_b32_e32 v6, v16, v6, vcc
	v_cndmask_b32_e64 v5, v16, v5, s[0:1]
	v_cndmask_b32_e64 v7, v16, v7, s[18:19]
	;; [unrolled: 1-line block ×7, first 2 shown]
	s_branch .LBB439_22
.LBB439_35:
	v_mov_b32_e32 v13, 0
.LBB439_36:
	v_cmp_eq_u32_e32 vcc, 0, v9
	s_and_b64 exec, exec, vcc
	s_cbranch_execz .LBB439_49
; %bb.37:
	s_andn2_b64 vcc, exec, s[4:5]
	v_cvt_f32_f64_e32 v0, s[20:21]
	s_cbranch_vccnz .LBB439_39
; %bb.38:
	v_cmp_lt_f32_e32 vcc, 0, v13
	s_nop 1
	v_cndmask_b32_e32 v1, 1.0, v13, vcc
	v_div_scale_f32 v2, s[0:1], v1, v1, v0
	v_rcp_f32_e32 v3, v2
	s_nop 0
	v_fma_f32 v4, -v2, v3, 1.0
	v_fmac_f32_e32 v3, v4, v3
	v_div_scale_f32 v4, vcc, v0, v1, v0
	v_mul_f32_e32 v5, v4, v3
	v_fma_f32 v6, -v2, v5, v4
	v_fmac_f32_e32 v5, v6, v3
	v_fma_f32 v2, -v2, v5, v4
	v_div_fmas_f32 v2, v2, v3, v5
	v_div_fixup_f32 v0, v2, v1, v0
.LBB439_39:
	s_andn2_b64 vcc, exec, s[38:39]
	s_cbranch_vccnz .LBB439_49
; %bb.40:
	v_mul_lo_u32 v2, v8, s24
	s_cmp_gt_u32 s24, 3
	v_ashrrev_i32_e32 v3, 31, v2
	s_cbranch_scc0 .LBB439_44
; %bb.41:
	s_and_b32 s0, s24, 0x7ffffffc
	v_lshl_add_u64 v[4:5], v[2:3], 2, s[34:35]
	v_mov_b32_e32 v1, v0
	v_lshl_add_u64 v[4:5], v[4:5], 0, 8
	s_mov_b32 s1, s0
.LBB439_42:                             ; =>This Inner Loop Header: Depth=1
	global_load_dwordx4 v[6:9], v[4:5], off offset:-8
	s_add_i32 s1, s1, -4
	s_cmp_lg_u32 s1, 0
	s_waitcnt vmcnt(0)
	v_pk_mul_f32 v[6:7], v[0:1], v[6:7]
	v_pk_mul_f32 v[8:9], v[0:1], v[8:9]
	global_store_dwordx4 v[4:5], v[6:9], off offset:-8
	v_lshl_add_u64 v[4:5], v[4:5], 0, 16
	s_cbranch_scc1 .LBB439_42
; %bb.43:
	s_cmp_lg_u32 s0, s24
	s_cselect_b64 s[2:3], -1, 0
	s_branch .LBB439_46
.LBB439_44:
	s_mov_b64 s[2:3], 0
                                        ; implicit-def: $sgpr0
	s_cbranch_execz .LBB439_46
; %bb.45:
	s_mov_b64 s[2:3], -1
	s_mov_b32 s0, 0
.LBB439_46:
	s_andn2_b64 vcc, exec, s[2:3]
	s_cbranch_vccnz .LBB439_49
; %bb.47:
	s_mov_b32 s1, 0
	v_lshl_add_u64 v[2:3], v[2:3], 0, s[0:1]
	s_sub_i32 s2, s24, s0
	v_lshl_add_u64 v[2:3], v[2:3], 2, s[34:35]
.LBB439_48:                             ; =>This Inner Loop Header: Depth=1
	global_load_dword v1, v[2:3], off
	s_add_i32 s2, s2, -1
	s_cmp_lg_u32 s2, 0
	s_waitcnt vmcnt(0)
	v_mul_f32_e32 v1, v0, v1
	global_store_dword v[2:3], v1, off
	v_lshl_add_u64 v[2:3], v[2:3], 0, 4
	s_cbranch_scc1 .LBB439_48
.LBB439_49:
	s_endpgm
	.section	.rodata,"a",@progbits
	.p2align	6, 0x0
	.amdhsa_kernel _ZN4vllm3moe22topkGatingSoftplusSqrtILi8ELi16ELi4ELi16ELi32ELb0Ej14__hip_bfloat16EEvPKT6_PKbPfiPT5_PiiiibdPKfPKS9_SF_
		.amdhsa_group_segment_fixed_size 0
		.amdhsa_private_segment_fixed_size 0
		.amdhsa_kernarg_size 96
		.amdhsa_user_sgpr_count 2
		.amdhsa_user_sgpr_dispatch_ptr 0
		.amdhsa_user_sgpr_queue_ptr 0
		.amdhsa_user_sgpr_kernarg_segment_ptr 1
		.amdhsa_user_sgpr_dispatch_id 0
		.amdhsa_user_sgpr_kernarg_preload_length 0
		.amdhsa_user_sgpr_kernarg_preload_offset 0
		.amdhsa_user_sgpr_private_segment_size 0
		.amdhsa_uses_dynamic_stack 0
		.amdhsa_enable_private_segment 0
		.amdhsa_system_sgpr_workgroup_id_x 1
		.amdhsa_system_sgpr_workgroup_id_y 0
		.amdhsa_system_sgpr_workgroup_id_z 0
		.amdhsa_system_sgpr_workgroup_info 0
		.amdhsa_system_vgpr_workitem_id 1
		.amdhsa_next_free_vgpr 24
		.amdhsa_next_free_sgpr 43
		.amdhsa_accum_offset 24
		.amdhsa_reserve_vcc 1
		.amdhsa_float_round_mode_32 0
		.amdhsa_float_round_mode_16_64 0
		.amdhsa_float_denorm_mode_32 3
		.amdhsa_float_denorm_mode_16_64 3
		.amdhsa_dx10_clamp 1
		.amdhsa_ieee_mode 1
		.amdhsa_fp16_overflow 0
		.amdhsa_tg_split 0
		.amdhsa_exception_fp_ieee_invalid_op 0
		.amdhsa_exception_fp_denorm_src 0
		.amdhsa_exception_fp_ieee_div_zero 0
		.amdhsa_exception_fp_ieee_overflow 0
		.amdhsa_exception_fp_ieee_underflow 0
		.amdhsa_exception_fp_ieee_inexact 0
		.amdhsa_exception_int_div_zero 0
	.end_amdhsa_kernel
	.section	.text._ZN4vllm3moe22topkGatingSoftplusSqrtILi8ELi16ELi4ELi16ELi32ELb0Ej14__hip_bfloat16EEvPKT6_PKbPfiPT5_PiiiibdPKfPKS9_SF_,"axG",@progbits,_ZN4vllm3moe22topkGatingSoftplusSqrtILi8ELi16ELi4ELi16ELi32ELb0Ej14__hip_bfloat16EEvPKT6_PKbPfiPT5_PiiiibdPKfPKS9_SF_,comdat
.Lfunc_end439:
	.size	_ZN4vllm3moe22topkGatingSoftplusSqrtILi8ELi16ELi4ELi16ELi32ELb0Ej14__hip_bfloat16EEvPKT6_PKbPfiPT5_PiiiibdPKfPKS9_SF_, .Lfunc_end439-_ZN4vllm3moe22topkGatingSoftplusSqrtILi8ELi16ELi4ELi16ELi32ELb0Ej14__hip_bfloat16EEvPKT6_PKbPfiPT5_PiiiibdPKfPKS9_SF_
                                        ; -- End function
	.section	.AMDGPU.csdata,"",@progbits
; Kernel info:
; codeLenInByte = 3620
; NumSgprs: 49
; NumVgprs: 24
; NumAgprs: 0
; TotalNumVgprs: 24
; ScratchSize: 0
; MemoryBound: 0
; FloatMode: 240
; IeeeMode: 1
; LDSByteSize: 0 bytes/workgroup (compile time only)
; SGPRBlocks: 6
; VGPRBlocks: 2
; NumSGPRsForWavesPerEU: 49
; NumVGPRsForWavesPerEU: 24
; AccumOffset: 24
; Occupancy: 8
; WaveLimiterHint : 0
; COMPUTE_PGM_RSRC2:SCRATCH_EN: 0
; COMPUTE_PGM_RSRC2:USER_SGPR: 2
; COMPUTE_PGM_RSRC2:TRAP_HANDLER: 0
; COMPUTE_PGM_RSRC2:TGID_X_EN: 1
; COMPUTE_PGM_RSRC2:TGID_Y_EN: 0
; COMPUTE_PGM_RSRC2:TGID_Z_EN: 0
; COMPUTE_PGM_RSRC2:TIDIG_COMP_CNT: 1
; COMPUTE_PGM_RSRC3_GFX90A:ACCUM_OFFSET: 5
; COMPUTE_PGM_RSRC3_GFX90A:TG_SPLIT: 0
	.section	.text._ZN4vllm3moe22topkGatingSoftplusSqrtILi8ELi32ELi4ELi16ELi64ELb1Ej14__hip_bfloat16EEvPKT6_PKbPfiPT5_PiiiibdPKfPKS9_SF_,"axG",@progbits,_ZN4vllm3moe22topkGatingSoftplusSqrtILi8ELi32ELi4ELi16ELi64ELb1Ej14__hip_bfloat16EEvPKT6_PKbPfiPT5_PiiiibdPKfPKS9_SF_,comdat
	.protected	_ZN4vllm3moe22topkGatingSoftplusSqrtILi8ELi32ELi4ELi16ELi64ELb1Ej14__hip_bfloat16EEvPKT6_PKbPfiPT5_PiiiibdPKfPKS9_SF_ ; -- Begin function _ZN4vllm3moe22topkGatingSoftplusSqrtILi8ELi32ELi4ELi16ELi64ELb1Ej14__hip_bfloat16EEvPKT6_PKbPfiPT5_PiiiibdPKfPKS9_SF_
	.globl	_ZN4vllm3moe22topkGatingSoftplusSqrtILi8ELi32ELi4ELi16ELi64ELb1Ej14__hip_bfloat16EEvPKT6_PKbPfiPT5_PiiiibdPKfPKS9_SF_
	.p2align	8
	.type	_ZN4vllm3moe22topkGatingSoftplusSqrtILi8ELi32ELi4ELi16ELi64ELb1Ej14__hip_bfloat16EEvPKT6_PKbPfiPT5_PiiiibdPKfPKS9_SF_,@function
_ZN4vllm3moe22topkGatingSoftplusSqrtILi8ELi32ELi4ELi16ELi64ELb1Ej14__hip_bfloat16EEvPKT6_PKbPfiPT5_PiiiibdPKfPKS9_SF_: ; @_ZN4vllm3moe22topkGatingSoftplusSqrtILi8ELi32ELi4ELi16ELi64ELb1Ej14__hip_bfloat16EEvPKT6_PKbPfiPT5_PiiiibdPKfPKS9_SF_
; %bb.0:
	s_load_dword s3, s[0:1], 0x18
	v_bfe_u32 v1, v0, 10, 10
	v_and_b32_e32 v8, 0x3ff, v0
	s_lshl_b32 s2, s2, 6
	v_lshlrev_b32_e32 v1, 4, v1
	v_lshrrev_b32_e32 v0, 2, v8
	v_add3_u32 v6, s2, v1, v0
	s_waitcnt lgkmcnt(0)
	v_cmp_gt_i32_e32 vcc, s3, v6
	s_and_saveexec_b64 s[2:3], vcc
	s_cbranch_execz .LBB440_32
; %bb.1:
	s_load_dwordx2 s[2:3], s[0:1], 0x0
	s_load_dword s33, s[0:1], 0x30
	v_lshlrev_b32_e32 v0, 5, v6
	v_lshlrev_b32_e32 v2, 3, v8
	v_ashrrev_i32_e32 v1, 31, v0
	v_and_b32_e32 v10, 24, v2
	s_waitcnt lgkmcnt(0)
	v_lshl_add_u64 v[0:1], v[0:1], 1, s[2:3]
	v_lshlrev_b32_e32 v4, 1, v10
	v_mov_b32_e32 v5, 0
	v_lshl_add_u64 v[0:1], v[0:1], 0, v[4:5]
	global_load_dwordx4 v[0:3], v[0:1], off
	s_load_dwordx4 s[8:11], s[0:1], 0x50
	v_ashrrev_i32_e32 v7, 31, v6
	s_mov_b32 s15, 0x800000
	s_mov_b32 s13, 0x3f317217
	;; [unrolled: 1-line block ×3, first 2 shown]
	s_waitcnt lgkmcnt(0)
	v_mov_b32_e32 v12, s8
	v_mov_b32_e32 v13, s9
	v_lshl_add_u64 v[12:13], v[6:7], 2, v[12:13]
	global_load_dword v4, v[12:13], off
	v_mov_b32_e32 v7, 0x4f800000
	v_mov_b32_e32 v9, 0x41b17218
	s_mov_b32 s9, 0x41a00000
	s_mov_b32 s12, 0xf800000
	v_mov_b32_e32 v17, 0x260
	s_cmp_gt_i32 s33, 0
	s_mov_b32 s8, 0
	s_waitcnt vmcnt(1)
	v_and_b32_e32 v11, 0xffff0000, v0
	v_lshlrev_b32_e32 v14, 16, v0
	v_and_b32_e32 v15, 0xffff0000, v1
	v_lshlrev_b32_e32 v16, 16, v1
	v_mul_f32_e32 v0, 0x3fb8aa3b, v14
	v_mul_f32_e32 v1, 0x3fb8aa3b, v11
	v_exp_f32_e32 v0, v0
	v_exp_f32_e32 v1, v1
	v_mul_f32_e32 v12, 0x3fb8aa3b, v16
	v_mul_f32_e32 v13, 0x3fb8aa3b, v15
	v_exp_f32_e32 v12, v12
	v_exp_f32_e32 v13, v13
	v_pk_add_f32 v[0:1], v[0:1], 1.0 op_sel_hi:[1,0]
	s_waitcnt vmcnt(0)
	v_mul_lo_u32 v4, v4, s33
	v_cmp_gt_f32_e32 vcc, s15, v1
	v_pk_add_f32 v[12:13], v[12:13], 1.0 op_sel_hi:[1,0]
	v_cmp_gt_f32_e64 s[2:3], s15, v0
	v_cndmask_b32_e32 v18, 1.0, v7, vcc
	v_cmp_gt_f32_e64 s[4:5], s15, v13
	v_cndmask_b32_e64 v19, 1.0, v7, s[2:3]
	v_mul_f32_e32 v1, v1, v18
	v_cndmask_b32_e64 v20, 1.0, v7, s[4:5]
	v_mul_f32_e32 v0, v0, v19
	v_log_f32_e32 v1, v1
	v_cmp_gt_f32_e64 s[6:7], s15, v12
	v_mul_f32_e32 v13, v13, v20
	v_log_f32_e32 v0, v0
	v_cndmask_b32_e64 v21, 1.0, v7, s[6:7]
	v_log_f32_e32 v13, v13
	v_mul_f32_e32 v12, v12, v21
	v_log_f32_e32 v21, v12
	v_mul_f32_e32 v12, 0x3f317217, v1
	v_mul_f32_e32 v22, 0x3f317217, v0
	v_fma_f32 v12, v1, s13, -v12
	v_mul_f32_e32 v23, 0x3f317217, v13
	v_fma_f32 v22, v0, s13, -v22
	v_fmac_f32_e32 v12, 0x3377d1cf, v1
	v_cndmask_b32_e32 v18, 0, v9, vcc
	v_fma_f32 v23, v13, s13, -v23
	v_fmac_f32_e32 v22, 0x3377d1cf, v0
	v_fmac_f32_e32 v12, 0x3f317217, v1
	v_cmp_lt_f32_e64 vcc, |v1|, s14
	v_fmac_f32_e32 v23, 0x3377d1cf, v13
	v_fmac_f32_e32 v22, 0x3f317217, v0
	v_cndmask_b32_e32 v1, v1, v12, vcc
	v_cmp_lt_f32_e64 vcc, |v0|, s14
	v_cndmask_b32_e64 v19, 0, v9, s[2:3]
	v_fmac_f32_e32 v23, 0x3f317217, v13
	v_cndmask_b32_e32 v0, v0, v22, vcc
	v_cmp_lt_f32_e64 vcc, |v13|, s14
	v_sub_f32_e32 v0, v0, v19
	v_sub_f32_e32 v1, v1, v18
	v_cndmask_b32_e32 v12, v13, v23, vcc
	v_cmp_lt_f32_e32 vcc, s9, v14
	v_cndmask_b32_e64 v20, 0, v9, s[4:5]
	v_mul_f32_e32 v24, 0x3f317217, v21
	v_cndmask_b32_e32 v0, v0, v14, vcc
	v_cmp_lt_f32_e32 vcc, s9, v11
	v_mul_f32_e32 v13, 0x4f800000, v0
	v_cmp_gt_f32_e64 s[2:3], s12, v0
	v_cndmask_b32_e32 v1, v1, v11, vcc
	v_mul_f32_e32 v11, 0x4f800000, v1
	v_cmp_gt_f32_e32 vcc, s12, v1
	v_cndmask_b32_e64 v0, v0, v13, s[2:3]
	v_sqrt_f32_e32 v13, v0
	v_cndmask_b32_e32 v1, v1, v11, vcc
	v_sqrt_f32_e32 v11, v1
	v_sub_f32_e32 v14, v12, v20
	v_add_u32_e32 v19, -1, v13
	v_fma_f32 v25, -v19, v13, v0
	v_add_u32_e32 v12, -1, v11
	v_fma_f32 v22, -v12, v11, v1
	v_add_u32_e32 v18, 1, v11
	v_cmp_ge_f32_e64 s[4:5], 0, v22
	v_add_u32_e32 v20, 1, v13
	v_fma_f32 v23, -v18, v11, v1
	v_cndmask_b32_e64 v11, v11, v12, s[4:5]
	v_cmp_ge_f32_e64 s[4:5], 0, v25
	v_fma_f32 v26, -v20, v13, v0
	v_fma_f32 v24, v21, s13, -v24
	v_cndmask_b32_e64 v12, v13, v19, s[4:5]
	v_cmp_lt_f32_e64 s[4:5], 0, v23
	v_fmac_f32_e32 v24, 0x3377d1cf, v21
	v_fmac_f32_e32 v24, 0x3f317217, v21
	v_cndmask_b32_e64 v11, v11, v18, s[4:5]
	v_cmp_lt_f32_e64 s[4:5], 0, v26
	v_mul_f32_e32 v13, 0x37800000, v11
	v_cndmask_b32_e32 v11, v11, v13, vcc
	v_cndmask_b32_e64 v12, v12, v20, s[4:5]
	v_mul_f32_e32 v18, 0x37800000, v12
	v_cmp_class_f32_e32 vcc, v1, v17
	v_cndmask_b32_e64 v12, v12, v18, s[2:3]
	v_cmp_lt_f32_e64 s[2:3], s9, v16
	v_cndmask_b32_e32 v13, v11, v1, vcc
	v_cmp_class_f32_e32 vcc, v0, v17
	v_cndmask_b32_e64 v1, 0, v9, s[6:7]
	v_and_b32_e32 v19, 0xffff0000, v2
	v_cndmask_b32_e32 v12, v12, v0, vcc
	v_cmp_lt_f32_e64 vcc, |v21|, s14
	v_lshlrev_b32_e32 v2, 16, v2
	s_nop 0
	v_cndmask_b32_e32 v0, v21, v24, vcc
	v_cmp_lt_f32_e32 vcc, s9, v15
	v_sub_f32_e32 v0, v0, v1
	v_cndmask_b32_e64 v0, v0, v16, s[2:3]
	v_cndmask_b32_e32 v11, v14, v15, vcc
	v_mul_f32_e32 v14, 0x4f800000, v11
	v_cmp_gt_f32_e32 vcc, s12, v11
	s_nop 1
	v_cndmask_b32_e32 v11, v11, v14, vcc
	v_sqrt_f32_e32 v14, v11
	s_nop 0
	v_add_u32_e32 v1, -1, v14
	v_fma_f32 v15, -v1, v14, v11
	v_cmp_ge_f32_e64 s[2:3], 0, v15
	v_add_u32_e32 v15, 1, v14
	s_nop 0
	v_cndmask_b32_e64 v1, v14, v1, s[2:3]
	v_fma_f32 v14, -v15, v14, v11
	v_cmp_lt_f32_e64 s[2:3], 0, v14
	s_nop 1
	v_cndmask_b32_e64 v1, v1, v15, s[2:3]
	v_mul_f32_e32 v15, 0x4f800000, v0
	v_cmp_gt_f32_e64 s[2:3], s12, v0
	v_mul_f32_e32 v14, 0x37800000, v1
	v_cndmask_b32_e32 v1, v1, v14, vcc
	v_cndmask_b32_e64 v16, v0, v15, s[2:3]
	v_sqrt_f32_e32 v0, v16
	v_cmp_class_f32_e32 vcc, v11, v17
	v_add_u32_e32 v14, 1, v0
	s_nop 0
	v_cndmask_b32_e32 v15, v1, v11, vcc
	v_add_u32_e32 v1, -1, v0
	v_fma_f32 v11, -v1, v0, v16
	v_cmp_ge_f32_e32 vcc, 0, v11
	v_fma_f32 v18, -v14, v0, v16
	s_nop 0
	v_cndmask_b32_e32 v11, v0, v1, vcc
	v_mul_f32_e32 v0, 0x3fb8aa3b, v2
	v_mul_f32_e32 v1, 0x3fb8aa3b, v19
	v_exp_f32_e32 v0, v0
	v_exp_f32_e32 v1, v1
	v_cmp_lt_f32_e32 vcc, 0, v18
	v_pk_add_f32 v[0:1], v[0:1], 1.0 op_sel_hi:[1,0]
	s_nop 0
	v_cndmask_b32_e32 v11, v11, v14, vcc
	v_mul_f32_e32 v14, 0x37800000, v11
	v_cmp_gt_f32_e32 vcc, s15, v1
	v_cndmask_b32_e64 v11, v11, v14, s[2:3]
	v_cmp_class_f32_e64 s[2:3], v16, v17
	v_cndmask_b32_e32 v14, 1.0, v7, vcc
	v_mul_f32_e32 v1, v1, v14
	v_log_f32_e32 v1, v1
	v_cndmask_b32_e64 v14, v11, v16, s[2:3]
	v_cmp_gt_f32_e64 s[2:3], s15, v0
	scratch_store_dwordx4 off, v[12:15], off
	v_mul_f32_e32 v11, 0x3f317217, v1
	v_fma_f32 v11, v1, s13, -v11
	v_cndmask_b32_e64 v12, 1.0, v7, s[2:3]
	v_mul_f32_e32 v0, v0, v12
	v_log_f32_e32 v0, v0
	v_fmac_f32_e32 v11, 0x3377d1cf, v1
	v_fmac_f32_e32 v11, 0x3f317217, v1
	v_cmp_lt_f32_e64 s[4:5], |v1|, s14
	v_and_b32_e32 v14, 0xffff0000, v3
	v_lshlrev_b32_e32 v15, 16, v3
	v_cndmask_b32_e64 v1, v1, v11, s[4:5]
	v_cndmask_b32_e32 v11, 0, v9, vcc
	v_sub_f32_e32 v1, v1, v11
	v_mul_f32_e32 v11, 0x3f317217, v0
	v_fma_f32 v11, v0, s13, -v11
	v_fmac_f32_e32 v11, 0x3377d1cf, v0
	v_fmac_f32_e32 v11, 0x3f317217, v0
	v_cmp_lt_f32_e64 vcc, |v0|, s14
	v_mul_f32_e32 v3, 0x3fb8aa3b, v14
	v_exp_f32_e32 v3, v3
	v_cndmask_b32_e32 v0, v0, v11, vcc
	v_cmp_lt_f32_e32 vcc, s9, v19
	v_cndmask_b32_e64 v11, 0, v9, s[2:3]
	v_sub_f32_e32 v0, v0, v11
	v_cndmask_b32_e32 v1, v1, v19, vcc
	v_mul_f32_e32 v12, 0x4f800000, v1
	v_cmp_gt_f32_e32 vcc, s12, v1
	v_cmp_lt_f32_e64 s[2:3], s9, v2
	s_nop 0
	v_cndmask_b32_e32 v1, v1, v12, vcc
	v_sqrt_f32_e32 v12, v1
	v_cndmask_b32_e64 v0, v0, v2, s[2:3]
	v_add_u32_e32 v2, -1, v12
	v_fma_f32 v11, -v2, v12, v1
	v_cmp_ge_f32_e64 s[2:3], 0, v11
	v_add_u32_e32 v11, 1, v12
	s_nop 0
	v_cndmask_b32_e64 v2, v12, v2, s[2:3]
	v_fma_f32 v12, -v11, v12, v1
	v_cmp_lt_f32_e64 s[2:3], 0, v12
	v_mul_f32_e32 v12, 0x4f800000, v0
	s_nop 0
	v_cndmask_b32_e64 v2, v2, v11, s[2:3]
	v_cmp_gt_f32_e64 s[2:3], s12, v0
	v_mul_f32_e32 v11, 0x37800000, v2
	v_cndmask_b32_e32 v2, v2, v11, vcc
	v_cndmask_b32_e64 v0, v0, v12, s[2:3]
	v_sqrt_f32_e32 v12, v0
	v_cmp_class_f32_e32 vcc, v1, v17
	v_add_u32_e32 v13, 1, v12
	s_nop 0
	v_cndmask_b32_e32 v1, v2, v1, vcc
	v_add_u32_e32 v2, -1, v12
	v_fma_f32 v11, -v2, v12, v0
	v_cmp_ge_f32_e32 vcc, 0, v11
	s_nop 1
	v_cndmask_b32_e32 v11, v12, v2, vcc
	v_mul_f32_e32 v2, 0x3fb8aa3b, v15
	v_exp_f32_e32 v2, v2
	v_fma_f32 v12, -v13, v12, v0
	v_cmp_lt_f32_e32 vcc, 0, v12
	v_pk_add_f32 v[2:3], v[2:3], 1.0 op_sel_hi:[1,0]
	s_nop 0
	v_cndmask_b32_e32 v11, v11, v13, vcc
	v_cmp_gt_f32_e32 vcc, s15, v3
	v_mul_f32_e32 v12, 0x37800000, v11
	v_cndmask_b32_e64 v11, v11, v12, s[2:3]
	v_cndmask_b32_e32 v13, 1.0, v7, vcc
	v_mul_f32_e32 v3, v3, v13
	v_log_f32_e32 v3, v3
	v_cmp_class_f32_e64 s[2:3], v0, v17
	v_cmp_lt_f32_e64 s[4:5], |v3|, s14
	s_nop 0
	v_cndmask_b32_e64 v0, v11, v0, s[2:3]
	v_cmp_gt_f32_e64 s[2:3], s15, v2
	v_mul_f32_e32 v11, 0x3f317217, v3
	v_fma_f32 v11, v3, s13, -v11
	v_cndmask_b32_e64 v7, 1.0, v7, s[2:3]
	v_mul_f32_e32 v2, v2, v7
	v_log_f32_e32 v2, v2
	v_fmac_f32_e32 v11, 0x3377d1cf, v3
	v_fmac_f32_e32 v11, 0x3f317217, v3
	v_cndmask_b32_e64 v3, v3, v11, s[4:5]
	v_cndmask_b32_e32 v7, 0, v9, vcc
	v_sub_f32_e32 v3, v3, v7
	v_mul_f32_e32 v7, 0x3f317217, v2
	v_fma_f32 v7, v2, s13, -v7
	v_fmac_f32_e32 v7, 0x3377d1cf, v2
	v_fmac_f32_e32 v7, 0x3f317217, v2
	v_cmp_lt_f32_e64 vcc, |v2|, s14
	s_cselect_b64 s[4:5], -1, 0
	s_cmp_lt_i32 s33, 1
	v_cndmask_b32_e32 v2, v2, v7, vcc
	v_cmp_lt_f32_e32 vcc, s9, v14
	v_cndmask_b32_e64 v7, 0, v9, s[2:3]
	v_sub_f32_e32 v2, v2, v7
	v_cndmask_b32_e32 v3, v3, v14, vcc
	v_mul_f32_e32 v9, 0x4f800000, v3
	v_cmp_gt_f32_e32 vcc, s12, v3
	v_cmp_lt_f32_e64 s[2:3], s9, v15
	s_nop 0
	v_cndmask_b32_e32 v3, v3, v9, vcc
	v_sqrt_f32_e32 v9, v3
	v_cndmask_b32_e64 v2, v2, v15, s[2:3]
	v_add_u32_e32 v7, -1, v9
	v_fma_f32 v11, -v7, v9, v3
	v_cmp_ge_f32_e64 s[2:3], 0, v11
	v_add_u32_e32 v11, 1, v9
	s_nop 0
	v_cndmask_b32_e64 v7, v9, v7, s[2:3]
	v_fma_f32 v9, -v11, v9, v3
	v_cmp_lt_f32_e64 s[2:3], 0, v9
	s_nop 1
	v_cndmask_b32_e64 v7, v7, v11, s[2:3]
	v_mul_f32_e32 v11, 0x4f800000, v2
	v_cmp_gt_f32_e64 s[2:3], s12, v2
	v_mul_f32_e32 v9, 0x37800000, v7
	v_cndmask_b32_e32 v7, v7, v9, vcc
	v_cndmask_b32_e64 v2, v2, v11, s[2:3]
	v_sqrt_f32_e32 v11, v2
	v_cmp_class_f32_e32 vcc, v3, v17
	s_nop 1
	v_cndmask_b32_e32 v3, v7, v3, vcc
	v_add_u32_e32 v7, -1, v11
	v_fma_f32 v9, -v7, v11, v2
	v_cmp_ge_f32_e32 vcc, 0, v9
	v_add_u32_e32 v9, 1, v11
	s_nop 0
	v_cndmask_b32_e32 v7, v11, v7, vcc
	v_fma_f32 v11, -v9, v11, v2
	v_cmp_lt_f32_e32 vcc, 0, v11
	s_nop 1
	v_cndmask_b32_e32 v7, v7, v9, vcc
	v_mul_f32_e32 v9, 0x37800000, v7
	v_cndmask_b32_e64 v7, v7, v9, s[2:3]
	v_cmp_class_f32_e32 vcc, v2, v17
	s_nop 1
	v_cndmask_b32_e32 v2, v7, v2, vcc
	scratch_store_dwordx4 off, v[0:3], off offset:16
	s_nop 1
	v_lshl_add_u64 v[2:3], v[4:5], 2, s[10:11]
	v_mul_lo_u32 v0, v6, s33
	s_cbranch_scc1 .LBB440_29
; %bb.2:
	s_load_dwordx2 s[6:7], s[0:1], 0x20
	s_cmp_lt_u32 s33, 4
	v_and_b32_e32 v4, 3, v8
	s_cbranch_scc1 .LBB440_21
; %bb.3:
	v_lshlrev_b32_e32 v5, 3, v4
	s_mov_b32 s11, 0
	s_and_b32 s8, s33, 0x7ffffffc
	v_ashrrev_i32_e32 v1, 31, v0
	v_sub_u32_e32 v11, 0, v5
	v_mov_b32_e32 v5, 0
	s_mov_b32 s10, s11
	s_branch .LBB440_5
.LBB440_4:                              ;   in Loop: Header=BB440_5 Depth=1
	s_or_b64 exec, exec, s[12:13]
	s_add_i32 s10, s10, 4
	s_cmp_eq_u32 s10, s8
	s_cbranch_scc1 .LBB440_22
.LBB440_5:                              ; =>This Loop Header: Depth=1
                                        ;     Child Loop BB440_7 Depth 2
                                        ;     Child Loop BB440_11 Depth 2
	;; [unrolled: 1-line block ×4, first 2 shown]
	v_lshl_add_u64 v[6:7], s[10:11], 2, v[2:3]
	global_load_dword v12, v[6:7], off
	v_add_u32_e32 v8, s10, v0
	v_ashrrev_i32_e32 v9, 31, v8
	v_mov_b32_e32 v13, 0
	s_mov_b64 s[12:13], 0
	s_waitcnt lgkmcnt(0)
	v_lshl_add_u64 v[8:9], v[8:9], 2, s[6:7]
	s_mov_b32 s9, 0
	s_waitcnt vmcnt(0)
	v_add_u32_e32 v14, v11, v12
	s_branch .LBB440_7
.LBB440_6:                              ;   in Loop: Header=BB440_7 Depth=2
	s_or_b64 exec, exec, s[14:15]
	s_add_i32 s16, s9, 1
	s_cmp_gt_u32 s9, 6
	s_cselect_b64 s[2:3], -1, 0
	s_xor_b64 s[14:15], vcc, -1
	s_or_b64 s[2:3], s[14:15], s[2:3]
	s_and_b64 s[2:3], exec, s[2:3]
	v_add_u32_e32 v13, 4, v13
	s_or_b64 s[12:13], s[2:3], s[12:13]
	s_mov_b32 s9, s16
	s_andn2_b64 exec, exec, s[12:13]
	s_cbranch_execz .LBB440_9
.LBB440_7:                              ;   Parent Loop BB440_5 Depth=1
                                        ; =>  This Inner Loop Header: Depth=2
	v_cmp_ne_u32_e32 vcc, s9, v14
	v_cmp_eq_u32_e64 s[2:3], s9, v14
	s_and_saveexec_b64 s[14:15], s[2:3]
	s_cbranch_execz .LBB440_6
; %bb.8:                                ;   in Loop: Header=BB440_7 Depth=2
	scratch_load_dword v15, v13, off
	s_waitcnt vmcnt(0)
	v_add_f32_e32 v5, v5, v15
	global_store_dword v[8:9], v12, off
	s_branch .LBB440_6
.LBB440_9:                              ;   in Loop: Header=BB440_5 Depth=1
	s_or_b64 exec, exec, s[12:13]
	global_load_dword v12, v[6:7], off offset:4
	s_ashr_i32 s3, s10, 31
	s_mov_b32 s2, s10
	v_lshl_add_u64 v[8:9], s[2:3], 0, v[0:1]
	v_mov_b32_e32 v13, 0
	s_mov_b32 s9, 0
	v_lshl_add_u64 v[8:9], v[8:9], 2, s[6:7]
	s_mov_b64 s[12:13], 0
	s_waitcnt vmcnt(0)
	v_add_u32_e32 v14, v11, v12
	s_branch .LBB440_11
.LBB440_10:                             ;   in Loop: Header=BB440_11 Depth=2
	s_or_b64 exec, exec, s[14:15]
	s_add_i32 s16, s9, 1
	s_cmp_gt_u32 s9, 6
	s_cselect_b64 s[2:3], -1, 0
	s_xor_b64 s[14:15], vcc, -1
	s_or_b64 s[2:3], s[14:15], s[2:3]
	s_and_b64 s[2:3], exec, s[2:3]
	v_add_u32_e32 v13, 4, v13
	s_or_b64 s[12:13], s[2:3], s[12:13]
	s_mov_b32 s9, s16
	s_andn2_b64 exec, exec, s[12:13]
	s_cbranch_execz .LBB440_13
.LBB440_11:                             ;   Parent Loop BB440_5 Depth=1
                                        ; =>  This Inner Loop Header: Depth=2
	v_cmp_ne_u32_e32 vcc, s9, v14
	v_cmp_eq_u32_e64 s[2:3], s9, v14
	s_and_saveexec_b64 s[14:15], s[2:3]
	s_cbranch_execz .LBB440_10
; %bb.12:                               ;   in Loop: Header=BB440_11 Depth=2
	scratch_load_dword v15, v13, off
	s_waitcnt vmcnt(0)
	v_add_f32_e32 v5, v5, v15
	global_store_dword v[8:9], v12, off offset:4
	s_branch .LBB440_10
.LBB440_13:                             ;   in Loop: Header=BB440_5 Depth=1
	s_or_b64 exec, exec, s[12:13]
	global_load_dword v12, v[6:7], off offset:8
	v_mov_b32_e32 v13, 0
	s_mov_b32 s9, 0
	s_mov_b64 s[12:13], 0
	s_waitcnt vmcnt(0)
	v_add_u32_e32 v14, v11, v12
	s_branch .LBB440_15
.LBB440_14:                             ;   in Loop: Header=BB440_15 Depth=2
	s_or_b64 exec, exec, s[14:15]
	s_add_i32 s16, s9, 1
	s_cmp_gt_u32 s9, 6
	s_cselect_b64 s[2:3], -1, 0
	s_xor_b64 s[14:15], vcc, -1
	s_or_b64 s[2:3], s[14:15], s[2:3]
	s_and_b64 s[2:3], exec, s[2:3]
	v_add_u32_e32 v13, 4, v13
	s_or_b64 s[12:13], s[2:3], s[12:13]
	s_mov_b32 s9, s16
	s_andn2_b64 exec, exec, s[12:13]
	s_cbranch_execz .LBB440_17
.LBB440_15:                             ;   Parent Loop BB440_5 Depth=1
                                        ; =>  This Inner Loop Header: Depth=2
	v_cmp_ne_u32_e32 vcc, s9, v14
	v_cmp_eq_u32_e64 s[2:3], s9, v14
	s_and_saveexec_b64 s[14:15], s[2:3]
	s_cbranch_execz .LBB440_14
; %bb.16:                               ;   in Loop: Header=BB440_15 Depth=2
	scratch_load_dword v15, v13, off
	s_waitcnt vmcnt(0)
	v_add_f32_e32 v5, v5, v15
	global_store_dword v[8:9], v12, off offset:8
	s_branch .LBB440_14
.LBB440_17:                             ;   in Loop: Header=BB440_5 Depth=1
	s_or_b64 exec, exec, s[12:13]
	global_load_dword v6, v[6:7], off offset:12
	v_mov_b32_e32 v7, 0
	s_mov_b32 s9, 0
	s_mov_b64 s[12:13], 0
	s_waitcnt vmcnt(0)
	v_add_u32_e32 v12, v11, v6
	s_branch .LBB440_19
.LBB440_18:                             ;   in Loop: Header=BB440_19 Depth=2
	s_or_b64 exec, exec, s[14:15]
	s_add_i32 s16, s9, 1
	s_cmp_gt_u32 s9, 6
	s_cselect_b64 s[2:3], -1, 0
	s_xor_b64 s[14:15], vcc, -1
	s_or_b64 s[2:3], s[14:15], s[2:3]
	s_and_b64 s[2:3], exec, s[2:3]
	v_add_u32_e32 v7, 4, v7
	s_or_b64 s[12:13], s[2:3], s[12:13]
	s_mov_b32 s9, s16
	s_andn2_b64 exec, exec, s[12:13]
	s_cbranch_execz .LBB440_4
.LBB440_19:                             ;   Parent Loop BB440_5 Depth=1
                                        ; =>  This Inner Loop Header: Depth=2
	v_cmp_ne_u32_e32 vcc, s9, v12
	v_cmp_eq_u32_e64 s[2:3], s9, v12
	s_and_saveexec_b64 s[14:15], s[2:3]
	s_cbranch_execz .LBB440_18
; %bb.20:                               ;   in Loop: Header=BB440_19 Depth=2
	scratch_load_dword v13, v7, off
	s_waitcnt vmcnt(0)
	v_add_f32_e32 v5, v5, v13
	global_store_dword v[8:9], v6, off offset:12
	s_branch .LBB440_18
.LBB440_21:
	v_mov_b32_e32 v5, 0
.LBB440_22:
	s_and_b32 s14, s33, 3
	s_cmp_eq_u32 s14, 0
	s_mov_b32 s9, 0
	s_cbranch_scc1 .LBB440_29
; %bb.23:
	v_lshlrev_b32_e32 v1, 3, v4
	v_sub_u32_e32 v1, 0, v1
	s_mov_b32 s15, s9
	s_branch .LBB440_25
.LBB440_24:                             ;   in Loop: Header=BB440_25 Depth=1
	s_or_b64 exec, exec, s[10:11]
	s_add_i32 s8, s8, 1
	s_add_i32 s15, s15, 1
	s_cmp_lg_u32 s15, s14
	s_cbranch_scc0 .LBB440_29
.LBB440_25:                             ; =>This Loop Header: Depth=1
                                        ;     Child Loop BB440_27 Depth 2
	v_lshl_add_u64 v[6:7], s[8:9], 2, v[2:3]
	global_load_dword v4, v[6:7], off
	v_add_u32_e32 v6, s8, v0
	v_ashrrev_i32_e32 v7, 31, v6
	v_mov_b32_e32 v8, 0
	s_mov_b32 s16, 0
	s_waitcnt lgkmcnt(0)
	v_lshl_add_u64 v[6:7], v[6:7], 2, s[6:7]
	s_mov_b64 s[10:11], 0
	s_waitcnt vmcnt(0)
	v_add_u32_e32 v9, v1, v4
	s_branch .LBB440_27
.LBB440_26:                             ;   in Loop: Header=BB440_27 Depth=2
	s_or_b64 exec, exec, s[12:13]
	s_add_i32 s17, s16, 1
	s_cmp_gt_u32 s16, 6
	s_cselect_b64 s[2:3], -1, 0
	s_xor_b64 s[12:13], vcc, -1
	s_or_b64 s[2:3], s[12:13], s[2:3]
	s_and_b64 s[2:3], exec, s[2:3]
	v_add_u32_e32 v8, 4, v8
	s_or_b64 s[10:11], s[2:3], s[10:11]
	s_mov_b32 s16, s17
	s_andn2_b64 exec, exec, s[10:11]
	s_cbranch_execz .LBB440_24
.LBB440_27:                             ;   Parent Loop BB440_25 Depth=1
                                        ; =>  This Inner Loop Header: Depth=2
	v_cmp_ne_u32_e32 vcc, s16, v9
	v_cmp_eq_u32_e64 s[2:3], s16, v9
	s_and_saveexec_b64 s[12:13], s[2:3]
	s_cbranch_execz .LBB440_26
; %bb.28:                               ;   in Loop: Header=BB440_27 Depth=2
	scratch_load_dword v11, v8, off
	s_waitcnt vmcnt(0)
	v_add_f32_e32 v5, v5, v11
	global_store_dword v[6:7], v4, off
	s_branch .LBB440_26
.LBB440_29:
	s_waitcnt lgkmcnt(0)
	s_load_dword s6, s[0:1], 0x3c
	s_waitcnt lgkmcnt(0)
	s_bitcmp1_b32 s6, 0
	s_cselect_b64 s[2:3], -1, 0
	s_bitcmp0_b32 s6, 0
	s_cbranch_scc0 .LBB440_33
; %bb.30:
	s_load_dwordx2 s[6:7], s[0:1], 0x40
	s_andn2_b64 vcc, exec, s[2:3]
	s_waitcnt lgkmcnt(0)
	v_cvt_f32_f64_e32 v8, s[6:7]
	s_cbranch_vccz .LBB440_34
.LBB440_31:
	s_andn2_b64 vcc, exec, s[4:5]
	s_cbranch_vccz .LBB440_35
.LBB440_32:
	s_endpgm
.LBB440_33:
	v_mbcnt_lo_u32_b32 v1, -1, 0
	v_mbcnt_hi_u32_b32 v1, -1, v1
	v_and_b32_e32 v4, 0x7c, v1
	v_add_u32_e32 v4, 4, v4
	v_xor_b32_e32 v6, 2, v1
	v_cmp_lt_i32_e32 vcc, v6, v4
	v_xor_b32_e32 v7, 1, v1
	s_nop 0
	v_cndmask_b32_e32 v6, v1, v6, vcc
	v_lshlrev_b32_e32 v6, 2, v6
	ds_bpermute_b32 v6, v6, v5
	v_cmp_lt_i32_e32 vcc, v7, v4
	s_waitcnt lgkmcnt(0)
	v_add_f32_e32 v5, v5, v6
	v_cndmask_b32_e32 v1, v1, v7, vcc
	v_lshlrev_b32_e32 v1, 2, v1
	ds_bpermute_b32 v1, v1, v5
	s_waitcnt lgkmcnt(0)
	v_add_f32_e32 v5, v5, v1
	s_load_dwordx2 s[6:7], s[0:1], 0x40
	s_andn2_b64 vcc, exec, s[2:3]
	s_waitcnt lgkmcnt(0)
	v_cvt_f32_f64_e32 v8, s[6:7]
	s_cbranch_vccnz .LBB440_31
.LBB440_34:
	v_cmp_lt_f32_e32 vcc, 0, v5
	s_nop 1
	v_cndmask_b32_e32 v1, 1.0, v5, vcc
	v_div_scale_f32 v4, s[2:3], v1, v1, v8
	v_rcp_f32_e32 v5, v4
	s_nop 0
	v_fma_f32 v6, -v4, v5, 1.0
	v_fmac_f32_e32 v5, v6, v5
	v_div_scale_f32 v6, vcc, v8, v1, v8
	v_mul_f32_e32 v7, v6, v5
	v_fma_f32 v9, -v4, v7, v6
	v_fmac_f32_e32 v7, v9, v5
	v_fma_f32 v4, -v4, v7, v6
	v_div_fmas_f32 v4, v4, v5, v7
	v_div_fixup_f32 v8, v4, v1, v8
	s_andn2_b64 vcc, exec, s[4:5]
	s_cbranch_vccnz .LBB440_32
.LBB440_35:
	s_load_dwordx2 s[12:13], s[0:1], 0x10
	v_mov_b32_e32 v1, 0
	v_or_b32_e32 v20, 4, v1
	v_or_b32_e32 v18, 8, v1
	;; [unrolled: 1-line block ×3, first 2 shown]
	v_add_u32_e32 v14, 16, v1
	v_add_u32_e32 v12, 20, v1
	v_add_u32_e32 v9, 24, v1
	v_add_u32_e32 v11, 28, v1
	v_or_b32_e32 v23, 1, v10
	v_or_b32_e32 v22, 2, v10
	;; [unrolled: 1-line block ×7, first 2 shown]
	s_cmp_eq_u32 s33, 1
	s_mov_b32 s14, 0
	s_cbranch_scc1 .LBB440_70
; %bb.36:
	v_ashrrev_i32_e32 v1, 31, v0
	s_waitcnt lgkmcnt(0)
	v_lshl_add_u64 v[4:5], v[0:1], 2, s[12:13]
	s_and_b32 s14, s33, 0x7ffffffe
	v_lshl_add_u64 v[4:5], v[4:5], 0, 4
	v_lshl_add_u64 v[6:7], v[2:3], 0, 4
	s_mov_b32 s15, 0
	s_branch .LBB440_38
.LBB440_37:                             ;   in Loop: Header=BB440_38 Depth=1
	s_or_b64 exec, exec, s[0:1]
	s_add_i32 s15, s15, 2
	v_lshl_add_u64 v[4:5], v[4:5], 0, 8
	s_cmp_eq_u32 s14, s15
	v_lshl_add_u64 v[6:7], v[6:7], 0, 8
	s_cbranch_scc1 .LBB440_70
.LBB440_38:                             ; =>This Inner Loop Header: Depth=1
	global_load_dword v24, v[6:7], off offset:-4
	v_mov_b32_e32 v1, 0
	s_waitcnt vmcnt(0)
	v_cmp_eq_u32_e32 vcc, v24, v10
	v_cmp_ne_u32_e64 s[0:1], v24, v10
	s_and_saveexec_b64 s[16:17], s[0:1]
	s_cbranch_execz .LBB440_52
; %bb.39:                               ;   in Loop: Header=BB440_38 Depth=1
	v_cmp_eq_u32_e64 s[0:1], v24, v23
	v_cmp_ne_u32_e64 s[2:3], v24, v23
	v_mov_b32_e32 v1, v20
	s_and_saveexec_b64 s[18:19], s[2:3]
	s_cbranch_execz .LBB440_51
; %bb.40:                               ;   in Loop: Header=BB440_38 Depth=1
	v_cmp_eq_u32_e64 s[2:3], v24, v22
	v_cmp_ne_u32_e64 s[4:5], v24, v22
	v_mov_b32_e32 v1, v18
	;; [unrolled: 6-line block ×6, first 2 shown]
	s_and_saveexec_b64 s[30:31], s[10:11]
	s_xor_b64 s[30:31], exec, s[30:31]
; %bb.45:                               ;   in Loop: Header=BB440_38 Depth=1
	v_cmp_eq_u32_e64 s[10:11], v24, v13
	s_andn2_b64 s[28:29], s[28:29], exec
	s_and_b64 s[10:11], s[10:11], exec
	s_or_b64 s[28:29], s[28:29], s[10:11]
	v_mov_b32_e32 v1, v11
; %bb.46:                               ;   in Loop: Header=BB440_38 Depth=1
	s_or_b64 exec, exec, s[30:31]
	s_andn2_b64 s[8:9], s[8:9], exec
	s_and_b64 s[10:11], s[28:29], exec
	s_or_b64 s[8:9], s[8:9], s[10:11]
.LBB440_47:                             ;   in Loop: Header=BB440_38 Depth=1
	s_or_b64 exec, exec, s[26:27]
	s_andn2_b64 s[6:7], s[6:7], exec
	s_and_b64 s[8:9], s[8:9], exec
	s_or_b64 s[6:7], s[6:7], s[8:9]
.LBB440_48:                             ;   in Loop: Header=BB440_38 Depth=1
	s_or_b64 exec, exec, s[24:25]
	s_andn2_b64 s[4:5], s[4:5], exec
	s_and_b64 s[6:7], s[6:7], exec
	s_or_b64 s[4:5], s[4:5], s[6:7]
.LBB440_49:                             ;   in Loop: Header=BB440_38 Depth=1
	s_or_b64 exec, exec, s[22:23]
	s_andn2_b64 s[2:3], s[2:3], exec
	s_and_b64 s[4:5], s[4:5], exec
	s_or_b64 s[2:3], s[2:3], s[4:5]
.LBB440_50:                             ;   in Loop: Header=BB440_38 Depth=1
	s_or_b64 exec, exec, s[20:21]
	s_andn2_b64 s[0:1], s[0:1], exec
	s_and_b64 s[2:3], s[2:3], exec
	s_or_b64 s[0:1], s[0:1], s[2:3]
.LBB440_51:                             ;   in Loop: Header=BB440_38 Depth=1
	s_or_b64 exec, exec, s[18:19]
	s_andn2_b64 s[2:3], vcc, exec
	s_and_b64 s[0:1], s[0:1], exec
	s_or_b64 vcc, s[2:3], s[0:1]
.LBB440_52:                             ;   in Loop: Header=BB440_38 Depth=1
	s_or_b64 exec, exec, s[16:17]
	s_and_saveexec_b64 s[0:1], vcc
	s_cbranch_execz .LBB440_54
; %bb.53:                               ;   in Loop: Header=BB440_38 Depth=1
	scratch_load_dword v1, v1, off
	v_add_u32_e32 v24, s15, v0
	v_ashrrev_i32_e32 v25, 31, v24
	v_lshl_add_u64 v[24:25], v[24:25], 2, s[12:13]
	s_waitcnt vmcnt(0)
	v_mul_f32_e32 v1, v8, v1
	global_store_dword v[24:25], v1, off
.LBB440_54:                             ;   in Loop: Header=BB440_38 Depth=1
	s_or_b64 exec, exec, s[0:1]
	global_load_dword v24, v[6:7], off
	v_mov_b32_e32 v1, 0
	s_waitcnt vmcnt(0)
	v_cmp_eq_u32_e64 s[8:9], v24, v10
	v_cmp_ne_u32_e32 vcc, v24, v10
	s_and_saveexec_b64 s[10:11], vcc
	s_cbranch_execz .LBB440_68
; %bb.55:                               ;   in Loop: Header=BB440_38 Depth=1
	v_cmp_eq_u32_e32 vcc, v24, v23
	v_cmp_ne_u32_e64 s[0:1], v24, v23
	v_mov_b32_e32 v1, v20
	s_and_saveexec_b64 s[16:17], s[0:1]
	s_cbranch_execz .LBB440_67
; %bb.56:                               ;   in Loop: Header=BB440_38 Depth=1
	v_cmp_eq_u32_e64 s[0:1], v24, v22
	v_cmp_ne_u32_e64 s[2:3], v24, v22
	v_mov_b32_e32 v1, v18
	s_and_saveexec_b64 s[18:19], s[2:3]
	s_cbranch_execz .LBB440_66
; %bb.57:                               ;   in Loop: Header=BB440_38 Depth=1
	v_cmp_eq_u32_e64 s[2:3], v24, v21
	v_cmp_ne_u32_e64 s[4:5], v24, v21
	v_mov_b32_e32 v1, v16
	s_and_saveexec_b64 s[20:21], s[4:5]
	s_cbranch_execz .LBB440_65
; %bb.58:                               ;   in Loop: Header=BB440_38 Depth=1
	v_cmp_eq_u32_e64 s[4:5], v24, v19
	v_cmp_ne_u32_e64 s[6:7], v24, v19
	v_mov_b32_e32 v1, v14
	s_and_saveexec_b64 s[22:23], s[6:7]
	s_cbranch_execz .LBB440_64
; %bb.59:                               ;   in Loop: Header=BB440_38 Depth=1
	v_cmp_eq_u32_e64 s[24:25], v24, v17
	v_cmp_ne_u32_e64 s[6:7], v24, v17
	v_mov_b32_e32 v1, v12
	s_and_saveexec_b64 s[26:27], s[6:7]
	s_cbranch_execz .LBB440_63
; %bb.60:                               ;   in Loop: Header=BB440_38 Depth=1
	v_cmp_eq_u32_e64 s[28:29], v24, v15
	v_cmp_ne_u32_e64 s[6:7], v24, v15
	v_mov_b32_e32 v1, v9
	s_and_saveexec_b64 s[30:31], s[6:7]
; %bb.61:                               ;   in Loop: Header=BB440_38 Depth=1
	v_cmp_eq_u32_e64 s[6:7], v24, v13
	s_andn2_b64 s[28:29], s[28:29], exec
	s_and_b64 s[6:7], s[6:7], exec
	s_or_b64 s[28:29], s[28:29], s[6:7]
	v_mov_b32_e32 v1, v11
; %bb.62:                               ;   in Loop: Header=BB440_38 Depth=1
	s_or_b64 exec, exec, s[30:31]
	s_andn2_b64 s[6:7], s[24:25], exec
	s_and_b64 s[24:25], s[28:29], exec
	s_or_b64 s[24:25], s[6:7], s[24:25]
.LBB440_63:                             ;   in Loop: Header=BB440_38 Depth=1
	s_or_b64 exec, exec, s[26:27]
	s_andn2_b64 s[4:5], s[4:5], exec
	s_and_b64 s[6:7], s[24:25], exec
	s_or_b64 s[4:5], s[4:5], s[6:7]
.LBB440_64:                             ;   in Loop: Header=BB440_38 Depth=1
	s_or_b64 exec, exec, s[22:23]
	s_andn2_b64 s[2:3], s[2:3], exec
	s_and_b64 s[4:5], s[4:5], exec
	s_or_b64 s[2:3], s[2:3], s[4:5]
.LBB440_65:                             ;   in Loop: Header=BB440_38 Depth=1
	s_or_b64 exec, exec, s[20:21]
	s_andn2_b64 s[0:1], s[0:1], exec
	s_and_b64 s[2:3], s[2:3], exec
	s_or_b64 s[0:1], s[0:1], s[2:3]
.LBB440_66:                             ;   in Loop: Header=BB440_38 Depth=1
	s_or_b64 exec, exec, s[18:19]
	s_andn2_b64 s[2:3], vcc, exec
	s_and_b64 s[0:1], s[0:1], exec
	s_or_b64 vcc, s[2:3], s[0:1]
.LBB440_67:                             ;   in Loop: Header=BB440_38 Depth=1
	s_or_b64 exec, exec, s[16:17]
	s_andn2_b64 s[0:1], s[8:9], exec
	s_and_b64 s[2:3], vcc, exec
	s_or_b64 s[8:9], s[0:1], s[2:3]
.LBB440_68:                             ;   in Loop: Header=BB440_38 Depth=1
	s_or_b64 exec, exec, s[10:11]
	s_and_saveexec_b64 s[0:1], s[8:9]
	s_cbranch_execz .LBB440_37
; %bb.69:                               ;   in Loop: Header=BB440_38 Depth=1
	scratch_load_dword v1, v1, off
	s_waitcnt vmcnt(0)
	v_mul_f32_e32 v1, v8, v1
	global_store_dword v[4:5], v1, off
	s_branch .LBB440_37
.LBB440_70:
	s_bitcmp0_b32 s33, 0
	s_mov_b32 s15, 0
	s_cbranch_scc1 .LBB440_32
; %bb.71:
	v_lshl_add_u64 v[2:3], s[14:15], 2, v[2:3]
	global_load_dword v1, v[2:3], off
	v_mov_b32_e32 v2, 0
	s_waitcnt vmcnt(0)
	v_cmp_eq_u32_e64 s[8:9], v1, v10
	v_cmp_ne_u32_e32 vcc, v1, v10
	s_and_saveexec_b64 s[10:11], vcc
	s_cbranch_execz .LBB440_85
; %bb.72:
	v_cmp_eq_u32_e32 vcc, v1, v23
	v_cmp_ne_u32_e64 s[0:1], v1, v23
	s_and_saveexec_b64 s[16:17], s[0:1]
	s_cbranch_execz .LBB440_84
; %bb.73:
	v_cmp_eq_u32_e64 s[0:1], v1, v22
	v_cmp_ne_u32_e64 s[2:3], v1, v22
	s_and_saveexec_b64 s[18:19], s[2:3]
	s_cbranch_execz .LBB440_83
; %bb.74:
	v_cmp_eq_u32_e64 s[2:3], v1, v21
	v_cmp_ne_u32_e64 s[4:5], v1, v21
	s_and_saveexec_b64 s[20:21], s[4:5]
	s_cbranch_execz .LBB440_82
; %bb.75:
	v_cmp_eq_u32_e64 s[4:5], v1, v19
	v_cmp_ne_u32_e64 s[6:7], v1, v19
	s_and_saveexec_b64 s[22:23], s[6:7]
	s_cbranch_execz .LBB440_81
; %bb.76:
	v_cmp_eq_u32_e64 s[24:25], v1, v17
	v_cmp_ne_u32_e64 s[6:7], v1, v17
	s_and_saveexec_b64 s[26:27], s[6:7]
	s_cbranch_execz .LBB440_80
; %bb.77:
	v_cmp_eq_u32_e64 s[28:29], v1, v15
	v_cmp_ne_u32_e64 s[6:7], v1, v15
	s_and_saveexec_b64 s[30:31], s[6:7]
; %bb.78:
	v_cmp_eq_u32_e64 s[6:7], v1, v13
	s_andn2_b64 s[28:29], s[28:29], exec
	s_and_b64 s[6:7], s[6:7], exec
	s_or_b64 s[28:29], s[28:29], s[6:7]
	v_mov_b32_e32 v9, v11
; %bb.79:
	s_or_b64 exec, exec, s[30:31]
	s_andn2_b64 s[6:7], s[24:25], exec
	s_and_b64 s[24:25], s[28:29], exec
	s_or_b64 s[24:25], s[6:7], s[24:25]
	v_mov_b32_e32 v12, v9
.LBB440_80:
	s_or_b64 exec, exec, s[26:27]
	s_andn2_b64 s[4:5], s[4:5], exec
	s_and_b64 s[6:7], s[24:25], exec
	s_or_b64 s[4:5], s[4:5], s[6:7]
	v_mov_b32_e32 v14, v12
.LBB440_81:
	s_or_b64 exec, exec, s[22:23]
	s_andn2_b64 s[2:3], s[2:3], exec
	s_and_b64 s[4:5], s[4:5], exec
	s_or_b64 s[2:3], s[2:3], s[4:5]
	v_mov_b32_e32 v16, v14
.LBB440_82:
	s_or_b64 exec, exec, s[20:21]
	s_andn2_b64 s[0:1], s[0:1], exec
	s_and_b64 s[2:3], s[2:3], exec
	s_or_b64 s[0:1], s[0:1], s[2:3]
	v_mov_b32_e32 v18, v16
.LBB440_83:
	s_or_b64 exec, exec, s[18:19]
	s_andn2_b64 s[2:3], vcc, exec
	s_and_b64 s[0:1], s[0:1], exec
	s_or_b64 vcc, s[2:3], s[0:1]
	v_mov_b32_e32 v20, v18
.LBB440_84:
	s_or_b64 exec, exec, s[16:17]
	s_andn2_b64 s[0:1], s[8:9], exec
	s_and_b64 s[2:3], vcc, exec
	s_or_b64 s[8:9], s[0:1], s[2:3]
	v_mov_b32_e32 v2, v20
.LBB440_85:
	s_or_b64 exec, exec, s[10:11]
	s_and_b64 exec, exec, s[8:9]
	s_cbranch_execz .LBB440_32
; %bb.86:
	scratch_load_dword v2, v2, off
	v_add_u32_e32 v0, s14, v0
	v_ashrrev_i32_e32 v1, 31, v0
	s_waitcnt lgkmcnt(0)
	v_lshl_add_u64 v[0:1], v[0:1], 2, s[12:13]
	s_waitcnt vmcnt(0)
	v_mul_f32_e32 v2, v8, v2
	global_store_dword v[0:1], v2, off
	s_endpgm
	.section	.rodata,"a",@progbits
	.p2align	6, 0x0
	.amdhsa_kernel _ZN4vllm3moe22topkGatingSoftplusSqrtILi8ELi32ELi4ELi16ELi64ELb1Ej14__hip_bfloat16EEvPKT6_PKbPfiPT5_PiiiibdPKfPKS9_SF_
		.amdhsa_group_segment_fixed_size 0
		.amdhsa_private_segment_fixed_size 48
		.amdhsa_kernarg_size 96
		.amdhsa_user_sgpr_count 2
		.amdhsa_user_sgpr_dispatch_ptr 0
		.amdhsa_user_sgpr_queue_ptr 0
		.amdhsa_user_sgpr_kernarg_segment_ptr 1
		.amdhsa_user_sgpr_dispatch_id 0
		.amdhsa_user_sgpr_kernarg_preload_length 0
		.amdhsa_user_sgpr_kernarg_preload_offset 0
		.amdhsa_user_sgpr_private_segment_size 0
		.amdhsa_uses_dynamic_stack 0
		.amdhsa_enable_private_segment 1
		.amdhsa_system_sgpr_workgroup_id_x 1
		.amdhsa_system_sgpr_workgroup_id_y 0
		.amdhsa_system_sgpr_workgroup_id_z 0
		.amdhsa_system_sgpr_workgroup_info 0
		.amdhsa_system_vgpr_workitem_id 1
		.amdhsa_next_free_vgpr 27
		.amdhsa_next_free_sgpr 34
		.amdhsa_accum_offset 28
		.amdhsa_reserve_vcc 1
		.amdhsa_float_round_mode_32 0
		.amdhsa_float_round_mode_16_64 0
		.amdhsa_float_denorm_mode_32 3
		.amdhsa_float_denorm_mode_16_64 3
		.amdhsa_dx10_clamp 1
		.amdhsa_ieee_mode 1
		.amdhsa_fp16_overflow 0
		.amdhsa_tg_split 0
		.amdhsa_exception_fp_ieee_invalid_op 0
		.amdhsa_exception_fp_denorm_src 0
		.amdhsa_exception_fp_ieee_div_zero 0
		.amdhsa_exception_fp_ieee_overflow 0
		.amdhsa_exception_fp_ieee_underflow 0
		.amdhsa_exception_fp_ieee_inexact 0
		.amdhsa_exception_int_div_zero 0
	.end_amdhsa_kernel
	.section	.text._ZN4vllm3moe22topkGatingSoftplusSqrtILi8ELi32ELi4ELi16ELi64ELb1Ej14__hip_bfloat16EEvPKT6_PKbPfiPT5_PiiiibdPKfPKS9_SF_,"axG",@progbits,_ZN4vllm3moe22topkGatingSoftplusSqrtILi8ELi32ELi4ELi16ELi64ELb1Ej14__hip_bfloat16EEvPKT6_PKbPfiPT5_PiiiibdPKfPKS9_SF_,comdat
.Lfunc_end440:
	.size	_ZN4vllm3moe22topkGatingSoftplusSqrtILi8ELi32ELi4ELi16ELi64ELb1Ej14__hip_bfloat16EEvPKT6_PKbPfiPT5_PiiiibdPKfPKS9_SF_, .Lfunc_end440-_ZN4vllm3moe22topkGatingSoftplusSqrtILi8ELi32ELi4ELi16ELi64ELb1Ej14__hip_bfloat16EEvPKT6_PKbPfiPT5_PiiiibdPKfPKS9_SF_
                                        ; -- End function
	.section	.AMDGPU.csdata,"",@progbits
; Kernel info:
; codeLenInByte = 4488
; NumSgprs: 40
; NumVgprs: 27
; NumAgprs: 0
; TotalNumVgprs: 27
; ScratchSize: 48
; MemoryBound: 0
; FloatMode: 240
; IeeeMode: 1
; LDSByteSize: 0 bytes/workgroup (compile time only)
; SGPRBlocks: 4
; VGPRBlocks: 3
; NumSGPRsForWavesPerEU: 40
; NumVGPRsForWavesPerEU: 27
; AccumOffset: 28
; Occupancy: 8
; WaveLimiterHint : 1
; COMPUTE_PGM_RSRC2:SCRATCH_EN: 1
; COMPUTE_PGM_RSRC2:USER_SGPR: 2
; COMPUTE_PGM_RSRC2:TRAP_HANDLER: 0
; COMPUTE_PGM_RSRC2:TGID_X_EN: 1
; COMPUTE_PGM_RSRC2:TGID_Y_EN: 0
; COMPUTE_PGM_RSRC2:TGID_Z_EN: 0
; COMPUTE_PGM_RSRC2:TIDIG_COMP_CNT: 1
; COMPUTE_PGM_RSRC3_GFX90A:ACCUM_OFFSET: 6
; COMPUTE_PGM_RSRC3_GFX90A:TG_SPLIT: 0
	.section	.text._ZN4vllm3moe22topkGatingSoftplusSqrtILi8ELi32ELi4ELi16ELi64ELb0Ej14__hip_bfloat16EEvPKT6_PKbPfiPT5_PiiiibdPKfPKS9_SF_,"axG",@progbits,_ZN4vllm3moe22topkGatingSoftplusSqrtILi8ELi32ELi4ELi16ELi64ELb0Ej14__hip_bfloat16EEvPKT6_PKbPfiPT5_PiiiibdPKfPKS9_SF_,comdat
	.protected	_ZN4vllm3moe22topkGatingSoftplusSqrtILi8ELi32ELi4ELi16ELi64ELb0Ej14__hip_bfloat16EEvPKT6_PKbPfiPT5_PiiiibdPKfPKS9_SF_ ; -- Begin function _ZN4vllm3moe22topkGatingSoftplusSqrtILi8ELi32ELi4ELi16ELi64ELb0Ej14__hip_bfloat16EEvPKT6_PKbPfiPT5_PiiiibdPKfPKS9_SF_
	.globl	_ZN4vllm3moe22topkGatingSoftplusSqrtILi8ELi32ELi4ELi16ELi64ELb0Ej14__hip_bfloat16EEvPKT6_PKbPfiPT5_PiiiibdPKfPKS9_SF_
	.p2align	8
	.type	_ZN4vllm3moe22topkGatingSoftplusSqrtILi8ELi32ELi4ELi16ELi64ELb0Ej14__hip_bfloat16EEvPKT6_PKbPfiPT5_PiiiibdPKfPKS9_SF_,@function
_ZN4vllm3moe22topkGatingSoftplusSqrtILi8ELi32ELi4ELi16ELi64ELb0Ej14__hip_bfloat16EEvPKT6_PKbPfiPT5_PiiiibdPKfPKS9_SF_: ; @_ZN4vllm3moe22topkGatingSoftplusSqrtILi8ELi32ELi4ELi16ELi64ELb0Ej14__hip_bfloat16EEvPKT6_PKbPfiPT5_PiiiibdPKfPKS9_SF_
; %bb.0:
	s_load_dword s33, s[0:1], 0x18
	v_bfe_u32 v1, v0, 10, 10
	v_and_b32_e32 v0, 0x3ff, v0
	s_lshl_b32 s2, s2, 6
	v_lshlrev_b32_e32 v1, 4, v1
	v_lshrrev_b32_e32 v2, 2, v0
	v_add3_u32 v8, s2, v1, v2
	s_waitcnt lgkmcnt(0)
	v_cmp_gt_i32_e32 vcc, s33, v8
	s_and_saveexec_b64 s[2:3], vcc
	s_cbranch_execz .LBB441_53
; %bb.1:
	s_load_dwordx4 s[4:7], s[0:1], 0x0
	s_load_dwordx2 s[34:35], s[0:1], 0x10
	s_waitcnt lgkmcnt(0)
	s_cmp_eq_u64 s[6:7], 0
	s_cbranch_scc1 .LBB441_3
; %bb.2:
	v_ashrrev_i32_e32 v9, 31, v8
	v_lshl_add_u64 v[2:3], s[6:7], 0, v[8:9]
	global_load_ubyte v1, v[2:3], off
	s_waitcnt vmcnt(0)
	v_and_b32_e32 v1, 1, v1
	v_cmp_eq_u32_e32 vcc, 1, v1
	s_xor_b64 s[2:3], vcc, -1
	s_orn2_b64 s[36:37], s[2:3], exec
	s_branch .LBB441_4
.LBB441_3:
	s_mov_b64 s[36:37], -1
.LBB441_4:
	v_lshlrev_b32_e32 v4, 5, v8
	v_mov_b32_e32 v2, s4
	v_mov_b32_e32 v3, s5
	v_ashrrev_i32_e32 v5, 31, v4
	v_and_b32_e32 v9, 3, v0
	v_lshl_add_u64 v[2:3], v[4:5], 1, v[2:3]
	v_mov_b32_e32 v1, 0
	v_lshlrev_b32_e32 v0, 4, v9
	v_lshl_add_u64 v[0:1], v[2:3], 0, v[0:1]
	global_load_dwordx4 v[4:7], v[0:1], off
	s_mov_b32 s12, 0x800000
	v_mov_b32_e32 v2, 0x4f800000
	s_mov_b32 s9, 0x3f317217
	s_mov_b32 s10, 0x7f800000
	v_mov_b32_e32 v3, 0x41b17218
	s_mov_b32 s8, 0x41a00000
	s_mov_b32 s11, 0xf800000
	s_load_dwordx4 s[20:23], s[0:1], 0x40
	v_lshlrev_b32_e32 v12, 3, v9
	s_waitcnt lgkmcnt(0)
	s_cmp_lg_u64 s[22:23], 0
	s_cselect_b64 s[6:7], -1, 0
	s_and_b64 s[2:3], exec, s[6:7]
	s_waitcnt vmcnt(0)
	v_lshlrev_b32_e32 v0, 16, v4
	v_mul_f32_e32 v1, 0x3fb8aa3b, v0
	v_exp_f32_e32 v10, v1
	v_mov_b32_e32 v1, 0x260
	v_add_f32_e32 v10, 1.0, v10
	v_cmp_gt_f32_e32 vcc, s12, v10
	s_nop 1
	v_cndmask_b32_e32 v11, 1.0, v2, vcc
	v_mul_f32_e32 v10, v10, v11
	v_log_f32_e32 v11, v10
	v_cndmask_b32_e32 v13, 0, v3, vcc
	v_lshlrev_b32_e32 v10, 2, v12
	v_mul_f32_e32 v14, 0x3f317217, v11
	v_fma_f32 v14, v11, s9, -v14
	v_fmac_f32_e32 v14, 0x3377d1cf, v11
	v_fmac_f32_e32 v14, 0x3f317217, v11
	v_cmp_lt_f32_e64 vcc, |v11|, s10
	s_nop 1
	v_cndmask_b32_e32 v11, v11, v14, vcc
	v_sub_f32_e32 v11, v11, v13
	v_cmp_lt_f32_e32 vcc, s8, v0
	s_nop 1
	v_cndmask_b32_e32 v0, v11, v0, vcc
	v_mul_f32_e32 v11, 0x4f800000, v0
	v_cmp_gt_f32_e32 vcc, s11, v0
	s_nop 1
	v_cndmask_b32_e32 v0, v0, v11, vcc
	v_sqrt_f32_e32 v11, v0
	s_nop 0
	v_add_u32_e32 v13, -1, v11
	v_add_u32_e32 v14, 1, v11
	v_fma_f32 v15, -v13, v11, v0
	v_fma_f32 v16, -v14, v11, v0
	v_cmp_ge_f32_e64 s[4:5], 0, v15
	s_nop 1
	v_cndmask_b32_e64 v11, v11, v13, s[4:5]
	v_cmp_lt_f32_e64 s[4:5], 0, v16
	s_nop 1
	v_cndmask_b32_e64 v11, v11, v14, s[4:5]
	v_mul_f32_e32 v13, 0x37800000, v11
	v_cndmask_b32_e32 v11, v11, v13, vcc
	v_cmp_class_f32_e32 vcc, v0, v1
	s_nop 1
	v_cndmask_b32_e32 v0, v11, v0, vcc
	s_mov_b64 vcc, s[2:3]
	s_cbranch_vccz .LBB441_6
; %bb.5:
	global_load_dword v11, v10, s[22:23]
	s_waitcnt vmcnt(0)
	v_add_f32_e32 v0, v0, v11
.LBB441_6:
	v_and_b32_e32 v4, 0xffff0000, v4
	v_mul_f32_e32 v11, 0x3fb8aa3b, v4
	v_exp_f32_e32 v11, v11
	s_nop 0
	v_add_f32_e32 v11, 1.0, v11
	v_cmp_gt_f32_e32 vcc, s12, v11
	s_nop 1
	v_cndmask_b32_e32 v2, 1.0, v2, vcc
	v_mul_f32_e32 v2, v11, v2
	v_log_f32_e32 v2, v2
	v_cndmask_b32_e32 v3, 0, v3, vcc
	v_mul_f32_e32 v11, 0x3f317217, v2
	v_fma_f32 v11, v2, s9, -v11
	v_fmac_f32_e32 v11, 0x3377d1cf, v2
	v_fmac_f32_e32 v11, 0x3f317217, v2
	v_cmp_lt_f32_e64 vcc, |v2|, s10
	s_nop 1
	v_cndmask_b32_e32 v2, v2, v11, vcc
	v_sub_f32_e32 v2, v2, v3
	v_cmp_lt_f32_e32 vcc, s8, v4
	s_nop 1
	v_cndmask_b32_e32 v2, v2, v4, vcc
	v_mul_f32_e32 v3, 0x4f800000, v2
	v_cmp_gt_f32_e32 vcc, s11, v2
	s_nop 1
	v_cndmask_b32_e32 v2, v2, v3, vcc
	v_sqrt_f32_e32 v3, v2
	v_cmp_class_f32_e64 s[4:5], v2, v1
	v_add_u32_e32 v4, -1, v3
	v_add_u32_e32 v11, 1, v3
	v_fma_f32 v13, -v4, v3, v2
	v_fma_f32 v14, -v11, v3, v2
	v_cmp_ge_f32_e64 s[2:3], 0, v13
	s_nop 1
	v_cndmask_b32_e64 v3, v3, v4, s[2:3]
	v_cmp_lt_f32_e64 s[2:3], 0, v14
	s_nop 1
	v_cndmask_b32_e64 v3, v3, v11, s[2:3]
	v_mul_f32_e32 v4, 0x37800000, v3
	v_cndmask_b32_e32 v3, v3, v4, vcc
	v_cndmask_b32_e64 v4, 0, 1, s[6:7]
	v_cmp_ne_u32_e64 s[2:3], 1, v4
	s_andn2_b64 vcc, exec, s[6:7]
	v_cndmask_b32_e64 v1, v3, v2, s[4:5]
	s_cbranch_vccnz .LBB441_8
; %bb.7:
	global_load_dword v2, v10, s[22:23] offset:4
	s_waitcnt vmcnt(0)
	v_add_f32_e32 v1, v1, v2
.LBB441_8:
	v_lshlrev_b32_e32 v2, 16, v5
	v_mul_f32_e32 v3, 0x3fb8aa3b, v2
	v_exp_f32_e32 v3, v3
	s_mov_b32 s10, 0x800000
	v_mov_b32_e32 v4, 0x4f800000
	s_mov_b32 s7, 0x3f317217
	v_add_f32_e32 v3, 1.0, v3
	v_cmp_gt_f32_e32 vcc, s10, v3
	s_mov_b32 s8, 0x7f800000
	s_mov_b32 s6, 0x41a00000
	v_cndmask_b32_e32 v11, 1.0, v4, vcc
	v_mul_f32_e32 v3, v3, v11
	v_log_f32_e32 v3, v3
	s_mov_b32 s9, 0xf800000
	v_mul_f32_e32 v11, 0x3f317217, v3
	v_fma_f32 v11, v3, s7, -v11
	v_fmac_f32_e32 v11, 0x3377d1cf, v3
	v_fmac_f32_e32 v11, 0x3f317217, v3
	v_cmp_lt_f32_e64 s[4:5], |v3|, s8
	s_nop 1
	v_cndmask_b32_e64 v3, v3, v11, s[4:5]
	v_mov_b32_e32 v11, 0x41b17218
	v_cndmask_b32_e32 v13, 0, v11, vcc
	v_sub_f32_e32 v3, v3, v13
	v_cmp_lt_f32_e32 vcc, s6, v2
	s_nop 1
	v_cndmask_b32_e32 v2, v3, v2, vcc
	v_mul_f32_e32 v3, 0x4f800000, v2
	v_cmp_gt_f32_e32 vcc, s9, v2
	s_nop 1
	v_cndmask_b32_e32 v2, v2, v3, vcc
	v_sqrt_f32_e32 v3, v2
	s_nop 0
	v_add_u32_e32 v13, -1, v3
	v_fma_f32 v14, -v13, v3, v2
	v_cmp_ge_f32_e64 s[4:5], 0, v14
	v_add_u32_e32 v14, 1, v3
	s_nop 0
	v_cndmask_b32_e64 v13, v3, v13, s[4:5]
	v_fma_f32 v3, -v14, v3, v2
	v_cmp_lt_f32_e64 s[4:5], 0, v3
	s_nop 1
	v_cndmask_b32_e64 v3, v13, v14, s[4:5]
	v_mul_f32_e32 v13, 0x37800000, v3
	v_cndmask_b32_e32 v13, v3, v13, vcc
	v_mov_b32_e32 v3, 0x260
	v_cmp_class_f32_e64 s[4:5], v2, v3
	s_and_b64 vcc, exec, s[2:3]
	s_nop 0
	v_cndmask_b32_e64 v2, v13, v2, s[4:5]
	s_cbranch_vccnz .LBB441_10
; %bb.9:
	global_load_dword v13, v10, s[22:23] offset:8
	s_waitcnt vmcnt(0)
	v_add_f32_e32 v2, v2, v13
.LBB441_10:
	v_and_b32_e32 v5, 0xffff0000, v5
	v_mul_f32_e32 v13, 0x3fb8aa3b, v5
	v_exp_f32_e32 v13, v13
	s_nop 0
	v_add_f32_e32 v13, 1.0, v13
	v_cmp_gt_f32_e32 vcc, s10, v13
	s_nop 1
	v_cndmask_b32_e32 v4, 1.0, v4, vcc
	v_mul_f32_e32 v4, v13, v4
	v_log_f32_e32 v4, v4
	v_cndmask_b32_e32 v11, 0, v11, vcc
	v_mul_f32_e32 v13, 0x3f317217, v4
	v_fma_f32 v13, v4, s7, -v13
	v_fmac_f32_e32 v13, 0x3377d1cf, v4
	v_fmac_f32_e32 v13, 0x3f317217, v4
	v_cmp_lt_f32_e64 vcc, |v4|, s8
	s_nop 1
	v_cndmask_b32_e32 v4, v4, v13, vcc
	v_sub_f32_e32 v4, v4, v11
	v_cmp_lt_f32_e32 vcc, s6, v5
	s_nop 1
	v_cndmask_b32_e32 v4, v4, v5, vcc
	v_mul_f32_e32 v5, 0x4f800000, v4
	v_cmp_gt_f32_e32 vcc, s9, v4
	s_nop 1
	v_cndmask_b32_e32 v4, v4, v5, vcc
	v_sqrt_f32_e32 v5, v4
	s_nop 0
	v_add_u32_e32 v11, -1, v5
	v_add_u32_e32 v13, 1, v5
	v_fma_f32 v14, -v11, v5, v4
	v_fma_f32 v15, -v13, v5, v4
	v_cmp_ge_f32_e64 s[4:5], 0, v14
	s_nop 1
	v_cndmask_b32_e64 v5, v5, v11, s[4:5]
	v_cmp_lt_f32_e64 s[4:5], 0, v15
	s_nop 1
	v_cndmask_b32_e64 v5, v5, v13, s[4:5]
	v_mul_f32_e32 v11, 0x37800000, v5
	v_cndmask_b32_e32 v5, v5, v11, vcc
	v_cmp_class_f32_e64 s[4:5], v4, v3
	s_and_b64 vcc, exec, s[2:3]
	s_nop 0
	v_cndmask_b32_e64 v3, v5, v4, s[4:5]
	s_cbranch_vccnz .LBB441_12
; %bb.11:
	global_load_dword v4, v10, s[22:23] offset:12
	s_waitcnt vmcnt(0)
	v_add_f32_e32 v3, v3, v4
.LBB441_12:
	v_lshlrev_b32_e32 v4, 16, v6
	v_mul_f32_e32 v5, 0x3fb8aa3b, v4
	v_exp_f32_e32 v5, v5
	v_mov_b32_e32 v11, 0x4f800000
	v_add_f32_e32 v5, 1.0, v5
	v_cmp_gt_f32_e32 vcc, s10, v5
	s_nop 1
	v_cndmask_b32_e32 v13, 1.0, v11, vcc
	v_mul_f32_e32 v5, v5, v13
	v_log_f32_e32 v5, v5
	s_nop 0
	v_mul_f32_e32 v13, 0x3f317217, v5
	v_fma_f32 v13, v5, s7, -v13
	v_fmac_f32_e32 v13, 0x3377d1cf, v5
	v_fmac_f32_e32 v13, 0x3f317217, v5
	v_cmp_lt_f32_e64 s[4:5], |v5|, s8
	s_nop 1
	v_cndmask_b32_e64 v5, v5, v13, s[4:5]
	v_mov_b32_e32 v13, 0x41b17218
	v_cndmask_b32_e32 v14, 0, v13, vcc
	v_sub_f32_e32 v5, v5, v14
	v_cmp_lt_f32_e32 vcc, s6, v4
	s_nop 1
	v_cndmask_b32_e32 v4, v5, v4, vcc
	v_mul_f32_e32 v5, 0x4f800000, v4
	v_cmp_gt_f32_e32 vcc, s9, v4
	s_nop 1
	v_cndmask_b32_e32 v4, v4, v5, vcc
	v_sqrt_f32_e32 v5, v4
	s_nop 0
	v_add_u32_e32 v14, -1, v5
	v_fma_f32 v15, -v14, v5, v4
	v_cmp_ge_f32_e64 s[4:5], 0, v15
	v_add_u32_e32 v15, 1, v5
	s_nop 0
	v_cndmask_b32_e64 v14, v5, v14, s[4:5]
	v_fma_f32 v5, -v15, v5, v4
	v_cmp_lt_f32_e64 s[4:5], 0, v5
	s_nop 1
	v_cndmask_b32_e64 v5, v14, v15, s[4:5]
	v_mul_f32_e32 v14, 0x37800000, v5
	v_cndmask_b32_e32 v14, v5, v14, vcc
	v_mov_b32_e32 v5, 0x260
	v_cmp_class_f32_e64 s[4:5], v4, v5
	s_and_b64 vcc, exec, s[2:3]
	s_nop 0
	v_cndmask_b32_e64 v4, v14, v4, s[4:5]
	s_cbranch_vccnz .LBB441_14
; %bb.13:
	global_load_dword v14, v10, s[22:23] offset:16
	s_waitcnt vmcnt(0)
	v_add_f32_e32 v4, v4, v14
.LBB441_14:
	v_and_b32_e32 v6, 0xffff0000, v6
	v_mul_f32_e32 v14, 0x3fb8aa3b, v6
	v_exp_f32_e32 v14, v14
	s_nop 0
	v_add_f32_e32 v14, 1.0, v14
	v_cmp_gt_f32_e32 vcc, s10, v14
	s_nop 1
	v_cndmask_b32_e32 v11, 1.0, v11, vcc
	v_mul_f32_e32 v11, v14, v11
	v_log_f32_e32 v11, v11
	v_cndmask_b32_e32 v13, 0, v13, vcc
	v_mul_f32_e32 v14, 0x3f317217, v11
	v_fma_f32 v14, v11, s7, -v14
	v_fmac_f32_e32 v14, 0x3377d1cf, v11
	v_fmac_f32_e32 v14, 0x3f317217, v11
	v_cmp_lt_f32_e64 vcc, |v11|, s8
	s_nop 1
	v_cndmask_b32_e32 v11, v11, v14, vcc
	v_sub_f32_e32 v11, v11, v13
	v_cmp_lt_f32_e32 vcc, s6, v6
	s_nop 1
	v_cndmask_b32_e32 v6, v11, v6, vcc
	v_mul_f32_e32 v11, 0x4f800000, v6
	v_cmp_gt_f32_e32 vcc, s9, v6
	s_nop 1
	v_cndmask_b32_e32 v6, v6, v11, vcc
	v_sqrt_f32_e32 v11, v6
	s_nop 0
	v_add_u32_e32 v13, -1, v11
	v_add_u32_e32 v14, 1, v11
	v_fma_f32 v15, -v13, v11, v6
	v_fma_f32 v16, -v14, v11, v6
	v_cmp_ge_f32_e64 s[4:5], 0, v15
	s_nop 1
	v_cndmask_b32_e64 v11, v11, v13, s[4:5]
	v_cmp_lt_f32_e64 s[4:5], 0, v16
	s_nop 1
	v_cndmask_b32_e64 v11, v11, v14, s[4:5]
	v_mul_f32_e32 v13, 0x37800000, v11
	v_cndmask_b32_e32 v11, v11, v13, vcc
	v_cmp_class_f32_e64 s[4:5], v6, v5
	s_and_b64 vcc, exec, s[2:3]
	s_nop 0
	v_cndmask_b32_e64 v5, v11, v6, s[4:5]
	s_cbranch_vccnz .LBB441_16
; %bb.15:
	global_load_dword v6, v10, s[22:23] offset:20
	s_waitcnt vmcnt(0)
	v_add_f32_e32 v5, v5, v6
.LBB441_16:
	v_lshlrev_b32_e32 v6, 16, v7
	v_mul_f32_e32 v11, 0x3fb8aa3b, v6
	v_exp_f32_e32 v11, v11
	v_mov_b32_e32 v13, 0x4f800000
	v_add_f32_e32 v11, 1.0, v11
	v_cmp_gt_f32_e32 vcc, s10, v11
	s_nop 1
	v_cndmask_b32_e32 v14, 1.0, v13, vcc
	v_mul_f32_e32 v11, v11, v14
	v_log_f32_e32 v11, v11
	s_nop 0
	v_mul_f32_e32 v14, 0x3f317217, v11
	v_fma_f32 v14, v11, s7, -v14
	v_fmac_f32_e32 v14, 0x3377d1cf, v11
	v_fmac_f32_e32 v14, 0x3f317217, v11
	v_cmp_lt_f32_e64 s[4:5], |v11|, s8
	s_nop 1
	v_cndmask_b32_e64 v11, v11, v14, s[4:5]
	v_mov_b32_e32 v14, 0x41b17218
	v_cndmask_b32_e32 v15, 0, v14, vcc
	v_sub_f32_e32 v11, v11, v15
	v_cmp_lt_f32_e32 vcc, s6, v6
	s_nop 1
	v_cndmask_b32_e32 v6, v11, v6, vcc
	v_mul_f32_e32 v11, 0x4f800000, v6
	v_cmp_gt_f32_e32 vcc, s9, v6
	s_nop 1
	v_cndmask_b32_e32 v6, v6, v11, vcc
	v_sqrt_f32_e32 v11, v6
	s_nop 0
	v_add_u32_e32 v15, -1, v11
	v_fma_f32 v16, -v15, v11, v6
	v_cmp_ge_f32_e64 s[4:5], 0, v16
	v_add_u32_e32 v16, 1, v11
	s_nop 0
	v_cndmask_b32_e64 v15, v11, v15, s[4:5]
	v_fma_f32 v11, -v16, v11, v6
	v_cmp_lt_f32_e64 s[4:5], 0, v11
	s_nop 1
	v_cndmask_b32_e64 v11, v15, v16, s[4:5]
	v_mul_f32_e32 v15, 0x37800000, v11
	v_cndmask_b32_e32 v15, v11, v15, vcc
	v_mov_b32_e32 v11, 0x260
	v_cmp_class_f32_e64 s[4:5], v6, v11
	s_and_b64 vcc, exec, s[2:3]
	s_nop 0
	v_cndmask_b32_e64 v6, v15, v6, s[4:5]
	s_cbranch_vccnz .LBB441_18
; %bb.17:
	global_load_dword v15, v10, s[22:23] offset:24
	s_waitcnt vmcnt(0)
	v_add_f32_e32 v6, v6, v15
.LBB441_18:
	v_and_b32_e32 v7, 0xffff0000, v7
	v_mul_f32_e32 v15, 0x3fb8aa3b, v7
	v_exp_f32_e32 v15, v15
	s_nop 0
	v_add_f32_e32 v15, 1.0, v15
	v_cmp_gt_f32_e32 vcc, s10, v15
	s_nop 1
	v_cndmask_b32_e32 v13, 1.0, v13, vcc
	v_mul_f32_e32 v13, v15, v13
	v_log_f32_e32 v13, v13
	v_cndmask_b32_e32 v14, 0, v14, vcc
	v_mul_f32_e32 v15, 0x3f317217, v13
	v_fma_f32 v15, v13, s7, -v15
	v_fmac_f32_e32 v15, 0x3377d1cf, v13
	v_fmac_f32_e32 v15, 0x3f317217, v13
	v_cmp_lt_f32_e64 vcc, |v13|, s8
	s_nop 1
	v_cndmask_b32_e32 v13, v13, v15, vcc
	v_sub_f32_e32 v13, v13, v14
	v_cmp_lt_f32_e32 vcc, s6, v7
	s_nop 1
	v_cndmask_b32_e32 v7, v13, v7, vcc
	v_mul_f32_e32 v13, 0x4f800000, v7
	v_cmp_gt_f32_e32 vcc, s9, v7
	s_nop 1
	v_cndmask_b32_e32 v7, v7, v13, vcc
	v_sqrt_f32_e32 v13, v7
	s_nop 0
	v_add_u32_e32 v14, -1, v13
	v_add_u32_e32 v15, 1, v13
	v_fma_f32 v16, -v14, v13, v7
	v_fma_f32 v17, -v15, v13, v7
	v_cmp_ge_f32_e64 s[4:5], 0, v16
	s_nop 1
	v_cndmask_b32_e64 v13, v13, v14, s[4:5]
	v_cmp_lt_f32_e64 s[4:5], 0, v17
	s_nop 1
	v_cndmask_b32_e64 v13, v13, v15, s[4:5]
	v_mul_f32_e32 v14, 0x37800000, v13
	v_cndmask_b32_e32 v13, v13, v14, vcc
	v_cmp_class_f32_e64 s[4:5], v7, v11
	s_and_b64 vcc, exec, s[2:3]
	s_nop 0
	v_cndmask_b32_e64 v7, v13, v7, s[4:5]
	s_cbranch_vccnz .LBB441_20
; %bb.19:
	global_load_dword v10, v10, s[22:23] offset:28
	s_waitcnt vmcnt(0)
	v_add_f32_e32 v7, v7, v10
.LBB441_20:
	s_load_dwordx4 s[24:27], s[0:1], 0x30
	s_mov_b32 s42, 0
	v_cmp_eq_u32_e64 s[6:7], 0, v9
	s_waitcnt lgkmcnt(0)
	s_bitcmp1_b32 s27, 0
	s_cselect_b64 s[4:5], -1, 0
	s_cmp_gt_i32 s24, 0
	s_cselect_b64 s[38:39], -1, 0
	s_and_b64 vcc, exec, s[38:39]
	s_cbranch_vccz .LBB441_39
; %bb.21:
	v_mbcnt_lo_u32_b32 v10, -1, 0
	v_mbcnt_hi_u32_b32 v10, -1, v10
	v_and_b32_e32 v11, 0x7c, v10
	v_add_u32_e32 v11, 4, v11
	v_xor_b32_e32 v13, 2, v10
	v_cmp_lt_i32_e32 vcc, v13, v11
	s_load_dwordx4 s[28:31], s[0:1], 0x20
	v_mul_lo_u32 v14, v8, s24
	v_cndmask_b32_e32 v13, v10, v13, vcc
	v_lshlrev_b32_e32 v15, 2, v13
	v_xor_b32_e32 v13, 1, v10
	v_cmp_lt_i32_e32 vcc, v13, v11
	v_mov_b32_e32 v17, 0xc61c4000
	v_mov_b32_e32 v18, v8
	v_cndmask_b32_e32 v10, v10, v13, vcc
	v_lshlrev_b32_e32 v16, 2, v10
	v_mov_b32_e32 v13, 0
	s_branch .LBB441_24
.LBB441_22:                             ;   in Loop: Header=BB441_24 Depth=1
	s_or_b64 exec, exec, s[40:41]
.LBB441_23:                             ;   in Loop: Header=BB441_24 Depth=1
	s_cmp_eq_u32 s24, s42
	v_add_u32_e32 v18, s33, v18
	s_cbranch_scc1 .LBB441_40
.LBB441_24:                             ; =>This Inner Loop Header: Depth=1
	v_cmp_gt_f32_e32 vcc, v1, v0
	s_nop 1
	v_cndmask_b32_e32 v11, v0, v1, vcc
	v_cndmask_b32_e64 v10, 0, 1, vcc
	v_cmp_gt_f32_e32 vcc, v2, v11
	s_nop 1
	v_cndmask_b32_e32 v11, v11, v2, vcc
	v_cndmask_b32_e64 v10, v10, 2, vcc
	;; [unrolled: 4-line block ×6, first 2 shown]
	v_cmp_gt_f32_e32 vcc, v7, v11
	s_nop 1
	v_cndmask_b32_e64 v10, v10, 7, vcc
	v_cndmask_b32_e32 v19, v11, v7, vcc
	ds_bpermute_b32 v11, v15, v19
	v_or_b32_e32 v10, v12, v10
	s_waitcnt lgkmcnt(0)
	ds_bpermute_b32 v20, v15, v10
	s_waitcnt lgkmcnt(0)
	v_cmp_lt_f32_e64 s[8:9], v19, v11
	v_cmp_nlt_f32_e32 vcc, v19, v11
	s_and_saveexec_b64 s[10:11], vcc
; %bb.25:                               ;   in Loop: Header=BB441_24 Depth=1
	v_cmp_eq_f32_e32 vcc, v19, v11
	v_cmp_lt_i32_e64 s[0:1], v20, v10
	s_and_b64 s[0:1], vcc, s[0:1]
	s_andn2_b64 s[8:9], s[8:9], exec
	s_and_b64 s[0:1], s[0:1], exec
	s_or_b64 s[8:9], s[8:9], s[0:1]
; %bb.26:                               ;   in Loop: Header=BB441_24 Depth=1
	s_or_b64 exec, exec, s[10:11]
	s_and_saveexec_b64 s[0:1], s[8:9]
; %bb.27:                               ;   in Loop: Header=BB441_24 Depth=1
	v_mov_b32_e32 v19, v11
	v_mov_b32_e32 v10, v20
; %bb.28:                               ;   in Loop: Header=BB441_24 Depth=1
	s_or_b64 exec, exec, s[0:1]
	ds_bpermute_b32 v11, v16, v19
	ds_bpermute_b32 v20, v16, v10
	s_waitcnt lgkmcnt(1)
	v_cmp_lt_f32_e64 s[8:9], v19, v11
	v_cmp_nlt_f32_e32 vcc, v19, v11
	s_and_saveexec_b64 s[10:11], vcc
	s_cbranch_execnz .LBB441_32
; %bb.29:                               ;   in Loop: Header=BB441_24 Depth=1
	s_or_b64 exec, exec, s[10:11]
	s_and_saveexec_b64 s[0:1], s[8:9]
	s_cbranch_execnz .LBB441_33
.LBB441_30:                             ;   in Loop: Header=BB441_24 Depth=1
	s_or_b64 exec, exec, s[0:1]
	s_and_saveexec_b64 s[8:9], s[6:7]
	s_cbranch_execnz .LBB441_34
.LBB441_31:                             ;   in Loop: Header=BB441_24 Depth=1
	s_or_b64 exec, exec, s[8:9]
	s_add_i32 s42, s42, 1
	s_cmp_ge_i32 s42, s24
	s_cbranch_scc1 .LBB441_23
	s_branch .LBB441_37
.LBB441_32:                             ;   in Loop: Header=BB441_24 Depth=1
	v_cmp_eq_f32_e32 vcc, v19, v11
	s_waitcnt lgkmcnt(0)
	v_cmp_lt_i32_e64 s[0:1], v20, v10
	s_and_b64 s[0:1], vcc, s[0:1]
	s_andn2_b64 s[8:9], s[8:9], exec
	s_and_b64 s[0:1], s[0:1], exec
	s_or_b64 s[8:9], s[8:9], s[0:1]
	s_or_b64 exec, exec, s[10:11]
	s_and_saveexec_b64 s[0:1], s[8:9]
	s_cbranch_execz .LBB441_30
.LBB441_33:                             ;   in Loop: Header=BB441_24 Depth=1
	s_waitcnt lgkmcnt(0)
	v_mov_b32_e32 v10, v20
	v_mov_b32_e32 v19, v11
	s_or_b64 exec, exec, s[0:1]
	s_and_saveexec_b64 s[8:9], s[6:7]
	s_cbranch_execz .LBB441_31
.LBB441_34:                             ;   in Loop: Header=BB441_24 Depth=1
	s_and_b64 vcc, exec, s[2:3]
	s_cbranch_vccnz .LBB441_36
; %bb.35:                               ;   in Loop: Header=BB441_24 Depth=1
	v_ashrrev_i32_e32 v11, 31, v10
	s_waitcnt lgkmcnt(0)
	v_lshl_add_u64 v[20:21], v[10:11], 2, s[22:23]
	global_load_dword v11, v[20:21], off
	s_waitcnt vmcnt(0)
	v_sub_f32_e32 v19, v19, v11
.LBB441_36:                             ;   in Loop: Header=BB441_24 Depth=1
	s_waitcnt lgkmcnt(0)
	v_add_u32_e32 v20, s42, v14
	v_cmp_le_i32_e32 vcc, s25, v10
	v_cmp_gt_i32_e64 s[0:1], s26, v10
	v_ashrrev_i32_e32 v21, 31, v20
	s_and_b64 s[0:1], vcc, s[0:1]
	v_lshlrev_b64 v[20:21], 2, v[20:21]
	v_lshl_add_u64 v[22:23], s[34:35], 0, v[20:21]
	v_subrev_u32_e32 v11, s25, v10
	s_and_b64 vcc, s[36:37], s[0:1]
	global_store_dword v[22:23], v19, off
	v_cndmask_b32_e32 v11, 32, v11, vcc
	v_lshl_add_u64 v[22:23], s[28:29], 0, v[20:21]
	global_store_dword v[22:23], v11, off
	v_add_f32_e32 v11, v13, v19
	v_lshl_add_u64 v[20:21], s[30:31], 0, v[20:21]
	v_cndmask_b32_e64 v13, v13, v11, s[4:5]
	global_store_dword v[20:21], v18, off
	s_or_b64 exec, exec, s[8:9]
	s_add_i32 s42, s42, 1
	s_cmp_ge_i32 s42, s24
	s_cbranch_scc1 .LBB441_23
.LBB441_37:                             ;   in Loop: Header=BB441_24 Depth=1
	v_ashrrev_i32_e32 v19, 31, v10
	v_lshrrev_b32_e32 v11, 29, v19
	v_add_u32_e32 v11, v10, v11
	v_ashrrev_i32_e32 v11, 3, v11
	s_waitcnt lgkmcnt(0)
	v_lshrrev_b32_e32 v20, 30, v11
	v_add_u32_e32 v20, v11, v20
	v_and_b32_e32 v20, -4, v20
	v_sub_u32_e32 v20, v11, v20
	v_cmp_eq_u32_e32 vcc, v9, v20
	s_and_saveexec_b64 s[40:41], vcc
	s_cbranch_execz .LBB441_22
; %bb.38:                               ;   in Loop: Header=BB441_24 Depth=1
	v_lshrrev_b32_e32 v19, 27, v19
	v_add_u32_e32 v19, v10, v19
	v_lshlrev_b32_e32 v11, 3, v11
	v_sub_u32_e32 v10, v10, v11
	v_ashrrev_i32_e32 v11, 5, v19
	v_lshl_add_u32 v10, v11, 3, v10
	v_cmp_ne_u32_e32 vcc, 6, v10
	v_cmp_ne_u32_e64 s[0:1], 5, v10
	v_cmp_ne_u32_e64 s[8:9], 4, v10
	;; [unrolled: 1-line block ×7, first 2 shown]
	v_cndmask_b32_e32 v6, v17, v6, vcc
	v_cndmask_b32_e64 v5, v17, v5, s[0:1]
	v_cndmask_b32_e64 v7, v17, v7, s[18:19]
	;; [unrolled: 1-line block ×7, first 2 shown]
	s_branch .LBB441_22
.LBB441_39:
	v_mov_b32_e32 v13, 0
.LBB441_40:
	v_cmp_eq_u32_e32 vcc, 0, v9
	s_and_b64 exec, exec, vcc
	s_cbranch_execz .LBB441_53
; %bb.41:
	s_andn2_b64 vcc, exec, s[4:5]
	v_cvt_f32_f64_e32 v0, s[20:21]
	s_cbranch_vccnz .LBB441_43
; %bb.42:
	v_cmp_lt_f32_e32 vcc, 0, v13
	s_nop 1
	v_cndmask_b32_e32 v1, 1.0, v13, vcc
	v_div_scale_f32 v2, s[0:1], v1, v1, v0
	v_rcp_f32_e32 v3, v2
	s_nop 0
	v_fma_f32 v4, -v2, v3, 1.0
	v_fmac_f32_e32 v3, v4, v3
	v_div_scale_f32 v4, vcc, v0, v1, v0
	v_mul_f32_e32 v5, v4, v3
	v_fma_f32 v6, -v2, v5, v4
	v_fmac_f32_e32 v5, v6, v3
	v_fma_f32 v2, -v2, v5, v4
	v_div_fmas_f32 v2, v2, v3, v5
	v_div_fixup_f32 v0, v2, v1, v0
.LBB441_43:
	s_andn2_b64 vcc, exec, s[38:39]
	s_cbranch_vccnz .LBB441_53
; %bb.44:
	v_mul_lo_u32 v2, v8, s24
	s_cmp_gt_u32 s24, 3
	v_ashrrev_i32_e32 v3, 31, v2
	s_cbranch_scc0 .LBB441_48
; %bb.45:
	s_and_b32 s0, s24, 0x7ffffffc
	v_lshl_add_u64 v[4:5], v[2:3], 2, s[34:35]
	v_mov_b32_e32 v1, v0
	v_lshl_add_u64 v[4:5], v[4:5], 0, 8
	s_mov_b32 s1, s0
.LBB441_46:                             ; =>This Inner Loop Header: Depth=1
	global_load_dwordx4 v[6:9], v[4:5], off offset:-8
	s_add_i32 s1, s1, -4
	s_cmp_lg_u32 s1, 0
	s_waitcnt vmcnt(0)
	v_pk_mul_f32 v[6:7], v[0:1], v[6:7]
	v_pk_mul_f32 v[8:9], v[0:1], v[8:9]
	global_store_dwordx4 v[4:5], v[6:9], off offset:-8
	v_lshl_add_u64 v[4:5], v[4:5], 0, 16
	s_cbranch_scc1 .LBB441_46
; %bb.47:
	s_cmp_lg_u32 s0, s24
	s_cselect_b64 s[2:3], -1, 0
	s_branch .LBB441_50
.LBB441_48:
	s_mov_b64 s[2:3], 0
                                        ; implicit-def: $sgpr0
	s_cbranch_execz .LBB441_50
; %bb.49:
	s_mov_b64 s[2:3], -1
	s_mov_b32 s0, 0
.LBB441_50:
	s_andn2_b64 vcc, exec, s[2:3]
	s_cbranch_vccnz .LBB441_53
; %bb.51:
	s_mov_b32 s1, 0
	v_lshl_add_u64 v[2:3], v[2:3], 0, s[0:1]
	s_sub_i32 s2, s24, s0
	v_lshl_add_u64 v[2:3], v[2:3], 2, s[34:35]
.LBB441_52:                             ; =>This Inner Loop Header: Depth=1
	global_load_dword v1, v[2:3], off
	s_add_i32 s2, s2, -1
	s_cmp_lg_u32 s2, 0
	s_waitcnt vmcnt(0)
	v_mul_f32_e32 v1, v0, v1
	global_store_dword v[2:3], v1, off
	v_lshl_add_u64 v[2:3], v[2:3], 0, 4
	s_cbranch_scc1 .LBB441_52
.LBB441_53:
	s_endpgm
	.section	.rodata,"a",@progbits
	.p2align	6, 0x0
	.amdhsa_kernel _ZN4vllm3moe22topkGatingSoftplusSqrtILi8ELi32ELi4ELi16ELi64ELb0Ej14__hip_bfloat16EEvPKT6_PKbPfiPT5_PiiiibdPKfPKS9_SF_
		.amdhsa_group_segment_fixed_size 0
		.amdhsa_private_segment_fixed_size 0
		.amdhsa_kernarg_size 96
		.amdhsa_user_sgpr_count 2
		.amdhsa_user_sgpr_dispatch_ptr 0
		.amdhsa_user_sgpr_queue_ptr 0
		.amdhsa_user_sgpr_kernarg_segment_ptr 1
		.amdhsa_user_sgpr_dispatch_id 0
		.amdhsa_user_sgpr_kernarg_preload_length 0
		.amdhsa_user_sgpr_kernarg_preload_offset 0
		.amdhsa_user_sgpr_private_segment_size 0
		.amdhsa_uses_dynamic_stack 0
		.amdhsa_enable_private_segment 0
		.amdhsa_system_sgpr_workgroup_id_x 1
		.amdhsa_system_sgpr_workgroup_id_y 0
		.amdhsa_system_sgpr_workgroup_id_z 0
		.amdhsa_system_sgpr_workgroup_info 0
		.amdhsa_system_vgpr_workitem_id 1
		.amdhsa_next_free_vgpr 24
		.amdhsa_next_free_sgpr 43
		.amdhsa_accum_offset 24
		.amdhsa_reserve_vcc 1
		.amdhsa_float_round_mode_32 0
		.amdhsa_float_round_mode_16_64 0
		.amdhsa_float_denorm_mode_32 3
		.amdhsa_float_denorm_mode_16_64 3
		.amdhsa_dx10_clamp 1
		.amdhsa_ieee_mode 1
		.amdhsa_fp16_overflow 0
		.amdhsa_tg_split 0
		.amdhsa_exception_fp_ieee_invalid_op 0
		.amdhsa_exception_fp_denorm_src 0
		.amdhsa_exception_fp_ieee_div_zero 0
		.amdhsa_exception_fp_ieee_overflow 0
		.amdhsa_exception_fp_ieee_underflow 0
		.amdhsa_exception_fp_ieee_inexact 0
		.amdhsa_exception_int_div_zero 0
	.end_amdhsa_kernel
	.section	.text._ZN4vllm3moe22topkGatingSoftplusSqrtILi8ELi32ELi4ELi16ELi64ELb0Ej14__hip_bfloat16EEvPKT6_PKbPfiPT5_PiiiibdPKfPKS9_SF_,"axG",@progbits,_ZN4vllm3moe22topkGatingSoftplusSqrtILi8ELi32ELi4ELi16ELi64ELb0Ej14__hip_bfloat16EEvPKT6_PKbPfiPT5_PiiiibdPKfPKS9_SF_,comdat
.Lfunc_end441:
	.size	_ZN4vllm3moe22topkGatingSoftplusSqrtILi8ELi32ELi4ELi16ELi64ELb0Ej14__hip_bfloat16EEvPKT6_PKbPfiPT5_PiiiibdPKfPKS9_SF_, .Lfunc_end441-_ZN4vllm3moe22topkGatingSoftplusSqrtILi8ELi32ELi4ELi16ELi64ELb0Ej14__hip_bfloat16EEvPKT6_PKbPfiPT5_PiiiibdPKfPKS9_SF_
                                        ; -- End function
	.section	.AMDGPU.csdata,"",@progbits
; Kernel info:
; codeLenInByte = 3744
; NumSgprs: 49
; NumVgprs: 24
; NumAgprs: 0
; TotalNumVgprs: 24
; ScratchSize: 0
; MemoryBound: 0
; FloatMode: 240
; IeeeMode: 1
; LDSByteSize: 0 bytes/workgroup (compile time only)
; SGPRBlocks: 6
; VGPRBlocks: 2
; NumSGPRsForWavesPerEU: 49
; NumVGPRsForWavesPerEU: 24
; AccumOffset: 24
; Occupancy: 8
; WaveLimiterHint : 0
; COMPUTE_PGM_RSRC2:SCRATCH_EN: 0
; COMPUTE_PGM_RSRC2:USER_SGPR: 2
; COMPUTE_PGM_RSRC2:TRAP_HANDLER: 0
; COMPUTE_PGM_RSRC2:TGID_X_EN: 1
; COMPUTE_PGM_RSRC2:TGID_Y_EN: 0
; COMPUTE_PGM_RSRC2:TGID_Z_EN: 0
; COMPUTE_PGM_RSRC2:TIDIG_COMP_CNT: 1
; COMPUTE_PGM_RSRC3_GFX90A:ACCUM_OFFSET: 5
; COMPUTE_PGM_RSRC3_GFX90A:TG_SPLIT: 0
	.section	.text._ZN4vllm3moe22topkGatingSoftplusSqrtILi8ELi32ELi4ELi16ELi32ELb1Ej14__hip_bfloat16EEvPKT6_PKbPfiPT5_PiiiibdPKfPKS9_SF_,"axG",@progbits,_ZN4vllm3moe22topkGatingSoftplusSqrtILi8ELi32ELi4ELi16ELi32ELb1Ej14__hip_bfloat16EEvPKT6_PKbPfiPT5_PiiiibdPKfPKS9_SF_,comdat
	.protected	_ZN4vllm3moe22topkGatingSoftplusSqrtILi8ELi32ELi4ELi16ELi32ELb1Ej14__hip_bfloat16EEvPKT6_PKbPfiPT5_PiiiibdPKfPKS9_SF_ ; -- Begin function _ZN4vllm3moe22topkGatingSoftplusSqrtILi8ELi32ELi4ELi16ELi32ELb1Ej14__hip_bfloat16EEvPKT6_PKbPfiPT5_PiiiibdPKfPKS9_SF_
	.globl	_ZN4vllm3moe22topkGatingSoftplusSqrtILi8ELi32ELi4ELi16ELi32ELb1Ej14__hip_bfloat16EEvPKT6_PKbPfiPT5_PiiiibdPKfPKS9_SF_
	.p2align	8
	.type	_ZN4vllm3moe22topkGatingSoftplusSqrtILi8ELi32ELi4ELi16ELi32ELb1Ej14__hip_bfloat16EEvPKT6_PKbPfiPT5_PiiiibdPKfPKS9_SF_,@function
_ZN4vllm3moe22topkGatingSoftplusSqrtILi8ELi32ELi4ELi16ELi32ELb1Ej14__hip_bfloat16EEvPKT6_PKbPfiPT5_PiiiibdPKfPKS9_SF_: ; @_ZN4vllm3moe22topkGatingSoftplusSqrtILi8ELi32ELi4ELi16ELi32ELb1Ej14__hip_bfloat16EEvPKT6_PKbPfiPT5_PiiiibdPKfPKS9_SF_
; %bb.0:
	s_load_dword s3, s[0:1], 0x18
	v_bfe_u32 v1, v0, 10, 10
	v_and_b32_e32 v8, 0x3ff, v0
	s_lshl_b32 s2, s2, 5
	v_lshlrev_b32_e32 v1, 3, v1
	v_lshrrev_b32_e32 v0, 2, v8
	v_add3_u32 v6, s2, v1, v0
	s_waitcnt lgkmcnt(0)
	v_cmp_gt_i32_e32 vcc, s3, v6
	s_and_saveexec_b64 s[2:3], vcc
	s_cbranch_execz .LBB442_32
; %bb.1:
	s_load_dwordx2 s[2:3], s[0:1], 0x0
	s_load_dword s33, s[0:1], 0x30
	v_lshlrev_b32_e32 v0, 5, v6
	v_lshlrev_b32_e32 v2, 3, v8
	v_ashrrev_i32_e32 v1, 31, v0
	v_and_b32_e32 v10, 24, v2
	s_waitcnt lgkmcnt(0)
	v_lshl_add_u64 v[0:1], v[0:1], 1, s[2:3]
	v_lshlrev_b32_e32 v4, 1, v10
	v_mov_b32_e32 v5, 0
	v_lshl_add_u64 v[0:1], v[0:1], 0, v[4:5]
	global_load_dwordx4 v[0:3], v[0:1], off
	s_load_dwordx4 s[8:11], s[0:1], 0x50
	v_ashrrev_i32_e32 v7, 31, v6
	s_mov_b32 s15, 0x800000
	s_mov_b32 s13, 0x3f317217
	;; [unrolled: 1-line block ×3, first 2 shown]
	s_waitcnt lgkmcnt(0)
	v_mov_b32_e32 v12, s8
	v_mov_b32_e32 v13, s9
	v_lshl_add_u64 v[12:13], v[6:7], 2, v[12:13]
	global_load_dword v4, v[12:13], off
	v_mov_b32_e32 v7, 0x4f800000
	v_mov_b32_e32 v9, 0x41b17218
	s_mov_b32 s9, 0x41a00000
	s_mov_b32 s12, 0xf800000
	v_mov_b32_e32 v17, 0x260
	s_cmp_gt_i32 s33, 0
	s_mov_b32 s8, 0
	s_waitcnt vmcnt(1)
	v_and_b32_e32 v11, 0xffff0000, v0
	v_lshlrev_b32_e32 v14, 16, v0
	v_and_b32_e32 v15, 0xffff0000, v1
	v_lshlrev_b32_e32 v16, 16, v1
	v_mul_f32_e32 v0, 0x3fb8aa3b, v14
	v_mul_f32_e32 v1, 0x3fb8aa3b, v11
	v_exp_f32_e32 v0, v0
	v_exp_f32_e32 v1, v1
	v_mul_f32_e32 v12, 0x3fb8aa3b, v16
	v_mul_f32_e32 v13, 0x3fb8aa3b, v15
	v_exp_f32_e32 v12, v12
	v_exp_f32_e32 v13, v13
	v_pk_add_f32 v[0:1], v[0:1], 1.0 op_sel_hi:[1,0]
	s_waitcnt vmcnt(0)
	v_mul_lo_u32 v4, v4, s33
	v_cmp_gt_f32_e32 vcc, s15, v1
	v_pk_add_f32 v[12:13], v[12:13], 1.0 op_sel_hi:[1,0]
	v_cmp_gt_f32_e64 s[2:3], s15, v0
	v_cndmask_b32_e32 v18, 1.0, v7, vcc
	v_cmp_gt_f32_e64 s[4:5], s15, v13
	v_cndmask_b32_e64 v19, 1.0, v7, s[2:3]
	v_mul_f32_e32 v1, v1, v18
	v_cndmask_b32_e64 v20, 1.0, v7, s[4:5]
	v_mul_f32_e32 v0, v0, v19
	v_log_f32_e32 v1, v1
	v_cmp_gt_f32_e64 s[6:7], s15, v12
	v_mul_f32_e32 v13, v13, v20
	v_log_f32_e32 v0, v0
	v_cndmask_b32_e64 v21, 1.0, v7, s[6:7]
	v_log_f32_e32 v13, v13
	v_mul_f32_e32 v12, v12, v21
	v_log_f32_e32 v21, v12
	v_mul_f32_e32 v12, 0x3f317217, v1
	v_mul_f32_e32 v22, 0x3f317217, v0
	v_fma_f32 v12, v1, s13, -v12
	v_mul_f32_e32 v23, 0x3f317217, v13
	v_fma_f32 v22, v0, s13, -v22
	v_fmac_f32_e32 v12, 0x3377d1cf, v1
	v_cndmask_b32_e32 v18, 0, v9, vcc
	v_fma_f32 v23, v13, s13, -v23
	v_fmac_f32_e32 v22, 0x3377d1cf, v0
	v_fmac_f32_e32 v12, 0x3f317217, v1
	v_cmp_lt_f32_e64 vcc, |v1|, s14
	v_fmac_f32_e32 v23, 0x3377d1cf, v13
	v_fmac_f32_e32 v22, 0x3f317217, v0
	v_cndmask_b32_e32 v1, v1, v12, vcc
	v_cmp_lt_f32_e64 vcc, |v0|, s14
	v_cndmask_b32_e64 v19, 0, v9, s[2:3]
	v_fmac_f32_e32 v23, 0x3f317217, v13
	v_cndmask_b32_e32 v0, v0, v22, vcc
	v_cmp_lt_f32_e64 vcc, |v13|, s14
	v_sub_f32_e32 v0, v0, v19
	v_sub_f32_e32 v1, v1, v18
	v_cndmask_b32_e32 v12, v13, v23, vcc
	v_cmp_lt_f32_e32 vcc, s9, v14
	v_cndmask_b32_e64 v20, 0, v9, s[4:5]
	v_mul_f32_e32 v24, 0x3f317217, v21
	v_cndmask_b32_e32 v0, v0, v14, vcc
	v_cmp_lt_f32_e32 vcc, s9, v11
	v_mul_f32_e32 v13, 0x4f800000, v0
	v_cmp_gt_f32_e64 s[2:3], s12, v0
	v_cndmask_b32_e32 v1, v1, v11, vcc
	v_mul_f32_e32 v11, 0x4f800000, v1
	v_cmp_gt_f32_e32 vcc, s12, v1
	v_cndmask_b32_e64 v0, v0, v13, s[2:3]
	v_sqrt_f32_e32 v13, v0
	v_cndmask_b32_e32 v1, v1, v11, vcc
	v_sqrt_f32_e32 v11, v1
	v_sub_f32_e32 v14, v12, v20
	v_add_u32_e32 v19, -1, v13
	v_fma_f32 v25, -v19, v13, v0
	v_add_u32_e32 v12, -1, v11
	v_fma_f32 v22, -v12, v11, v1
	v_add_u32_e32 v18, 1, v11
	v_cmp_ge_f32_e64 s[4:5], 0, v22
	v_add_u32_e32 v20, 1, v13
	v_fma_f32 v23, -v18, v11, v1
	v_cndmask_b32_e64 v11, v11, v12, s[4:5]
	v_cmp_ge_f32_e64 s[4:5], 0, v25
	v_fma_f32 v26, -v20, v13, v0
	v_fma_f32 v24, v21, s13, -v24
	v_cndmask_b32_e64 v12, v13, v19, s[4:5]
	v_cmp_lt_f32_e64 s[4:5], 0, v23
	v_fmac_f32_e32 v24, 0x3377d1cf, v21
	v_fmac_f32_e32 v24, 0x3f317217, v21
	v_cndmask_b32_e64 v11, v11, v18, s[4:5]
	v_cmp_lt_f32_e64 s[4:5], 0, v26
	v_mul_f32_e32 v13, 0x37800000, v11
	v_cndmask_b32_e32 v11, v11, v13, vcc
	v_cndmask_b32_e64 v12, v12, v20, s[4:5]
	v_mul_f32_e32 v18, 0x37800000, v12
	v_cmp_class_f32_e32 vcc, v1, v17
	v_cndmask_b32_e64 v12, v12, v18, s[2:3]
	v_cmp_lt_f32_e64 s[2:3], s9, v16
	v_cndmask_b32_e32 v13, v11, v1, vcc
	v_cmp_class_f32_e32 vcc, v0, v17
	v_cndmask_b32_e64 v1, 0, v9, s[6:7]
	v_and_b32_e32 v19, 0xffff0000, v2
	v_cndmask_b32_e32 v12, v12, v0, vcc
	v_cmp_lt_f32_e64 vcc, |v21|, s14
	v_lshlrev_b32_e32 v2, 16, v2
	s_nop 0
	v_cndmask_b32_e32 v0, v21, v24, vcc
	v_cmp_lt_f32_e32 vcc, s9, v15
	v_sub_f32_e32 v0, v0, v1
	v_cndmask_b32_e64 v0, v0, v16, s[2:3]
	v_cndmask_b32_e32 v11, v14, v15, vcc
	v_mul_f32_e32 v14, 0x4f800000, v11
	v_cmp_gt_f32_e32 vcc, s12, v11
	s_nop 1
	v_cndmask_b32_e32 v11, v11, v14, vcc
	v_sqrt_f32_e32 v14, v11
	s_nop 0
	v_add_u32_e32 v1, -1, v14
	v_fma_f32 v15, -v1, v14, v11
	v_cmp_ge_f32_e64 s[2:3], 0, v15
	v_add_u32_e32 v15, 1, v14
	s_nop 0
	v_cndmask_b32_e64 v1, v14, v1, s[2:3]
	v_fma_f32 v14, -v15, v14, v11
	v_cmp_lt_f32_e64 s[2:3], 0, v14
	s_nop 1
	v_cndmask_b32_e64 v1, v1, v15, s[2:3]
	v_mul_f32_e32 v15, 0x4f800000, v0
	v_cmp_gt_f32_e64 s[2:3], s12, v0
	v_mul_f32_e32 v14, 0x37800000, v1
	v_cndmask_b32_e32 v1, v1, v14, vcc
	v_cndmask_b32_e64 v16, v0, v15, s[2:3]
	v_sqrt_f32_e32 v0, v16
	v_cmp_class_f32_e32 vcc, v11, v17
	v_add_u32_e32 v14, 1, v0
	s_nop 0
	v_cndmask_b32_e32 v15, v1, v11, vcc
	v_add_u32_e32 v1, -1, v0
	v_fma_f32 v11, -v1, v0, v16
	v_cmp_ge_f32_e32 vcc, 0, v11
	v_fma_f32 v18, -v14, v0, v16
	s_nop 0
	v_cndmask_b32_e32 v11, v0, v1, vcc
	v_mul_f32_e32 v0, 0x3fb8aa3b, v2
	v_mul_f32_e32 v1, 0x3fb8aa3b, v19
	v_exp_f32_e32 v0, v0
	v_exp_f32_e32 v1, v1
	v_cmp_lt_f32_e32 vcc, 0, v18
	v_pk_add_f32 v[0:1], v[0:1], 1.0 op_sel_hi:[1,0]
	s_nop 0
	v_cndmask_b32_e32 v11, v11, v14, vcc
	v_mul_f32_e32 v14, 0x37800000, v11
	v_cmp_gt_f32_e32 vcc, s15, v1
	v_cndmask_b32_e64 v11, v11, v14, s[2:3]
	v_cmp_class_f32_e64 s[2:3], v16, v17
	v_cndmask_b32_e32 v14, 1.0, v7, vcc
	v_mul_f32_e32 v1, v1, v14
	v_log_f32_e32 v1, v1
	v_cndmask_b32_e64 v14, v11, v16, s[2:3]
	v_cmp_gt_f32_e64 s[2:3], s15, v0
	scratch_store_dwordx4 off, v[12:15], off
	v_mul_f32_e32 v11, 0x3f317217, v1
	v_fma_f32 v11, v1, s13, -v11
	v_cndmask_b32_e64 v12, 1.0, v7, s[2:3]
	v_mul_f32_e32 v0, v0, v12
	v_log_f32_e32 v0, v0
	v_fmac_f32_e32 v11, 0x3377d1cf, v1
	v_fmac_f32_e32 v11, 0x3f317217, v1
	v_cmp_lt_f32_e64 s[4:5], |v1|, s14
	v_and_b32_e32 v14, 0xffff0000, v3
	v_lshlrev_b32_e32 v15, 16, v3
	v_cndmask_b32_e64 v1, v1, v11, s[4:5]
	v_cndmask_b32_e32 v11, 0, v9, vcc
	v_sub_f32_e32 v1, v1, v11
	v_mul_f32_e32 v11, 0x3f317217, v0
	v_fma_f32 v11, v0, s13, -v11
	v_fmac_f32_e32 v11, 0x3377d1cf, v0
	v_fmac_f32_e32 v11, 0x3f317217, v0
	v_cmp_lt_f32_e64 vcc, |v0|, s14
	v_mul_f32_e32 v3, 0x3fb8aa3b, v14
	v_exp_f32_e32 v3, v3
	v_cndmask_b32_e32 v0, v0, v11, vcc
	v_cmp_lt_f32_e32 vcc, s9, v19
	v_cndmask_b32_e64 v11, 0, v9, s[2:3]
	v_sub_f32_e32 v0, v0, v11
	v_cndmask_b32_e32 v1, v1, v19, vcc
	v_mul_f32_e32 v12, 0x4f800000, v1
	v_cmp_gt_f32_e32 vcc, s12, v1
	v_cmp_lt_f32_e64 s[2:3], s9, v2
	s_nop 0
	v_cndmask_b32_e32 v1, v1, v12, vcc
	v_sqrt_f32_e32 v12, v1
	v_cndmask_b32_e64 v0, v0, v2, s[2:3]
	v_add_u32_e32 v2, -1, v12
	v_fma_f32 v11, -v2, v12, v1
	v_cmp_ge_f32_e64 s[2:3], 0, v11
	v_add_u32_e32 v11, 1, v12
	s_nop 0
	v_cndmask_b32_e64 v2, v12, v2, s[2:3]
	v_fma_f32 v12, -v11, v12, v1
	v_cmp_lt_f32_e64 s[2:3], 0, v12
	v_mul_f32_e32 v12, 0x4f800000, v0
	s_nop 0
	v_cndmask_b32_e64 v2, v2, v11, s[2:3]
	v_cmp_gt_f32_e64 s[2:3], s12, v0
	v_mul_f32_e32 v11, 0x37800000, v2
	v_cndmask_b32_e32 v2, v2, v11, vcc
	v_cndmask_b32_e64 v0, v0, v12, s[2:3]
	v_sqrt_f32_e32 v12, v0
	v_cmp_class_f32_e32 vcc, v1, v17
	v_add_u32_e32 v13, 1, v12
	s_nop 0
	v_cndmask_b32_e32 v1, v2, v1, vcc
	v_add_u32_e32 v2, -1, v12
	v_fma_f32 v11, -v2, v12, v0
	v_cmp_ge_f32_e32 vcc, 0, v11
	s_nop 1
	v_cndmask_b32_e32 v11, v12, v2, vcc
	v_mul_f32_e32 v2, 0x3fb8aa3b, v15
	v_exp_f32_e32 v2, v2
	v_fma_f32 v12, -v13, v12, v0
	v_cmp_lt_f32_e32 vcc, 0, v12
	v_pk_add_f32 v[2:3], v[2:3], 1.0 op_sel_hi:[1,0]
	s_nop 0
	v_cndmask_b32_e32 v11, v11, v13, vcc
	v_cmp_gt_f32_e32 vcc, s15, v3
	v_mul_f32_e32 v12, 0x37800000, v11
	v_cndmask_b32_e64 v11, v11, v12, s[2:3]
	v_cndmask_b32_e32 v13, 1.0, v7, vcc
	v_mul_f32_e32 v3, v3, v13
	v_log_f32_e32 v3, v3
	v_cmp_class_f32_e64 s[2:3], v0, v17
	v_cmp_lt_f32_e64 s[4:5], |v3|, s14
	s_nop 0
	v_cndmask_b32_e64 v0, v11, v0, s[2:3]
	v_cmp_gt_f32_e64 s[2:3], s15, v2
	v_mul_f32_e32 v11, 0x3f317217, v3
	v_fma_f32 v11, v3, s13, -v11
	v_cndmask_b32_e64 v7, 1.0, v7, s[2:3]
	v_mul_f32_e32 v2, v2, v7
	v_log_f32_e32 v2, v2
	v_fmac_f32_e32 v11, 0x3377d1cf, v3
	v_fmac_f32_e32 v11, 0x3f317217, v3
	v_cndmask_b32_e64 v3, v3, v11, s[4:5]
	v_cndmask_b32_e32 v7, 0, v9, vcc
	v_sub_f32_e32 v3, v3, v7
	v_mul_f32_e32 v7, 0x3f317217, v2
	v_fma_f32 v7, v2, s13, -v7
	v_fmac_f32_e32 v7, 0x3377d1cf, v2
	v_fmac_f32_e32 v7, 0x3f317217, v2
	v_cmp_lt_f32_e64 vcc, |v2|, s14
	s_cselect_b64 s[4:5], -1, 0
	s_cmp_lt_i32 s33, 1
	v_cndmask_b32_e32 v2, v2, v7, vcc
	v_cmp_lt_f32_e32 vcc, s9, v14
	v_cndmask_b32_e64 v7, 0, v9, s[2:3]
	v_sub_f32_e32 v2, v2, v7
	v_cndmask_b32_e32 v3, v3, v14, vcc
	v_mul_f32_e32 v9, 0x4f800000, v3
	v_cmp_gt_f32_e32 vcc, s12, v3
	v_cmp_lt_f32_e64 s[2:3], s9, v15
	s_nop 0
	v_cndmask_b32_e32 v3, v3, v9, vcc
	v_sqrt_f32_e32 v9, v3
	v_cndmask_b32_e64 v2, v2, v15, s[2:3]
	v_add_u32_e32 v7, -1, v9
	v_fma_f32 v11, -v7, v9, v3
	v_cmp_ge_f32_e64 s[2:3], 0, v11
	v_add_u32_e32 v11, 1, v9
	s_nop 0
	v_cndmask_b32_e64 v7, v9, v7, s[2:3]
	v_fma_f32 v9, -v11, v9, v3
	v_cmp_lt_f32_e64 s[2:3], 0, v9
	s_nop 1
	v_cndmask_b32_e64 v7, v7, v11, s[2:3]
	v_mul_f32_e32 v11, 0x4f800000, v2
	v_cmp_gt_f32_e64 s[2:3], s12, v2
	v_mul_f32_e32 v9, 0x37800000, v7
	v_cndmask_b32_e32 v7, v7, v9, vcc
	v_cndmask_b32_e64 v2, v2, v11, s[2:3]
	v_sqrt_f32_e32 v11, v2
	v_cmp_class_f32_e32 vcc, v3, v17
	s_nop 1
	v_cndmask_b32_e32 v3, v7, v3, vcc
	v_add_u32_e32 v7, -1, v11
	v_fma_f32 v9, -v7, v11, v2
	v_cmp_ge_f32_e32 vcc, 0, v9
	v_add_u32_e32 v9, 1, v11
	s_nop 0
	v_cndmask_b32_e32 v7, v11, v7, vcc
	v_fma_f32 v11, -v9, v11, v2
	v_cmp_lt_f32_e32 vcc, 0, v11
	s_nop 1
	v_cndmask_b32_e32 v7, v7, v9, vcc
	v_mul_f32_e32 v9, 0x37800000, v7
	v_cndmask_b32_e64 v7, v7, v9, s[2:3]
	v_cmp_class_f32_e32 vcc, v2, v17
	s_nop 1
	v_cndmask_b32_e32 v2, v7, v2, vcc
	scratch_store_dwordx4 off, v[0:3], off offset:16
	s_nop 1
	v_lshl_add_u64 v[2:3], v[4:5], 2, s[10:11]
	v_mul_lo_u32 v0, v6, s33
	s_cbranch_scc1 .LBB442_29
; %bb.2:
	s_load_dwordx2 s[6:7], s[0:1], 0x20
	s_cmp_lt_u32 s33, 4
	v_and_b32_e32 v4, 3, v8
	s_cbranch_scc1 .LBB442_21
; %bb.3:
	v_lshlrev_b32_e32 v5, 3, v4
	s_mov_b32 s11, 0
	s_and_b32 s8, s33, 0x7ffffffc
	v_ashrrev_i32_e32 v1, 31, v0
	v_sub_u32_e32 v11, 0, v5
	v_mov_b32_e32 v5, 0
	s_mov_b32 s10, s11
	s_branch .LBB442_5
.LBB442_4:                              ;   in Loop: Header=BB442_5 Depth=1
	s_or_b64 exec, exec, s[12:13]
	s_add_i32 s10, s10, 4
	s_cmp_eq_u32 s10, s8
	s_cbranch_scc1 .LBB442_22
.LBB442_5:                              ; =>This Loop Header: Depth=1
                                        ;     Child Loop BB442_7 Depth 2
                                        ;     Child Loop BB442_11 Depth 2
	;; [unrolled: 1-line block ×4, first 2 shown]
	v_lshl_add_u64 v[6:7], s[10:11], 2, v[2:3]
	global_load_dword v12, v[6:7], off
	v_add_u32_e32 v8, s10, v0
	v_ashrrev_i32_e32 v9, 31, v8
	v_mov_b32_e32 v13, 0
	s_mov_b64 s[12:13], 0
	s_waitcnt lgkmcnt(0)
	v_lshl_add_u64 v[8:9], v[8:9], 2, s[6:7]
	s_mov_b32 s9, 0
	s_waitcnt vmcnt(0)
	v_add_u32_e32 v14, v11, v12
	s_branch .LBB442_7
.LBB442_6:                              ;   in Loop: Header=BB442_7 Depth=2
	s_or_b64 exec, exec, s[14:15]
	s_add_i32 s16, s9, 1
	s_cmp_gt_u32 s9, 6
	s_cselect_b64 s[2:3], -1, 0
	s_xor_b64 s[14:15], vcc, -1
	s_or_b64 s[2:3], s[14:15], s[2:3]
	s_and_b64 s[2:3], exec, s[2:3]
	v_add_u32_e32 v13, 4, v13
	s_or_b64 s[12:13], s[2:3], s[12:13]
	s_mov_b32 s9, s16
	s_andn2_b64 exec, exec, s[12:13]
	s_cbranch_execz .LBB442_9
.LBB442_7:                              ;   Parent Loop BB442_5 Depth=1
                                        ; =>  This Inner Loop Header: Depth=2
	v_cmp_ne_u32_e32 vcc, s9, v14
	v_cmp_eq_u32_e64 s[2:3], s9, v14
	s_and_saveexec_b64 s[14:15], s[2:3]
	s_cbranch_execz .LBB442_6
; %bb.8:                                ;   in Loop: Header=BB442_7 Depth=2
	scratch_load_dword v15, v13, off
	s_waitcnt vmcnt(0)
	v_add_f32_e32 v5, v5, v15
	global_store_dword v[8:9], v12, off
	s_branch .LBB442_6
.LBB442_9:                              ;   in Loop: Header=BB442_5 Depth=1
	s_or_b64 exec, exec, s[12:13]
	global_load_dword v12, v[6:7], off offset:4
	s_ashr_i32 s3, s10, 31
	s_mov_b32 s2, s10
	v_lshl_add_u64 v[8:9], s[2:3], 0, v[0:1]
	v_mov_b32_e32 v13, 0
	s_mov_b32 s9, 0
	v_lshl_add_u64 v[8:9], v[8:9], 2, s[6:7]
	s_mov_b64 s[12:13], 0
	s_waitcnt vmcnt(0)
	v_add_u32_e32 v14, v11, v12
	s_branch .LBB442_11
.LBB442_10:                             ;   in Loop: Header=BB442_11 Depth=2
	s_or_b64 exec, exec, s[14:15]
	s_add_i32 s16, s9, 1
	s_cmp_gt_u32 s9, 6
	s_cselect_b64 s[2:3], -1, 0
	s_xor_b64 s[14:15], vcc, -1
	s_or_b64 s[2:3], s[14:15], s[2:3]
	s_and_b64 s[2:3], exec, s[2:3]
	v_add_u32_e32 v13, 4, v13
	s_or_b64 s[12:13], s[2:3], s[12:13]
	s_mov_b32 s9, s16
	s_andn2_b64 exec, exec, s[12:13]
	s_cbranch_execz .LBB442_13
.LBB442_11:                             ;   Parent Loop BB442_5 Depth=1
                                        ; =>  This Inner Loop Header: Depth=2
	v_cmp_ne_u32_e32 vcc, s9, v14
	v_cmp_eq_u32_e64 s[2:3], s9, v14
	s_and_saveexec_b64 s[14:15], s[2:3]
	s_cbranch_execz .LBB442_10
; %bb.12:                               ;   in Loop: Header=BB442_11 Depth=2
	scratch_load_dword v15, v13, off
	s_waitcnt vmcnt(0)
	v_add_f32_e32 v5, v5, v15
	global_store_dword v[8:9], v12, off offset:4
	s_branch .LBB442_10
.LBB442_13:                             ;   in Loop: Header=BB442_5 Depth=1
	s_or_b64 exec, exec, s[12:13]
	global_load_dword v12, v[6:7], off offset:8
	v_mov_b32_e32 v13, 0
	s_mov_b32 s9, 0
	s_mov_b64 s[12:13], 0
	s_waitcnt vmcnt(0)
	v_add_u32_e32 v14, v11, v12
	s_branch .LBB442_15
.LBB442_14:                             ;   in Loop: Header=BB442_15 Depth=2
	s_or_b64 exec, exec, s[14:15]
	s_add_i32 s16, s9, 1
	s_cmp_gt_u32 s9, 6
	s_cselect_b64 s[2:3], -1, 0
	s_xor_b64 s[14:15], vcc, -1
	s_or_b64 s[2:3], s[14:15], s[2:3]
	s_and_b64 s[2:3], exec, s[2:3]
	v_add_u32_e32 v13, 4, v13
	s_or_b64 s[12:13], s[2:3], s[12:13]
	s_mov_b32 s9, s16
	s_andn2_b64 exec, exec, s[12:13]
	s_cbranch_execz .LBB442_17
.LBB442_15:                             ;   Parent Loop BB442_5 Depth=1
                                        ; =>  This Inner Loop Header: Depth=2
	v_cmp_ne_u32_e32 vcc, s9, v14
	v_cmp_eq_u32_e64 s[2:3], s9, v14
	s_and_saveexec_b64 s[14:15], s[2:3]
	s_cbranch_execz .LBB442_14
; %bb.16:                               ;   in Loop: Header=BB442_15 Depth=2
	scratch_load_dword v15, v13, off
	s_waitcnt vmcnt(0)
	v_add_f32_e32 v5, v5, v15
	global_store_dword v[8:9], v12, off offset:8
	s_branch .LBB442_14
.LBB442_17:                             ;   in Loop: Header=BB442_5 Depth=1
	s_or_b64 exec, exec, s[12:13]
	global_load_dword v6, v[6:7], off offset:12
	v_mov_b32_e32 v7, 0
	s_mov_b32 s9, 0
	s_mov_b64 s[12:13], 0
	s_waitcnt vmcnt(0)
	v_add_u32_e32 v12, v11, v6
	s_branch .LBB442_19
.LBB442_18:                             ;   in Loop: Header=BB442_19 Depth=2
	s_or_b64 exec, exec, s[14:15]
	s_add_i32 s16, s9, 1
	s_cmp_gt_u32 s9, 6
	s_cselect_b64 s[2:3], -1, 0
	s_xor_b64 s[14:15], vcc, -1
	s_or_b64 s[2:3], s[14:15], s[2:3]
	s_and_b64 s[2:3], exec, s[2:3]
	v_add_u32_e32 v7, 4, v7
	s_or_b64 s[12:13], s[2:3], s[12:13]
	s_mov_b32 s9, s16
	s_andn2_b64 exec, exec, s[12:13]
	s_cbranch_execz .LBB442_4
.LBB442_19:                             ;   Parent Loop BB442_5 Depth=1
                                        ; =>  This Inner Loop Header: Depth=2
	v_cmp_ne_u32_e32 vcc, s9, v12
	v_cmp_eq_u32_e64 s[2:3], s9, v12
	s_and_saveexec_b64 s[14:15], s[2:3]
	s_cbranch_execz .LBB442_18
; %bb.20:                               ;   in Loop: Header=BB442_19 Depth=2
	scratch_load_dword v13, v7, off
	s_waitcnt vmcnt(0)
	v_add_f32_e32 v5, v5, v13
	global_store_dword v[8:9], v6, off offset:12
	s_branch .LBB442_18
.LBB442_21:
	v_mov_b32_e32 v5, 0
.LBB442_22:
	s_and_b32 s14, s33, 3
	s_cmp_eq_u32 s14, 0
	s_mov_b32 s9, 0
	s_cbranch_scc1 .LBB442_29
; %bb.23:
	v_lshlrev_b32_e32 v1, 3, v4
	v_sub_u32_e32 v1, 0, v1
	s_mov_b32 s15, s9
	s_branch .LBB442_25
.LBB442_24:                             ;   in Loop: Header=BB442_25 Depth=1
	s_or_b64 exec, exec, s[10:11]
	s_add_i32 s8, s8, 1
	s_add_i32 s15, s15, 1
	s_cmp_lg_u32 s15, s14
	s_cbranch_scc0 .LBB442_29
.LBB442_25:                             ; =>This Loop Header: Depth=1
                                        ;     Child Loop BB442_27 Depth 2
	v_lshl_add_u64 v[6:7], s[8:9], 2, v[2:3]
	global_load_dword v4, v[6:7], off
	v_add_u32_e32 v6, s8, v0
	v_ashrrev_i32_e32 v7, 31, v6
	v_mov_b32_e32 v8, 0
	s_mov_b32 s16, 0
	s_waitcnt lgkmcnt(0)
	v_lshl_add_u64 v[6:7], v[6:7], 2, s[6:7]
	s_mov_b64 s[10:11], 0
	s_waitcnt vmcnt(0)
	v_add_u32_e32 v9, v1, v4
	s_branch .LBB442_27
.LBB442_26:                             ;   in Loop: Header=BB442_27 Depth=2
	s_or_b64 exec, exec, s[12:13]
	s_add_i32 s17, s16, 1
	s_cmp_gt_u32 s16, 6
	s_cselect_b64 s[2:3], -1, 0
	s_xor_b64 s[12:13], vcc, -1
	s_or_b64 s[2:3], s[12:13], s[2:3]
	s_and_b64 s[2:3], exec, s[2:3]
	v_add_u32_e32 v8, 4, v8
	s_or_b64 s[10:11], s[2:3], s[10:11]
	s_mov_b32 s16, s17
	s_andn2_b64 exec, exec, s[10:11]
	s_cbranch_execz .LBB442_24
.LBB442_27:                             ;   Parent Loop BB442_25 Depth=1
                                        ; =>  This Inner Loop Header: Depth=2
	v_cmp_ne_u32_e32 vcc, s16, v9
	v_cmp_eq_u32_e64 s[2:3], s16, v9
	s_and_saveexec_b64 s[12:13], s[2:3]
	s_cbranch_execz .LBB442_26
; %bb.28:                               ;   in Loop: Header=BB442_27 Depth=2
	scratch_load_dword v11, v8, off
	s_waitcnt vmcnt(0)
	v_add_f32_e32 v5, v5, v11
	global_store_dword v[6:7], v4, off
	s_branch .LBB442_26
.LBB442_29:
	s_waitcnt lgkmcnt(0)
	s_load_dword s6, s[0:1], 0x3c
	s_waitcnt lgkmcnt(0)
	s_bitcmp1_b32 s6, 0
	s_cselect_b64 s[2:3], -1, 0
	s_bitcmp0_b32 s6, 0
	s_cbranch_scc0 .LBB442_33
; %bb.30:
	s_load_dwordx2 s[6:7], s[0:1], 0x40
	s_andn2_b64 vcc, exec, s[2:3]
	s_waitcnt lgkmcnt(0)
	v_cvt_f32_f64_e32 v8, s[6:7]
	s_cbranch_vccz .LBB442_34
.LBB442_31:
	s_andn2_b64 vcc, exec, s[4:5]
	s_cbranch_vccz .LBB442_35
.LBB442_32:
	s_endpgm
.LBB442_33:
	v_mbcnt_lo_u32_b32 v1, -1, 0
	v_mbcnt_hi_u32_b32 v1, -1, v1
	v_and_b32_e32 v4, 0x7c, v1
	v_add_u32_e32 v4, 4, v4
	v_xor_b32_e32 v6, 2, v1
	v_cmp_lt_i32_e32 vcc, v6, v4
	v_xor_b32_e32 v7, 1, v1
	s_nop 0
	v_cndmask_b32_e32 v6, v1, v6, vcc
	v_lshlrev_b32_e32 v6, 2, v6
	ds_bpermute_b32 v6, v6, v5
	v_cmp_lt_i32_e32 vcc, v7, v4
	s_waitcnt lgkmcnt(0)
	v_add_f32_e32 v5, v5, v6
	v_cndmask_b32_e32 v1, v1, v7, vcc
	v_lshlrev_b32_e32 v1, 2, v1
	ds_bpermute_b32 v1, v1, v5
	s_waitcnt lgkmcnt(0)
	v_add_f32_e32 v5, v5, v1
	s_load_dwordx2 s[6:7], s[0:1], 0x40
	s_andn2_b64 vcc, exec, s[2:3]
	s_waitcnt lgkmcnt(0)
	v_cvt_f32_f64_e32 v8, s[6:7]
	s_cbranch_vccnz .LBB442_31
.LBB442_34:
	v_cmp_lt_f32_e32 vcc, 0, v5
	s_nop 1
	v_cndmask_b32_e32 v1, 1.0, v5, vcc
	v_div_scale_f32 v4, s[2:3], v1, v1, v8
	v_rcp_f32_e32 v5, v4
	s_nop 0
	v_fma_f32 v6, -v4, v5, 1.0
	v_fmac_f32_e32 v5, v6, v5
	v_div_scale_f32 v6, vcc, v8, v1, v8
	v_mul_f32_e32 v7, v6, v5
	v_fma_f32 v9, -v4, v7, v6
	v_fmac_f32_e32 v7, v9, v5
	v_fma_f32 v4, -v4, v7, v6
	v_div_fmas_f32 v4, v4, v5, v7
	v_div_fixup_f32 v8, v4, v1, v8
	s_andn2_b64 vcc, exec, s[4:5]
	s_cbranch_vccnz .LBB442_32
.LBB442_35:
	s_load_dwordx2 s[12:13], s[0:1], 0x10
	v_mov_b32_e32 v1, 0
	v_or_b32_e32 v20, 4, v1
	v_or_b32_e32 v18, 8, v1
	;; [unrolled: 1-line block ×3, first 2 shown]
	v_add_u32_e32 v14, 16, v1
	v_add_u32_e32 v12, 20, v1
	;; [unrolled: 1-line block ×4, first 2 shown]
	v_or_b32_e32 v23, 1, v10
	v_or_b32_e32 v22, 2, v10
	;; [unrolled: 1-line block ×7, first 2 shown]
	s_cmp_eq_u32 s33, 1
	s_mov_b32 s14, 0
	s_cbranch_scc1 .LBB442_70
; %bb.36:
	v_ashrrev_i32_e32 v1, 31, v0
	s_waitcnt lgkmcnt(0)
	v_lshl_add_u64 v[4:5], v[0:1], 2, s[12:13]
	s_and_b32 s14, s33, 0x7ffffffe
	v_lshl_add_u64 v[4:5], v[4:5], 0, 4
	v_lshl_add_u64 v[6:7], v[2:3], 0, 4
	s_mov_b32 s15, 0
	s_branch .LBB442_38
.LBB442_37:                             ;   in Loop: Header=BB442_38 Depth=1
	s_or_b64 exec, exec, s[0:1]
	s_add_i32 s15, s15, 2
	v_lshl_add_u64 v[4:5], v[4:5], 0, 8
	s_cmp_eq_u32 s14, s15
	v_lshl_add_u64 v[6:7], v[6:7], 0, 8
	s_cbranch_scc1 .LBB442_70
.LBB442_38:                             ; =>This Inner Loop Header: Depth=1
	global_load_dword v24, v[6:7], off offset:-4
	v_mov_b32_e32 v1, 0
	s_waitcnt vmcnt(0)
	v_cmp_eq_u32_e32 vcc, v24, v10
	v_cmp_ne_u32_e64 s[0:1], v24, v10
	s_and_saveexec_b64 s[16:17], s[0:1]
	s_cbranch_execz .LBB442_52
; %bb.39:                               ;   in Loop: Header=BB442_38 Depth=1
	v_cmp_eq_u32_e64 s[0:1], v24, v23
	v_cmp_ne_u32_e64 s[2:3], v24, v23
	v_mov_b32_e32 v1, v20
	s_and_saveexec_b64 s[18:19], s[2:3]
	s_cbranch_execz .LBB442_51
; %bb.40:                               ;   in Loop: Header=BB442_38 Depth=1
	v_cmp_eq_u32_e64 s[2:3], v24, v22
	v_cmp_ne_u32_e64 s[4:5], v24, v22
	v_mov_b32_e32 v1, v18
	;; [unrolled: 6-line block ×6, first 2 shown]
	s_and_saveexec_b64 s[30:31], s[10:11]
	s_xor_b64 s[30:31], exec, s[30:31]
; %bb.45:                               ;   in Loop: Header=BB442_38 Depth=1
	v_cmp_eq_u32_e64 s[10:11], v24, v13
	s_andn2_b64 s[28:29], s[28:29], exec
	s_and_b64 s[10:11], s[10:11], exec
	s_or_b64 s[28:29], s[28:29], s[10:11]
	v_mov_b32_e32 v1, v11
; %bb.46:                               ;   in Loop: Header=BB442_38 Depth=1
	s_or_b64 exec, exec, s[30:31]
	s_andn2_b64 s[8:9], s[8:9], exec
	s_and_b64 s[10:11], s[28:29], exec
	s_or_b64 s[8:9], s[8:9], s[10:11]
.LBB442_47:                             ;   in Loop: Header=BB442_38 Depth=1
	s_or_b64 exec, exec, s[26:27]
	s_andn2_b64 s[6:7], s[6:7], exec
	s_and_b64 s[8:9], s[8:9], exec
	s_or_b64 s[6:7], s[6:7], s[8:9]
.LBB442_48:                             ;   in Loop: Header=BB442_38 Depth=1
	s_or_b64 exec, exec, s[24:25]
	s_andn2_b64 s[4:5], s[4:5], exec
	s_and_b64 s[6:7], s[6:7], exec
	s_or_b64 s[4:5], s[4:5], s[6:7]
.LBB442_49:                             ;   in Loop: Header=BB442_38 Depth=1
	s_or_b64 exec, exec, s[22:23]
	s_andn2_b64 s[2:3], s[2:3], exec
	s_and_b64 s[4:5], s[4:5], exec
	s_or_b64 s[2:3], s[2:3], s[4:5]
.LBB442_50:                             ;   in Loop: Header=BB442_38 Depth=1
	s_or_b64 exec, exec, s[20:21]
	s_andn2_b64 s[0:1], s[0:1], exec
	s_and_b64 s[2:3], s[2:3], exec
	s_or_b64 s[0:1], s[0:1], s[2:3]
.LBB442_51:                             ;   in Loop: Header=BB442_38 Depth=1
	s_or_b64 exec, exec, s[18:19]
	s_andn2_b64 s[2:3], vcc, exec
	s_and_b64 s[0:1], s[0:1], exec
	s_or_b64 vcc, s[2:3], s[0:1]
.LBB442_52:                             ;   in Loop: Header=BB442_38 Depth=1
	s_or_b64 exec, exec, s[16:17]
	s_and_saveexec_b64 s[0:1], vcc
	s_cbranch_execz .LBB442_54
; %bb.53:                               ;   in Loop: Header=BB442_38 Depth=1
	scratch_load_dword v1, v1, off
	v_add_u32_e32 v24, s15, v0
	v_ashrrev_i32_e32 v25, 31, v24
	v_lshl_add_u64 v[24:25], v[24:25], 2, s[12:13]
	s_waitcnt vmcnt(0)
	v_mul_f32_e32 v1, v8, v1
	global_store_dword v[24:25], v1, off
.LBB442_54:                             ;   in Loop: Header=BB442_38 Depth=1
	s_or_b64 exec, exec, s[0:1]
	global_load_dword v24, v[6:7], off
	v_mov_b32_e32 v1, 0
	s_waitcnt vmcnt(0)
	v_cmp_eq_u32_e64 s[8:9], v24, v10
	v_cmp_ne_u32_e32 vcc, v24, v10
	s_and_saveexec_b64 s[10:11], vcc
	s_cbranch_execz .LBB442_68
; %bb.55:                               ;   in Loop: Header=BB442_38 Depth=1
	v_cmp_eq_u32_e32 vcc, v24, v23
	v_cmp_ne_u32_e64 s[0:1], v24, v23
	v_mov_b32_e32 v1, v20
	s_and_saveexec_b64 s[16:17], s[0:1]
	s_cbranch_execz .LBB442_67
; %bb.56:                               ;   in Loop: Header=BB442_38 Depth=1
	v_cmp_eq_u32_e64 s[0:1], v24, v22
	v_cmp_ne_u32_e64 s[2:3], v24, v22
	v_mov_b32_e32 v1, v18
	s_and_saveexec_b64 s[18:19], s[2:3]
	s_cbranch_execz .LBB442_66
; %bb.57:                               ;   in Loop: Header=BB442_38 Depth=1
	v_cmp_eq_u32_e64 s[2:3], v24, v21
	;; [unrolled: 6-line block ×5, first 2 shown]
	v_cmp_ne_u32_e64 s[6:7], v24, v15
	v_mov_b32_e32 v1, v9
	s_and_saveexec_b64 s[30:31], s[6:7]
; %bb.61:                               ;   in Loop: Header=BB442_38 Depth=1
	v_cmp_eq_u32_e64 s[6:7], v24, v13
	s_andn2_b64 s[28:29], s[28:29], exec
	s_and_b64 s[6:7], s[6:7], exec
	s_or_b64 s[28:29], s[28:29], s[6:7]
	v_mov_b32_e32 v1, v11
; %bb.62:                               ;   in Loop: Header=BB442_38 Depth=1
	s_or_b64 exec, exec, s[30:31]
	s_andn2_b64 s[6:7], s[24:25], exec
	s_and_b64 s[24:25], s[28:29], exec
	s_or_b64 s[24:25], s[6:7], s[24:25]
.LBB442_63:                             ;   in Loop: Header=BB442_38 Depth=1
	s_or_b64 exec, exec, s[26:27]
	s_andn2_b64 s[4:5], s[4:5], exec
	s_and_b64 s[6:7], s[24:25], exec
	s_or_b64 s[4:5], s[4:5], s[6:7]
.LBB442_64:                             ;   in Loop: Header=BB442_38 Depth=1
	s_or_b64 exec, exec, s[22:23]
	s_andn2_b64 s[2:3], s[2:3], exec
	s_and_b64 s[4:5], s[4:5], exec
	s_or_b64 s[2:3], s[2:3], s[4:5]
.LBB442_65:                             ;   in Loop: Header=BB442_38 Depth=1
	s_or_b64 exec, exec, s[20:21]
	s_andn2_b64 s[0:1], s[0:1], exec
	s_and_b64 s[2:3], s[2:3], exec
	s_or_b64 s[0:1], s[0:1], s[2:3]
.LBB442_66:                             ;   in Loop: Header=BB442_38 Depth=1
	s_or_b64 exec, exec, s[18:19]
	s_andn2_b64 s[2:3], vcc, exec
	s_and_b64 s[0:1], s[0:1], exec
	s_or_b64 vcc, s[2:3], s[0:1]
.LBB442_67:                             ;   in Loop: Header=BB442_38 Depth=1
	s_or_b64 exec, exec, s[16:17]
	s_andn2_b64 s[0:1], s[8:9], exec
	s_and_b64 s[2:3], vcc, exec
	s_or_b64 s[8:9], s[0:1], s[2:3]
.LBB442_68:                             ;   in Loop: Header=BB442_38 Depth=1
	s_or_b64 exec, exec, s[10:11]
	s_and_saveexec_b64 s[0:1], s[8:9]
	s_cbranch_execz .LBB442_37
; %bb.69:                               ;   in Loop: Header=BB442_38 Depth=1
	scratch_load_dword v1, v1, off
	s_waitcnt vmcnt(0)
	v_mul_f32_e32 v1, v8, v1
	global_store_dword v[4:5], v1, off
	s_branch .LBB442_37
.LBB442_70:
	s_bitcmp0_b32 s33, 0
	s_mov_b32 s15, 0
	s_cbranch_scc1 .LBB442_32
; %bb.71:
	v_lshl_add_u64 v[2:3], s[14:15], 2, v[2:3]
	global_load_dword v1, v[2:3], off
	v_mov_b32_e32 v2, 0
	s_waitcnt vmcnt(0)
	v_cmp_eq_u32_e64 s[8:9], v1, v10
	v_cmp_ne_u32_e32 vcc, v1, v10
	s_and_saveexec_b64 s[10:11], vcc
	s_cbranch_execz .LBB442_85
; %bb.72:
	v_cmp_eq_u32_e32 vcc, v1, v23
	v_cmp_ne_u32_e64 s[0:1], v1, v23
	s_and_saveexec_b64 s[16:17], s[0:1]
	s_cbranch_execz .LBB442_84
; %bb.73:
	v_cmp_eq_u32_e64 s[0:1], v1, v22
	v_cmp_ne_u32_e64 s[2:3], v1, v22
	s_and_saveexec_b64 s[18:19], s[2:3]
	s_cbranch_execz .LBB442_83
; %bb.74:
	v_cmp_eq_u32_e64 s[2:3], v1, v21
	;; [unrolled: 5-line block ×5, first 2 shown]
	v_cmp_ne_u32_e64 s[6:7], v1, v15
	s_and_saveexec_b64 s[30:31], s[6:7]
; %bb.78:
	v_cmp_eq_u32_e64 s[6:7], v1, v13
	s_andn2_b64 s[28:29], s[28:29], exec
	s_and_b64 s[6:7], s[6:7], exec
	s_or_b64 s[28:29], s[28:29], s[6:7]
	v_mov_b32_e32 v9, v11
; %bb.79:
	s_or_b64 exec, exec, s[30:31]
	s_andn2_b64 s[6:7], s[24:25], exec
	s_and_b64 s[24:25], s[28:29], exec
	s_or_b64 s[24:25], s[6:7], s[24:25]
	v_mov_b32_e32 v12, v9
.LBB442_80:
	s_or_b64 exec, exec, s[26:27]
	s_andn2_b64 s[4:5], s[4:5], exec
	s_and_b64 s[6:7], s[24:25], exec
	s_or_b64 s[4:5], s[4:5], s[6:7]
	v_mov_b32_e32 v14, v12
.LBB442_81:
	s_or_b64 exec, exec, s[22:23]
	s_andn2_b64 s[2:3], s[2:3], exec
	s_and_b64 s[4:5], s[4:5], exec
	s_or_b64 s[2:3], s[2:3], s[4:5]
	v_mov_b32_e32 v16, v14
.LBB442_82:
	s_or_b64 exec, exec, s[20:21]
	s_andn2_b64 s[0:1], s[0:1], exec
	s_and_b64 s[2:3], s[2:3], exec
	s_or_b64 s[0:1], s[0:1], s[2:3]
	v_mov_b32_e32 v18, v16
.LBB442_83:
	s_or_b64 exec, exec, s[18:19]
	s_andn2_b64 s[2:3], vcc, exec
	s_and_b64 s[0:1], s[0:1], exec
	s_or_b64 vcc, s[2:3], s[0:1]
	v_mov_b32_e32 v20, v18
.LBB442_84:
	s_or_b64 exec, exec, s[16:17]
	s_andn2_b64 s[0:1], s[8:9], exec
	s_and_b64 s[2:3], vcc, exec
	s_or_b64 s[8:9], s[0:1], s[2:3]
	v_mov_b32_e32 v2, v20
.LBB442_85:
	s_or_b64 exec, exec, s[10:11]
	s_and_b64 exec, exec, s[8:9]
	s_cbranch_execz .LBB442_32
; %bb.86:
	scratch_load_dword v2, v2, off
	v_add_u32_e32 v0, s14, v0
	v_ashrrev_i32_e32 v1, 31, v0
	s_waitcnt lgkmcnt(0)
	v_lshl_add_u64 v[0:1], v[0:1], 2, s[12:13]
	s_waitcnt vmcnt(0)
	v_mul_f32_e32 v2, v8, v2
	global_store_dword v[0:1], v2, off
	s_endpgm
	.section	.rodata,"a",@progbits
	.p2align	6, 0x0
	.amdhsa_kernel _ZN4vllm3moe22topkGatingSoftplusSqrtILi8ELi32ELi4ELi16ELi32ELb1Ej14__hip_bfloat16EEvPKT6_PKbPfiPT5_PiiiibdPKfPKS9_SF_
		.amdhsa_group_segment_fixed_size 0
		.amdhsa_private_segment_fixed_size 48
		.amdhsa_kernarg_size 96
		.amdhsa_user_sgpr_count 2
		.amdhsa_user_sgpr_dispatch_ptr 0
		.amdhsa_user_sgpr_queue_ptr 0
		.amdhsa_user_sgpr_kernarg_segment_ptr 1
		.amdhsa_user_sgpr_dispatch_id 0
		.amdhsa_user_sgpr_kernarg_preload_length 0
		.amdhsa_user_sgpr_kernarg_preload_offset 0
		.amdhsa_user_sgpr_private_segment_size 0
		.amdhsa_uses_dynamic_stack 0
		.amdhsa_enable_private_segment 1
		.amdhsa_system_sgpr_workgroup_id_x 1
		.amdhsa_system_sgpr_workgroup_id_y 0
		.amdhsa_system_sgpr_workgroup_id_z 0
		.amdhsa_system_sgpr_workgroup_info 0
		.amdhsa_system_vgpr_workitem_id 1
		.amdhsa_next_free_vgpr 27
		.amdhsa_next_free_sgpr 34
		.amdhsa_accum_offset 28
		.amdhsa_reserve_vcc 1
		.amdhsa_float_round_mode_32 0
		.amdhsa_float_round_mode_16_64 0
		.amdhsa_float_denorm_mode_32 3
		.amdhsa_float_denorm_mode_16_64 3
		.amdhsa_dx10_clamp 1
		.amdhsa_ieee_mode 1
		.amdhsa_fp16_overflow 0
		.amdhsa_tg_split 0
		.amdhsa_exception_fp_ieee_invalid_op 0
		.amdhsa_exception_fp_denorm_src 0
		.amdhsa_exception_fp_ieee_div_zero 0
		.amdhsa_exception_fp_ieee_overflow 0
		.amdhsa_exception_fp_ieee_underflow 0
		.amdhsa_exception_fp_ieee_inexact 0
		.amdhsa_exception_int_div_zero 0
	.end_amdhsa_kernel
	.section	.text._ZN4vllm3moe22topkGatingSoftplusSqrtILi8ELi32ELi4ELi16ELi32ELb1Ej14__hip_bfloat16EEvPKT6_PKbPfiPT5_PiiiibdPKfPKS9_SF_,"axG",@progbits,_ZN4vllm3moe22topkGatingSoftplusSqrtILi8ELi32ELi4ELi16ELi32ELb1Ej14__hip_bfloat16EEvPKT6_PKbPfiPT5_PiiiibdPKfPKS9_SF_,comdat
.Lfunc_end442:
	.size	_ZN4vllm3moe22topkGatingSoftplusSqrtILi8ELi32ELi4ELi16ELi32ELb1Ej14__hip_bfloat16EEvPKT6_PKbPfiPT5_PiiiibdPKfPKS9_SF_, .Lfunc_end442-_ZN4vllm3moe22topkGatingSoftplusSqrtILi8ELi32ELi4ELi16ELi32ELb1Ej14__hip_bfloat16EEvPKT6_PKbPfiPT5_PiiiibdPKfPKS9_SF_
                                        ; -- End function
	.section	.AMDGPU.csdata,"",@progbits
; Kernel info:
; codeLenInByte = 4488
; NumSgprs: 40
; NumVgprs: 27
; NumAgprs: 0
; TotalNumVgprs: 27
; ScratchSize: 48
; MemoryBound: 0
; FloatMode: 240
; IeeeMode: 1
; LDSByteSize: 0 bytes/workgroup (compile time only)
; SGPRBlocks: 4
; VGPRBlocks: 3
; NumSGPRsForWavesPerEU: 40
; NumVGPRsForWavesPerEU: 27
; AccumOffset: 28
; Occupancy: 8
; WaveLimiterHint : 1
; COMPUTE_PGM_RSRC2:SCRATCH_EN: 1
; COMPUTE_PGM_RSRC2:USER_SGPR: 2
; COMPUTE_PGM_RSRC2:TRAP_HANDLER: 0
; COMPUTE_PGM_RSRC2:TGID_X_EN: 1
; COMPUTE_PGM_RSRC2:TGID_Y_EN: 0
; COMPUTE_PGM_RSRC2:TGID_Z_EN: 0
; COMPUTE_PGM_RSRC2:TIDIG_COMP_CNT: 1
; COMPUTE_PGM_RSRC3_GFX90A:ACCUM_OFFSET: 6
; COMPUTE_PGM_RSRC3_GFX90A:TG_SPLIT: 0
	.section	.text._ZN4vllm3moe22topkGatingSoftplusSqrtILi8ELi32ELi4ELi16ELi32ELb0Ej14__hip_bfloat16EEvPKT6_PKbPfiPT5_PiiiibdPKfPKS9_SF_,"axG",@progbits,_ZN4vllm3moe22topkGatingSoftplusSqrtILi8ELi32ELi4ELi16ELi32ELb0Ej14__hip_bfloat16EEvPKT6_PKbPfiPT5_PiiiibdPKfPKS9_SF_,comdat
	.protected	_ZN4vllm3moe22topkGatingSoftplusSqrtILi8ELi32ELi4ELi16ELi32ELb0Ej14__hip_bfloat16EEvPKT6_PKbPfiPT5_PiiiibdPKfPKS9_SF_ ; -- Begin function _ZN4vllm3moe22topkGatingSoftplusSqrtILi8ELi32ELi4ELi16ELi32ELb0Ej14__hip_bfloat16EEvPKT6_PKbPfiPT5_PiiiibdPKfPKS9_SF_
	.globl	_ZN4vllm3moe22topkGatingSoftplusSqrtILi8ELi32ELi4ELi16ELi32ELb0Ej14__hip_bfloat16EEvPKT6_PKbPfiPT5_PiiiibdPKfPKS9_SF_
	.p2align	8
	.type	_ZN4vllm3moe22topkGatingSoftplusSqrtILi8ELi32ELi4ELi16ELi32ELb0Ej14__hip_bfloat16EEvPKT6_PKbPfiPT5_PiiiibdPKfPKS9_SF_,@function
_ZN4vllm3moe22topkGatingSoftplusSqrtILi8ELi32ELi4ELi16ELi32ELb0Ej14__hip_bfloat16EEvPKT6_PKbPfiPT5_PiiiibdPKfPKS9_SF_: ; @_ZN4vllm3moe22topkGatingSoftplusSqrtILi8ELi32ELi4ELi16ELi32ELb0Ej14__hip_bfloat16EEvPKT6_PKbPfiPT5_PiiiibdPKfPKS9_SF_
; %bb.0:
	s_load_dword s33, s[0:1], 0x18
	v_bfe_u32 v1, v0, 10, 10
	v_and_b32_e32 v0, 0x3ff, v0
	s_lshl_b32 s2, s2, 5
	v_lshlrev_b32_e32 v1, 3, v1
	v_lshrrev_b32_e32 v2, 2, v0
	v_add3_u32 v8, s2, v1, v2
	s_waitcnt lgkmcnt(0)
	v_cmp_gt_i32_e32 vcc, s33, v8
	s_and_saveexec_b64 s[2:3], vcc
	s_cbranch_execz .LBB443_53
; %bb.1:
	s_load_dwordx4 s[4:7], s[0:1], 0x0
	s_load_dwordx2 s[34:35], s[0:1], 0x10
	s_waitcnt lgkmcnt(0)
	s_cmp_eq_u64 s[6:7], 0
	s_cbranch_scc1 .LBB443_3
; %bb.2:
	v_ashrrev_i32_e32 v9, 31, v8
	v_lshl_add_u64 v[2:3], s[6:7], 0, v[8:9]
	global_load_ubyte v1, v[2:3], off
	s_waitcnt vmcnt(0)
	v_and_b32_e32 v1, 1, v1
	v_cmp_eq_u32_e32 vcc, 1, v1
	s_xor_b64 s[2:3], vcc, -1
	s_orn2_b64 s[36:37], s[2:3], exec
	s_branch .LBB443_4
.LBB443_3:
	s_mov_b64 s[36:37], -1
.LBB443_4:
	v_lshlrev_b32_e32 v4, 5, v8
	v_mov_b32_e32 v2, s4
	v_mov_b32_e32 v3, s5
	v_ashrrev_i32_e32 v5, 31, v4
	v_and_b32_e32 v9, 3, v0
	v_lshl_add_u64 v[2:3], v[4:5], 1, v[2:3]
	v_mov_b32_e32 v1, 0
	v_lshlrev_b32_e32 v0, 4, v9
	v_lshl_add_u64 v[0:1], v[2:3], 0, v[0:1]
	global_load_dwordx4 v[4:7], v[0:1], off
	s_mov_b32 s12, 0x800000
	v_mov_b32_e32 v2, 0x4f800000
	s_mov_b32 s9, 0x3f317217
	s_mov_b32 s10, 0x7f800000
	v_mov_b32_e32 v3, 0x41b17218
	s_mov_b32 s8, 0x41a00000
	s_mov_b32 s11, 0xf800000
	s_load_dwordx4 s[20:23], s[0:1], 0x40
	v_lshlrev_b32_e32 v12, 3, v9
	s_waitcnt lgkmcnt(0)
	s_cmp_lg_u64 s[22:23], 0
	s_cselect_b64 s[6:7], -1, 0
	s_and_b64 s[2:3], exec, s[6:7]
	s_waitcnt vmcnt(0)
	v_lshlrev_b32_e32 v0, 16, v4
	v_mul_f32_e32 v1, 0x3fb8aa3b, v0
	v_exp_f32_e32 v10, v1
	v_mov_b32_e32 v1, 0x260
	v_add_f32_e32 v10, 1.0, v10
	v_cmp_gt_f32_e32 vcc, s12, v10
	s_nop 1
	v_cndmask_b32_e32 v11, 1.0, v2, vcc
	v_mul_f32_e32 v10, v10, v11
	v_log_f32_e32 v11, v10
	v_cndmask_b32_e32 v13, 0, v3, vcc
	v_lshlrev_b32_e32 v10, 2, v12
	v_mul_f32_e32 v14, 0x3f317217, v11
	v_fma_f32 v14, v11, s9, -v14
	v_fmac_f32_e32 v14, 0x3377d1cf, v11
	v_fmac_f32_e32 v14, 0x3f317217, v11
	v_cmp_lt_f32_e64 vcc, |v11|, s10
	s_nop 1
	v_cndmask_b32_e32 v11, v11, v14, vcc
	v_sub_f32_e32 v11, v11, v13
	v_cmp_lt_f32_e32 vcc, s8, v0
	s_nop 1
	v_cndmask_b32_e32 v0, v11, v0, vcc
	v_mul_f32_e32 v11, 0x4f800000, v0
	v_cmp_gt_f32_e32 vcc, s11, v0
	s_nop 1
	v_cndmask_b32_e32 v0, v0, v11, vcc
	v_sqrt_f32_e32 v11, v0
	s_nop 0
	v_add_u32_e32 v13, -1, v11
	v_add_u32_e32 v14, 1, v11
	v_fma_f32 v15, -v13, v11, v0
	v_fma_f32 v16, -v14, v11, v0
	v_cmp_ge_f32_e64 s[4:5], 0, v15
	s_nop 1
	v_cndmask_b32_e64 v11, v11, v13, s[4:5]
	v_cmp_lt_f32_e64 s[4:5], 0, v16
	s_nop 1
	v_cndmask_b32_e64 v11, v11, v14, s[4:5]
	v_mul_f32_e32 v13, 0x37800000, v11
	v_cndmask_b32_e32 v11, v11, v13, vcc
	v_cmp_class_f32_e32 vcc, v0, v1
	s_nop 1
	v_cndmask_b32_e32 v0, v11, v0, vcc
	s_mov_b64 vcc, s[2:3]
	s_cbranch_vccz .LBB443_6
; %bb.5:
	global_load_dword v11, v10, s[22:23]
	s_waitcnt vmcnt(0)
	v_add_f32_e32 v0, v0, v11
.LBB443_6:
	v_and_b32_e32 v4, 0xffff0000, v4
	v_mul_f32_e32 v11, 0x3fb8aa3b, v4
	v_exp_f32_e32 v11, v11
	s_nop 0
	v_add_f32_e32 v11, 1.0, v11
	v_cmp_gt_f32_e32 vcc, s12, v11
	s_nop 1
	v_cndmask_b32_e32 v2, 1.0, v2, vcc
	v_mul_f32_e32 v2, v11, v2
	v_log_f32_e32 v2, v2
	v_cndmask_b32_e32 v3, 0, v3, vcc
	v_mul_f32_e32 v11, 0x3f317217, v2
	v_fma_f32 v11, v2, s9, -v11
	v_fmac_f32_e32 v11, 0x3377d1cf, v2
	v_fmac_f32_e32 v11, 0x3f317217, v2
	v_cmp_lt_f32_e64 vcc, |v2|, s10
	s_nop 1
	v_cndmask_b32_e32 v2, v2, v11, vcc
	v_sub_f32_e32 v2, v2, v3
	v_cmp_lt_f32_e32 vcc, s8, v4
	s_nop 1
	v_cndmask_b32_e32 v2, v2, v4, vcc
	v_mul_f32_e32 v3, 0x4f800000, v2
	v_cmp_gt_f32_e32 vcc, s11, v2
	s_nop 1
	v_cndmask_b32_e32 v2, v2, v3, vcc
	v_sqrt_f32_e32 v3, v2
	v_cmp_class_f32_e64 s[4:5], v2, v1
	v_add_u32_e32 v4, -1, v3
	v_add_u32_e32 v11, 1, v3
	v_fma_f32 v13, -v4, v3, v2
	v_fma_f32 v14, -v11, v3, v2
	v_cmp_ge_f32_e64 s[2:3], 0, v13
	s_nop 1
	v_cndmask_b32_e64 v3, v3, v4, s[2:3]
	v_cmp_lt_f32_e64 s[2:3], 0, v14
	s_nop 1
	v_cndmask_b32_e64 v3, v3, v11, s[2:3]
	v_mul_f32_e32 v4, 0x37800000, v3
	v_cndmask_b32_e32 v3, v3, v4, vcc
	v_cndmask_b32_e64 v4, 0, 1, s[6:7]
	v_cmp_ne_u32_e64 s[2:3], 1, v4
	s_andn2_b64 vcc, exec, s[6:7]
	v_cndmask_b32_e64 v1, v3, v2, s[4:5]
	s_cbranch_vccnz .LBB443_8
; %bb.7:
	global_load_dword v2, v10, s[22:23] offset:4
	s_waitcnt vmcnt(0)
	v_add_f32_e32 v1, v1, v2
.LBB443_8:
	v_lshlrev_b32_e32 v2, 16, v5
	v_mul_f32_e32 v3, 0x3fb8aa3b, v2
	v_exp_f32_e32 v3, v3
	s_mov_b32 s10, 0x800000
	v_mov_b32_e32 v4, 0x4f800000
	s_mov_b32 s7, 0x3f317217
	v_add_f32_e32 v3, 1.0, v3
	v_cmp_gt_f32_e32 vcc, s10, v3
	s_mov_b32 s8, 0x7f800000
	s_mov_b32 s6, 0x41a00000
	v_cndmask_b32_e32 v11, 1.0, v4, vcc
	v_mul_f32_e32 v3, v3, v11
	v_log_f32_e32 v3, v3
	s_mov_b32 s9, 0xf800000
	v_mul_f32_e32 v11, 0x3f317217, v3
	v_fma_f32 v11, v3, s7, -v11
	v_fmac_f32_e32 v11, 0x3377d1cf, v3
	v_fmac_f32_e32 v11, 0x3f317217, v3
	v_cmp_lt_f32_e64 s[4:5], |v3|, s8
	s_nop 1
	v_cndmask_b32_e64 v3, v3, v11, s[4:5]
	v_mov_b32_e32 v11, 0x41b17218
	v_cndmask_b32_e32 v13, 0, v11, vcc
	v_sub_f32_e32 v3, v3, v13
	v_cmp_lt_f32_e32 vcc, s6, v2
	s_nop 1
	v_cndmask_b32_e32 v2, v3, v2, vcc
	v_mul_f32_e32 v3, 0x4f800000, v2
	v_cmp_gt_f32_e32 vcc, s9, v2
	s_nop 1
	v_cndmask_b32_e32 v2, v2, v3, vcc
	v_sqrt_f32_e32 v3, v2
	s_nop 0
	v_add_u32_e32 v13, -1, v3
	v_fma_f32 v14, -v13, v3, v2
	v_cmp_ge_f32_e64 s[4:5], 0, v14
	v_add_u32_e32 v14, 1, v3
	s_nop 0
	v_cndmask_b32_e64 v13, v3, v13, s[4:5]
	v_fma_f32 v3, -v14, v3, v2
	v_cmp_lt_f32_e64 s[4:5], 0, v3
	s_nop 1
	v_cndmask_b32_e64 v3, v13, v14, s[4:5]
	v_mul_f32_e32 v13, 0x37800000, v3
	v_cndmask_b32_e32 v13, v3, v13, vcc
	v_mov_b32_e32 v3, 0x260
	v_cmp_class_f32_e64 s[4:5], v2, v3
	s_and_b64 vcc, exec, s[2:3]
	s_nop 0
	v_cndmask_b32_e64 v2, v13, v2, s[4:5]
	s_cbranch_vccnz .LBB443_10
; %bb.9:
	global_load_dword v13, v10, s[22:23] offset:8
	s_waitcnt vmcnt(0)
	v_add_f32_e32 v2, v2, v13
.LBB443_10:
	v_and_b32_e32 v5, 0xffff0000, v5
	v_mul_f32_e32 v13, 0x3fb8aa3b, v5
	v_exp_f32_e32 v13, v13
	s_nop 0
	v_add_f32_e32 v13, 1.0, v13
	v_cmp_gt_f32_e32 vcc, s10, v13
	s_nop 1
	v_cndmask_b32_e32 v4, 1.0, v4, vcc
	v_mul_f32_e32 v4, v13, v4
	v_log_f32_e32 v4, v4
	v_cndmask_b32_e32 v11, 0, v11, vcc
	v_mul_f32_e32 v13, 0x3f317217, v4
	v_fma_f32 v13, v4, s7, -v13
	v_fmac_f32_e32 v13, 0x3377d1cf, v4
	v_fmac_f32_e32 v13, 0x3f317217, v4
	v_cmp_lt_f32_e64 vcc, |v4|, s8
	s_nop 1
	v_cndmask_b32_e32 v4, v4, v13, vcc
	v_sub_f32_e32 v4, v4, v11
	v_cmp_lt_f32_e32 vcc, s6, v5
	s_nop 1
	v_cndmask_b32_e32 v4, v4, v5, vcc
	v_mul_f32_e32 v5, 0x4f800000, v4
	v_cmp_gt_f32_e32 vcc, s9, v4
	s_nop 1
	v_cndmask_b32_e32 v4, v4, v5, vcc
	v_sqrt_f32_e32 v5, v4
	s_nop 0
	v_add_u32_e32 v11, -1, v5
	v_add_u32_e32 v13, 1, v5
	v_fma_f32 v14, -v11, v5, v4
	v_fma_f32 v15, -v13, v5, v4
	v_cmp_ge_f32_e64 s[4:5], 0, v14
	s_nop 1
	v_cndmask_b32_e64 v5, v5, v11, s[4:5]
	v_cmp_lt_f32_e64 s[4:5], 0, v15
	s_nop 1
	v_cndmask_b32_e64 v5, v5, v13, s[4:5]
	v_mul_f32_e32 v11, 0x37800000, v5
	v_cndmask_b32_e32 v5, v5, v11, vcc
	v_cmp_class_f32_e64 s[4:5], v4, v3
	s_and_b64 vcc, exec, s[2:3]
	s_nop 0
	v_cndmask_b32_e64 v3, v5, v4, s[4:5]
	s_cbranch_vccnz .LBB443_12
; %bb.11:
	global_load_dword v4, v10, s[22:23] offset:12
	s_waitcnt vmcnt(0)
	v_add_f32_e32 v3, v3, v4
.LBB443_12:
	v_lshlrev_b32_e32 v4, 16, v6
	v_mul_f32_e32 v5, 0x3fb8aa3b, v4
	v_exp_f32_e32 v5, v5
	v_mov_b32_e32 v11, 0x4f800000
	v_add_f32_e32 v5, 1.0, v5
	v_cmp_gt_f32_e32 vcc, s10, v5
	s_nop 1
	v_cndmask_b32_e32 v13, 1.0, v11, vcc
	v_mul_f32_e32 v5, v5, v13
	v_log_f32_e32 v5, v5
	s_nop 0
	v_mul_f32_e32 v13, 0x3f317217, v5
	v_fma_f32 v13, v5, s7, -v13
	v_fmac_f32_e32 v13, 0x3377d1cf, v5
	v_fmac_f32_e32 v13, 0x3f317217, v5
	v_cmp_lt_f32_e64 s[4:5], |v5|, s8
	s_nop 1
	v_cndmask_b32_e64 v5, v5, v13, s[4:5]
	v_mov_b32_e32 v13, 0x41b17218
	v_cndmask_b32_e32 v14, 0, v13, vcc
	v_sub_f32_e32 v5, v5, v14
	v_cmp_lt_f32_e32 vcc, s6, v4
	s_nop 1
	v_cndmask_b32_e32 v4, v5, v4, vcc
	v_mul_f32_e32 v5, 0x4f800000, v4
	v_cmp_gt_f32_e32 vcc, s9, v4
	s_nop 1
	v_cndmask_b32_e32 v4, v4, v5, vcc
	v_sqrt_f32_e32 v5, v4
	s_nop 0
	v_add_u32_e32 v14, -1, v5
	v_fma_f32 v15, -v14, v5, v4
	v_cmp_ge_f32_e64 s[4:5], 0, v15
	v_add_u32_e32 v15, 1, v5
	s_nop 0
	v_cndmask_b32_e64 v14, v5, v14, s[4:5]
	v_fma_f32 v5, -v15, v5, v4
	v_cmp_lt_f32_e64 s[4:5], 0, v5
	s_nop 1
	v_cndmask_b32_e64 v5, v14, v15, s[4:5]
	v_mul_f32_e32 v14, 0x37800000, v5
	v_cndmask_b32_e32 v14, v5, v14, vcc
	v_mov_b32_e32 v5, 0x260
	v_cmp_class_f32_e64 s[4:5], v4, v5
	s_and_b64 vcc, exec, s[2:3]
	s_nop 0
	v_cndmask_b32_e64 v4, v14, v4, s[4:5]
	s_cbranch_vccnz .LBB443_14
; %bb.13:
	global_load_dword v14, v10, s[22:23] offset:16
	s_waitcnt vmcnt(0)
	v_add_f32_e32 v4, v4, v14
.LBB443_14:
	v_and_b32_e32 v6, 0xffff0000, v6
	v_mul_f32_e32 v14, 0x3fb8aa3b, v6
	v_exp_f32_e32 v14, v14
	s_nop 0
	v_add_f32_e32 v14, 1.0, v14
	v_cmp_gt_f32_e32 vcc, s10, v14
	s_nop 1
	v_cndmask_b32_e32 v11, 1.0, v11, vcc
	v_mul_f32_e32 v11, v14, v11
	v_log_f32_e32 v11, v11
	v_cndmask_b32_e32 v13, 0, v13, vcc
	v_mul_f32_e32 v14, 0x3f317217, v11
	v_fma_f32 v14, v11, s7, -v14
	v_fmac_f32_e32 v14, 0x3377d1cf, v11
	v_fmac_f32_e32 v14, 0x3f317217, v11
	v_cmp_lt_f32_e64 vcc, |v11|, s8
	s_nop 1
	v_cndmask_b32_e32 v11, v11, v14, vcc
	v_sub_f32_e32 v11, v11, v13
	v_cmp_lt_f32_e32 vcc, s6, v6
	s_nop 1
	v_cndmask_b32_e32 v6, v11, v6, vcc
	v_mul_f32_e32 v11, 0x4f800000, v6
	v_cmp_gt_f32_e32 vcc, s9, v6
	s_nop 1
	v_cndmask_b32_e32 v6, v6, v11, vcc
	v_sqrt_f32_e32 v11, v6
	s_nop 0
	v_add_u32_e32 v13, -1, v11
	v_add_u32_e32 v14, 1, v11
	v_fma_f32 v15, -v13, v11, v6
	v_fma_f32 v16, -v14, v11, v6
	v_cmp_ge_f32_e64 s[4:5], 0, v15
	s_nop 1
	v_cndmask_b32_e64 v11, v11, v13, s[4:5]
	v_cmp_lt_f32_e64 s[4:5], 0, v16
	s_nop 1
	v_cndmask_b32_e64 v11, v11, v14, s[4:5]
	v_mul_f32_e32 v13, 0x37800000, v11
	v_cndmask_b32_e32 v11, v11, v13, vcc
	v_cmp_class_f32_e64 s[4:5], v6, v5
	s_and_b64 vcc, exec, s[2:3]
	s_nop 0
	v_cndmask_b32_e64 v5, v11, v6, s[4:5]
	s_cbranch_vccnz .LBB443_16
; %bb.15:
	global_load_dword v6, v10, s[22:23] offset:20
	s_waitcnt vmcnt(0)
	v_add_f32_e32 v5, v5, v6
.LBB443_16:
	v_lshlrev_b32_e32 v6, 16, v7
	v_mul_f32_e32 v11, 0x3fb8aa3b, v6
	v_exp_f32_e32 v11, v11
	v_mov_b32_e32 v13, 0x4f800000
	v_add_f32_e32 v11, 1.0, v11
	v_cmp_gt_f32_e32 vcc, s10, v11
	s_nop 1
	v_cndmask_b32_e32 v14, 1.0, v13, vcc
	v_mul_f32_e32 v11, v11, v14
	v_log_f32_e32 v11, v11
	s_nop 0
	v_mul_f32_e32 v14, 0x3f317217, v11
	v_fma_f32 v14, v11, s7, -v14
	v_fmac_f32_e32 v14, 0x3377d1cf, v11
	v_fmac_f32_e32 v14, 0x3f317217, v11
	v_cmp_lt_f32_e64 s[4:5], |v11|, s8
	s_nop 1
	v_cndmask_b32_e64 v11, v11, v14, s[4:5]
	v_mov_b32_e32 v14, 0x41b17218
	v_cndmask_b32_e32 v15, 0, v14, vcc
	v_sub_f32_e32 v11, v11, v15
	v_cmp_lt_f32_e32 vcc, s6, v6
	s_nop 1
	v_cndmask_b32_e32 v6, v11, v6, vcc
	v_mul_f32_e32 v11, 0x4f800000, v6
	v_cmp_gt_f32_e32 vcc, s9, v6
	s_nop 1
	v_cndmask_b32_e32 v6, v6, v11, vcc
	v_sqrt_f32_e32 v11, v6
	s_nop 0
	v_add_u32_e32 v15, -1, v11
	v_fma_f32 v16, -v15, v11, v6
	v_cmp_ge_f32_e64 s[4:5], 0, v16
	v_add_u32_e32 v16, 1, v11
	s_nop 0
	v_cndmask_b32_e64 v15, v11, v15, s[4:5]
	v_fma_f32 v11, -v16, v11, v6
	v_cmp_lt_f32_e64 s[4:5], 0, v11
	s_nop 1
	v_cndmask_b32_e64 v11, v15, v16, s[4:5]
	v_mul_f32_e32 v15, 0x37800000, v11
	v_cndmask_b32_e32 v15, v11, v15, vcc
	v_mov_b32_e32 v11, 0x260
	v_cmp_class_f32_e64 s[4:5], v6, v11
	s_and_b64 vcc, exec, s[2:3]
	s_nop 0
	v_cndmask_b32_e64 v6, v15, v6, s[4:5]
	s_cbranch_vccnz .LBB443_18
; %bb.17:
	global_load_dword v15, v10, s[22:23] offset:24
	s_waitcnt vmcnt(0)
	v_add_f32_e32 v6, v6, v15
.LBB443_18:
	v_and_b32_e32 v7, 0xffff0000, v7
	v_mul_f32_e32 v15, 0x3fb8aa3b, v7
	v_exp_f32_e32 v15, v15
	s_nop 0
	v_add_f32_e32 v15, 1.0, v15
	v_cmp_gt_f32_e32 vcc, s10, v15
	s_nop 1
	v_cndmask_b32_e32 v13, 1.0, v13, vcc
	v_mul_f32_e32 v13, v15, v13
	v_log_f32_e32 v13, v13
	v_cndmask_b32_e32 v14, 0, v14, vcc
	v_mul_f32_e32 v15, 0x3f317217, v13
	v_fma_f32 v15, v13, s7, -v15
	v_fmac_f32_e32 v15, 0x3377d1cf, v13
	v_fmac_f32_e32 v15, 0x3f317217, v13
	v_cmp_lt_f32_e64 vcc, |v13|, s8
	s_nop 1
	v_cndmask_b32_e32 v13, v13, v15, vcc
	v_sub_f32_e32 v13, v13, v14
	v_cmp_lt_f32_e32 vcc, s6, v7
	s_nop 1
	v_cndmask_b32_e32 v7, v13, v7, vcc
	v_mul_f32_e32 v13, 0x4f800000, v7
	v_cmp_gt_f32_e32 vcc, s9, v7
	s_nop 1
	v_cndmask_b32_e32 v7, v7, v13, vcc
	v_sqrt_f32_e32 v13, v7
	s_nop 0
	v_add_u32_e32 v14, -1, v13
	v_add_u32_e32 v15, 1, v13
	v_fma_f32 v16, -v14, v13, v7
	v_fma_f32 v17, -v15, v13, v7
	v_cmp_ge_f32_e64 s[4:5], 0, v16
	s_nop 1
	v_cndmask_b32_e64 v13, v13, v14, s[4:5]
	v_cmp_lt_f32_e64 s[4:5], 0, v17
	s_nop 1
	v_cndmask_b32_e64 v13, v13, v15, s[4:5]
	v_mul_f32_e32 v14, 0x37800000, v13
	v_cndmask_b32_e32 v13, v13, v14, vcc
	v_cmp_class_f32_e64 s[4:5], v7, v11
	s_and_b64 vcc, exec, s[2:3]
	s_nop 0
	v_cndmask_b32_e64 v7, v13, v7, s[4:5]
	s_cbranch_vccnz .LBB443_20
; %bb.19:
	global_load_dword v10, v10, s[22:23] offset:28
	s_waitcnt vmcnt(0)
	v_add_f32_e32 v7, v7, v10
.LBB443_20:
	s_load_dwordx4 s[24:27], s[0:1], 0x30
	s_mov_b32 s42, 0
	v_cmp_eq_u32_e64 s[6:7], 0, v9
	s_waitcnt lgkmcnt(0)
	s_bitcmp1_b32 s27, 0
	s_cselect_b64 s[4:5], -1, 0
	s_cmp_gt_i32 s24, 0
	s_cselect_b64 s[38:39], -1, 0
	s_and_b64 vcc, exec, s[38:39]
	s_cbranch_vccz .LBB443_39
; %bb.21:
	v_mbcnt_lo_u32_b32 v10, -1, 0
	v_mbcnt_hi_u32_b32 v10, -1, v10
	v_and_b32_e32 v11, 0x7c, v10
	v_add_u32_e32 v11, 4, v11
	v_xor_b32_e32 v13, 2, v10
	v_cmp_lt_i32_e32 vcc, v13, v11
	s_load_dwordx4 s[28:31], s[0:1], 0x20
	v_mul_lo_u32 v14, v8, s24
	v_cndmask_b32_e32 v13, v10, v13, vcc
	v_lshlrev_b32_e32 v15, 2, v13
	v_xor_b32_e32 v13, 1, v10
	v_cmp_lt_i32_e32 vcc, v13, v11
	v_mov_b32_e32 v17, 0xc61c4000
	v_mov_b32_e32 v18, v8
	v_cndmask_b32_e32 v10, v10, v13, vcc
	v_lshlrev_b32_e32 v16, 2, v10
	v_mov_b32_e32 v13, 0
	s_branch .LBB443_24
.LBB443_22:                             ;   in Loop: Header=BB443_24 Depth=1
	s_or_b64 exec, exec, s[40:41]
.LBB443_23:                             ;   in Loop: Header=BB443_24 Depth=1
	s_cmp_eq_u32 s24, s42
	v_add_u32_e32 v18, s33, v18
	s_cbranch_scc1 .LBB443_40
.LBB443_24:                             ; =>This Inner Loop Header: Depth=1
	v_cmp_gt_f32_e32 vcc, v1, v0
	s_nop 1
	v_cndmask_b32_e32 v11, v0, v1, vcc
	v_cndmask_b32_e64 v10, 0, 1, vcc
	v_cmp_gt_f32_e32 vcc, v2, v11
	s_nop 1
	v_cndmask_b32_e32 v11, v11, v2, vcc
	v_cndmask_b32_e64 v10, v10, 2, vcc
	;; [unrolled: 4-line block ×6, first 2 shown]
	v_cmp_gt_f32_e32 vcc, v7, v11
	s_nop 1
	v_cndmask_b32_e64 v10, v10, 7, vcc
	v_cndmask_b32_e32 v19, v11, v7, vcc
	ds_bpermute_b32 v11, v15, v19
	v_or_b32_e32 v10, v12, v10
	s_waitcnt lgkmcnt(0)
	ds_bpermute_b32 v20, v15, v10
	s_waitcnt lgkmcnt(0)
	v_cmp_lt_f32_e64 s[8:9], v19, v11
	v_cmp_nlt_f32_e32 vcc, v19, v11
	s_and_saveexec_b64 s[10:11], vcc
; %bb.25:                               ;   in Loop: Header=BB443_24 Depth=1
	v_cmp_eq_f32_e32 vcc, v19, v11
	v_cmp_lt_i32_e64 s[0:1], v20, v10
	s_and_b64 s[0:1], vcc, s[0:1]
	s_andn2_b64 s[8:9], s[8:9], exec
	s_and_b64 s[0:1], s[0:1], exec
	s_or_b64 s[8:9], s[8:9], s[0:1]
; %bb.26:                               ;   in Loop: Header=BB443_24 Depth=1
	s_or_b64 exec, exec, s[10:11]
	s_and_saveexec_b64 s[0:1], s[8:9]
; %bb.27:                               ;   in Loop: Header=BB443_24 Depth=1
	v_mov_b32_e32 v19, v11
	v_mov_b32_e32 v10, v20
; %bb.28:                               ;   in Loop: Header=BB443_24 Depth=1
	s_or_b64 exec, exec, s[0:1]
	ds_bpermute_b32 v11, v16, v19
	ds_bpermute_b32 v20, v16, v10
	s_waitcnt lgkmcnt(1)
	v_cmp_lt_f32_e64 s[8:9], v19, v11
	v_cmp_nlt_f32_e32 vcc, v19, v11
	s_and_saveexec_b64 s[10:11], vcc
	s_cbranch_execnz .LBB443_32
; %bb.29:                               ;   in Loop: Header=BB443_24 Depth=1
	s_or_b64 exec, exec, s[10:11]
	s_and_saveexec_b64 s[0:1], s[8:9]
	s_cbranch_execnz .LBB443_33
.LBB443_30:                             ;   in Loop: Header=BB443_24 Depth=1
	s_or_b64 exec, exec, s[0:1]
	s_and_saveexec_b64 s[8:9], s[6:7]
	s_cbranch_execnz .LBB443_34
.LBB443_31:                             ;   in Loop: Header=BB443_24 Depth=1
	s_or_b64 exec, exec, s[8:9]
	s_add_i32 s42, s42, 1
	s_cmp_ge_i32 s42, s24
	s_cbranch_scc1 .LBB443_23
	s_branch .LBB443_37
.LBB443_32:                             ;   in Loop: Header=BB443_24 Depth=1
	v_cmp_eq_f32_e32 vcc, v19, v11
	s_waitcnt lgkmcnt(0)
	v_cmp_lt_i32_e64 s[0:1], v20, v10
	s_and_b64 s[0:1], vcc, s[0:1]
	s_andn2_b64 s[8:9], s[8:9], exec
	s_and_b64 s[0:1], s[0:1], exec
	s_or_b64 s[8:9], s[8:9], s[0:1]
	s_or_b64 exec, exec, s[10:11]
	s_and_saveexec_b64 s[0:1], s[8:9]
	s_cbranch_execz .LBB443_30
.LBB443_33:                             ;   in Loop: Header=BB443_24 Depth=1
	s_waitcnt lgkmcnt(0)
	v_mov_b32_e32 v10, v20
	v_mov_b32_e32 v19, v11
	s_or_b64 exec, exec, s[0:1]
	s_and_saveexec_b64 s[8:9], s[6:7]
	s_cbranch_execz .LBB443_31
.LBB443_34:                             ;   in Loop: Header=BB443_24 Depth=1
	s_and_b64 vcc, exec, s[2:3]
	s_cbranch_vccnz .LBB443_36
; %bb.35:                               ;   in Loop: Header=BB443_24 Depth=1
	v_ashrrev_i32_e32 v11, 31, v10
	s_waitcnt lgkmcnt(0)
	v_lshl_add_u64 v[20:21], v[10:11], 2, s[22:23]
	global_load_dword v11, v[20:21], off
	s_waitcnt vmcnt(0)
	v_sub_f32_e32 v19, v19, v11
.LBB443_36:                             ;   in Loop: Header=BB443_24 Depth=1
	s_waitcnt lgkmcnt(0)
	v_add_u32_e32 v20, s42, v14
	v_cmp_le_i32_e32 vcc, s25, v10
	v_cmp_gt_i32_e64 s[0:1], s26, v10
	v_ashrrev_i32_e32 v21, 31, v20
	s_and_b64 s[0:1], vcc, s[0:1]
	v_lshlrev_b64 v[20:21], 2, v[20:21]
	v_lshl_add_u64 v[22:23], s[34:35], 0, v[20:21]
	v_subrev_u32_e32 v11, s25, v10
	s_and_b64 vcc, s[36:37], s[0:1]
	global_store_dword v[22:23], v19, off
	v_cndmask_b32_e32 v11, 32, v11, vcc
	v_lshl_add_u64 v[22:23], s[28:29], 0, v[20:21]
	global_store_dword v[22:23], v11, off
	v_add_f32_e32 v11, v13, v19
	v_lshl_add_u64 v[20:21], s[30:31], 0, v[20:21]
	v_cndmask_b32_e64 v13, v13, v11, s[4:5]
	global_store_dword v[20:21], v18, off
	s_or_b64 exec, exec, s[8:9]
	s_add_i32 s42, s42, 1
	s_cmp_ge_i32 s42, s24
	s_cbranch_scc1 .LBB443_23
.LBB443_37:                             ;   in Loop: Header=BB443_24 Depth=1
	v_ashrrev_i32_e32 v19, 31, v10
	v_lshrrev_b32_e32 v11, 29, v19
	v_add_u32_e32 v11, v10, v11
	v_ashrrev_i32_e32 v11, 3, v11
	s_waitcnt lgkmcnt(0)
	v_lshrrev_b32_e32 v20, 30, v11
	v_add_u32_e32 v20, v11, v20
	v_and_b32_e32 v20, -4, v20
	v_sub_u32_e32 v20, v11, v20
	v_cmp_eq_u32_e32 vcc, v9, v20
	s_and_saveexec_b64 s[40:41], vcc
	s_cbranch_execz .LBB443_22
; %bb.38:                               ;   in Loop: Header=BB443_24 Depth=1
	v_lshrrev_b32_e32 v19, 27, v19
	v_add_u32_e32 v19, v10, v19
	v_lshlrev_b32_e32 v11, 3, v11
	v_sub_u32_e32 v10, v10, v11
	v_ashrrev_i32_e32 v11, 5, v19
	v_lshl_add_u32 v10, v11, 3, v10
	v_cmp_ne_u32_e32 vcc, 6, v10
	v_cmp_ne_u32_e64 s[0:1], 5, v10
	v_cmp_ne_u32_e64 s[8:9], 4, v10
	;; [unrolled: 1-line block ×7, first 2 shown]
	v_cndmask_b32_e32 v6, v17, v6, vcc
	v_cndmask_b32_e64 v5, v17, v5, s[0:1]
	v_cndmask_b32_e64 v7, v17, v7, s[18:19]
	;; [unrolled: 1-line block ×7, first 2 shown]
	s_branch .LBB443_22
.LBB443_39:
	v_mov_b32_e32 v13, 0
.LBB443_40:
	v_cmp_eq_u32_e32 vcc, 0, v9
	s_and_b64 exec, exec, vcc
	s_cbranch_execz .LBB443_53
; %bb.41:
	s_andn2_b64 vcc, exec, s[4:5]
	v_cvt_f32_f64_e32 v0, s[20:21]
	s_cbranch_vccnz .LBB443_43
; %bb.42:
	v_cmp_lt_f32_e32 vcc, 0, v13
	s_nop 1
	v_cndmask_b32_e32 v1, 1.0, v13, vcc
	v_div_scale_f32 v2, s[0:1], v1, v1, v0
	v_rcp_f32_e32 v3, v2
	s_nop 0
	v_fma_f32 v4, -v2, v3, 1.0
	v_fmac_f32_e32 v3, v4, v3
	v_div_scale_f32 v4, vcc, v0, v1, v0
	v_mul_f32_e32 v5, v4, v3
	v_fma_f32 v6, -v2, v5, v4
	v_fmac_f32_e32 v5, v6, v3
	v_fma_f32 v2, -v2, v5, v4
	v_div_fmas_f32 v2, v2, v3, v5
	v_div_fixup_f32 v0, v2, v1, v0
.LBB443_43:
	s_andn2_b64 vcc, exec, s[38:39]
	s_cbranch_vccnz .LBB443_53
; %bb.44:
	v_mul_lo_u32 v2, v8, s24
	s_cmp_gt_u32 s24, 3
	v_ashrrev_i32_e32 v3, 31, v2
	s_cbranch_scc0 .LBB443_48
; %bb.45:
	s_and_b32 s0, s24, 0x7ffffffc
	v_lshl_add_u64 v[4:5], v[2:3], 2, s[34:35]
	v_mov_b32_e32 v1, v0
	v_lshl_add_u64 v[4:5], v[4:5], 0, 8
	s_mov_b32 s1, s0
.LBB443_46:                             ; =>This Inner Loop Header: Depth=1
	global_load_dwordx4 v[6:9], v[4:5], off offset:-8
	s_add_i32 s1, s1, -4
	s_cmp_lg_u32 s1, 0
	s_waitcnt vmcnt(0)
	v_pk_mul_f32 v[6:7], v[0:1], v[6:7]
	v_pk_mul_f32 v[8:9], v[0:1], v[8:9]
	global_store_dwordx4 v[4:5], v[6:9], off offset:-8
	v_lshl_add_u64 v[4:5], v[4:5], 0, 16
	s_cbranch_scc1 .LBB443_46
; %bb.47:
	s_cmp_lg_u32 s0, s24
	s_cselect_b64 s[2:3], -1, 0
	s_branch .LBB443_50
.LBB443_48:
	s_mov_b64 s[2:3], 0
                                        ; implicit-def: $sgpr0
	s_cbranch_execz .LBB443_50
; %bb.49:
	s_mov_b64 s[2:3], -1
	s_mov_b32 s0, 0
.LBB443_50:
	s_andn2_b64 vcc, exec, s[2:3]
	s_cbranch_vccnz .LBB443_53
; %bb.51:
	s_mov_b32 s1, 0
	v_lshl_add_u64 v[2:3], v[2:3], 0, s[0:1]
	s_sub_i32 s2, s24, s0
	v_lshl_add_u64 v[2:3], v[2:3], 2, s[34:35]
.LBB443_52:                             ; =>This Inner Loop Header: Depth=1
	global_load_dword v1, v[2:3], off
	s_add_i32 s2, s2, -1
	s_cmp_lg_u32 s2, 0
	s_waitcnt vmcnt(0)
	v_mul_f32_e32 v1, v0, v1
	global_store_dword v[2:3], v1, off
	v_lshl_add_u64 v[2:3], v[2:3], 0, 4
	s_cbranch_scc1 .LBB443_52
.LBB443_53:
	s_endpgm
	.section	.rodata,"a",@progbits
	.p2align	6, 0x0
	.amdhsa_kernel _ZN4vllm3moe22topkGatingSoftplusSqrtILi8ELi32ELi4ELi16ELi32ELb0Ej14__hip_bfloat16EEvPKT6_PKbPfiPT5_PiiiibdPKfPKS9_SF_
		.amdhsa_group_segment_fixed_size 0
		.amdhsa_private_segment_fixed_size 0
		.amdhsa_kernarg_size 96
		.amdhsa_user_sgpr_count 2
		.amdhsa_user_sgpr_dispatch_ptr 0
		.amdhsa_user_sgpr_queue_ptr 0
		.amdhsa_user_sgpr_kernarg_segment_ptr 1
		.amdhsa_user_sgpr_dispatch_id 0
		.amdhsa_user_sgpr_kernarg_preload_length 0
		.amdhsa_user_sgpr_kernarg_preload_offset 0
		.amdhsa_user_sgpr_private_segment_size 0
		.amdhsa_uses_dynamic_stack 0
		.amdhsa_enable_private_segment 0
		.amdhsa_system_sgpr_workgroup_id_x 1
		.amdhsa_system_sgpr_workgroup_id_y 0
		.amdhsa_system_sgpr_workgroup_id_z 0
		.amdhsa_system_sgpr_workgroup_info 0
		.amdhsa_system_vgpr_workitem_id 1
		.amdhsa_next_free_vgpr 24
		.amdhsa_next_free_sgpr 43
		.amdhsa_accum_offset 24
		.amdhsa_reserve_vcc 1
		.amdhsa_float_round_mode_32 0
		.amdhsa_float_round_mode_16_64 0
		.amdhsa_float_denorm_mode_32 3
		.amdhsa_float_denorm_mode_16_64 3
		.amdhsa_dx10_clamp 1
		.amdhsa_ieee_mode 1
		.amdhsa_fp16_overflow 0
		.amdhsa_tg_split 0
		.amdhsa_exception_fp_ieee_invalid_op 0
		.amdhsa_exception_fp_denorm_src 0
		.amdhsa_exception_fp_ieee_div_zero 0
		.amdhsa_exception_fp_ieee_overflow 0
		.amdhsa_exception_fp_ieee_underflow 0
		.amdhsa_exception_fp_ieee_inexact 0
		.amdhsa_exception_int_div_zero 0
	.end_amdhsa_kernel
	.section	.text._ZN4vllm3moe22topkGatingSoftplusSqrtILi8ELi32ELi4ELi16ELi32ELb0Ej14__hip_bfloat16EEvPKT6_PKbPfiPT5_PiiiibdPKfPKS9_SF_,"axG",@progbits,_ZN4vllm3moe22topkGatingSoftplusSqrtILi8ELi32ELi4ELi16ELi32ELb0Ej14__hip_bfloat16EEvPKT6_PKbPfiPT5_PiiiibdPKfPKS9_SF_,comdat
.Lfunc_end443:
	.size	_ZN4vllm3moe22topkGatingSoftplusSqrtILi8ELi32ELi4ELi16ELi32ELb0Ej14__hip_bfloat16EEvPKT6_PKbPfiPT5_PiiiibdPKfPKS9_SF_, .Lfunc_end443-_ZN4vllm3moe22topkGatingSoftplusSqrtILi8ELi32ELi4ELi16ELi32ELb0Ej14__hip_bfloat16EEvPKT6_PKbPfiPT5_PiiiibdPKfPKS9_SF_
                                        ; -- End function
	.section	.AMDGPU.csdata,"",@progbits
; Kernel info:
; codeLenInByte = 3744
; NumSgprs: 49
; NumVgprs: 24
; NumAgprs: 0
; TotalNumVgprs: 24
; ScratchSize: 0
; MemoryBound: 0
; FloatMode: 240
; IeeeMode: 1
; LDSByteSize: 0 bytes/workgroup (compile time only)
; SGPRBlocks: 6
; VGPRBlocks: 2
; NumSGPRsForWavesPerEU: 49
; NumVGPRsForWavesPerEU: 24
; AccumOffset: 24
; Occupancy: 8
; WaveLimiterHint : 0
; COMPUTE_PGM_RSRC2:SCRATCH_EN: 0
; COMPUTE_PGM_RSRC2:USER_SGPR: 2
; COMPUTE_PGM_RSRC2:TRAP_HANDLER: 0
; COMPUTE_PGM_RSRC2:TGID_X_EN: 1
; COMPUTE_PGM_RSRC2:TGID_Y_EN: 0
; COMPUTE_PGM_RSRC2:TGID_Z_EN: 0
; COMPUTE_PGM_RSRC2:TIDIG_COMP_CNT: 1
; COMPUTE_PGM_RSRC3_GFX90A:ACCUM_OFFSET: 5
; COMPUTE_PGM_RSRC3_GFX90A:TG_SPLIT: 0
	.section	.text._ZN4vllm3moe22topkGatingSoftplusSqrtILi8ELi64ELi4ELi16ELi64ELb1Ej14__hip_bfloat16EEvPKT6_PKbPfiPT5_PiiiibdPKfPKS9_SF_,"axG",@progbits,_ZN4vllm3moe22topkGatingSoftplusSqrtILi8ELi64ELi4ELi16ELi64ELb1Ej14__hip_bfloat16EEvPKT6_PKbPfiPT5_PiiiibdPKfPKS9_SF_,comdat
	.protected	_ZN4vllm3moe22topkGatingSoftplusSqrtILi8ELi64ELi4ELi16ELi64ELb1Ej14__hip_bfloat16EEvPKT6_PKbPfiPT5_PiiiibdPKfPKS9_SF_ ; -- Begin function _ZN4vllm3moe22topkGatingSoftplusSqrtILi8ELi64ELi4ELi16ELi64ELb1Ej14__hip_bfloat16EEvPKT6_PKbPfiPT5_PiiiibdPKfPKS9_SF_
	.globl	_ZN4vllm3moe22topkGatingSoftplusSqrtILi8ELi64ELi4ELi16ELi64ELb1Ej14__hip_bfloat16EEvPKT6_PKbPfiPT5_PiiiibdPKfPKS9_SF_
	.p2align	8
	.type	_ZN4vllm3moe22topkGatingSoftplusSqrtILi8ELi64ELi4ELi16ELi64ELb1Ej14__hip_bfloat16EEvPKT6_PKbPfiPT5_PiiiibdPKfPKS9_SF_,@function
_ZN4vllm3moe22topkGatingSoftplusSqrtILi8ELi64ELi4ELi16ELi64ELb1Ej14__hip_bfloat16EEvPKT6_PKbPfiPT5_PiiiibdPKfPKS9_SF_: ; @_ZN4vllm3moe22topkGatingSoftplusSqrtILi8ELi64ELi4ELi16ELi64ELb1Ej14__hip_bfloat16EEvPKT6_PKbPfiPT5_PiiiibdPKfPKS9_SF_
; %bb.0:
	s_load_dword s3, s[0:1], 0x18
	v_bfe_u32 v1, v0, 10, 10
	v_and_b32_e32 v8, 0x3ff, v0
	s_lshl_b32 s2, s2, 5
	v_lshlrev_b32_e32 v1, 3, v1
	v_lshrrev_b32_e32 v0, 3, v8
	v_add3_u32 v6, s2, v1, v0
	s_waitcnt lgkmcnt(0)
	v_cmp_gt_i32_e32 vcc, s3, v6
	s_and_saveexec_b64 s[2:3], vcc
	s_cbranch_execz .LBB444_32
; %bb.1:
	s_load_dwordx2 s[2:3], s[0:1], 0x0
	s_load_dword s33, s[0:1], 0x30
	v_lshlrev_b32_e32 v0, 6, v6
	v_lshlrev_b32_e32 v2, 3, v8
	v_ashrrev_i32_e32 v1, 31, v0
	v_and_b32_e32 v10, 56, v2
	s_waitcnt lgkmcnt(0)
	v_lshl_add_u64 v[0:1], v[0:1], 1, s[2:3]
	v_lshlrev_b32_e32 v4, 1, v10
	v_mov_b32_e32 v5, 0
	v_lshl_add_u64 v[0:1], v[0:1], 0, v[4:5]
	global_load_dwordx4 v[0:3], v[0:1], off
	s_load_dwordx4 s[8:11], s[0:1], 0x50
	v_ashrrev_i32_e32 v7, 31, v6
	s_mov_b32 s15, 0x800000
	s_mov_b32 s13, 0x3f317217
	;; [unrolled: 1-line block ×3, first 2 shown]
	s_waitcnt lgkmcnt(0)
	v_mov_b32_e32 v12, s8
	v_mov_b32_e32 v13, s9
	v_lshl_add_u64 v[12:13], v[6:7], 2, v[12:13]
	global_load_dword v4, v[12:13], off
	v_mov_b32_e32 v7, 0x4f800000
	v_mov_b32_e32 v9, 0x41b17218
	s_mov_b32 s9, 0x41a00000
	s_mov_b32 s12, 0xf800000
	v_mov_b32_e32 v17, 0x260
	s_cmp_gt_i32 s33, 0
	s_mov_b32 s8, 0
	s_waitcnt vmcnt(1)
	v_and_b32_e32 v11, 0xffff0000, v0
	v_lshlrev_b32_e32 v14, 16, v0
	v_and_b32_e32 v15, 0xffff0000, v1
	v_lshlrev_b32_e32 v16, 16, v1
	v_mul_f32_e32 v0, 0x3fb8aa3b, v14
	v_mul_f32_e32 v1, 0x3fb8aa3b, v11
	v_exp_f32_e32 v0, v0
	v_exp_f32_e32 v1, v1
	v_mul_f32_e32 v12, 0x3fb8aa3b, v16
	v_mul_f32_e32 v13, 0x3fb8aa3b, v15
	v_exp_f32_e32 v12, v12
	v_exp_f32_e32 v13, v13
	v_pk_add_f32 v[0:1], v[0:1], 1.0 op_sel_hi:[1,0]
	s_waitcnt vmcnt(0)
	v_mul_lo_u32 v4, v4, s33
	v_cmp_gt_f32_e32 vcc, s15, v1
	v_pk_add_f32 v[12:13], v[12:13], 1.0 op_sel_hi:[1,0]
	v_cmp_gt_f32_e64 s[2:3], s15, v0
	v_cndmask_b32_e32 v18, 1.0, v7, vcc
	v_cmp_gt_f32_e64 s[4:5], s15, v13
	v_cndmask_b32_e64 v19, 1.0, v7, s[2:3]
	v_mul_f32_e32 v1, v1, v18
	v_cndmask_b32_e64 v20, 1.0, v7, s[4:5]
	v_mul_f32_e32 v0, v0, v19
	v_log_f32_e32 v1, v1
	v_cmp_gt_f32_e64 s[6:7], s15, v12
	v_mul_f32_e32 v13, v13, v20
	v_log_f32_e32 v0, v0
	v_cndmask_b32_e64 v21, 1.0, v7, s[6:7]
	v_log_f32_e32 v13, v13
	v_mul_f32_e32 v12, v12, v21
	v_log_f32_e32 v21, v12
	v_mul_f32_e32 v12, 0x3f317217, v1
	v_mul_f32_e32 v22, 0x3f317217, v0
	v_fma_f32 v12, v1, s13, -v12
	v_mul_f32_e32 v23, 0x3f317217, v13
	v_fma_f32 v22, v0, s13, -v22
	v_fmac_f32_e32 v12, 0x3377d1cf, v1
	v_cndmask_b32_e32 v18, 0, v9, vcc
	v_fma_f32 v23, v13, s13, -v23
	v_fmac_f32_e32 v22, 0x3377d1cf, v0
	v_fmac_f32_e32 v12, 0x3f317217, v1
	v_cmp_lt_f32_e64 vcc, |v1|, s14
	v_fmac_f32_e32 v23, 0x3377d1cf, v13
	v_fmac_f32_e32 v22, 0x3f317217, v0
	v_cndmask_b32_e32 v1, v1, v12, vcc
	v_cmp_lt_f32_e64 vcc, |v0|, s14
	v_cndmask_b32_e64 v19, 0, v9, s[2:3]
	v_fmac_f32_e32 v23, 0x3f317217, v13
	v_cndmask_b32_e32 v0, v0, v22, vcc
	v_cmp_lt_f32_e64 vcc, |v13|, s14
	v_sub_f32_e32 v0, v0, v19
	v_sub_f32_e32 v1, v1, v18
	v_cndmask_b32_e32 v12, v13, v23, vcc
	v_cmp_lt_f32_e32 vcc, s9, v14
	v_cndmask_b32_e64 v20, 0, v9, s[4:5]
	v_mul_f32_e32 v24, 0x3f317217, v21
	v_cndmask_b32_e32 v0, v0, v14, vcc
	v_cmp_lt_f32_e32 vcc, s9, v11
	v_mul_f32_e32 v13, 0x4f800000, v0
	v_cmp_gt_f32_e64 s[2:3], s12, v0
	v_cndmask_b32_e32 v1, v1, v11, vcc
	v_mul_f32_e32 v11, 0x4f800000, v1
	v_cmp_gt_f32_e32 vcc, s12, v1
	v_cndmask_b32_e64 v0, v0, v13, s[2:3]
	v_sqrt_f32_e32 v13, v0
	v_cndmask_b32_e32 v1, v1, v11, vcc
	v_sqrt_f32_e32 v11, v1
	v_sub_f32_e32 v14, v12, v20
	v_add_u32_e32 v19, -1, v13
	v_fma_f32 v25, -v19, v13, v0
	v_add_u32_e32 v12, -1, v11
	v_fma_f32 v22, -v12, v11, v1
	v_add_u32_e32 v18, 1, v11
	v_cmp_ge_f32_e64 s[4:5], 0, v22
	v_add_u32_e32 v20, 1, v13
	v_fma_f32 v23, -v18, v11, v1
	v_cndmask_b32_e64 v11, v11, v12, s[4:5]
	v_cmp_ge_f32_e64 s[4:5], 0, v25
	v_fma_f32 v26, -v20, v13, v0
	v_fma_f32 v24, v21, s13, -v24
	v_cndmask_b32_e64 v12, v13, v19, s[4:5]
	v_cmp_lt_f32_e64 s[4:5], 0, v23
	v_fmac_f32_e32 v24, 0x3377d1cf, v21
	v_fmac_f32_e32 v24, 0x3f317217, v21
	v_cndmask_b32_e64 v11, v11, v18, s[4:5]
	v_cmp_lt_f32_e64 s[4:5], 0, v26
	v_mul_f32_e32 v13, 0x37800000, v11
	v_cndmask_b32_e32 v11, v11, v13, vcc
	v_cndmask_b32_e64 v12, v12, v20, s[4:5]
	v_mul_f32_e32 v18, 0x37800000, v12
	v_cmp_class_f32_e32 vcc, v1, v17
	v_cndmask_b32_e64 v12, v12, v18, s[2:3]
	v_cmp_lt_f32_e64 s[2:3], s9, v16
	v_cndmask_b32_e32 v13, v11, v1, vcc
	v_cmp_class_f32_e32 vcc, v0, v17
	v_cndmask_b32_e64 v1, 0, v9, s[6:7]
	v_and_b32_e32 v19, 0xffff0000, v2
	v_cndmask_b32_e32 v12, v12, v0, vcc
	v_cmp_lt_f32_e64 vcc, |v21|, s14
	v_lshlrev_b32_e32 v2, 16, v2
	s_nop 0
	v_cndmask_b32_e32 v0, v21, v24, vcc
	v_cmp_lt_f32_e32 vcc, s9, v15
	v_sub_f32_e32 v0, v0, v1
	v_cndmask_b32_e64 v0, v0, v16, s[2:3]
	v_cndmask_b32_e32 v11, v14, v15, vcc
	v_mul_f32_e32 v14, 0x4f800000, v11
	v_cmp_gt_f32_e32 vcc, s12, v11
	s_nop 1
	v_cndmask_b32_e32 v11, v11, v14, vcc
	v_sqrt_f32_e32 v14, v11
	s_nop 0
	v_add_u32_e32 v1, -1, v14
	v_fma_f32 v15, -v1, v14, v11
	v_cmp_ge_f32_e64 s[2:3], 0, v15
	v_add_u32_e32 v15, 1, v14
	s_nop 0
	v_cndmask_b32_e64 v1, v14, v1, s[2:3]
	v_fma_f32 v14, -v15, v14, v11
	v_cmp_lt_f32_e64 s[2:3], 0, v14
	s_nop 1
	v_cndmask_b32_e64 v1, v1, v15, s[2:3]
	v_mul_f32_e32 v15, 0x4f800000, v0
	v_cmp_gt_f32_e64 s[2:3], s12, v0
	v_mul_f32_e32 v14, 0x37800000, v1
	v_cndmask_b32_e32 v1, v1, v14, vcc
	v_cndmask_b32_e64 v16, v0, v15, s[2:3]
	v_sqrt_f32_e32 v0, v16
	v_cmp_class_f32_e32 vcc, v11, v17
	v_add_u32_e32 v14, 1, v0
	s_nop 0
	v_cndmask_b32_e32 v15, v1, v11, vcc
	v_add_u32_e32 v1, -1, v0
	v_fma_f32 v11, -v1, v0, v16
	v_cmp_ge_f32_e32 vcc, 0, v11
	v_fma_f32 v18, -v14, v0, v16
	s_nop 0
	v_cndmask_b32_e32 v11, v0, v1, vcc
	v_mul_f32_e32 v0, 0x3fb8aa3b, v2
	v_mul_f32_e32 v1, 0x3fb8aa3b, v19
	v_exp_f32_e32 v0, v0
	v_exp_f32_e32 v1, v1
	v_cmp_lt_f32_e32 vcc, 0, v18
	v_pk_add_f32 v[0:1], v[0:1], 1.0 op_sel_hi:[1,0]
	s_nop 0
	v_cndmask_b32_e32 v11, v11, v14, vcc
	v_mul_f32_e32 v14, 0x37800000, v11
	v_cmp_gt_f32_e32 vcc, s15, v1
	v_cndmask_b32_e64 v11, v11, v14, s[2:3]
	v_cmp_class_f32_e64 s[2:3], v16, v17
	v_cndmask_b32_e32 v14, 1.0, v7, vcc
	v_mul_f32_e32 v1, v1, v14
	v_log_f32_e32 v1, v1
	v_cndmask_b32_e64 v14, v11, v16, s[2:3]
	v_cmp_gt_f32_e64 s[2:3], s15, v0
	scratch_store_dwordx4 off, v[12:15], off
	v_mul_f32_e32 v11, 0x3f317217, v1
	v_fma_f32 v11, v1, s13, -v11
	v_cndmask_b32_e64 v12, 1.0, v7, s[2:3]
	v_mul_f32_e32 v0, v0, v12
	v_log_f32_e32 v0, v0
	v_fmac_f32_e32 v11, 0x3377d1cf, v1
	v_fmac_f32_e32 v11, 0x3f317217, v1
	v_cmp_lt_f32_e64 s[4:5], |v1|, s14
	v_and_b32_e32 v14, 0xffff0000, v3
	v_lshlrev_b32_e32 v15, 16, v3
	v_cndmask_b32_e64 v1, v1, v11, s[4:5]
	v_cndmask_b32_e32 v11, 0, v9, vcc
	v_sub_f32_e32 v1, v1, v11
	v_mul_f32_e32 v11, 0x3f317217, v0
	v_fma_f32 v11, v0, s13, -v11
	v_fmac_f32_e32 v11, 0x3377d1cf, v0
	v_fmac_f32_e32 v11, 0x3f317217, v0
	v_cmp_lt_f32_e64 vcc, |v0|, s14
	v_mul_f32_e32 v3, 0x3fb8aa3b, v14
	v_exp_f32_e32 v3, v3
	v_cndmask_b32_e32 v0, v0, v11, vcc
	v_cmp_lt_f32_e32 vcc, s9, v19
	v_cndmask_b32_e64 v11, 0, v9, s[2:3]
	v_sub_f32_e32 v0, v0, v11
	v_cndmask_b32_e32 v1, v1, v19, vcc
	v_mul_f32_e32 v12, 0x4f800000, v1
	v_cmp_gt_f32_e32 vcc, s12, v1
	v_cmp_lt_f32_e64 s[2:3], s9, v2
	s_nop 0
	v_cndmask_b32_e32 v1, v1, v12, vcc
	v_sqrt_f32_e32 v12, v1
	v_cndmask_b32_e64 v0, v0, v2, s[2:3]
	v_add_u32_e32 v2, -1, v12
	v_fma_f32 v11, -v2, v12, v1
	v_cmp_ge_f32_e64 s[2:3], 0, v11
	v_add_u32_e32 v11, 1, v12
	s_nop 0
	v_cndmask_b32_e64 v2, v12, v2, s[2:3]
	v_fma_f32 v12, -v11, v12, v1
	v_cmp_lt_f32_e64 s[2:3], 0, v12
	v_mul_f32_e32 v12, 0x4f800000, v0
	s_nop 0
	v_cndmask_b32_e64 v2, v2, v11, s[2:3]
	v_cmp_gt_f32_e64 s[2:3], s12, v0
	v_mul_f32_e32 v11, 0x37800000, v2
	v_cndmask_b32_e32 v2, v2, v11, vcc
	v_cndmask_b32_e64 v0, v0, v12, s[2:3]
	v_sqrt_f32_e32 v12, v0
	v_cmp_class_f32_e32 vcc, v1, v17
	v_add_u32_e32 v13, 1, v12
	s_nop 0
	v_cndmask_b32_e32 v1, v2, v1, vcc
	v_add_u32_e32 v2, -1, v12
	v_fma_f32 v11, -v2, v12, v0
	v_cmp_ge_f32_e32 vcc, 0, v11
	s_nop 1
	v_cndmask_b32_e32 v11, v12, v2, vcc
	v_mul_f32_e32 v2, 0x3fb8aa3b, v15
	v_exp_f32_e32 v2, v2
	v_fma_f32 v12, -v13, v12, v0
	v_cmp_lt_f32_e32 vcc, 0, v12
	v_pk_add_f32 v[2:3], v[2:3], 1.0 op_sel_hi:[1,0]
	s_nop 0
	v_cndmask_b32_e32 v11, v11, v13, vcc
	v_cmp_gt_f32_e32 vcc, s15, v3
	v_mul_f32_e32 v12, 0x37800000, v11
	v_cndmask_b32_e64 v11, v11, v12, s[2:3]
	v_cndmask_b32_e32 v13, 1.0, v7, vcc
	v_mul_f32_e32 v3, v3, v13
	v_log_f32_e32 v3, v3
	v_cmp_class_f32_e64 s[2:3], v0, v17
	v_cmp_lt_f32_e64 s[4:5], |v3|, s14
	s_nop 0
	v_cndmask_b32_e64 v0, v11, v0, s[2:3]
	v_cmp_gt_f32_e64 s[2:3], s15, v2
	v_mul_f32_e32 v11, 0x3f317217, v3
	v_fma_f32 v11, v3, s13, -v11
	v_cndmask_b32_e64 v7, 1.0, v7, s[2:3]
	v_mul_f32_e32 v2, v2, v7
	v_log_f32_e32 v2, v2
	v_fmac_f32_e32 v11, 0x3377d1cf, v3
	v_fmac_f32_e32 v11, 0x3f317217, v3
	v_cndmask_b32_e64 v3, v3, v11, s[4:5]
	v_cndmask_b32_e32 v7, 0, v9, vcc
	v_sub_f32_e32 v3, v3, v7
	v_mul_f32_e32 v7, 0x3f317217, v2
	v_fma_f32 v7, v2, s13, -v7
	v_fmac_f32_e32 v7, 0x3377d1cf, v2
	v_fmac_f32_e32 v7, 0x3f317217, v2
	v_cmp_lt_f32_e64 vcc, |v2|, s14
	s_cselect_b64 s[4:5], -1, 0
	s_cmp_lt_i32 s33, 1
	v_cndmask_b32_e32 v2, v2, v7, vcc
	v_cmp_lt_f32_e32 vcc, s9, v14
	v_cndmask_b32_e64 v7, 0, v9, s[2:3]
	v_sub_f32_e32 v2, v2, v7
	v_cndmask_b32_e32 v3, v3, v14, vcc
	v_mul_f32_e32 v9, 0x4f800000, v3
	v_cmp_gt_f32_e32 vcc, s12, v3
	v_cmp_lt_f32_e64 s[2:3], s9, v15
	s_nop 0
	v_cndmask_b32_e32 v3, v3, v9, vcc
	v_sqrt_f32_e32 v9, v3
	v_cndmask_b32_e64 v2, v2, v15, s[2:3]
	v_add_u32_e32 v7, -1, v9
	v_fma_f32 v11, -v7, v9, v3
	v_cmp_ge_f32_e64 s[2:3], 0, v11
	v_add_u32_e32 v11, 1, v9
	s_nop 0
	v_cndmask_b32_e64 v7, v9, v7, s[2:3]
	v_fma_f32 v9, -v11, v9, v3
	v_cmp_lt_f32_e64 s[2:3], 0, v9
	s_nop 1
	v_cndmask_b32_e64 v7, v7, v11, s[2:3]
	v_mul_f32_e32 v11, 0x4f800000, v2
	v_cmp_gt_f32_e64 s[2:3], s12, v2
	v_mul_f32_e32 v9, 0x37800000, v7
	v_cndmask_b32_e32 v7, v7, v9, vcc
	v_cndmask_b32_e64 v2, v2, v11, s[2:3]
	v_sqrt_f32_e32 v11, v2
	v_cmp_class_f32_e32 vcc, v3, v17
	s_nop 1
	v_cndmask_b32_e32 v3, v7, v3, vcc
	v_add_u32_e32 v7, -1, v11
	v_fma_f32 v9, -v7, v11, v2
	v_cmp_ge_f32_e32 vcc, 0, v9
	v_add_u32_e32 v9, 1, v11
	s_nop 0
	v_cndmask_b32_e32 v7, v11, v7, vcc
	v_fma_f32 v11, -v9, v11, v2
	v_cmp_lt_f32_e32 vcc, 0, v11
	s_nop 1
	v_cndmask_b32_e32 v7, v7, v9, vcc
	v_mul_f32_e32 v9, 0x37800000, v7
	v_cndmask_b32_e64 v7, v7, v9, s[2:3]
	v_cmp_class_f32_e32 vcc, v2, v17
	s_nop 1
	v_cndmask_b32_e32 v2, v7, v2, vcc
	scratch_store_dwordx4 off, v[0:3], off offset:16
	s_nop 1
	v_lshl_add_u64 v[2:3], v[4:5], 2, s[10:11]
	v_mul_lo_u32 v0, v6, s33
	s_cbranch_scc1 .LBB444_29
; %bb.2:
	s_load_dwordx2 s[6:7], s[0:1], 0x20
	s_cmp_lt_u32 s33, 4
	v_and_b32_e32 v4, 7, v8
	s_cbranch_scc1 .LBB444_21
; %bb.3:
	v_lshlrev_b32_e32 v5, 3, v4
	s_mov_b32 s11, 0
	s_and_b32 s8, s33, 0x7ffffffc
	v_ashrrev_i32_e32 v1, 31, v0
	v_sub_u32_e32 v11, 0, v5
	v_mov_b32_e32 v5, 0
	s_mov_b32 s10, s11
	s_branch .LBB444_5
.LBB444_4:                              ;   in Loop: Header=BB444_5 Depth=1
	s_or_b64 exec, exec, s[12:13]
	s_add_i32 s10, s10, 4
	s_cmp_eq_u32 s10, s8
	s_cbranch_scc1 .LBB444_22
.LBB444_5:                              ; =>This Loop Header: Depth=1
                                        ;     Child Loop BB444_7 Depth 2
                                        ;     Child Loop BB444_11 Depth 2
	;; [unrolled: 1-line block ×4, first 2 shown]
	v_lshl_add_u64 v[6:7], s[10:11], 2, v[2:3]
	global_load_dword v12, v[6:7], off
	v_add_u32_e32 v8, s10, v0
	v_ashrrev_i32_e32 v9, 31, v8
	v_mov_b32_e32 v13, 0
	s_mov_b64 s[12:13], 0
	s_waitcnt lgkmcnt(0)
	v_lshl_add_u64 v[8:9], v[8:9], 2, s[6:7]
	s_mov_b32 s9, 0
	s_waitcnt vmcnt(0)
	v_add_u32_e32 v14, v11, v12
	s_branch .LBB444_7
.LBB444_6:                              ;   in Loop: Header=BB444_7 Depth=2
	s_or_b64 exec, exec, s[14:15]
	s_add_i32 s16, s9, 1
	s_cmp_gt_u32 s9, 6
	s_cselect_b64 s[2:3], -1, 0
	s_xor_b64 s[14:15], vcc, -1
	s_or_b64 s[2:3], s[14:15], s[2:3]
	s_and_b64 s[2:3], exec, s[2:3]
	v_add_u32_e32 v13, 4, v13
	s_or_b64 s[12:13], s[2:3], s[12:13]
	s_mov_b32 s9, s16
	s_andn2_b64 exec, exec, s[12:13]
	s_cbranch_execz .LBB444_9
.LBB444_7:                              ;   Parent Loop BB444_5 Depth=1
                                        ; =>  This Inner Loop Header: Depth=2
	v_cmp_ne_u32_e32 vcc, s9, v14
	v_cmp_eq_u32_e64 s[2:3], s9, v14
	s_and_saveexec_b64 s[14:15], s[2:3]
	s_cbranch_execz .LBB444_6
; %bb.8:                                ;   in Loop: Header=BB444_7 Depth=2
	scratch_load_dword v15, v13, off
	s_waitcnt vmcnt(0)
	v_add_f32_e32 v5, v5, v15
	global_store_dword v[8:9], v12, off
	s_branch .LBB444_6
.LBB444_9:                              ;   in Loop: Header=BB444_5 Depth=1
	s_or_b64 exec, exec, s[12:13]
	global_load_dword v12, v[6:7], off offset:4
	s_ashr_i32 s3, s10, 31
	s_mov_b32 s2, s10
	v_lshl_add_u64 v[8:9], s[2:3], 0, v[0:1]
	v_mov_b32_e32 v13, 0
	s_mov_b32 s9, 0
	v_lshl_add_u64 v[8:9], v[8:9], 2, s[6:7]
	s_mov_b64 s[12:13], 0
	s_waitcnt vmcnt(0)
	v_add_u32_e32 v14, v11, v12
	s_branch .LBB444_11
.LBB444_10:                             ;   in Loop: Header=BB444_11 Depth=2
	s_or_b64 exec, exec, s[14:15]
	s_add_i32 s16, s9, 1
	s_cmp_gt_u32 s9, 6
	s_cselect_b64 s[2:3], -1, 0
	s_xor_b64 s[14:15], vcc, -1
	s_or_b64 s[2:3], s[14:15], s[2:3]
	s_and_b64 s[2:3], exec, s[2:3]
	v_add_u32_e32 v13, 4, v13
	s_or_b64 s[12:13], s[2:3], s[12:13]
	s_mov_b32 s9, s16
	s_andn2_b64 exec, exec, s[12:13]
	s_cbranch_execz .LBB444_13
.LBB444_11:                             ;   Parent Loop BB444_5 Depth=1
                                        ; =>  This Inner Loop Header: Depth=2
	v_cmp_ne_u32_e32 vcc, s9, v14
	v_cmp_eq_u32_e64 s[2:3], s9, v14
	s_and_saveexec_b64 s[14:15], s[2:3]
	s_cbranch_execz .LBB444_10
; %bb.12:                               ;   in Loop: Header=BB444_11 Depth=2
	scratch_load_dword v15, v13, off
	s_waitcnt vmcnt(0)
	v_add_f32_e32 v5, v5, v15
	global_store_dword v[8:9], v12, off offset:4
	s_branch .LBB444_10
.LBB444_13:                             ;   in Loop: Header=BB444_5 Depth=1
	s_or_b64 exec, exec, s[12:13]
	global_load_dword v12, v[6:7], off offset:8
	v_mov_b32_e32 v13, 0
	s_mov_b32 s9, 0
	s_mov_b64 s[12:13], 0
	s_waitcnt vmcnt(0)
	v_add_u32_e32 v14, v11, v12
	s_branch .LBB444_15
.LBB444_14:                             ;   in Loop: Header=BB444_15 Depth=2
	s_or_b64 exec, exec, s[14:15]
	s_add_i32 s16, s9, 1
	s_cmp_gt_u32 s9, 6
	s_cselect_b64 s[2:3], -1, 0
	s_xor_b64 s[14:15], vcc, -1
	s_or_b64 s[2:3], s[14:15], s[2:3]
	s_and_b64 s[2:3], exec, s[2:3]
	v_add_u32_e32 v13, 4, v13
	s_or_b64 s[12:13], s[2:3], s[12:13]
	s_mov_b32 s9, s16
	s_andn2_b64 exec, exec, s[12:13]
	s_cbranch_execz .LBB444_17
.LBB444_15:                             ;   Parent Loop BB444_5 Depth=1
                                        ; =>  This Inner Loop Header: Depth=2
	v_cmp_ne_u32_e32 vcc, s9, v14
	v_cmp_eq_u32_e64 s[2:3], s9, v14
	s_and_saveexec_b64 s[14:15], s[2:3]
	s_cbranch_execz .LBB444_14
; %bb.16:                               ;   in Loop: Header=BB444_15 Depth=2
	scratch_load_dword v15, v13, off
	s_waitcnt vmcnt(0)
	v_add_f32_e32 v5, v5, v15
	global_store_dword v[8:9], v12, off offset:8
	s_branch .LBB444_14
.LBB444_17:                             ;   in Loop: Header=BB444_5 Depth=1
	s_or_b64 exec, exec, s[12:13]
	global_load_dword v6, v[6:7], off offset:12
	v_mov_b32_e32 v7, 0
	s_mov_b32 s9, 0
	s_mov_b64 s[12:13], 0
	s_waitcnt vmcnt(0)
	v_add_u32_e32 v12, v11, v6
	s_branch .LBB444_19
.LBB444_18:                             ;   in Loop: Header=BB444_19 Depth=2
	s_or_b64 exec, exec, s[14:15]
	s_add_i32 s16, s9, 1
	s_cmp_gt_u32 s9, 6
	s_cselect_b64 s[2:3], -1, 0
	s_xor_b64 s[14:15], vcc, -1
	s_or_b64 s[2:3], s[14:15], s[2:3]
	s_and_b64 s[2:3], exec, s[2:3]
	v_add_u32_e32 v7, 4, v7
	s_or_b64 s[12:13], s[2:3], s[12:13]
	s_mov_b32 s9, s16
	s_andn2_b64 exec, exec, s[12:13]
	s_cbranch_execz .LBB444_4
.LBB444_19:                             ;   Parent Loop BB444_5 Depth=1
                                        ; =>  This Inner Loop Header: Depth=2
	v_cmp_ne_u32_e32 vcc, s9, v12
	v_cmp_eq_u32_e64 s[2:3], s9, v12
	s_and_saveexec_b64 s[14:15], s[2:3]
	s_cbranch_execz .LBB444_18
; %bb.20:                               ;   in Loop: Header=BB444_19 Depth=2
	scratch_load_dword v13, v7, off
	s_waitcnt vmcnt(0)
	v_add_f32_e32 v5, v5, v13
	global_store_dword v[8:9], v6, off offset:12
	s_branch .LBB444_18
.LBB444_21:
	v_mov_b32_e32 v5, 0
.LBB444_22:
	s_and_b32 s14, s33, 3
	s_cmp_eq_u32 s14, 0
	s_mov_b32 s9, 0
	s_cbranch_scc1 .LBB444_29
; %bb.23:
	v_lshlrev_b32_e32 v1, 3, v4
	v_sub_u32_e32 v1, 0, v1
	s_mov_b32 s15, s9
	s_branch .LBB444_25
.LBB444_24:                             ;   in Loop: Header=BB444_25 Depth=1
	s_or_b64 exec, exec, s[10:11]
	s_add_i32 s8, s8, 1
	s_add_i32 s15, s15, 1
	s_cmp_lg_u32 s15, s14
	s_cbranch_scc0 .LBB444_29
.LBB444_25:                             ; =>This Loop Header: Depth=1
                                        ;     Child Loop BB444_27 Depth 2
	v_lshl_add_u64 v[6:7], s[8:9], 2, v[2:3]
	global_load_dword v4, v[6:7], off
	v_add_u32_e32 v6, s8, v0
	v_ashrrev_i32_e32 v7, 31, v6
	v_mov_b32_e32 v8, 0
	s_mov_b32 s16, 0
	s_waitcnt lgkmcnt(0)
	v_lshl_add_u64 v[6:7], v[6:7], 2, s[6:7]
	s_mov_b64 s[10:11], 0
	s_waitcnt vmcnt(0)
	v_add_u32_e32 v9, v1, v4
	s_branch .LBB444_27
.LBB444_26:                             ;   in Loop: Header=BB444_27 Depth=2
	s_or_b64 exec, exec, s[12:13]
	s_add_i32 s17, s16, 1
	s_cmp_gt_u32 s16, 6
	s_cselect_b64 s[2:3], -1, 0
	s_xor_b64 s[12:13], vcc, -1
	s_or_b64 s[2:3], s[12:13], s[2:3]
	s_and_b64 s[2:3], exec, s[2:3]
	v_add_u32_e32 v8, 4, v8
	s_or_b64 s[10:11], s[2:3], s[10:11]
	s_mov_b32 s16, s17
	s_andn2_b64 exec, exec, s[10:11]
	s_cbranch_execz .LBB444_24
.LBB444_27:                             ;   Parent Loop BB444_25 Depth=1
                                        ; =>  This Inner Loop Header: Depth=2
	v_cmp_ne_u32_e32 vcc, s16, v9
	v_cmp_eq_u32_e64 s[2:3], s16, v9
	s_and_saveexec_b64 s[12:13], s[2:3]
	s_cbranch_execz .LBB444_26
; %bb.28:                               ;   in Loop: Header=BB444_27 Depth=2
	scratch_load_dword v11, v8, off
	s_waitcnt vmcnt(0)
	v_add_f32_e32 v5, v5, v11
	global_store_dword v[6:7], v4, off
	s_branch .LBB444_26
.LBB444_29:
	s_waitcnt lgkmcnt(0)
	s_load_dword s6, s[0:1], 0x3c
	s_waitcnt lgkmcnt(0)
	s_bitcmp1_b32 s6, 0
	s_cselect_b64 s[2:3], -1, 0
	s_bitcmp0_b32 s6, 0
	s_cbranch_scc0 .LBB444_33
; %bb.30:
	s_load_dwordx2 s[6:7], s[0:1], 0x40
	s_andn2_b64 vcc, exec, s[2:3]
	s_waitcnt lgkmcnt(0)
	v_cvt_f32_f64_e32 v8, s[6:7]
	s_cbranch_vccz .LBB444_34
.LBB444_31:
	s_andn2_b64 vcc, exec, s[4:5]
	s_cbranch_vccz .LBB444_35
.LBB444_32:
	s_endpgm
.LBB444_33:
	v_mbcnt_lo_u32_b32 v1, -1, 0
	v_mbcnt_hi_u32_b32 v1, -1, v1
	v_and_b32_e32 v4, 0x78, v1
	v_add_u32_e32 v4, 8, v4
	v_xor_b32_e32 v6, 4, v1
	v_cmp_lt_i32_e32 vcc, v6, v4
	v_xor_b32_e32 v7, 2, v1
	s_nop 0
	v_cndmask_b32_e32 v6, v1, v6, vcc
	v_lshlrev_b32_e32 v6, 2, v6
	ds_bpermute_b32 v6, v6, v5
	v_cmp_lt_i32_e32 vcc, v7, v4
	s_waitcnt lgkmcnt(0)
	v_add_f32_e32 v5, v5, v6
	v_cndmask_b32_e32 v6, v1, v7, vcc
	v_lshlrev_b32_e32 v6, 2, v6
	ds_bpermute_b32 v6, v6, v5
	v_xor_b32_e32 v7, 1, v1
	v_cmp_lt_i32_e32 vcc, v7, v4
	s_waitcnt lgkmcnt(0)
	v_add_f32_e32 v5, v5, v6
	v_cndmask_b32_e32 v1, v1, v7, vcc
	v_lshlrev_b32_e32 v1, 2, v1
	ds_bpermute_b32 v1, v1, v5
	s_waitcnt lgkmcnt(0)
	v_add_f32_e32 v5, v5, v1
	s_load_dwordx2 s[6:7], s[0:1], 0x40
	s_andn2_b64 vcc, exec, s[2:3]
	s_waitcnt lgkmcnt(0)
	v_cvt_f32_f64_e32 v8, s[6:7]
	s_cbranch_vccnz .LBB444_31
.LBB444_34:
	v_cmp_lt_f32_e32 vcc, 0, v5
	s_nop 1
	v_cndmask_b32_e32 v1, 1.0, v5, vcc
	v_div_scale_f32 v4, s[2:3], v1, v1, v8
	v_rcp_f32_e32 v5, v4
	s_nop 0
	v_fma_f32 v6, -v4, v5, 1.0
	v_fmac_f32_e32 v5, v6, v5
	v_div_scale_f32 v6, vcc, v8, v1, v8
	v_mul_f32_e32 v7, v6, v5
	v_fma_f32 v9, -v4, v7, v6
	v_fmac_f32_e32 v7, v9, v5
	v_fma_f32 v4, -v4, v7, v6
	v_div_fmas_f32 v4, v4, v5, v7
	v_div_fixup_f32 v8, v4, v1, v8
	s_andn2_b64 vcc, exec, s[4:5]
	s_cbranch_vccnz .LBB444_32
.LBB444_35:
	s_load_dwordx2 s[12:13], s[0:1], 0x10
	v_mov_b32_e32 v1, 0
	v_or_b32_e32 v20, 4, v1
	v_or_b32_e32 v18, 8, v1
	;; [unrolled: 1-line block ×3, first 2 shown]
	v_add_u32_e32 v14, 16, v1
	v_add_u32_e32 v12, 20, v1
	v_add_u32_e32 v9, 24, v1
	v_add_u32_e32 v11, 28, v1
	v_or_b32_e32 v23, 1, v10
	v_or_b32_e32 v22, 2, v10
	v_or_b32_e32 v21, 3, v10
	v_or_b32_e32 v19, 4, v10
	v_or_b32_e32 v17, 5, v10
	v_or_b32_e32 v15, 6, v10
	v_or_b32_e32 v13, 7, v10
	s_cmp_eq_u32 s33, 1
	s_mov_b32 s14, 0
	s_cbranch_scc1 .LBB444_70
; %bb.36:
	v_ashrrev_i32_e32 v1, 31, v0
	s_waitcnt lgkmcnt(0)
	v_lshl_add_u64 v[4:5], v[0:1], 2, s[12:13]
	s_and_b32 s14, s33, 0x7ffffffe
	v_lshl_add_u64 v[4:5], v[4:5], 0, 4
	v_lshl_add_u64 v[6:7], v[2:3], 0, 4
	s_mov_b32 s15, 0
	s_branch .LBB444_38
.LBB444_37:                             ;   in Loop: Header=BB444_38 Depth=1
	s_or_b64 exec, exec, s[0:1]
	s_add_i32 s15, s15, 2
	v_lshl_add_u64 v[4:5], v[4:5], 0, 8
	s_cmp_eq_u32 s14, s15
	v_lshl_add_u64 v[6:7], v[6:7], 0, 8
	s_cbranch_scc1 .LBB444_70
.LBB444_38:                             ; =>This Inner Loop Header: Depth=1
	global_load_dword v24, v[6:7], off offset:-4
	v_mov_b32_e32 v1, 0
	s_waitcnt vmcnt(0)
	v_cmp_eq_u32_e32 vcc, v24, v10
	v_cmp_ne_u32_e64 s[0:1], v24, v10
	s_and_saveexec_b64 s[16:17], s[0:1]
	s_cbranch_execz .LBB444_52
; %bb.39:                               ;   in Loop: Header=BB444_38 Depth=1
	v_cmp_eq_u32_e64 s[0:1], v24, v23
	v_cmp_ne_u32_e64 s[2:3], v24, v23
	v_mov_b32_e32 v1, v20
	s_and_saveexec_b64 s[18:19], s[2:3]
	s_cbranch_execz .LBB444_51
; %bb.40:                               ;   in Loop: Header=BB444_38 Depth=1
	v_cmp_eq_u32_e64 s[2:3], v24, v22
	v_cmp_ne_u32_e64 s[4:5], v24, v22
	v_mov_b32_e32 v1, v18
	;; [unrolled: 6-line block ×6, first 2 shown]
	s_and_saveexec_b64 s[30:31], s[10:11]
	s_xor_b64 s[30:31], exec, s[30:31]
; %bb.45:                               ;   in Loop: Header=BB444_38 Depth=1
	v_cmp_eq_u32_e64 s[10:11], v24, v13
	s_andn2_b64 s[28:29], s[28:29], exec
	s_and_b64 s[10:11], s[10:11], exec
	s_or_b64 s[28:29], s[28:29], s[10:11]
	v_mov_b32_e32 v1, v11
; %bb.46:                               ;   in Loop: Header=BB444_38 Depth=1
	s_or_b64 exec, exec, s[30:31]
	s_andn2_b64 s[8:9], s[8:9], exec
	s_and_b64 s[10:11], s[28:29], exec
	s_or_b64 s[8:9], s[8:9], s[10:11]
.LBB444_47:                             ;   in Loop: Header=BB444_38 Depth=1
	s_or_b64 exec, exec, s[26:27]
	s_andn2_b64 s[6:7], s[6:7], exec
	s_and_b64 s[8:9], s[8:9], exec
	s_or_b64 s[6:7], s[6:7], s[8:9]
.LBB444_48:                             ;   in Loop: Header=BB444_38 Depth=1
	s_or_b64 exec, exec, s[24:25]
	s_andn2_b64 s[4:5], s[4:5], exec
	s_and_b64 s[6:7], s[6:7], exec
	s_or_b64 s[4:5], s[4:5], s[6:7]
.LBB444_49:                             ;   in Loop: Header=BB444_38 Depth=1
	s_or_b64 exec, exec, s[22:23]
	s_andn2_b64 s[2:3], s[2:3], exec
	s_and_b64 s[4:5], s[4:5], exec
	s_or_b64 s[2:3], s[2:3], s[4:5]
.LBB444_50:                             ;   in Loop: Header=BB444_38 Depth=1
	s_or_b64 exec, exec, s[20:21]
	s_andn2_b64 s[0:1], s[0:1], exec
	s_and_b64 s[2:3], s[2:3], exec
	s_or_b64 s[0:1], s[0:1], s[2:3]
.LBB444_51:                             ;   in Loop: Header=BB444_38 Depth=1
	s_or_b64 exec, exec, s[18:19]
	s_andn2_b64 s[2:3], vcc, exec
	s_and_b64 s[0:1], s[0:1], exec
	s_or_b64 vcc, s[2:3], s[0:1]
.LBB444_52:                             ;   in Loop: Header=BB444_38 Depth=1
	s_or_b64 exec, exec, s[16:17]
	s_and_saveexec_b64 s[0:1], vcc
	s_cbranch_execz .LBB444_54
; %bb.53:                               ;   in Loop: Header=BB444_38 Depth=1
	scratch_load_dword v1, v1, off
	v_add_u32_e32 v24, s15, v0
	v_ashrrev_i32_e32 v25, 31, v24
	v_lshl_add_u64 v[24:25], v[24:25], 2, s[12:13]
	s_waitcnt vmcnt(0)
	v_mul_f32_e32 v1, v8, v1
	global_store_dword v[24:25], v1, off
.LBB444_54:                             ;   in Loop: Header=BB444_38 Depth=1
	s_or_b64 exec, exec, s[0:1]
	global_load_dword v24, v[6:7], off
	v_mov_b32_e32 v1, 0
	s_waitcnt vmcnt(0)
	v_cmp_eq_u32_e64 s[8:9], v24, v10
	v_cmp_ne_u32_e32 vcc, v24, v10
	s_and_saveexec_b64 s[10:11], vcc
	s_cbranch_execz .LBB444_68
; %bb.55:                               ;   in Loop: Header=BB444_38 Depth=1
	v_cmp_eq_u32_e32 vcc, v24, v23
	v_cmp_ne_u32_e64 s[0:1], v24, v23
	v_mov_b32_e32 v1, v20
	s_and_saveexec_b64 s[16:17], s[0:1]
	s_cbranch_execz .LBB444_67
; %bb.56:                               ;   in Loop: Header=BB444_38 Depth=1
	v_cmp_eq_u32_e64 s[0:1], v24, v22
	v_cmp_ne_u32_e64 s[2:3], v24, v22
	v_mov_b32_e32 v1, v18
	s_and_saveexec_b64 s[18:19], s[2:3]
	s_cbranch_execz .LBB444_66
; %bb.57:                               ;   in Loop: Header=BB444_38 Depth=1
	v_cmp_eq_u32_e64 s[2:3], v24, v21
	;; [unrolled: 6-line block ×5, first 2 shown]
	v_cmp_ne_u32_e64 s[6:7], v24, v15
	v_mov_b32_e32 v1, v9
	s_and_saveexec_b64 s[30:31], s[6:7]
; %bb.61:                               ;   in Loop: Header=BB444_38 Depth=1
	v_cmp_eq_u32_e64 s[6:7], v24, v13
	s_andn2_b64 s[28:29], s[28:29], exec
	s_and_b64 s[6:7], s[6:7], exec
	s_or_b64 s[28:29], s[28:29], s[6:7]
	v_mov_b32_e32 v1, v11
; %bb.62:                               ;   in Loop: Header=BB444_38 Depth=1
	s_or_b64 exec, exec, s[30:31]
	s_andn2_b64 s[6:7], s[24:25], exec
	s_and_b64 s[24:25], s[28:29], exec
	s_or_b64 s[24:25], s[6:7], s[24:25]
.LBB444_63:                             ;   in Loop: Header=BB444_38 Depth=1
	s_or_b64 exec, exec, s[26:27]
	s_andn2_b64 s[4:5], s[4:5], exec
	s_and_b64 s[6:7], s[24:25], exec
	s_or_b64 s[4:5], s[4:5], s[6:7]
.LBB444_64:                             ;   in Loop: Header=BB444_38 Depth=1
	s_or_b64 exec, exec, s[22:23]
	s_andn2_b64 s[2:3], s[2:3], exec
	s_and_b64 s[4:5], s[4:5], exec
	s_or_b64 s[2:3], s[2:3], s[4:5]
.LBB444_65:                             ;   in Loop: Header=BB444_38 Depth=1
	s_or_b64 exec, exec, s[20:21]
	s_andn2_b64 s[0:1], s[0:1], exec
	s_and_b64 s[2:3], s[2:3], exec
	s_or_b64 s[0:1], s[0:1], s[2:3]
.LBB444_66:                             ;   in Loop: Header=BB444_38 Depth=1
	s_or_b64 exec, exec, s[18:19]
	s_andn2_b64 s[2:3], vcc, exec
	s_and_b64 s[0:1], s[0:1], exec
	s_or_b64 vcc, s[2:3], s[0:1]
.LBB444_67:                             ;   in Loop: Header=BB444_38 Depth=1
	s_or_b64 exec, exec, s[16:17]
	s_andn2_b64 s[0:1], s[8:9], exec
	s_and_b64 s[2:3], vcc, exec
	s_or_b64 s[8:9], s[0:1], s[2:3]
.LBB444_68:                             ;   in Loop: Header=BB444_38 Depth=1
	s_or_b64 exec, exec, s[10:11]
	s_and_saveexec_b64 s[0:1], s[8:9]
	s_cbranch_execz .LBB444_37
; %bb.69:                               ;   in Loop: Header=BB444_38 Depth=1
	scratch_load_dword v1, v1, off
	s_waitcnt vmcnt(0)
	v_mul_f32_e32 v1, v8, v1
	global_store_dword v[4:5], v1, off
	s_branch .LBB444_37
.LBB444_70:
	s_bitcmp0_b32 s33, 0
	s_mov_b32 s15, 0
	s_cbranch_scc1 .LBB444_32
; %bb.71:
	v_lshl_add_u64 v[2:3], s[14:15], 2, v[2:3]
	global_load_dword v1, v[2:3], off
	v_mov_b32_e32 v2, 0
	s_waitcnt vmcnt(0)
	v_cmp_eq_u32_e64 s[8:9], v1, v10
	v_cmp_ne_u32_e32 vcc, v1, v10
	s_and_saveexec_b64 s[10:11], vcc
	s_cbranch_execz .LBB444_85
; %bb.72:
	v_cmp_eq_u32_e32 vcc, v1, v23
	v_cmp_ne_u32_e64 s[0:1], v1, v23
	s_and_saveexec_b64 s[16:17], s[0:1]
	s_cbranch_execz .LBB444_84
; %bb.73:
	v_cmp_eq_u32_e64 s[0:1], v1, v22
	v_cmp_ne_u32_e64 s[2:3], v1, v22
	s_and_saveexec_b64 s[18:19], s[2:3]
	s_cbranch_execz .LBB444_83
; %bb.74:
	v_cmp_eq_u32_e64 s[2:3], v1, v21
	;; [unrolled: 5-line block ×5, first 2 shown]
	v_cmp_ne_u32_e64 s[6:7], v1, v15
	s_and_saveexec_b64 s[30:31], s[6:7]
; %bb.78:
	v_cmp_eq_u32_e64 s[6:7], v1, v13
	s_andn2_b64 s[28:29], s[28:29], exec
	s_and_b64 s[6:7], s[6:7], exec
	s_or_b64 s[28:29], s[28:29], s[6:7]
	v_mov_b32_e32 v9, v11
; %bb.79:
	s_or_b64 exec, exec, s[30:31]
	s_andn2_b64 s[6:7], s[24:25], exec
	s_and_b64 s[24:25], s[28:29], exec
	s_or_b64 s[24:25], s[6:7], s[24:25]
	v_mov_b32_e32 v12, v9
.LBB444_80:
	s_or_b64 exec, exec, s[26:27]
	s_andn2_b64 s[4:5], s[4:5], exec
	s_and_b64 s[6:7], s[24:25], exec
	s_or_b64 s[4:5], s[4:5], s[6:7]
	v_mov_b32_e32 v14, v12
.LBB444_81:
	s_or_b64 exec, exec, s[22:23]
	s_andn2_b64 s[2:3], s[2:3], exec
	s_and_b64 s[4:5], s[4:5], exec
	s_or_b64 s[2:3], s[2:3], s[4:5]
	v_mov_b32_e32 v16, v14
.LBB444_82:
	s_or_b64 exec, exec, s[20:21]
	s_andn2_b64 s[0:1], s[0:1], exec
	s_and_b64 s[2:3], s[2:3], exec
	s_or_b64 s[0:1], s[0:1], s[2:3]
	v_mov_b32_e32 v18, v16
.LBB444_83:
	s_or_b64 exec, exec, s[18:19]
	s_andn2_b64 s[2:3], vcc, exec
	s_and_b64 s[0:1], s[0:1], exec
	s_or_b64 vcc, s[2:3], s[0:1]
	v_mov_b32_e32 v20, v18
.LBB444_84:
	s_or_b64 exec, exec, s[16:17]
	s_andn2_b64 s[0:1], s[8:9], exec
	s_and_b64 s[2:3], vcc, exec
	s_or_b64 s[8:9], s[0:1], s[2:3]
	v_mov_b32_e32 v2, v20
.LBB444_85:
	s_or_b64 exec, exec, s[10:11]
	s_and_b64 exec, exec, s[8:9]
	s_cbranch_execz .LBB444_32
; %bb.86:
	scratch_load_dword v2, v2, off
	v_add_u32_e32 v0, s14, v0
	v_ashrrev_i32_e32 v1, 31, v0
	s_waitcnt lgkmcnt(0)
	v_lshl_add_u64 v[0:1], v[0:1], 2, s[12:13]
	s_waitcnt vmcnt(0)
	v_mul_f32_e32 v2, v8, v2
	global_store_dword v[0:1], v2, off
	s_endpgm
	.section	.rodata,"a",@progbits
	.p2align	6, 0x0
	.amdhsa_kernel _ZN4vllm3moe22topkGatingSoftplusSqrtILi8ELi64ELi4ELi16ELi64ELb1Ej14__hip_bfloat16EEvPKT6_PKbPfiPT5_PiiiibdPKfPKS9_SF_
		.amdhsa_group_segment_fixed_size 0
		.amdhsa_private_segment_fixed_size 48
		.amdhsa_kernarg_size 96
		.amdhsa_user_sgpr_count 2
		.amdhsa_user_sgpr_dispatch_ptr 0
		.amdhsa_user_sgpr_queue_ptr 0
		.amdhsa_user_sgpr_kernarg_segment_ptr 1
		.amdhsa_user_sgpr_dispatch_id 0
		.amdhsa_user_sgpr_kernarg_preload_length 0
		.amdhsa_user_sgpr_kernarg_preload_offset 0
		.amdhsa_user_sgpr_private_segment_size 0
		.amdhsa_uses_dynamic_stack 0
		.amdhsa_enable_private_segment 1
		.amdhsa_system_sgpr_workgroup_id_x 1
		.amdhsa_system_sgpr_workgroup_id_y 0
		.amdhsa_system_sgpr_workgroup_id_z 0
		.amdhsa_system_sgpr_workgroup_info 0
		.amdhsa_system_vgpr_workitem_id 1
		.amdhsa_next_free_vgpr 27
		.amdhsa_next_free_sgpr 34
		.amdhsa_accum_offset 28
		.amdhsa_reserve_vcc 1
		.amdhsa_float_round_mode_32 0
		.amdhsa_float_round_mode_16_64 0
		.amdhsa_float_denorm_mode_32 3
		.amdhsa_float_denorm_mode_16_64 3
		.amdhsa_dx10_clamp 1
		.amdhsa_ieee_mode 1
		.amdhsa_fp16_overflow 0
		.amdhsa_tg_split 0
		.amdhsa_exception_fp_ieee_invalid_op 0
		.amdhsa_exception_fp_denorm_src 0
		.amdhsa_exception_fp_ieee_div_zero 0
		.amdhsa_exception_fp_ieee_overflow 0
		.amdhsa_exception_fp_ieee_underflow 0
		.amdhsa_exception_fp_ieee_inexact 0
		.amdhsa_exception_int_div_zero 0
	.end_amdhsa_kernel
	.section	.text._ZN4vllm3moe22topkGatingSoftplusSqrtILi8ELi64ELi4ELi16ELi64ELb1Ej14__hip_bfloat16EEvPKT6_PKbPfiPT5_PiiiibdPKfPKS9_SF_,"axG",@progbits,_ZN4vllm3moe22topkGatingSoftplusSqrtILi8ELi64ELi4ELi16ELi64ELb1Ej14__hip_bfloat16EEvPKT6_PKbPfiPT5_PiiiibdPKfPKS9_SF_,comdat
.Lfunc_end444:
	.size	_ZN4vllm3moe22topkGatingSoftplusSqrtILi8ELi64ELi4ELi16ELi64ELb1Ej14__hip_bfloat16EEvPKT6_PKbPfiPT5_PiiiibdPKfPKS9_SF_, .Lfunc_end444-_ZN4vllm3moe22topkGatingSoftplusSqrtILi8ELi64ELi4ELi16ELi64ELb1Ej14__hip_bfloat16EEvPKT6_PKbPfiPT5_PiiiibdPKfPKS9_SF_
                                        ; -- End function
	.section	.AMDGPU.csdata,"",@progbits
; Kernel info:
; codeLenInByte = 4520
; NumSgprs: 40
; NumVgprs: 27
; NumAgprs: 0
; TotalNumVgprs: 27
; ScratchSize: 48
; MemoryBound: 0
; FloatMode: 240
; IeeeMode: 1
; LDSByteSize: 0 bytes/workgroup (compile time only)
; SGPRBlocks: 4
; VGPRBlocks: 3
; NumSGPRsForWavesPerEU: 40
; NumVGPRsForWavesPerEU: 27
; AccumOffset: 28
; Occupancy: 8
; WaveLimiterHint : 1
; COMPUTE_PGM_RSRC2:SCRATCH_EN: 1
; COMPUTE_PGM_RSRC2:USER_SGPR: 2
; COMPUTE_PGM_RSRC2:TRAP_HANDLER: 0
; COMPUTE_PGM_RSRC2:TGID_X_EN: 1
; COMPUTE_PGM_RSRC2:TGID_Y_EN: 0
; COMPUTE_PGM_RSRC2:TGID_Z_EN: 0
; COMPUTE_PGM_RSRC2:TIDIG_COMP_CNT: 1
; COMPUTE_PGM_RSRC3_GFX90A:ACCUM_OFFSET: 6
; COMPUTE_PGM_RSRC3_GFX90A:TG_SPLIT: 0
	.section	.text._ZN4vllm3moe22topkGatingSoftplusSqrtILi8ELi64ELi4ELi16ELi64ELb0Ej14__hip_bfloat16EEvPKT6_PKbPfiPT5_PiiiibdPKfPKS9_SF_,"axG",@progbits,_ZN4vllm3moe22topkGatingSoftplusSqrtILi8ELi64ELi4ELi16ELi64ELb0Ej14__hip_bfloat16EEvPKT6_PKbPfiPT5_PiiiibdPKfPKS9_SF_,comdat
	.protected	_ZN4vllm3moe22topkGatingSoftplusSqrtILi8ELi64ELi4ELi16ELi64ELb0Ej14__hip_bfloat16EEvPKT6_PKbPfiPT5_PiiiibdPKfPKS9_SF_ ; -- Begin function _ZN4vllm3moe22topkGatingSoftplusSqrtILi8ELi64ELi4ELi16ELi64ELb0Ej14__hip_bfloat16EEvPKT6_PKbPfiPT5_PiiiibdPKfPKS9_SF_
	.globl	_ZN4vllm3moe22topkGatingSoftplusSqrtILi8ELi64ELi4ELi16ELi64ELb0Ej14__hip_bfloat16EEvPKT6_PKbPfiPT5_PiiiibdPKfPKS9_SF_
	.p2align	8
	.type	_ZN4vllm3moe22topkGatingSoftplusSqrtILi8ELi64ELi4ELi16ELi64ELb0Ej14__hip_bfloat16EEvPKT6_PKbPfiPT5_PiiiibdPKfPKS9_SF_,@function
_ZN4vllm3moe22topkGatingSoftplusSqrtILi8ELi64ELi4ELi16ELi64ELb0Ej14__hip_bfloat16EEvPKT6_PKbPfiPT5_PiiiibdPKfPKS9_SF_: ; @_ZN4vllm3moe22topkGatingSoftplusSqrtILi8ELi64ELi4ELi16ELi64ELb0Ej14__hip_bfloat16EEvPKT6_PKbPfiPT5_PiiiibdPKfPKS9_SF_
; %bb.0:
	s_load_dword s33, s[0:1], 0x18
	v_bfe_u32 v1, v0, 10, 10
	v_and_b32_e32 v0, 0x3ff, v0
	s_lshl_b32 s2, s2, 5
	v_lshlrev_b32_e32 v1, 3, v1
	v_lshrrev_b32_e32 v2, 3, v0
	v_add3_u32 v8, s2, v1, v2
	s_waitcnt lgkmcnt(0)
	v_cmp_gt_i32_e32 vcc, s33, v8
	s_and_saveexec_b64 s[2:3], vcc
	s_cbranch_execz .LBB445_57
; %bb.1:
	s_load_dwordx4 s[4:7], s[0:1], 0x0
	s_load_dwordx2 s[34:35], s[0:1], 0x10
	s_waitcnt lgkmcnt(0)
	s_cmp_eq_u64 s[6:7], 0
	s_cbranch_scc1 .LBB445_3
; %bb.2:
	v_ashrrev_i32_e32 v9, 31, v8
	v_lshl_add_u64 v[2:3], s[6:7], 0, v[8:9]
	global_load_ubyte v1, v[2:3], off
	s_waitcnt vmcnt(0)
	v_and_b32_e32 v1, 1, v1
	v_cmp_eq_u32_e32 vcc, 1, v1
	s_xor_b64 s[2:3], vcc, -1
	s_orn2_b64 s[36:37], s[2:3], exec
	s_branch .LBB445_4
.LBB445_3:
	s_mov_b64 s[36:37], -1
.LBB445_4:
	v_lshlrev_b32_e32 v4, 6, v8
	v_mov_b32_e32 v2, s4
	v_mov_b32_e32 v3, s5
	v_ashrrev_i32_e32 v5, 31, v4
	v_and_b32_e32 v9, 7, v0
	v_lshl_add_u64 v[2:3], v[4:5], 1, v[2:3]
	v_mov_b32_e32 v1, 0
	v_lshlrev_b32_e32 v0, 4, v9
	v_lshl_add_u64 v[0:1], v[2:3], 0, v[0:1]
	global_load_dwordx4 v[4:7], v[0:1], off
	s_mov_b32 s12, 0x800000
	v_mov_b32_e32 v2, 0x4f800000
	s_mov_b32 s9, 0x3f317217
	s_mov_b32 s10, 0x7f800000
	v_mov_b32_e32 v3, 0x41b17218
	s_mov_b32 s8, 0x41a00000
	s_mov_b32 s11, 0xf800000
	s_load_dwordx4 s[20:23], s[0:1], 0x40
	v_lshlrev_b32_e32 v12, 3, v9
	s_waitcnt lgkmcnt(0)
	s_cmp_lg_u64 s[22:23], 0
	s_cselect_b64 s[6:7], -1, 0
	s_and_b64 s[2:3], exec, s[6:7]
	s_waitcnt vmcnt(0)
	v_lshlrev_b32_e32 v0, 16, v4
	v_mul_f32_e32 v1, 0x3fb8aa3b, v0
	v_exp_f32_e32 v10, v1
	v_mov_b32_e32 v1, 0x260
	v_add_f32_e32 v10, 1.0, v10
	v_cmp_gt_f32_e32 vcc, s12, v10
	s_nop 1
	v_cndmask_b32_e32 v11, 1.0, v2, vcc
	v_mul_f32_e32 v10, v10, v11
	v_log_f32_e32 v11, v10
	v_cndmask_b32_e32 v13, 0, v3, vcc
	v_lshlrev_b32_e32 v10, 2, v12
	v_mul_f32_e32 v14, 0x3f317217, v11
	v_fma_f32 v14, v11, s9, -v14
	v_fmac_f32_e32 v14, 0x3377d1cf, v11
	v_fmac_f32_e32 v14, 0x3f317217, v11
	v_cmp_lt_f32_e64 vcc, |v11|, s10
	s_nop 1
	v_cndmask_b32_e32 v11, v11, v14, vcc
	v_sub_f32_e32 v11, v11, v13
	v_cmp_lt_f32_e32 vcc, s8, v0
	s_nop 1
	v_cndmask_b32_e32 v0, v11, v0, vcc
	v_mul_f32_e32 v11, 0x4f800000, v0
	v_cmp_gt_f32_e32 vcc, s11, v0
	s_nop 1
	v_cndmask_b32_e32 v0, v0, v11, vcc
	v_sqrt_f32_e32 v11, v0
	s_nop 0
	v_add_u32_e32 v13, -1, v11
	v_add_u32_e32 v14, 1, v11
	v_fma_f32 v15, -v13, v11, v0
	v_fma_f32 v16, -v14, v11, v0
	v_cmp_ge_f32_e64 s[4:5], 0, v15
	s_nop 1
	v_cndmask_b32_e64 v11, v11, v13, s[4:5]
	v_cmp_lt_f32_e64 s[4:5], 0, v16
	s_nop 1
	v_cndmask_b32_e64 v11, v11, v14, s[4:5]
	v_mul_f32_e32 v13, 0x37800000, v11
	v_cndmask_b32_e32 v11, v11, v13, vcc
	v_cmp_class_f32_e32 vcc, v0, v1
	s_nop 1
	v_cndmask_b32_e32 v0, v11, v0, vcc
	s_mov_b64 vcc, s[2:3]
	s_cbranch_vccz .LBB445_6
; %bb.5:
	global_load_dword v11, v10, s[22:23]
	s_waitcnt vmcnt(0)
	v_add_f32_e32 v0, v0, v11
.LBB445_6:
	v_and_b32_e32 v4, 0xffff0000, v4
	v_mul_f32_e32 v11, 0x3fb8aa3b, v4
	v_exp_f32_e32 v11, v11
	s_nop 0
	v_add_f32_e32 v11, 1.0, v11
	v_cmp_gt_f32_e32 vcc, s12, v11
	s_nop 1
	v_cndmask_b32_e32 v2, 1.0, v2, vcc
	v_mul_f32_e32 v2, v11, v2
	v_log_f32_e32 v2, v2
	v_cndmask_b32_e32 v3, 0, v3, vcc
	v_mul_f32_e32 v11, 0x3f317217, v2
	v_fma_f32 v11, v2, s9, -v11
	v_fmac_f32_e32 v11, 0x3377d1cf, v2
	v_fmac_f32_e32 v11, 0x3f317217, v2
	v_cmp_lt_f32_e64 vcc, |v2|, s10
	s_nop 1
	v_cndmask_b32_e32 v2, v2, v11, vcc
	v_sub_f32_e32 v2, v2, v3
	v_cmp_lt_f32_e32 vcc, s8, v4
	s_nop 1
	v_cndmask_b32_e32 v2, v2, v4, vcc
	v_mul_f32_e32 v3, 0x4f800000, v2
	v_cmp_gt_f32_e32 vcc, s11, v2
	s_nop 1
	v_cndmask_b32_e32 v2, v2, v3, vcc
	v_sqrt_f32_e32 v3, v2
	v_cmp_class_f32_e64 s[4:5], v2, v1
	v_add_u32_e32 v4, -1, v3
	v_add_u32_e32 v11, 1, v3
	v_fma_f32 v13, -v4, v3, v2
	v_fma_f32 v14, -v11, v3, v2
	v_cmp_ge_f32_e64 s[2:3], 0, v13
	s_nop 1
	v_cndmask_b32_e64 v3, v3, v4, s[2:3]
	v_cmp_lt_f32_e64 s[2:3], 0, v14
	s_nop 1
	v_cndmask_b32_e64 v3, v3, v11, s[2:3]
	v_mul_f32_e32 v4, 0x37800000, v3
	v_cndmask_b32_e32 v3, v3, v4, vcc
	v_cndmask_b32_e64 v4, 0, 1, s[6:7]
	v_cmp_ne_u32_e64 s[2:3], 1, v4
	s_andn2_b64 vcc, exec, s[6:7]
	v_cndmask_b32_e64 v1, v3, v2, s[4:5]
	s_cbranch_vccnz .LBB445_8
; %bb.7:
	global_load_dword v2, v10, s[22:23] offset:4
	s_waitcnt vmcnt(0)
	v_add_f32_e32 v1, v1, v2
.LBB445_8:
	v_lshlrev_b32_e32 v2, 16, v5
	v_mul_f32_e32 v3, 0x3fb8aa3b, v2
	v_exp_f32_e32 v3, v3
	s_mov_b32 s10, 0x800000
	v_mov_b32_e32 v4, 0x4f800000
	s_mov_b32 s7, 0x3f317217
	v_add_f32_e32 v3, 1.0, v3
	v_cmp_gt_f32_e32 vcc, s10, v3
	s_mov_b32 s8, 0x7f800000
	s_mov_b32 s6, 0x41a00000
	v_cndmask_b32_e32 v11, 1.0, v4, vcc
	v_mul_f32_e32 v3, v3, v11
	v_log_f32_e32 v3, v3
	s_mov_b32 s9, 0xf800000
	v_mul_f32_e32 v11, 0x3f317217, v3
	v_fma_f32 v11, v3, s7, -v11
	v_fmac_f32_e32 v11, 0x3377d1cf, v3
	v_fmac_f32_e32 v11, 0x3f317217, v3
	v_cmp_lt_f32_e64 s[4:5], |v3|, s8
	s_nop 1
	v_cndmask_b32_e64 v3, v3, v11, s[4:5]
	v_mov_b32_e32 v11, 0x41b17218
	v_cndmask_b32_e32 v13, 0, v11, vcc
	v_sub_f32_e32 v3, v3, v13
	v_cmp_lt_f32_e32 vcc, s6, v2
	s_nop 1
	v_cndmask_b32_e32 v2, v3, v2, vcc
	v_mul_f32_e32 v3, 0x4f800000, v2
	v_cmp_gt_f32_e32 vcc, s9, v2
	s_nop 1
	v_cndmask_b32_e32 v2, v2, v3, vcc
	v_sqrt_f32_e32 v3, v2
	s_nop 0
	v_add_u32_e32 v13, -1, v3
	v_fma_f32 v14, -v13, v3, v2
	v_cmp_ge_f32_e64 s[4:5], 0, v14
	v_add_u32_e32 v14, 1, v3
	s_nop 0
	v_cndmask_b32_e64 v13, v3, v13, s[4:5]
	v_fma_f32 v3, -v14, v3, v2
	v_cmp_lt_f32_e64 s[4:5], 0, v3
	s_nop 1
	v_cndmask_b32_e64 v3, v13, v14, s[4:5]
	v_mul_f32_e32 v13, 0x37800000, v3
	v_cndmask_b32_e32 v13, v3, v13, vcc
	v_mov_b32_e32 v3, 0x260
	v_cmp_class_f32_e64 s[4:5], v2, v3
	s_and_b64 vcc, exec, s[2:3]
	s_nop 0
	v_cndmask_b32_e64 v2, v13, v2, s[4:5]
	s_cbranch_vccnz .LBB445_10
; %bb.9:
	global_load_dword v13, v10, s[22:23] offset:8
	s_waitcnt vmcnt(0)
	v_add_f32_e32 v2, v2, v13
.LBB445_10:
	v_and_b32_e32 v5, 0xffff0000, v5
	v_mul_f32_e32 v13, 0x3fb8aa3b, v5
	v_exp_f32_e32 v13, v13
	s_nop 0
	v_add_f32_e32 v13, 1.0, v13
	v_cmp_gt_f32_e32 vcc, s10, v13
	s_nop 1
	v_cndmask_b32_e32 v4, 1.0, v4, vcc
	v_mul_f32_e32 v4, v13, v4
	v_log_f32_e32 v4, v4
	v_cndmask_b32_e32 v11, 0, v11, vcc
	v_mul_f32_e32 v13, 0x3f317217, v4
	v_fma_f32 v13, v4, s7, -v13
	v_fmac_f32_e32 v13, 0x3377d1cf, v4
	v_fmac_f32_e32 v13, 0x3f317217, v4
	v_cmp_lt_f32_e64 vcc, |v4|, s8
	s_nop 1
	v_cndmask_b32_e32 v4, v4, v13, vcc
	v_sub_f32_e32 v4, v4, v11
	v_cmp_lt_f32_e32 vcc, s6, v5
	s_nop 1
	v_cndmask_b32_e32 v4, v4, v5, vcc
	v_mul_f32_e32 v5, 0x4f800000, v4
	v_cmp_gt_f32_e32 vcc, s9, v4
	s_nop 1
	v_cndmask_b32_e32 v4, v4, v5, vcc
	v_sqrt_f32_e32 v5, v4
	s_nop 0
	v_add_u32_e32 v11, -1, v5
	v_add_u32_e32 v13, 1, v5
	v_fma_f32 v14, -v11, v5, v4
	v_fma_f32 v15, -v13, v5, v4
	v_cmp_ge_f32_e64 s[4:5], 0, v14
	s_nop 1
	v_cndmask_b32_e64 v5, v5, v11, s[4:5]
	v_cmp_lt_f32_e64 s[4:5], 0, v15
	s_nop 1
	v_cndmask_b32_e64 v5, v5, v13, s[4:5]
	v_mul_f32_e32 v11, 0x37800000, v5
	v_cndmask_b32_e32 v5, v5, v11, vcc
	v_cmp_class_f32_e64 s[4:5], v4, v3
	s_and_b64 vcc, exec, s[2:3]
	s_nop 0
	v_cndmask_b32_e64 v3, v5, v4, s[4:5]
	s_cbranch_vccnz .LBB445_12
; %bb.11:
	global_load_dword v4, v10, s[22:23] offset:12
	s_waitcnt vmcnt(0)
	v_add_f32_e32 v3, v3, v4
.LBB445_12:
	v_lshlrev_b32_e32 v4, 16, v6
	v_mul_f32_e32 v5, 0x3fb8aa3b, v4
	v_exp_f32_e32 v5, v5
	v_mov_b32_e32 v11, 0x4f800000
	v_add_f32_e32 v5, 1.0, v5
	v_cmp_gt_f32_e32 vcc, s10, v5
	s_nop 1
	v_cndmask_b32_e32 v13, 1.0, v11, vcc
	v_mul_f32_e32 v5, v5, v13
	v_log_f32_e32 v5, v5
	s_nop 0
	v_mul_f32_e32 v13, 0x3f317217, v5
	v_fma_f32 v13, v5, s7, -v13
	v_fmac_f32_e32 v13, 0x3377d1cf, v5
	v_fmac_f32_e32 v13, 0x3f317217, v5
	v_cmp_lt_f32_e64 s[4:5], |v5|, s8
	s_nop 1
	v_cndmask_b32_e64 v5, v5, v13, s[4:5]
	v_mov_b32_e32 v13, 0x41b17218
	v_cndmask_b32_e32 v14, 0, v13, vcc
	v_sub_f32_e32 v5, v5, v14
	v_cmp_lt_f32_e32 vcc, s6, v4
	s_nop 1
	v_cndmask_b32_e32 v4, v5, v4, vcc
	v_mul_f32_e32 v5, 0x4f800000, v4
	v_cmp_gt_f32_e32 vcc, s9, v4
	s_nop 1
	v_cndmask_b32_e32 v4, v4, v5, vcc
	v_sqrt_f32_e32 v5, v4
	s_nop 0
	v_add_u32_e32 v14, -1, v5
	v_fma_f32 v15, -v14, v5, v4
	v_cmp_ge_f32_e64 s[4:5], 0, v15
	v_add_u32_e32 v15, 1, v5
	s_nop 0
	v_cndmask_b32_e64 v14, v5, v14, s[4:5]
	v_fma_f32 v5, -v15, v5, v4
	v_cmp_lt_f32_e64 s[4:5], 0, v5
	s_nop 1
	v_cndmask_b32_e64 v5, v14, v15, s[4:5]
	v_mul_f32_e32 v14, 0x37800000, v5
	v_cndmask_b32_e32 v14, v5, v14, vcc
	v_mov_b32_e32 v5, 0x260
	v_cmp_class_f32_e64 s[4:5], v4, v5
	s_and_b64 vcc, exec, s[2:3]
	s_nop 0
	v_cndmask_b32_e64 v4, v14, v4, s[4:5]
	s_cbranch_vccnz .LBB445_14
; %bb.13:
	global_load_dword v14, v10, s[22:23] offset:16
	s_waitcnt vmcnt(0)
	v_add_f32_e32 v4, v4, v14
.LBB445_14:
	v_and_b32_e32 v6, 0xffff0000, v6
	v_mul_f32_e32 v14, 0x3fb8aa3b, v6
	v_exp_f32_e32 v14, v14
	s_nop 0
	v_add_f32_e32 v14, 1.0, v14
	v_cmp_gt_f32_e32 vcc, s10, v14
	s_nop 1
	v_cndmask_b32_e32 v11, 1.0, v11, vcc
	v_mul_f32_e32 v11, v14, v11
	v_log_f32_e32 v11, v11
	v_cndmask_b32_e32 v13, 0, v13, vcc
	v_mul_f32_e32 v14, 0x3f317217, v11
	v_fma_f32 v14, v11, s7, -v14
	v_fmac_f32_e32 v14, 0x3377d1cf, v11
	v_fmac_f32_e32 v14, 0x3f317217, v11
	v_cmp_lt_f32_e64 vcc, |v11|, s8
	s_nop 1
	v_cndmask_b32_e32 v11, v11, v14, vcc
	v_sub_f32_e32 v11, v11, v13
	v_cmp_lt_f32_e32 vcc, s6, v6
	s_nop 1
	v_cndmask_b32_e32 v6, v11, v6, vcc
	v_mul_f32_e32 v11, 0x4f800000, v6
	v_cmp_gt_f32_e32 vcc, s9, v6
	s_nop 1
	v_cndmask_b32_e32 v6, v6, v11, vcc
	v_sqrt_f32_e32 v11, v6
	s_nop 0
	v_add_u32_e32 v13, -1, v11
	v_add_u32_e32 v14, 1, v11
	v_fma_f32 v15, -v13, v11, v6
	v_fma_f32 v16, -v14, v11, v6
	v_cmp_ge_f32_e64 s[4:5], 0, v15
	s_nop 1
	v_cndmask_b32_e64 v11, v11, v13, s[4:5]
	v_cmp_lt_f32_e64 s[4:5], 0, v16
	s_nop 1
	v_cndmask_b32_e64 v11, v11, v14, s[4:5]
	v_mul_f32_e32 v13, 0x37800000, v11
	v_cndmask_b32_e32 v11, v11, v13, vcc
	v_cmp_class_f32_e64 s[4:5], v6, v5
	s_and_b64 vcc, exec, s[2:3]
	s_nop 0
	v_cndmask_b32_e64 v5, v11, v6, s[4:5]
	s_cbranch_vccnz .LBB445_16
; %bb.15:
	global_load_dword v6, v10, s[22:23] offset:20
	s_waitcnt vmcnt(0)
	v_add_f32_e32 v5, v5, v6
.LBB445_16:
	v_lshlrev_b32_e32 v6, 16, v7
	v_mul_f32_e32 v11, 0x3fb8aa3b, v6
	v_exp_f32_e32 v11, v11
	v_mov_b32_e32 v13, 0x4f800000
	v_add_f32_e32 v11, 1.0, v11
	v_cmp_gt_f32_e32 vcc, s10, v11
	s_nop 1
	v_cndmask_b32_e32 v14, 1.0, v13, vcc
	v_mul_f32_e32 v11, v11, v14
	v_log_f32_e32 v11, v11
	s_nop 0
	v_mul_f32_e32 v14, 0x3f317217, v11
	v_fma_f32 v14, v11, s7, -v14
	v_fmac_f32_e32 v14, 0x3377d1cf, v11
	v_fmac_f32_e32 v14, 0x3f317217, v11
	v_cmp_lt_f32_e64 s[4:5], |v11|, s8
	s_nop 1
	v_cndmask_b32_e64 v11, v11, v14, s[4:5]
	v_mov_b32_e32 v14, 0x41b17218
	v_cndmask_b32_e32 v15, 0, v14, vcc
	v_sub_f32_e32 v11, v11, v15
	v_cmp_lt_f32_e32 vcc, s6, v6
	s_nop 1
	v_cndmask_b32_e32 v6, v11, v6, vcc
	v_mul_f32_e32 v11, 0x4f800000, v6
	v_cmp_gt_f32_e32 vcc, s9, v6
	s_nop 1
	v_cndmask_b32_e32 v6, v6, v11, vcc
	v_sqrt_f32_e32 v11, v6
	s_nop 0
	v_add_u32_e32 v15, -1, v11
	v_fma_f32 v16, -v15, v11, v6
	v_cmp_ge_f32_e64 s[4:5], 0, v16
	v_add_u32_e32 v16, 1, v11
	s_nop 0
	v_cndmask_b32_e64 v15, v11, v15, s[4:5]
	v_fma_f32 v11, -v16, v11, v6
	v_cmp_lt_f32_e64 s[4:5], 0, v11
	s_nop 1
	v_cndmask_b32_e64 v11, v15, v16, s[4:5]
	v_mul_f32_e32 v15, 0x37800000, v11
	v_cndmask_b32_e32 v15, v11, v15, vcc
	v_mov_b32_e32 v11, 0x260
	v_cmp_class_f32_e64 s[4:5], v6, v11
	s_and_b64 vcc, exec, s[2:3]
	s_nop 0
	v_cndmask_b32_e64 v6, v15, v6, s[4:5]
	s_cbranch_vccnz .LBB445_18
; %bb.17:
	global_load_dword v15, v10, s[22:23] offset:24
	s_waitcnt vmcnt(0)
	v_add_f32_e32 v6, v6, v15
.LBB445_18:
	v_and_b32_e32 v7, 0xffff0000, v7
	v_mul_f32_e32 v15, 0x3fb8aa3b, v7
	v_exp_f32_e32 v15, v15
	s_nop 0
	v_add_f32_e32 v15, 1.0, v15
	v_cmp_gt_f32_e32 vcc, s10, v15
	s_nop 1
	v_cndmask_b32_e32 v13, 1.0, v13, vcc
	v_mul_f32_e32 v13, v15, v13
	v_log_f32_e32 v13, v13
	v_cndmask_b32_e32 v14, 0, v14, vcc
	v_mul_f32_e32 v15, 0x3f317217, v13
	v_fma_f32 v15, v13, s7, -v15
	v_fmac_f32_e32 v15, 0x3377d1cf, v13
	v_fmac_f32_e32 v15, 0x3f317217, v13
	v_cmp_lt_f32_e64 vcc, |v13|, s8
	s_nop 1
	v_cndmask_b32_e32 v13, v13, v15, vcc
	v_sub_f32_e32 v13, v13, v14
	v_cmp_lt_f32_e32 vcc, s6, v7
	s_nop 1
	v_cndmask_b32_e32 v7, v13, v7, vcc
	v_mul_f32_e32 v13, 0x4f800000, v7
	v_cmp_gt_f32_e32 vcc, s9, v7
	s_nop 1
	v_cndmask_b32_e32 v7, v7, v13, vcc
	v_sqrt_f32_e32 v13, v7
	s_nop 0
	v_add_u32_e32 v14, -1, v13
	v_add_u32_e32 v15, 1, v13
	v_fma_f32 v16, -v14, v13, v7
	v_fma_f32 v17, -v15, v13, v7
	v_cmp_ge_f32_e64 s[4:5], 0, v16
	s_nop 1
	v_cndmask_b32_e64 v13, v13, v14, s[4:5]
	v_cmp_lt_f32_e64 s[4:5], 0, v17
	s_nop 1
	v_cndmask_b32_e64 v13, v13, v15, s[4:5]
	v_mul_f32_e32 v14, 0x37800000, v13
	v_cndmask_b32_e32 v13, v13, v14, vcc
	v_cmp_class_f32_e64 s[4:5], v7, v11
	s_and_b64 vcc, exec, s[2:3]
	s_nop 0
	v_cndmask_b32_e64 v7, v13, v7, s[4:5]
	s_cbranch_vccnz .LBB445_20
; %bb.19:
	global_load_dword v10, v10, s[22:23] offset:28
	s_waitcnt vmcnt(0)
	v_add_f32_e32 v7, v7, v10
.LBB445_20:
	s_load_dwordx4 s[24:27], s[0:1], 0x30
	s_mov_b32 s42, 0
	v_cmp_eq_u32_e64 s[6:7], 0, v9
	s_waitcnt lgkmcnt(0)
	s_bitcmp1_b32 s27, 0
	s_cselect_b64 s[4:5], -1, 0
	s_cmp_gt_i32 s24, 0
	s_cselect_b64 s[38:39], -1, 0
	s_and_b64 vcc, exec, s[38:39]
	s_cbranch_vccz .LBB445_43
; %bb.21:
	v_mbcnt_lo_u32_b32 v10, -1, 0
	v_mbcnt_hi_u32_b32 v10, -1, v10
	v_and_b32_e32 v11, 0x78, v10
	v_add_u32_e32 v11, 8, v11
	v_xor_b32_e32 v13, 4, v10
	v_cmp_lt_i32_e32 vcc, v13, v11
	s_load_dwordx4 s[28:31], s[0:1], 0x20
	v_mul_lo_u32 v14, v8, s24
	v_cndmask_b32_e32 v13, v10, v13, vcc
	v_lshlrev_b32_e32 v15, 2, v13
	v_xor_b32_e32 v13, 2, v10
	v_cmp_lt_i32_e32 vcc, v13, v11
	v_mov_b32_e32 v18, 0xc61c4000
	v_mov_b32_e32 v19, v8
	v_cndmask_b32_e32 v13, v10, v13, vcc
	v_lshlrev_b32_e32 v16, 2, v13
	v_xor_b32_e32 v13, 1, v10
	v_cmp_lt_i32_e32 vcc, v13, v11
	s_nop 1
	v_cndmask_b32_e32 v10, v10, v13, vcc
	v_lshlrev_b32_e32 v17, 2, v10
	v_mov_b32_e32 v13, 0
	s_branch .LBB445_24
.LBB445_22:                             ;   in Loop: Header=BB445_24 Depth=1
	s_or_b64 exec, exec, s[40:41]
.LBB445_23:                             ;   in Loop: Header=BB445_24 Depth=1
	s_cmp_eq_u32 s24, s42
	v_add_u32_e32 v19, s33, v19
	s_cbranch_scc1 .LBB445_44
.LBB445_24:                             ; =>This Inner Loop Header: Depth=1
	v_cmp_gt_f32_e32 vcc, v1, v0
	s_nop 1
	v_cndmask_b32_e32 v11, v0, v1, vcc
	v_cndmask_b32_e64 v10, 0, 1, vcc
	v_cmp_gt_f32_e32 vcc, v2, v11
	s_nop 1
	v_cndmask_b32_e32 v11, v11, v2, vcc
	v_cndmask_b32_e64 v10, v10, 2, vcc
	;; [unrolled: 4-line block ×6, first 2 shown]
	v_cmp_gt_f32_e32 vcc, v7, v11
	s_nop 1
	v_cndmask_b32_e64 v10, v10, 7, vcc
	v_cndmask_b32_e32 v20, v11, v7, vcc
	ds_bpermute_b32 v11, v15, v20
	v_or_b32_e32 v10, v12, v10
	s_waitcnt lgkmcnt(0)
	ds_bpermute_b32 v21, v15, v10
	s_waitcnt lgkmcnt(0)
	v_cmp_lt_f32_e64 s[8:9], v20, v11
	v_cmp_nlt_f32_e32 vcc, v20, v11
	s_and_saveexec_b64 s[10:11], vcc
; %bb.25:                               ;   in Loop: Header=BB445_24 Depth=1
	v_cmp_eq_f32_e32 vcc, v20, v11
	v_cmp_lt_i32_e64 s[0:1], v21, v10
	s_and_b64 s[0:1], vcc, s[0:1]
	s_andn2_b64 s[8:9], s[8:9], exec
	s_and_b64 s[0:1], s[0:1], exec
	s_or_b64 s[8:9], s[8:9], s[0:1]
; %bb.26:                               ;   in Loop: Header=BB445_24 Depth=1
	s_or_b64 exec, exec, s[10:11]
	s_and_saveexec_b64 s[0:1], s[8:9]
; %bb.27:                               ;   in Loop: Header=BB445_24 Depth=1
	v_mov_b32_e32 v20, v11
	v_mov_b32_e32 v10, v21
; %bb.28:                               ;   in Loop: Header=BB445_24 Depth=1
	s_or_b64 exec, exec, s[0:1]
	ds_bpermute_b32 v11, v16, v20
	ds_bpermute_b32 v21, v16, v10
	s_waitcnt lgkmcnt(1)
	v_cmp_lt_f32_e64 s[8:9], v20, v11
	v_cmp_nlt_f32_e32 vcc, v20, v11
	s_and_saveexec_b64 s[10:11], vcc
	s_cbranch_execz .LBB445_30
; %bb.29:                               ;   in Loop: Header=BB445_24 Depth=1
	v_cmp_eq_f32_e32 vcc, v20, v11
	s_waitcnt lgkmcnt(0)
	v_cmp_lt_i32_e64 s[0:1], v21, v10
	s_and_b64 s[0:1], vcc, s[0:1]
	s_andn2_b64 s[8:9], s[8:9], exec
	s_and_b64 s[0:1], s[0:1], exec
	s_or_b64 s[8:9], s[8:9], s[0:1]
.LBB445_30:                             ;   in Loop: Header=BB445_24 Depth=1
	s_or_b64 exec, exec, s[10:11]
	s_and_saveexec_b64 s[0:1], s[8:9]
	s_cbranch_execz .LBB445_32
; %bb.31:                               ;   in Loop: Header=BB445_24 Depth=1
	v_mov_b32_e32 v20, v11
	s_waitcnt lgkmcnt(0)
	v_mov_b32_e32 v10, v21
.LBB445_32:                             ;   in Loop: Header=BB445_24 Depth=1
	s_or_b64 exec, exec, s[0:1]
	ds_bpermute_b32 v11, v17, v20
	s_waitcnt lgkmcnt(1)
	ds_bpermute_b32 v21, v17, v10
	s_waitcnt lgkmcnt(1)
	v_cmp_lt_f32_e64 s[8:9], v20, v11
	v_cmp_nlt_f32_e32 vcc, v20, v11
	s_and_saveexec_b64 s[10:11], vcc
	s_cbranch_execnz .LBB445_36
; %bb.33:                               ;   in Loop: Header=BB445_24 Depth=1
	s_or_b64 exec, exec, s[10:11]
	s_and_saveexec_b64 s[0:1], s[8:9]
	s_cbranch_execnz .LBB445_37
.LBB445_34:                             ;   in Loop: Header=BB445_24 Depth=1
	s_or_b64 exec, exec, s[0:1]
	s_and_saveexec_b64 s[8:9], s[6:7]
	s_cbranch_execnz .LBB445_38
.LBB445_35:                             ;   in Loop: Header=BB445_24 Depth=1
	s_or_b64 exec, exec, s[8:9]
	s_add_i32 s42, s42, 1
	s_cmp_ge_i32 s42, s24
	s_cbranch_scc1 .LBB445_23
	s_branch .LBB445_41
.LBB445_36:                             ;   in Loop: Header=BB445_24 Depth=1
	v_cmp_eq_f32_e32 vcc, v20, v11
	s_waitcnt lgkmcnt(0)
	v_cmp_lt_i32_e64 s[0:1], v21, v10
	s_and_b64 s[0:1], vcc, s[0:1]
	s_andn2_b64 s[8:9], s[8:9], exec
	s_and_b64 s[0:1], s[0:1], exec
	s_or_b64 s[8:9], s[8:9], s[0:1]
	s_or_b64 exec, exec, s[10:11]
	s_and_saveexec_b64 s[0:1], s[8:9]
	s_cbranch_execz .LBB445_34
.LBB445_37:                             ;   in Loop: Header=BB445_24 Depth=1
	s_waitcnt lgkmcnt(0)
	v_mov_b32_e32 v10, v21
	v_mov_b32_e32 v20, v11
	s_or_b64 exec, exec, s[0:1]
	s_and_saveexec_b64 s[8:9], s[6:7]
	s_cbranch_execz .LBB445_35
.LBB445_38:                             ;   in Loop: Header=BB445_24 Depth=1
	s_and_b64 vcc, exec, s[2:3]
	s_cbranch_vccnz .LBB445_40
; %bb.39:                               ;   in Loop: Header=BB445_24 Depth=1
	v_ashrrev_i32_e32 v11, 31, v10
	v_lshl_add_u64 v[22:23], v[10:11], 2, s[22:23]
	global_load_dword v11, v[22:23], off
	s_waitcnt vmcnt(0)
	v_sub_f32_e32 v20, v20, v11
.LBB445_40:                             ;   in Loop: Header=BB445_24 Depth=1
	v_add_u32_e32 v22, s42, v14
	v_cmp_le_i32_e32 vcc, s25, v10
	v_cmp_gt_i32_e64 s[0:1], s26, v10
	v_ashrrev_i32_e32 v23, 31, v22
	s_and_b64 s[0:1], vcc, s[0:1]
	v_lshlrev_b64 v[22:23], 2, v[22:23]
	v_lshl_add_u64 v[24:25], s[34:35], 0, v[22:23]
	v_subrev_u32_e32 v11, s25, v10
	s_and_b64 vcc, s[36:37], s[0:1]
	global_store_dword v[24:25], v20, off
	v_cndmask_b32_e32 v11, 64, v11, vcc
	v_lshl_add_u64 v[24:25], s[28:29], 0, v[22:23]
	global_store_dword v[24:25], v11, off
	v_add_f32_e32 v11, v13, v20
	v_lshl_add_u64 v[22:23], s[30:31], 0, v[22:23]
	v_cndmask_b32_e64 v13, v13, v11, s[4:5]
	global_store_dword v[22:23], v19, off
	s_or_b64 exec, exec, s[8:9]
	s_add_i32 s42, s42, 1
	s_cmp_ge_i32 s42, s24
	s_cbranch_scc1 .LBB445_23
.LBB445_41:                             ;   in Loop: Header=BB445_24 Depth=1
	v_ashrrev_i32_e32 v20, 31, v10
	v_lshrrev_b32_e32 v11, 29, v20
	v_add_u32_e32 v11, v10, v11
	v_ashrrev_i32_e32 v11, 3, v11
	s_waitcnt lgkmcnt(0)
	v_lshrrev_b32_e32 v21, 29, v11
	v_add_u32_e32 v21, v11, v21
	v_and_b32_e32 v21, -8, v21
	v_sub_u32_e32 v21, v11, v21
	v_cmp_eq_u32_e32 vcc, v9, v21
	s_and_saveexec_b64 s[40:41], vcc
	s_cbranch_execz .LBB445_22
; %bb.42:                               ;   in Loop: Header=BB445_24 Depth=1
	v_lshrrev_b32_e32 v20, 26, v20
	v_add_u32_e32 v20, v10, v20
	v_lshlrev_b32_e32 v11, 3, v11
	v_sub_u32_e32 v10, v10, v11
	v_ashrrev_i32_e32 v11, 6, v20
	v_lshl_add_u32 v10, v11, 3, v10
	v_cmp_ne_u32_e32 vcc, 6, v10
	v_cmp_ne_u32_e64 s[0:1], 5, v10
	v_cmp_ne_u32_e64 s[8:9], 4, v10
	;; [unrolled: 1-line block ×7, first 2 shown]
	v_cndmask_b32_e32 v6, v18, v6, vcc
	v_cndmask_b32_e64 v5, v18, v5, s[0:1]
	v_cndmask_b32_e64 v7, v18, v7, s[18:19]
	;; [unrolled: 1-line block ×7, first 2 shown]
	s_branch .LBB445_22
.LBB445_43:
	v_mov_b32_e32 v13, 0
.LBB445_44:
	v_cmp_eq_u32_e32 vcc, 0, v9
	s_and_b64 exec, exec, vcc
	s_cbranch_execz .LBB445_57
; %bb.45:
	s_andn2_b64 vcc, exec, s[4:5]
	v_cvt_f32_f64_e32 v0, s[20:21]
	s_cbranch_vccnz .LBB445_47
; %bb.46:
	v_cmp_lt_f32_e32 vcc, 0, v13
	s_nop 1
	v_cndmask_b32_e32 v1, 1.0, v13, vcc
	v_div_scale_f32 v2, s[0:1], v1, v1, v0
	v_rcp_f32_e32 v3, v2
	s_nop 0
	v_fma_f32 v4, -v2, v3, 1.0
	v_fmac_f32_e32 v3, v4, v3
	v_div_scale_f32 v4, vcc, v0, v1, v0
	v_mul_f32_e32 v5, v4, v3
	v_fma_f32 v6, -v2, v5, v4
	v_fmac_f32_e32 v5, v6, v3
	v_fma_f32 v2, -v2, v5, v4
	v_div_fmas_f32 v2, v2, v3, v5
	v_div_fixup_f32 v0, v2, v1, v0
.LBB445_47:
	s_andn2_b64 vcc, exec, s[38:39]
	s_cbranch_vccnz .LBB445_57
; %bb.48:
	v_mul_lo_u32 v2, v8, s24
	s_cmp_gt_u32 s24, 3
	v_ashrrev_i32_e32 v3, 31, v2
	s_cbranch_scc0 .LBB445_52
; %bb.49:
	s_and_b32 s0, s24, 0x7ffffffc
	v_lshl_add_u64 v[4:5], v[2:3], 2, s[34:35]
	v_mov_b32_e32 v1, v0
	v_lshl_add_u64 v[4:5], v[4:5], 0, 8
	s_mov_b32 s1, s0
.LBB445_50:                             ; =>This Inner Loop Header: Depth=1
	global_load_dwordx4 v[6:9], v[4:5], off offset:-8
	s_add_i32 s1, s1, -4
	s_cmp_lg_u32 s1, 0
	s_waitcnt vmcnt(0)
	v_pk_mul_f32 v[6:7], v[0:1], v[6:7]
	v_pk_mul_f32 v[8:9], v[0:1], v[8:9]
	global_store_dwordx4 v[4:5], v[6:9], off offset:-8
	v_lshl_add_u64 v[4:5], v[4:5], 0, 16
	s_cbranch_scc1 .LBB445_50
; %bb.51:
	s_cmp_lg_u32 s0, s24
	s_cselect_b64 s[2:3], -1, 0
	s_branch .LBB445_54
.LBB445_52:
	s_mov_b64 s[2:3], 0
                                        ; implicit-def: $sgpr0
	s_cbranch_execz .LBB445_54
; %bb.53:
	s_mov_b64 s[2:3], -1
	s_mov_b32 s0, 0
.LBB445_54:
	s_andn2_b64 vcc, exec, s[2:3]
	s_cbranch_vccnz .LBB445_57
; %bb.55:
	s_mov_b32 s1, 0
	v_lshl_add_u64 v[2:3], v[2:3], 0, s[0:1]
	s_sub_i32 s2, s24, s0
	v_lshl_add_u64 v[2:3], v[2:3], 2, s[34:35]
.LBB445_56:                             ; =>This Inner Loop Header: Depth=1
	global_load_dword v1, v[2:3], off
	s_add_i32 s2, s2, -1
	s_cmp_lg_u32 s2, 0
	s_waitcnt vmcnt(0)
	v_mul_f32_e32 v1, v0, v1
	global_store_dword v[2:3], v1, off
	v_lshl_add_u64 v[2:3], v[2:3], 0, 4
	s_cbranch_scc1 .LBB445_56
.LBB445_57:
	s_endpgm
	.section	.rodata,"a",@progbits
	.p2align	6, 0x0
	.amdhsa_kernel _ZN4vllm3moe22topkGatingSoftplusSqrtILi8ELi64ELi4ELi16ELi64ELb0Ej14__hip_bfloat16EEvPKT6_PKbPfiPT5_PiiiibdPKfPKS9_SF_
		.amdhsa_group_segment_fixed_size 0
		.amdhsa_private_segment_fixed_size 0
		.amdhsa_kernarg_size 96
		.amdhsa_user_sgpr_count 2
		.amdhsa_user_sgpr_dispatch_ptr 0
		.amdhsa_user_sgpr_queue_ptr 0
		.amdhsa_user_sgpr_kernarg_segment_ptr 1
		.amdhsa_user_sgpr_dispatch_id 0
		.amdhsa_user_sgpr_kernarg_preload_length 0
		.amdhsa_user_sgpr_kernarg_preload_offset 0
		.amdhsa_user_sgpr_private_segment_size 0
		.amdhsa_uses_dynamic_stack 0
		.amdhsa_enable_private_segment 0
		.amdhsa_system_sgpr_workgroup_id_x 1
		.amdhsa_system_sgpr_workgroup_id_y 0
		.amdhsa_system_sgpr_workgroup_id_z 0
		.amdhsa_system_sgpr_workgroup_info 0
		.amdhsa_system_vgpr_workitem_id 1
		.amdhsa_next_free_vgpr 26
		.amdhsa_next_free_sgpr 43
		.amdhsa_accum_offset 28
		.amdhsa_reserve_vcc 1
		.amdhsa_float_round_mode_32 0
		.amdhsa_float_round_mode_16_64 0
		.amdhsa_float_denorm_mode_32 3
		.amdhsa_float_denorm_mode_16_64 3
		.amdhsa_dx10_clamp 1
		.amdhsa_ieee_mode 1
		.amdhsa_fp16_overflow 0
		.amdhsa_tg_split 0
		.amdhsa_exception_fp_ieee_invalid_op 0
		.amdhsa_exception_fp_denorm_src 0
		.amdhsa_exception_fp_ieee_div_zero 0
		.amdhsa_exception_fp_ieee_overflow 0
		.amdhsa_exception_fp_ieee_underflow 0
		.amdhsa_exception_fp_ieee_inexact 0
		.amdhsa_exception_int_div_zero 0
	.end_amdhsa_kernel
	.section	.text._ZN4vllm3moe22topkGatingSoftplusSqrtILi8ELi64ELi4ELi16ELi64ELb0Ej14__hip_bfloat16EEvPKT6_PKbPfiPT5_PiiiibdPKfPKS9_SF_,"axG",@progbits,_ZN4vllm3moe22topkGatingSoftplusSqrtILi8ELi64ELi4ELi16ELi64ELb0Ej14__hip_bfloat16EEvPKT6_PKbPfiPT5_PiiiibdPKfPKS9_SF_,comdat
.Lfunc_end445:
	.size	_ZN4vllm3moe22topkGatingSoftplusSqrtILi8ELi64ELi4ELi16ELi64ELb0Ej14__hip_bfloat16EEvPKT6_PKbPfiPT5_PiiiibdPKfPKS9_SF_, .Lfunc_end445-_ZN4vllm3moe22topkGatingSoftplusSqrtILi8ELi64ELi4ELi16ELi64ELb0Ej14__hip_bfloat16EEvPKT6_PKbPfiPT5_PiiiibdPKfPKS9_SF_
                                        ; -- End function
	.section	.AMDGPU.csdata,"",@progbits
; Kernel info:
; codeLenInByte = 3860
; NumSgprs: 49
; NumVgprs: 26
; NumAgprs: 0
; TotalNumVgprs: 26
; ScratchSize: 0
; MemoryBound: 0
; FloatMode: 240
; IeeeMode: 1
; LDSByteSize: 0 bytes/workgroup (compile time only)
; SGPRBlocks: 6
; VGPRBlocks: 3
; NumSGPRsForWavesPerEU: 49
; NumVGPRsForWavesPerEU: 26
; AccumOffset: 28
; Occupancy: 8
; WaveLimiterHint : 0
; COMPUTE_PGM_RSRC2:SCRATCH_EN: 0
; COMPUTE_PGM_RSRC2:USER_SGPR: 2
; COMPUTE_PGM_RSRC2:TRAP_HANDLER: 0
; COMPUTE_PGM_RSRC2:TGID_X_EN: 1
; COMPUTE_PGM_RSRC2:TGID_Y_EN: 0
; COMPUTE_PGM_RSRC2:TGID_Z_EN: 0
; COMPUTE_PGM_RSRC2:TIDIG_COMP_CNT: 1
; COMPUTE_PGM_RSRC3_GFX90A:ACCUM_OFFSET: 6
; COMPUTE_PGM_RSRC3_GFX90A:TG_SPLIT: 0
	.section	.text._ZN4vllm3moe22topkGatingSoftplusSqrtILi8ELi64ELi4ELi16ELi32ELb1Ej14__hip_bfloat16EEvPKT6_PKbPfiPT5_PiiiibdPKfPKS9_SF_,"axG",@progbits,_ZN4vllm3moe22topkGatingSoftplusSqrtILi8ELi64ELi4ELi16ELi32ELb1Ej14__hip_bfloat16EEvPKT6_PKbPfiPT5_PiiiibdPKfPKS9_SF_,comdat
	.protected	_ZN4vllm3moe22topkGatingSoftplusSqrtILi8ELi64ELi4ELi16ELi32ELb1Ej14__hip_bfloat16EEvPKT6_PKbPfiPT5_PiiiibdPKfPKS9_SF_ ; -- Begin function _ZN4vllm3moe22topkGatingSoftplusSqrtILi8ELi64ELi4ELi16ELi32ELb1Ej14__hip_bfloat16EEvPKT6_PKbPfiPT5_PiiiibdPKfPKS9_SF_
	.globl	_ZN4vllm3moe22topkGatingSoftplusSqrtILi8ELi64ELi4ELi16ELi32ELb1Ej14__hip_bfloat16EEvPKT6_PKbPfiPT5_PiiiibdPKfPKS9_SF_
	.p2align	8
	.type	_ZN4vllm3moe22topkGatingSoftplusSqrtILi8ELi64ELi4ELi16ELi32ELb1Ej14__hip_bfloat16EEvPKT6_PKbPfiPT5_PiiiibdPKfPKS9_SF_,@function
_ZN4vllm3moe22topkGatingSoftplusSqrtILi8ELi64ELi4ELi16ELi32ELb1Ej14__hip_bfloat16EEvPKT6_PKbPfiPT5_PiiiibdPKfPKS9_SF_: ; @_ZN4vllm3moe22topkGatingSoftplusSqrtILi8ELi64ELi4ELi16ELi32ELb1Ej14__hip_bfloat16EEvPKT6_PKbPfiPT5_PiiiibdPKfPKS9_SF_
; %bb.0:
	s_load_dword s3, s[0:1], 0x18
	v_bfe_u32 v1, v0, 10, 10
	v_and_b32_e32 v8, 0x3ff, v0
	s_lshl_b32 s2, s2, 4
	v_lshlrev_b32_e32 v1, 2, v1
	v_lshrrev_b32_e32 v0, 3, v8
	v_add3_u32 v6, s2, v1, v0
	s_waitcnt lgkmcnt(0)
	v_cmp_gt_i32_e32 vcc, s3, v6
	s_and_saveexec_b64 s[2:3], vcc
	s_cbranch_execz .LBB446_32
; %bb.1:
	s_load_dwordx2 s[2:3], s[0:1], 0x0
	s_load_dword s33, s[0:1], 0x30
	v_lshlrev_b32_e32 v0, 6, v6
	v_lshlrev_b32_e32 v2, 3, v8
	v_ashrrev_i32_e32 v1, 31, v0
	v_and_b32_e32 v10, 56, v2
	s_waitcnt lgkmcnt(0)
	v_lshl_add_u64 v[0:1], v[0:1], 1, s[2:3]
	v_lshlrev_b32_e32 v4, 1, v10
	v_mov_b32_e32 v5, 0
	v_lshl_add_u64 v[0:1], v[0:1], 0, v[4:5]
	global_load_dwordx4 v[0:3], v[0:1], off
	s_load_dwordx4 s[8:11], s[0:1], 0x50
	v_ashrrev_i32_e32 v7, 31, v6
	s_mov_b32 s15, 0x800000
	s_mov_b32 s13, 0x3f317217
	s_mov_b32 s14, 0x7f800000
	s_waitcnt lgkmcnt(0)
	v_mov_b32_e32 v12, s8
	v_mov_b32_e32 v13, s9
	v_lshl_add_u64 v[12:13], v[6:7], 2, v[12:13]
	global_load_dword v4, v[12:13], off
	v_mov_b32_e32 v7, 0x4f800000
	v_mov_b32_e32 v9, 0x41b17218
	s_mov_b32 s9, 0x41a00000
	s_mov_b32 s12, 0xf800000
	v_mov_b32_e32 v17, 0x260
	s_cmp_gt_i32 s33, 0
	s_mov_b32 s8, 0
	s_waitcnt vmcnt(1)
	v_and_b32_e32 v11, 0xffff0000, v0
	v_lshlrev_b32_e32 v14, 16, v0
	v_and_b32_e32 v15, 0xffff0000, v1
	v_lshlrev_b32_e32 v16, 16, v1
	v_mul_f32_e32 v0, 0x3fb8aa3b, v14
	v_mul_f32_e32 v1, 0x3fb8aa3b, v11
	v_exp_f32_e32 v0, v0
	v_exp_f32_e32 v1, v1
	v_mul_f32_e32 v12, 0x3fb8aa3b, v16
	v_mul_f32_e32 v13, 0x3fb8aa3b, v15
	v_exp_f32_e32 v12, v12
	v_exp_f32_e32 v13, v13
	v_pk_add_f32 v[0:1], v[0:1], 1.0 op_sel_hi:[1,0]
	s_waitcnt vmcnt(0)
	v_mul_lo_u32 v4, v4, s33
	v_cmp_gt_f32_e32 vcc, s15, v1
	v_pk_add_f32 v[12:13], v[12:13], 1.0 op_sel_hi:[1,0]
	v_cmp_gt_f32_e64 s[2:3], s15, v0
	v_cndmask_b32_e32 v18, 1.0, v7, vcc
	v_cmp_gt_f32_e64 s[4:5], s15, v13
	v_cndmask_b32_e64 v19, 1.0, v7, s[2:3]
	v_mul_f32_e32 v1, v1, v18
	v_cndmask_b32_e64 v20, 1.0, v7, s[4:5]
	v_mul_f32_e32 v0, v0, v19
	v_log_f32_e32 v1, v1
	v_cmp_gt_f32_e64 s[6:7], s15, v12
	v_mul_f32_e32 v13, v13, v20
	v_log_f32_e32 v0, v0
	v_cndmask_b32_e64 v21, 1.0, v7, s[6:7]
	v_log_f32_e32 v13, v13
	v_mul_f32_e32 v12, v12, v21
	v_log_f32_e32 v21, v12
	v_mul_f32_e32 v12, 0x3f317217, v1
	v_mul_f32_e32 v22, 0x3f317217, v0
	v_fma_f32 v12, v1, s13, -v12
	v_mul_f32_e32 v23, 0x3f317217, v13
	v_fma_f32 v22, v0, s13, -v22
	v_fmac_f32_e32 v12, 0x3377d1cf, v1
	v_cndmask_b32_e32 v18, 0, v9, vcc
	v_fma_f32 v23, v13, s13, -v23
	v_fmac_f32_e32 v22, 0x3377d1cf, v0
	v_fmac_f32_e32 v12, 0x3f317217, v1
	v_cmp_lt_f32_e64 vcc, |v1|, s14
	v_fmac_f32_e32 v23, 0x3377d1cf, v13
	v_fmac_f32_e32 v22, 0x3f317217, v0
	v_cndmask_b32_e32 v1, v1, v12, vcc
	v_cmp_lt_f32_e64 vcc, |v0|, s14
	v_cndmask_b32_e64 v19, 0, v9, s[2:3]
	v_fmac_f32_e32 v23, 0x3f317217, v13
	v_cndmask_b32_e32 v0, v0, v22, vcc
	v_cmp_lt_f32_e64 vcc, |v13|, s14
	v_sub_f32_e32 v0, v0, v19
	v_sub_f32_e32 v1, v1, v18
	v_cndmask_b32_e32 v12, v13, v23, vcc
	v_cmp_lt_f32_e32 vcc, s9, v14
	v_cndmask_b32_e64 v20, 0, v9, s[4:5]
	v_mul_f32_e32 v24, 0x3f317217, v21
	v_cndmask_b32_e32 v0, v0, v14, vcc
	v_cmp_lt_f32_e32 vcc, s9, v11
	v_mul_f32_e32 v13, 0x4f800000, v0
	v_cmp_gt_f32_e64 s[2:3], s12, v0
	v_cndmask_b32_e32 v1, v1, v11, vcc
	v_mul_f32_e32 v11, 0x4f800000, v1
	v_cmp_gt_f32_e32 vcc, s12, v1
	v_cndmask_b32_e64 v0, v0, v13, s[2:3]
	v_sqrt_f32_e32 v13, v0
	v_cndmask_b32_e32 v1, v1, v11, vcc
	v_sqrt_f32_e32 v11, v1
	v_sub_f32_e32 v14, v12, v20
	v_add_u32_e32 v19, -1, v13
	v_fma_f32 v25, -v19, v13, v0
	v_add_u32_e32 v12, -1, v11
	v_fma_f32 v22, -v12, v11, v1
	v_add_u32_e32 v18, 1, v11
	v_cmp_ge_f32_e64 s[4:5], 0, v22
	v_add_u32_e32 v20, 1, v13
	v_fma_f32 v23, -v18, v11, v1
	v_cndmask_b32_e64 v11, v11, v12, s[4:5]
	v_cmp_ge_f32_e64 s[4:5], 0, v25
	v_fma_f32 v26, -v20, v13, v0
	v_fma_f32 v24, v21, s13, -v24
	v_cndmask_b32_e64 v12, v13, v19, s[4:5]
	v_cmp_lt_f32_e64 s[4:5], 0, v23
	v_fmac_f32_e32 v24, 0x3377d1cf, v21
	v_fmac_f32_e32 v24, 0x3f317217, v21
	v_cndmask_b32_e64 v11, v11, v18, s[4:5]
	v_cmp_lt_f32_e64 s[4:5], 0, v26
	v_mul_f32_e32 v13, 0x37800000, v11
	v_cndmask_b32_e32 v11, v11, v13, vcc
	v_cndmask_b32_e64 v12, v12, v20, s[4:5]
	v_mul_f32_e32 v18, 0x37800000, v12
	v_cmp_class_f32_e32 vcc, v1, v17
	v_cndmask_b32_e64 v12, v12, v18, s[2:3]
	v_cmp_lt_f32_e64 s[2:3], s9, v16
	v_cndmask_b32_e32 v13, v11, v1, vcc
	v_cmp_class_f32_e32 vcc, v0, v17
	v_cndmask_b32_e64 v1, 0, v9, s[6:7]
	v_and_b32_e32 v19, 0xffff0000, v2
	v_cndmask_b32_e32 v12, v12, v0, vcc
	v_cmp_lt_f32_e64 vcc, |v21|, s14
	v_lshlrev_b32_e32 v2, 16, v2
	s_nop 0
	v_cndmask_b32_e32 v0, v21, v24, vcc
	v_cmp_lt_f32_e32 vcc, s9, v15
	v_sub_f32_e32 v0, v0, v1
	v_cndmask_b32_e64 v0, v0, v16, s[2:3]
	v_cndmask_b32_e32 v11, v14, v15, vcc
	v_mul_f32_e32 v14, 0x4f800000, v11
	v_cmp_gt_f32_e32 vcc, s12, v11
	s_nop 1
	v_cndmask_b32_e32 v11, v11, v14, vcc
	v_sqrt_f32_e32 v14, v11
	s_nop 0
	v_add_u32_e32 v1, -1, v14
	v_fma_f32 v15, -v1, v14, v11
	v_cmp_ge_f32_e64 s[2:3], 0, v15
	v_add_u32_e32 v15, 1, v14
	s_nop 0
	v_cndmask_b32_e64 v1, v14, v1, s[2:3]
	v_fma_f32 v14, -v15, v14, v11
	v_cmp_lt_f32_e64 s[2:3], 0, v14
	s_nop 1
	v_cndmask_b32_e64 v1, v1, v15, s[2:3]
	v_mul_f32_e32 v15, 0x4f800000, v0
	v_cmp_gt_f32_e64 s[2:3], s12, v0
	v_mul_f32_e32 v14, 0x37800000, v1
	v_cndmask_b32_e32 v1, v1, v14, vcc
	v_cndmask_b32_e64 v16, v0, v15, s[2:3]
	v_sqrt_f32_e32 v0, v16
	v_cmp_class_f32_e32 vcc, v11, v17
	v_add_u32_e32 v14, 1, v0
	s_nop 0
	v_cndmask_b32_e32 v15, v1, v11, vcc
	v_add_u32_e32 v1, -1, v0
	v_fma_f32 v11, -v1, v0, v16
	v_cmp_ge_f32_e32 vcc, 0, v11
	v_fma_f32 v18, -v14, v0, v16
	s_nop 0
	v_cndmask_b32_e32 v11, v0, v1, vcc
	v_mul_f32_e32 v0, 0x3fb8aa3b, v2
	v_mul_f32_e32 v1, 0x3fb8aa3b, v19
	v_exp_f32_e32 v0, v0
	v_exp_f32_e32 v1, v1
	v_cmp_lt_f32_e32 vcc, 0, v18
	v_pk_add_f32 v[0:1], v[0:1], 1.0 op_sel_hi:[1,0]
	s_nop 0
	v_cndmask_b32_e32 v11, v11, v14, vcc
	v_mul_f32_e32 v14, 0x37800000, v11
	v_cmp_gt_f32_e32 vcc, s15, v1
	v_cndmask_b32_e64 v11, v11, v14, s[2:3]
	v_cmp_class_f32_e64 s[2:3], v16, v17
	v_cndmask_b32_e32 v14, 1.0, v7, vcc
	v_mul_f32_e32 v1, v1, v14
	v_log_f32_e32 v1, v1
	v_cndmask_b32_e64 v14, v11, v16, s[2:3]
	v_cmp_gt_f32_e64 s[2:3], s15, v0
	scratch_store_dwordx4 off, v[12:15], off
	v_mul_f32_e32 v11, 0x3f317217, v1
	v_fma_f32 v11, v1, s13, -v11
	v_cndmask_b32_e64 v12, 1.0, v7, s[2:3]
	v_mul_f32_e32 v0, v0, v12
	v_log_f32_e32 v0, v0
	v_fmac_f32_e32 v11, 0x3377d1cf, v1
	v_fmac_f32_e32 v11, 0x3f317217, v1
	v_cmp_lt_f32_e64 s[4:5], |v1|, s14
	v_and_b32_e32 v14, 0xffff0000, v3
	v_lshlrev_b32_e32 v15, 16, v3
	v_cndmask_b32_e64 v1, v1, v11, s[4:5]
	v_cndmask_b32_e32 v11, 0, v9, vcc
	v_sub_f32_e32 v1, v1, v11
	v_mul_f32_e32 v11, 0x3f317217, v0
	v_fma_f32 v11, v0, s13, -v11
	v_fmac_f32_e32 v11, 0x3377d1cf, v0
	v_fmac_f32_e32 v11, 0x3f317217, v0
	v_cmp_lt_f32_e64 vcc, |v0|, s14
	v_mul_f32_e32 v3, 0x3fb8aa3b, v14
	v_exp_f32_e32 v3, v3
	v_cndmask_b32_e32 v0, v0, v11, vcc
	v_cmp_lt_f32_e32 vcc, s9, v19
	v_cndmask_b32_e64 v11, 0, v9, s[2:3]
	v_sub_f32_e32 v0, v0, v11
	v_cndmask_b32_e32 v1, v1, v19, vcc
	v_mul_f32_e32 v12, 0x4f800000, v1
	v_cmp_gt_f32_e32 vcc, s12, v1
	v_cmp_lt_f32_e64 s[2:3], s9, v2
	s_nop 0
	v_cndmask_b32_e32 v1, v1, v12, vcc
	v_sqrt_f32_e32 v12, v1
	v_cndmask_b32_e64 v0, v0, v2, s[2:3]
	v_add_u32_e32 v2, -1, v12
	v_fma_f32 v11, -v2, v12, v1
	v_cmp_ge_f32_e64 s[2:3], 0, v11
	v_add_u32_e32 v11, 1, v12
	s_nop 0
	v_cndmask_b32_e64 v2, v12, v2, s[2:3]
	v_fma_f32 v12, -v11, v12, v1
	v_cmp_lt_f32_e64 s[2:3], 0, v12
	v_mul_f32_e32 v12, 0x4f800000, v0
	s_nop 0
	v_cndmask_b32_e64 v2, v2, v11, s[2:3]
	v_cmp_gt_f32_e64 s[2:3], s12, v0
	v_mul_f32_e32 v11, 0x37800000, v2
	v_cndmask_b32_e32 v2, v2, v11, vcc
	v_cndmask_b32_e64 v0, v0, v12, s[2:3]
	v_sqrt_f32_e32 v12, v0
	v_cmp_class_f32_e32 vcc, v1, v17
	v_add_u32_e32 v13, 1, v12
	s_nop 0
	v_cndmask_b32_e32 v1, v2, v1, vcc
	v_add_u32_e32 v2, -1, v12
	v_fma_f32 v11, -v2, v12, v0
	v_cmp_ge_f32_e32 vcc, 0, v11
	s_nop 1
	v_cndmask_b32_e32 v11, v12, v2, vcc
	v_mul_f32_e32 v2, 0x3fb8aa3b, v15
	v_exp_f32_e32 v2, v2
	v_fma_f32 v12, -v13, v12, v0
	v_cmp_lt_f32_e32 vcc, 0, v12
	v_pk_add_f32 v[2:3], v[2:3], 1.0 op_sel_hi:[1,0]
	s_nop 0
	v_cndmask_b32_e32 v11, v11, v13, vcc
	v_cmp_gt_f32_e32 vcc, s15, v3
	v_mul_f32_e32 v12, 0x37800000, v11
	v_cndmask_b32_e64 v11, v11, v12, s[2:3]
	v_cndmask_b32_e32 v13, 1.0, v7, vcc
	v_mul_f32_e32 v3, v3, v13
	v_log_f32_e32 v3, v3
	v_cmp_class_f32_e64 s[2:3], v0, v17
	v_cmp_lt_f32_e64 s[4:5], |v3|, s14
	s_nop 0
	v_cndmask_b32_e64 v0, v11, v0, s[2:3]
	v_cmp_gt_f32_e64 s[2:3], s15, v2
	v_mul_f32_e32 v11, 0x3f317217, v3
	v_fma_f32 v11, v3, s13, -v11
	v_cndmask_b32_e64 v7, 1.0, v7, s[2:3]
	v_mul_f32_e32 v2, v2, v7
	v_log_f32_e32 v2, v2
	v_fmac_f32_e32 v11, 0x3377d1cf, v3
	v_fmac_f32_e32 v11, 0x3f317217, v3
	v_cndmask_b32_e64 v3, v3, v11, s[4:5]
	v_cndmask_b32_e32 v7, 0, v9, vcc
	v_sub_f32_e32 v3, v3, v7
	v_mul_f32_e32 v7, 0x3f317217, v2
	v_fma_f32 v7, v2, s13, -v7
	v_fmac_f32_e32 v7, 0x3377d1cf, v2
	v_fmac_f32_e32 v7, 0x3f317217, v2
	v_cmp_lt_f32_e64 vcc, |v2|, s14
	s_cselect_b64 s[4:5], -1, 0
	s_cmp_lt_i32 s33, 1
	v_cndmask_b32_e32 v2, v2, v7, vcc
	v_cmp_lt_f32_e32 vcc, s9, v14
	v_cndmask_b32_e64 v7, 0, v9, s[2:3]
	v_sub_f32_e32 v2, v2, v7
	v_cndmask_b32_e32 v3, v3, v14, vcc
	v_mul_f32_e32 v9, 0x4f800000, v3
	v_cmp_gt_f32_e32 vcc, s12, v3
	v_cmp_lt_f32_e64 s[2:3], s9, v15
	s_nop 0
	v_cndmask_b32_e32 v3, v3, v9, vcc
	v_sqrt_f32_e32 v9, v3
	v_cndmask_b32_e64 v2, v2, v15, s[2:3]
	v_add_u32_e32 v7, -1, v9
	v_fma_f32 v11, -v7, v9, v3
	v_cmp_ge_f32_e64 s[2:3], 0, v11
	v_add_u32_e32 v11, 1, v9
	s_nop 0
	v_cndmask_b32_e64 v7, v9, v7, s[2:3]
	v_fma_f32 v9, -v11, v9, v3
	v_cmp_lt_f32_e64 s[2:3], 0, v9
	s_nop 1
	v_cndmask_b32_e64 v7, v7, v11, s[2:3]
	v_mul_f32_e32 v11, 0x4f800000, v2
	v_cmp_gt_f32_e64 s[2:3], s12, v2
	v_mul_f32_e32 v9, 0x37800000, v7
	v_cndmask_b32_e32 v7, v7, v9, vcc
	v_cndmask_b32_e64 v2, v2, v11, s[2:3]
	v_sqrt_f32_e32 v11, v2
	v_cmp_class_f32_e32 vcc, v3, v17
	s_nop 1
	v_cndmask_b32_e32 v3, v7, v3, vcc
	v_add_u32_e32 v7, -1, v11
	v_fma_f32 v9, -v7, v11, v2
	v_cmp_ge_f32_e32 vcc, 0, v9
	v_add_u32_e32 v9, 1, v11
	s_nop 0
	v_cndmask_b32_e32 v7, v11, v7, vcc
	v_fma_f32 v11, -v9, v11, v2
	v_cmp_lt_f32_e32 vcc, 0, v11
	s_nop 1
	v_cndmask_b32_e32 v7, v7, v9, vcc
	v_mul_f32_e32 v9, 0x37800000, v7
	v_cndmask_b32_e64 v7, v7, v9, s[2:3]
	v_cmp_class_f32_e32 vcc, v2, v17
	s_nop 1
	v_cndmask_b32_e32 v2, v7, v2, vcc
	scratch_store_dwordx4 off, v[0:3], off offset:16
	s_nop 1
	v_lshl_add_u64 v[2:3], v[4:5], 2, s[10:11]
	v_mul_lo_u32 v0, v6, s33
	s_cbranch_scc1 .LBB446_29
; %bb.2:
	s_load_dwordx2 s[6:7], s[0:1], 0x20
	s_cmp_lt_u32 s33, 4
	v_and_b32_e32 v4, 7, v8
	s_cbranch_scc1 .LBB446_21
; %bb.3:
	v_lshlrev_b32_e32 v5, 3, v4
	s_mov_b32 s11, 0
	s_and_b32 s8, s33, 0x7ffffffc
	v_ashrrev_i32_e32 v1, 31, v0
	v_sub_u32_e32 v11, 0, v5
	v_mov_b32_e32 v5, 0
	s_mov_b32 s10, s11
	s_branch .LBB446_5
.LBB446_4:                              ;   in Loop: Header=BB446_5 Depth=1
	s_or_b64 exec, exec, s[12:13]
	s_add_i32 s10, s10, 4
	s_cmp_eq_u32 s10, s8
	s_cbranch_scc1 .LBB446_22
.LBB446_5:                              ; =>This Loop Header: Depth=1
                                        ;     Child Loop BB446_7 Depth 2
                                        ;     Child Loop BB446_11 Depth 2
	;; [unrolled: 1-line block ×4, first 2 shown]
	v_lshl_add_u64 v[6:7], s[10:11], 2, v[2:3]
	global_load_dword v12, v[6:7], off
	v_add_u32_e32 v8, s10, v0
	v_ashrrev_i32_e32 v9, 31, v8
	v_mov_b32_e32 v13, 0
	s_mov_b64 s[12:13], 0
	s_waitcnt lgkmcnt(0)
	v_lshl_add_u64 v[8:9], v[8:9], 2, s[6:7]
	s_mov_b32 s9, 0
	s_waitcnt vmcnt(0)
	v_add_u32_e32 v14, v11, v12
	s_branch .LBB446_7
.LBB446_6:                              ;   in Loop: Header=BB446_7 Depth=2
	s_or_b64 exec, exec, s[14:15]
	s_add_i32 s16, s9, 1
	s_cmp_gt_u32 s9, 6
	s_cselect_b64 s[2:3], -1, 0
	s_xor_b64 s[14:15], vcc, -1
	s_or_b64 s[2:3], s[14:15], s[2:3]
	s_and_b64 s[2:3], exec, s[2:3]
	v_add_u32_e32 v13, 4, v13
	s_or_b64 s[12:13], s[2:3], s[12:13]
	s_mov_b32 s9, s16
	s_andn2_b64 exec, exec, s[12:13]
	s_cbranch_execz .LBB446_9
.LBB446_7:                              ;   Parent Loop BB446_5 Depth=1
                                        ; =>  This Inner Loop Header: Depth=2
	v_cmp_ne_u32_e32 vcc, s9, v14
	v_cmp_eq_u32_e64 s[2:3], s9, v14
	s_and_saveexec_b64 s[14:15], s[2:3]
	s_cbranch_execz .LBB446_6
; %bb.8:                                ;   in Loop: Header=BB446_7 Depth=2
	scratch_load_dword v15, v13, off
	s_waitcnt vmcnt(0)
	v_add_f32_e32 v5, v5, v15
	global_store_dword v[8:9], v12, off
	s_branch .LBB446_6
.LBB446_9:                              ;   in Loop: Header=BB446_5 Depth=1
	s_or_b64 exec, exec, s[12:13]
	global_load_dword v12, v[6:7], off offset:4
	s_ashr_i32 s3, s10, 31
	s_mov_b32 s2, s10
	v_lshl_add_u64 v[8:9], s[2:3], 0, v[0:1]
	v_mov_b32_e32 v13, 0
	s_mov_b32 s9, 0
	v_lshl_add_u64 v[8:9], v[8:9], 2, s[6:7]
	s_mov_b64 s[12:13], 0
	s_waitcnt vmcnt(0)
	v_add_u32_e32 v14, v11, v12
	s_branch .LBB446_11
.LBB446_10:                             ;   in Loop: Header=BB446_11 Depth=2
	s_or_b64 exec, exec, s[14:15]
	s_add_i32 s16, s9, 1
	s_cmp_gt_u32 s9, 6
	s_cselect_b64 s[2:3], -1, 0
	s_xor_b64 s[14:15], vcc, -1
	s_or_b64 s[2:3], s[14:15], s[2:3]
	s_and_b64 s[2:3], exec, s[2:3]
	v_add_u32_e32 v13, 4, v13
	s_or_b64 s[12:13], s[2:3], s[12:13]
	s_mov_b32 s9, s16
	s_andn2_b64 exec, exec, s[12:13]
	s_cbranch_execz .LBB446_13
.LBB446_11:                             ;   Parent Loop BB446_5 Depth=1
                                        ; =>  This Inner Loop Header: Depth=2
	v_cmp_ne_u32_e32 vcc, s9, v14
	v_cmp_eq_u32_e64 s[2:3], s9, v14
	s_and_saveexec_b64 s[14:15], s[2:3]
	s_cbranch_execz .LBB446_10
; %bb.12:                               ;   in Loop: Header=BB446_11 Depth=2
	scratch_load_dword v15, v13, off
	s_waitcnt vmcnt(0)
	v_add_f32_e32 v5, v5, v15
	global_store_dword v[8:9], v12, off offset:4
	s_branch .LBB446_10
.LBB446_13:                             ;   in Loop: Header=BB446_5 Depth=1
	s_or_b64 exec, exec, s[12:13]
	global_load_dword v12, v[6:7], off offset:8
	v_mov_b32_e32 v13, 0
	s_mov_b32 s9, 0
	s_mov_b64 s[12:13], 0
	s_waitcnt vmcnt(0)
	v_add_u32_e32 v14, v11, v12
	s_branch .LBB446_15
.LBB446_14:                             ;   in Loop: Header=BB446_15 Depth=2
	s_or_b64 exec, exec, s[14:15]
	s_add_i32 s16, s9, 1
	s_cmp_gt_u32 s9, 6
	s_cselect_b64 s[2:3], -1, 0
	s_xor_b64 s[14:15], vcc, -1
	s_or_b64 s[2:3], s[14:15], s[2:3]
	s_and_b64 s[2:3], exec, s[2:3]
	v_add_u32_e32 v13, 4, v13
	s_or_b64 s[12:13], s[2:3], s[12:13]
	s_mov_b32 s9, s16
	s_andn2_b64 exec, exec, s[12:13]
	s_cbranch_execz .LBB446_17
.LBB446_15:                             ;   Parent Loop BB446_5 Depth=1
                                        ; =>  This Inner Loop Header: Depth=2
	v_cmp_ne_u32_e32 vcc, s9, v14
	v_cmp_eq_u32_e64 s[2:3], s9, v14
	s_and_saveexec_b64 s[14:15], s[2:3]
	s_cbranch_execz .LBB446_14
; %bb.16:                               ;   in Loop: Header=BB446_15 Depth=2
	scratch_load_dword v15, v13, off
	s_waitcnt vmcnt(0)
	v_add_f32_e32 v5, v5, v15
	global_store_dword v[8:9], v12, off offset:8
	s_branch .LBB446_14
.LBB446_17:                             ;   in Loop: Header=BB446_5 Depth=1
	s_or_b64 exec, exec, s[12:13]
	global_load_dword v6, v[6:7], off offset:12
	v_mov_b32_e32 v7, 0
	s_mov_b32 s9, 0
	s_mov_b64 s[12:13], 0
	s_waitcnt vmcnt(0)
	v_add_u32_e32 v12, v11, v6
	s_branch .LBB446_19
.LBB446_18:                             ;   in Loop: Header=BB446_19 Depth=2
	s_or_b64 exec, exec, s[14:15]
	s_add_i32 s16, s9, 1
	s_cmp_gt_u32 s9, 6
	s_cselect_b64 s[2:3], -1, 0
	s_xor_b64 s[14:15], vcc, -1
	s_or_b64 s[2:3], s[14:15], s[2:3]
	s_and_b64 s[2:3], exec, s[2:3]
	v_add_u32_e32 v7, 4, v7
	s_or_b64 s[12:13], s[2:3], s[12:13]
	s_mov_b32 s9, s16
	s_andn2_b64 exec, exec, s[12:13]
	s_cbranch_execz .LBB446_4
.LBB446_19:                             ;   Parent Loop BB446_5 Depth=1
                                        ; =>  This Inner Loop Header: Depth=2
	v_cmp_ne_u32_e32 vcc, s9, v12
	v_cmp_eq_u32_e64 s[2:3], s9, v12
	s_and_saveexec_b64 s[14:15], s[2:3]
	s_cbranch_execz .LBB446_18
; %bb.20:                               ;   in Loop: Header=BB446_19 Depth=2
	scratch_load_dword v13, v7, off
	s_waitcnt vmcnt(0)
	v_add_f32_e32 v5, v5, v13
	global_store_dword v[8:9], v6, off offset:12
	s_branch .LBB446_18
.LBB446_21:
	v_mov_b32_e32 v5, 0
.LBB446_22:
	s_and_b32 s14, s33, 3
	s_cmp_eq_u32 s14, 0
	s_mov_b32 s9, 0
	s_cbranch_scc1 .LBB446_29
; %bb.23:
	v_lshlrev_b32_e32 v1, 3, v4
	v_sub_u32_e32 v1, 0, v1
	s_mov_b32 s15, s9
	s_branch .LBB446_25
.LBB446_24:                             ;   in Loop: Header=BB446_25 Depth=1
	s_or_b64 exec, exec, s[10:11]
	s_add_i32 s8, s8, 1
	s_add_i32 s15, s15, 1
	s_cmp_lg_u32 s15, s14
	s_cbranch_scc0 .LBB446_29
.LBB446_25:                             ; =>This Loop Header: Depth=1
                                        ;     Child Loop BB446_27 Depth 2
	v_lshl_add_u64 v[6:7], s[8:9], 2, v[2:3]
	global_load_dword v4, v[6:7], off
	v_add_u32_e32 v6, s8, v0
	v_ashrrev_i32_e32 v7, 31, v6
	v_mov_b32_e32 v8, 0
	s_mov_b32 s16, 0
	s_waitcnt lgkmcnt(0)
	v_lshl_add_u64 v[6:7], v[6:7], 2, s[6:7]
	s_mov_b64 s[10:11], 0
	s_waitcnt vmcnt(0)
	v_add_u32_e32 v9, v1, v4
	s_branch .LBB446_27
.LBB446_26:                             ;   in Loop: Header=BB446_27 Depth=2
	s_or_b64 exec, exec, s[12:13]
	s_add_i32 s17, s16, 1
	s_cmp_gt_u32 s16, 6
	s_cselect_b64 s[2:3], -1, 0
	s_xor_b64 s[12:13], vcc, -1
	s_or_b64 s[2:3], s[12:13], s[2:3]
	s_and_b64 s[2:3], exec, s[2:3]
	v_add_u32_e32 v8, 4, v8
	s_or_b64 s[10:11], s[2:3], s[10:11]
	s_mov_b32 s16, s17
	s_andn2_b64 exec, exec, s[10:11]
	s_cbranch_execz .LBB446_24
.LBB446_27:                             ;   Parent Loop BB446_25 Depth=1
                                        ; =>  This Inner Loop Header: Depth=2
	v_cmp_ne_u32_e32 vcc, s16, v9
	v_cmp_eq_u32_e64 s[2:3], s16, v9
	s_and_saveexec_b64 s[12:13], s[2:3]
	s_cbranch_execz .LBB446_26
; %bb.28:                               ;   in Loop: Header=BB446_27 Depth=2
	scratch_load_dword v11, v8, off
	s_waitcnt vmcnt(0)
	v_add_f32_e32 v5, v5, v11
	global_store_dword v[6:7], v4, off
	s_branch .LBB446_26
.LBB446_29:
	s_waitcnt lgkmcnt(0)
	s_load_dword s6, s[0:1], 0x3c
	s_waitcnt lgkmcnt(0)
	s_bitcmp1_b32 s6, 0
	s_cselect_b64 s[2:3], -1, 0
	s_bitcmp0_b32 s6, 0
	s_cbranch_scc0 .LBB446_33
; %bb.30:
	s_load_dwordx2 s[6:7], s[0:1], 0x40
	s_andn2_b64 vcc, exec, s[2:3]
	s_waitcnt lgkmcnt(0)
	v_cvt_f32_f64_e32 v8, s[6:7]
	s_cbranch_vccz .LBB446_34
.LBB446_31:
	s_andn2_b64 vcc, exec, s[4:5]
	s_cbranch_vccz .LBB446_35
.LBB446_32:
	s_endpgm
.LBB446_33:
	v_mbcnt_lo_u32_b32 v1, -1, 0
	v_mbcnt_hi_u32_b32 v1, -1, v1
	v_and_b32_e32 v4, 0x78, v1
	v_add_u32_e32 v4, 8, v4
	v_xor_b32_e32 v6, 4, v1
	v_cmp_lt_i32_e32 vcc, v6, v4
	v_xor_b32_e32 v7, 2, v1
	s_nop 0
	v_cndmask_b32_e32 v6, v1, v6, vcc
	v_lshlrev_b32_e32 v6, 2, v6
	ds_bpermute_b32 v6, v6, v5
	v_cmp_lt_i32_e32 vcc, v7, v4
	s_waitcnt lgkmcnt(0)
	v_add_f32_e32 v5, v5, v6
	v_cndmask_b32_e32 v6, v1, v7, vcc
	v_lshlrev_b32_e32 v6, 2, v6
	ds_bpermute_b32 v6, v6, v5
	v_xor_b32_e32 v7, 1, v1
	v_cmp_lt_i32_e32 vcc, v7, v4
	s_waitcnt lgkmcnt(0)
	v_add_f32_e32 v5, v5, v6
	v_cndmask_b32_e32 v1, v1, v7, vcc
	v_lshlrev_b32_e32 v1, 2, v1
	ds_bpermute_b32 v1, v1, v5
	s_waitcnt lgkmcnt(0)
	v_add_f32_e32 v5, v5, v1
	s_load_dwordx2 s[6:7], s[0:1], 0x40
	s_andn2_b64 vcc, exec, s[2:3]
	s_waitcnt lgkmcnt(0)
	v_cvt_f32_f64_e32 v8, s[6:7]
	s_cbranch_vccnz .LBB446_31
.LBB446_34:
	v_cmp_lt_f32_e32 vcc, 0, v5
	s_nop 1
	v_cndmask_b32_e32 v1, 1.0, v5, vcc
	v_div_scale_f32 v4, s[2:3], v1, v1, v8
	v_rcp_f32_e32 v5, v4
	s_nop 0
	v_fma_f32 v6, -v4, v5, 1.0
	v_fmac_f32_e32 v5, v6, v5
	v_div_scale_f32 v6, vcc, v8, v1, v8
	v_mul_f32_e32 v7, v6, v5
	v_fma_f32 v9, -v4, v7, v6
	v_fmac_f32_e32 v7, v9, v5
	v_fma_f32 v4, -v4, v7, v6
	v_div_fmas_f32 v4, v4, v5, v7
	v_div_fixup_f32 v8, v4, v1, v8
	s_andn2_b64 vcc, exec, s[4:5]
	s_cbranch_vccnz .LBB446_32
.LBB446_35:
	s_load_dwordx2 s[12:13], s[0:1], 0x10
	v_mov_b32_e32 v1, 0
	v_or_b32_e32 v20, 4, v1
	v_or_b32_e32 v18, 8, v1
	;; [unrolled: 1-line block ×3, first 2 shown]
	v_add_u32_e32 v14, 16, v1
	v_add_u32_e32 v12, 20, v1
	;; [unrolled: 1-line block ×4, first 2 shown]
	v_or_b32_e32 v23, 1, v10
	v_or_b32_e32 v22, 2, v10
	;; [unrolled: 1-line block ×7, first 2 shown]
	s_cmp_eq_u32 s33, 1
	s_mov_b32 s14, 0
	s_cbranch_scc1 .LBB446_70
; %bb.36:
	v_ashrrev_i32_e32 v1, 31, v0
	s_waitcnt lgkmcnt(0)
	v_lshl_add_u64 v[4:5], v[0:1], 2, s[12:13]
	s_and_b32 s14, s33, 0x7ffffffe
	v_lshl_add_u64 v[4:5], v[4:5], 0, 4
	v_lshl_add_u64 v[6:7], v[2:3], 0, 4
	s_mov_b32 s15, 0
	s_branch .LBB446_38
.LBB446_37:                             ;   in Loop: Header=BB446_38 Depth=1
	s_or_b64 exec, exec, s[0:1]
	s_add_i32 s15, s15, 2
	v_lshl_add_u64 v[4:5], v[4:5], 0, 8
	s_cmp_eq_u32 s14, s15
	v_lshl_add_u64 v[6:7], v[6:7], 0, 8
	s_cbranch_scc1 .LBB446_70
.LBB446_38:                             ; =>This Inner Loop Header: Depth=1
	global_load_dword v24, v[6:7], off offset:-4
	v_mov_b32_e32 v1, 0
	s_waitcnt vmcnt(0)
	v_cmp_eq_u32_e32 vcc, v24, v10
	v_cmp_ne_u32_e64 s[0:1], v24, v10
	s_and_saveexec_b64 s[16:17], s[0:1]
	s_cbranch_execz .LBB446_52
; %bb.39:                               ;   in Loop: Header=BB446_38 Depth=1
	v_cmp_eq_u32_e64 s[0:1], v24, v23
	v_cmp_ne_u32_e64 s[2:3], v24, v23
	v_mov_b32_e32 v1, v20
	s_and_saveexec_b64 s[18:19], s[2:3]
	s_cbranch_execz .LBB446_51
; %bb.40:                               ;   in Loop: Header=BB446_38 Depth=1
	v_cmp_eq_u32_e64 s[2:3], v24, v22
	v_cmp_ne_u32_e64 s[4:5], v24, v22
	v_mov_b32_e32 v1, v18
	;; [unrolled: 6-line block ×6, first 2 shown]
	s_and_saveexec_b64 s[30:31], s[10:11]
	s_xor_b64 s[30:31], exec, s[30:31]
; %bb.45:                               ;   in Loop: Header=BB446_38 Depth=1
	v_cmp_eq_u32_e64 s[10:11], v24, v13
	s_andn2_b64 s[28:29], s[28:29], exec
	s_and_b64 s[10:11], s[10:11], exec
	s_or_b64 s[28:29], s[28:29], s[10:11]
	v_mov_b32_e32 v1, v11
; %bb.46:                               ;   in Loop: Header=BB446_38 Depth=1
	s_or_b64 exec, exec, s[30:31]
	s_andn2_b64 s[8:9], s[8:9], exec
	s_and_b64 s[10:11], s[28:29], exec
	s_or_b64 s[8:9], s[8:9], s[10:11]
.LBB446_47:                             ;   in Loop: Header=BB446_38 Depth=1
	s_or_b64 exec, exec, s[26:27]
	s_andn2_b64 s[6:7], s[6:7], exec
	s_and_b64 s[8:9], s[8:9], exec
	s_or_b64 s[6:7], s[6:7], s[8:9]
.LBB446_48:                             ;   in Loop: Header=BB446_38 Depth=1
	s_or_b64 exec, exec, s[24:25]
	s_andn2_b64 s[4:5], s[4:5], exec
	s_and_b64 s[6:7], s[6:7], exec
	s_or_b64 s[4:5], s[4:5], s[6:7]
.LBB446_49:                             ;   in Loop: Header=BB446_38 Depth=1
	s_or_b64 exec, exec, s[22:23]
	s_andn2_b64 s[2:3], s[2:3], exec
	s_and_b64 s[4:5], s[4:5], exec
	s_or_b64 s[2:3], s[2:3], s[4:5]
.LBB446_50:                             ;   in Loop: Header=BB446_38 Depth=1
	s_or_b64 exec, exec, s[20:21]
	s_andn2_b64 s[0:1], s[0:1], exec
	s_and_b64 s[2:3], s[2:3], exec
	s_or_b64 s[0:1], s[0:1], s[2:3]
.LBB446_51:                             ;   in Loop: Header=BB446_38 Depth=1
	s_or_b64 exec, exec, s[18:19]
	s_andn2_b64 s[2:3], vcc, exec
	s_and_b64 s[0:1], s[0:1], exec
	s_or_b64 vcc, s[2:3], s[0:1]
.LBB446_52:                             ;   in Loop: Header=BB446_38 Depth=1
	s_or_b64 exec, exec, s[16:17]
	s_and_saveexec_b64 s[0:1], vcc
	s_cbranch_execz .LBB446_54
; %bb.53:                               ;   in Loop: Header=BB446_38 Depth=1
	scratch_load_dword v1, v1, off
	v_add_u32_e32 v24, s15, v0
	v_ashrrev_i32_e32 v25, 31, v24
	v_lshl_add_u64 v[24:25], v[24:25], 2, s[12:13]
	s_waitcnt vmcnt(0)
	v_mul_f32_e32 v1, v8, v1
	global_store_dword v[24:25], v1, off
.LBB446_54:                             ;   in Loop: Header=BB446_38 Depth=1
	s_or_b64 exec, exec, s[0:1]
	global_load_dword v24, v[6:7], off
	v_mov_b32_e32 v1, 0
	s_waitcnt vmcnt(0)
	v_cmp_eq_u32_e64 s[8:9], v24, v10
	v_cmp_ne_u32_e32 vcc, v24, v10
	s_and_saveexec_b64 s[10:11], vcc
	s_cbranch_execz .LBB446_68
; %bb.55:                               ;   in Loop: Header=BB446_38 Depth=1
	v_cmp_eq_u32_e32 vcc, v24, v23
	v_cmp_ne_u32_e64 s[0:1], v24, v23
	v_mov_b32_e32 v1, v20
	s_and_saveexec_b64 s[16:17], s[0:1]
	s_cbranch_execz .LBB446_67
; %bb.56:                               ;   in Loop: Header=BB446_38 Depth=1
	v_cmp_eq_u32_e64 s[0:1], v24, v22
	v_cmp_ne_u32_e64 s[2:3], v24, v22
	v_mov_b32_e32 v1, v18
	s_and_saveexec_b64 s[18:19], s[2:3]
	s_cbranch_execz .LBB446_66
; %bb.57:                               ;   in Loop: Header=BB446_38 Depth=1
	v_cmp_eq_u32_e64 s[2:3], v24, v21
	;; [unrolled: 6-line block ×5, first 2 shown]
	v_cmp_ne_u32_e64 s[6:7], v24, v15
	v_mov_b32_e32 v1, v9
	s_and_saveexec_b64 s[30:31], s[6:7]
; %bb.61:                               ;   in Loop: Header=BB446_38 Depth=1
	v_cmp_eq_u32_e64 s[6:7], v24, v13
	s_andn2_b64 s[28:29], s[28:29], exec
	s_and_b64 s[6:7], s[6:7], exec
	s_or_b64 s[28:29], s[28:29], s[6:7]
	v_mov_b32_e32 v1, v11
; %bb.62:                               ;   in Loop: Header=BB446_38 Depth=1
	s_or_b64 exec, exec, s[30:31]
	s_andn2_b64 s[6:7], s[24:25], exec
	s_and_b64 s[24:25], s[28:29], exec
	s_or_b64 s[24:25], s[6:7], s[24:25]
.LBB446_63:                             ;   in Loop: Header=BB446_38 Depth=1
	s_or_b64 exec, exec, s[26:27]
	s_andn2_b64 s[4:5], s[4:5], exec
	s_and_b64 s[6:7], s[24:25], exec
	s_or_b64 s[4:5], s[4:5], s[6:7]
.LBB446_64:                             ;   in Loop: Header=BB446_38 Depth=1
	s_or_b64 exec, exec, s[22:23]
	s_andn2_b64 s[2:3], s[2:3], exec
	s_and_b64 s[4:5], s[4:5], exec
	s_or_b64 s[2:3], s[2:3], s[4:5]
.LBB446_65:                             ;   in Loop: Header=BB446_38 Depth=1
	s_or_b64 exec, exec, s[20:21]
	s_andn2_b64 s[0:1], s[0:1], exec
	s_and_b64 s[2:3], s[2:3], exec
	s_or_b64 s[0:1], s[0:1], s[2:3]
.LBB446_66:                             ;   in Loop: Header=BB446_38 Depth=1
	s_or_b64 exec, exec, s[18:19]
	s_andn2_b64 s[2:3], vcc, exec
	s_and_b64 s[0:1], s[0:1], exec
	s_or_b64 vcc, s[2:3], s[0:1]
.LBB446_67:                             ;   in Loop: Header=BB446_38 Depth=1
	s_or_b64 exec, exec, s[16:17]
	s_andn2_b64 s[0:1], s[8:9], exec
	s_and_b64 s[2:3], vcc, exec
	s_or_b64 s[8:9], s[0:1], s[2:3]
.LBB446_68:                             ;   in Loop: Header=BB446_38 Depth=1
	s_or_b64 exec, exec, s[10:11]
	s_and_saveexec_b64 s[0:1], s[8:9]
	s_cbranch_execz .LBB446_37
; %bb.69:                               ;   in Loop: Header=BB446_38 Depth=1
	scratch_load_dword v1, v1, off
	s_waitcnt vmcnt(0)
	v_mul_f32_e32 v1, v8, v1
	global_store_dword v[4:5], v1, off
	s_branch .LBB446_37
.LBB446_70:
	s_bitcmp0_b32 s33, 0
	s_mov_b32 s15, 0
	s_cbranch_scc1 .LBB446_32
; %bb.71:
	v_lshl_add_u64 v[2:3], s[14:15], 2, v[2:3]
	global_load_dword v1, v[2:3], off
	v_mov_b32_e32 v2, 0
	s_waitcnt vmcnt(0)
	v_cmp_eq_u32_e64 s[8:9], v1, v10
	v_cmp_ne_u32_e32 vcc, v1, v10
	s_and_saveexec_b64 s[10:11], vcc
	s_cbranch_execz .LBB446_85
; %bb.72:
	v_cmp_eq_u32_e32 vcc, v1, v23
	v_cmp_ne_u32_e64 s[0:1], v1, v23
	s_and_saveexec_b64 s[16:17], s[0:1]
	s_cbranch_execz .LBB446_84
; %bb.73:
	v_cmp_eq_u32_e64 s[0:1], v1, v22
	v_cmp_ne_u32_e64 s[2:3], v1, v22
	s_and_saveexec_b64 s[18:19], s[2:3]
	s_cbranch_execz .LBB446_83
; %bb.74:
	v_cmp_eq_u32_e64 s[2:3], v1, v21
	v_cmp_ne_u32_e64 s[4:5], v1, v21
	s_and_saveexec_b64 s[20:21], s[4:5]
	s_cbranch_execz .LBB446_82
; %bb.75:
	v_cmp_eq_u32_e64 s[4:5], v1, v19
	v_cmp_ne_u32_e64 s[6:7], v1, v19
	s_and_saveexec_b64 s[22:23], s[6:7]
	s_cbranch_execz .LBB446_81
; %bb.76:
	v_cmp_eq_u32_e64 s[24:25], v1, v17
	v_cmp_ne_u32_e64 s[6:7], v1, v17
	s_and_saveexec_b64 s[26:27], s[6:7]
	s_cbranch_execz .LBB446_80
; %bb.77:
	v_cmp_eq_u32_e64 s[28:29], v1, v15
	v_cmp_ne_u32_e64 s[6:7], v1, v15
	s_and_saveexec_b64 s[30:31], s[6:7]
; %bb.78:
	v_cmp_eq_u32_e64 s[6:7], v1, v13
	s_andn2_b64 s[28:29], s[28:29], exec
	s_and_b64 s[6:7], s[6:7], exec
	s_or_b64 s[28:29], s[28:29], s[6:7]
	v_mov_b32_e32 v9, v11
; %bb.79:
	s_or_b64 exec, exec, s[30:31]
	s_andn2_b64 s[6:7], s[24:25], exec
	s_and_b64 s[24:25], s[28:29], exec
	s_or_b64 s[24:25], s[6:7], s[24:25]
	v_mov_b32_e32 v12, v9
.LBB446_80:
	s_or_b64 exec, exec, s[26:27]
	s_andn2_b64 s[4:5], s[4:5], exec
	s_and_b64 s[6:7], s[24:25], exec
	s_or_b64 s[4:5], s[4:5], s[6:7]
	v_mov_b32_e32 v14, v12
.LBB446_81:
	s_or_b64 exec, exec, s[22:23]
	s_andn2_b64 s[2:3], s[2:3], exec
	s_and_b64 s[4:5], s[4:5], exec
	s_or_b64 s[2:3], s[2:3], s[4:5]
	v_mov_b32_e32 v16, v14
.LBB446_82:
	s_or_b64 exec, exec, s[20:21]
	s_andn2_b64 s[0:1], s[0:1], exec
	s_and_b64 s[2:3], s[2:3], exec
	s_or_b64 s[0:1], s[0:1], s[2:3]
	v_mov_b32_e32 v18, v16
.LBB446_83:
	s_or_b64 exec, exec, s[18:19]
	s_andn2_b64 s[2:3], vcc, exec
	s_and_b64 s[0:1], s[0:1], exec
	s_or_b64 vcc, s[2:3], s[0:1]
	v_mov_b32_e32 v20, v18
.LBB446_84:
	s_or_b64 exec, exec, s[16:17]
	s_andn2_b64 s[0:1], s[8:9], exec
	s_and_b64 s[2:3], vcc, exec
	s_or_b64 s[8:9], s[0:1], s[2:3]
	v_mov_b32_e32 v2, v20
.LBB446_85:
	s_or_b64 exec, exec, s[10:11]
	s_and_b64 exec, exec, s[8:9]
	s_cbranch_execz .LBB446_32
; %bb.86:
	scratch_load_dword v2, v2, off
	v_add_u32_e32 v0, s14, v0
	v_ashrrev_i32_e32 v1, 31, v0
	s_waitcnt lgkmcnt(0)
	v_lshl_add_u64 v[0:1], v[0:1], 2, s[12:13]
	s_waitcnt vmcnt(0)
	v_mul_f32_e32 v2, v8, v2
	global_store_dword v[0:1], v2, off
	s_endpgm
	.section	.rodata,"a",@progbits
	.p2align	6, 0x0
	.amdhsa_kernel _ZN4vllm3moe22topkGatingSoftplusSqrtILi8ELi64ELi4ELi16ELi32ELb1Ej14__hip_bfloat16EEvPKT6_PKbPfiPT5_PiiiibdPKfPKS9_SF_
		.amdhsa_group_segment_fixed_size 0
		.amdhsa_private_segment_fixed_size 48
		.amdhsa_kernarg_size 96
		.amdhsa_user_sgpr_count 2
		.amdhsa_user_sgpr_dispatch_ptr 0
		.amdhsa_user_sgpr_queue_ptr 0
		.amdhsa_user_sgpr_kernarg_segment_ptr 1
		.amdhsa_user_sgpr_dispatch_id 0
		.amdhsa_user_sgpr_kernarg_preload_length 0
		.amdhsa_user_sgpr_kernarg_preload_offset 0
		.amdhsa_user_sgpr_private_segment_size 0
		.amdhsa_uses_dynamic_stack 0
		.amdhsa_enable_private_segment 1
		.amdhsa_system_sgpr_workgroup_id_x 1
		.amdhsa_system_sgpr_workgroup_id_y 0
		.amdhsa_system_sgpr_workgroup_id_z 0
		.amdhsa_system_sgpr_workgroup_info 0
		.amdhsa_system_vgpr_workitem_id 1
		.amdhsa_next_free_vgpr 27
		.amdhsa_next_free_sgpr 34
		.amdhsa_accum_offset 28
		.amdhsa_reserve_vcc 1
		.amdhsa_float_round_mode_32 0
		.amdhsa_float_round_mode_16_64 0
		.amdhsa_float_denorm_mode_32 3
		.amdhsa_float_denorm_mode_16_64 3
		.amdhsa_dx10_clamp 1
		.amdhsa_ieee_mode 1
		.amdhsa_fp16_overflow 0
		.amdhsa_tg_split 0
		.amdhsa_exception_fp_ieee_invalid_op 0
		.amdhsa_exception_fp_denorm_src 0
		.amdhsa_exception_fp_ieee_div_zero 0
		.amdhsa_exception_fp_ieee_overflow 0
		.amdhsa_exception_fp_ieee_underflow 0
		.amdhsa_exception_fp_ieee_inexact 0
		.amdhsa_exception_int_div_zero 0
	.end_amdhsa_kernel
	.section	.text._ZN4vllm3moe22topkGatingSoftplusSqrtILi8ELi64ELi4ELi16ELi32ELb1Ej14__hip_bfloat16EEvPKT6_PKbPfiPT5_PiiiibdPKfPKS9_SF_,"axG",@progbits,_ZN4vllm3moe22topkGatingSoftplusSqrtILi8ELi64ELi4ELi16ELi32ELb1Ej14__hip_bfloat16EEvPKT6_PKbPfiPT5_PiiiibdPKfPKS9_SF_,comdat
.Lfunc_end446:
	.size	_ZN4vllm3moe22topkGatingSoftplusSqrtILi8ELi64ELi4ELi16ELi32ELb1Ej14__hip_bfloat16EEvPKT6_PKbPfiPT5_PiiiibdPKfPKS9_SF_, .Lfunc_end446-_ZN4vllm3moe22topkGatingSoftplusSqrtILi8ELi64ELi4ELi16ELi32ELb1Ej14__hip_bfloat16EEvPKT6_PKbPfiPT5_PiiiibdPKfPKS9_SF_
                                        ; -- End function
	.section	.AMDGPU.csdata,"",@progbits
; Kernel info:
; codeLenInByte = 4520
; NumSgprs: 40
; NumVgprs: 27
; NumAgprs: 0
; TotalNumVgprs: 27
; ScratchSize: 48
; MemoryBound: 0
; FloatMode: 240
; IeeeMode: 1
; LDSByteSize: 0 bytes/workgroup (compile time only)
; SGPRBlocks: 4
; VGPRBlocks: 3
; NumSGPRsForWavesPerEU: 40
; NumVGPRsForWavesPerEU: 27
; AccumOffset: 28
; Occupancy: 8
; WaveLimiterHint : 1
; COMPUTE_PGM_RSRC2:SCRATCH_EN: 1
; COMPUTE_PGM_RSRC2:USER_SGPR: 2
; COMPUTE_PGM_RSRC2:TRAP_HANDLER: 0
; COMPUTE_PGM_RSRC2:TGID_X_EN: 1
; COMPUTE_PGM_RSRC2:TGID_Y_EN: 0
; COMPUTE_PGM_RSRC2:TGID_Z_EN: 0
; COMPUTE_PGM_RSRC2:TIDIG_COMP_CNT: 1
; COMPUTE_PGM_RSRC3_GFX90A:ACCUM_OFFSET: 6
; COMPUTE_PGM_RSRC3_GFX90A:TG_SPLIT: 0
	.section	.text._ZN4vllm3moe22topkGatingSoftplusSqrtILi8ELi64ELi4ELi16ELi32ELb0Ej14__hip_bfloat16EEvPKT6_PKbPfiPT5_PiiiibdPKfPKS9_SF_,"axG",@progbits,_ZN4vllm3moe22topkGatingSoftplusSqrtILi8ELi64ELi4ELi16ELi32ELb0Ej14__hip_bfloat16EEvPKT6_PKbPfiPT5_PiiiibdPKfPKS9_SF_,comdat
	.protected	_ZN4vllm3moe22topkGatingSoftplusSqrtILi8ELi64ELi4ELi16ELi32ELb0Ej14__hip_bfloat16EEvPKT6_PKbPfiPT5_PiiiibdPKfPKS9_SF_ ; -- Begin function _ZN4vllm3moe22topkGatingSoftplusSqrtILi8ELi64ELi4ELi16ELi32ELb0Ej14__hip_bfloat16EEvPKT6_PKbPfiPT5_PiiiibdPKfPKS9_SF_
	.globl	_ZN4vllm3moe22topkGatingSoftplusSqrtILi8ELi64ELi4ELi16ELi32ELb0Ej14__hip_bfloat16EEvPKT6_PKbPfiPT5_PiiiibdPKfPKS9_SF_
	.p2align	8
	.type	_ZN4vllm3moe22topkGatingSoftplusSqrtILi8ELi64ELi4ELi16ELi32ELb0Ej14__hip_bfloat16EEvPKT6_PKbPfiPT5_PiiiibdPKfPKS9_SF_,@function
_ZN4vllm3moe22topkGatingSoftplusSqrtILi8ELi64ELi4ELi16ELi32ELb0Ej14__hip_bfloat16EEvPKT6_PKbPfiPT5_PiiiibdPKfPKS9_SF_: ; @_ZN4vllm3moe22topkGatingSoftplusSqrtILi8ELi64ELi4ELi16ELi32ELb0Ej14__hip_bfloat16EEvPKT6_PKbPfiPT5_PiiiibdPKfPKS9_SF_
; %bb.0:
	s_load_dword s33, s[0:1], 0x18
	v_bfe_u32 v1, v0, 10, 10
	v_and_b32_e32 v0, 0x3ff, v0
	s_lshl_b32 s2, s2, 4
	v_lshlrev_b32_e32 v1, 2, v1
	v_lshrrev_b32_e32 v2, 3, v0
	v_add3_u32 v8, s2, v1, v2
	s_waitcnt lgkmcnt(0)
	v_cmp_gt_i32_e32 vcc, s33, v8
	s_and_saveexec_b64 s[2:3], vcc
	s_cbranch_execz .LBB447_57
; %bb.1:
	s_load_dwordx4 s[4:7], s[0:1], 0x0
	s_load_dwordx2 s[34:35], s[0:1], 0x10
	s_waitcnt lgkmcnt(0)
	s_cmp_eq_u64 s[6:7], 0
	s_cbranch_scc1 .LBB447_3
; %bb.2:
	v_ashrrev_i32_e32 v9, 31, v8
	v_lshl_add_u64 v[2:3], s[6:7], 0, v[8:9]
	global_load_ubyte v1, v[2:3], off
	s_waitcnt vmcnt(0)
	v_and_b32_e32 v1, 1, v1
	v_cmp_eq_u32_e32 vcc, 1, v1
	s_xor_b64 s[2:3], vcc, -1
	s_orn2_b64 s[36:37], s[2:3], exec
	s_branch .LBB447_4
.LBB447_3:
	s_mov_b64 s[36:37], -1
.LBB447_4:
	v_lshlrev_b32_e32 v4, 6, v8
	v_mov_b32_e32 v2, s4
	v_mov_b32_e32 v3, s5
	v_ashrrev_i32_e32 v5, 31, v4
	v_and_b32_e32 v9, 7, v0
	v_lshl_add_u64 v[2:3], v[4:5], 1, v[2:3]
	v_mov_b32_e32 v1, 0
	v_lshlrev_b32_e32 v0, 4, v9
	v_lshl_add_u64 v[0:1], v[2:3], 0, v[0:1]
	global_load_dwordx4 v[4:7], v[0:1], off
	s_mov_b32 s12, 0x800000
	v_mov_b32_e32 v2, 0x4f800000
	s_mov_b32 s9, 0x3f317217
	s_mov_b32 s10, 0x7f800000
	v_mov_b32_e32 v3, 0x41b17218
	s_mov_b32 s8, 0x41a00000
	s_mov_b32 s11, 0xf800000
	s_load_dwordx4 s[20:23], s[0:1], 0x40
	v_lshlrev_b32_e32 v12, 3, v9
	s_waitcnt lgkmcnt(0)
	s_cmp_lg_u64 s[22:23], 0
	s_cselect_b64 s[6:7], -1, 0
	s_and_b64 s[2:3], exec, s[6:7]
	s_waitcnt vmcnt(0)
	v_lshlrev_b32_e32 v0, 16, v4
	v_mul_f32_e32 v1, 0x3fb8aa3b, v0
	v_exp_f32_e32 v10, v1
	v_mov_b32_e32 v1, 0x260
	v_add_f32_e32 v10, 1.0, v10
	v_cmp_gt_f32_e32 vcc, s12, v10
	s_nop 1
	v_cndmask_b32_e32 v11, 1.0, v2, vcc
	v_mul_f32_e32 v10, v10, v11
	v_log_f32_e32 v11, v10
	v_cndmask_b32_e32 v13, 0, v3, vcc
	v_lshlrev_b32_e32 v10, 2, v12
	v_mul_f32_e32 v14, 0x3f317217, v11
	v_fma_f32 v14, v11, s9, -v14
	v_fmac_f32_e32 v14, 0x3377d1cf, v11
	v_fmac_f32_e32 v14, 0x3f317217, v11
	v_cmp_lt_f32_e64 vcc, |v11|, s10
	s_nop 1
	v_cndmask_b32_e32 v11, v11, v14, vcc
	v_sub_f32_e32 v11, v11, v13
	v_cmp_lt_f32_e32 vcc, s8, v0
	s_nop 1
	v_cndmask_b32_e32 v0, v11, v0, vcc
	v_mul_f32_e32 v11, 0x4f800000, v0
	v_cmp_gt_f32_e32 vcc, s11, v0
	s_nop 1
	v_cndmask_b32_e32 v0, v0, v11, vcc
	v_sqrt_f32_e32 v11, v0
	s_nop 0
	v_add_u32_e32 v13, -1, v11
	v_add_u32_e32 v14, 1, v11
	v_fma_f32 v15, -v13, v11, v0
	v_fma_f32 v16, -v14, v11, v0
	v_cmp_ge_f32_e64 s[4:5], 0, v15
	s_nop 1
	v_cndmask_b32_e64 v11, v11, v13, s[4:5]
	v_cmp_lt_f32_e64 s[4:5], 0, v16
	s_nop 1
	v_cndmask_b32_e64 v11, v11, v14, s[4:5]
	v_mul_f32_e32 v13, 0x37800000, v11
	v_cndmask_b32_e32 v11, v11, v13, vcc
	v_cmp_class_f32_e32 vcc, v0, v1
	s_nop 1
	v_cndmask_b32_e32 v0, v11, v0, vcc
	s_mov_b64 vcc, s[2:3]
	s_cbranch_vccz .LBB447_6
; %bb.5:
	global_load_dword v11, v10, s[22:23]
	s_waitcnt vmcnt(0)
	v_add_f32_e32 v0, v0, v11
.LBB447_6:
	v_and_b32_e32 v4, 0xffff0000, v4
	v_mul_f32_e32 v11, 0x3fb8aa3b, v4
	v_exp_f32_e32 v11, v11
	s_nop 0
	v_add_f32_e32 v11, 1.0, v11
	v_cmp_gt_f32_e32 vcc, s12, v11
	s_nop 1
	v_cndmask_b32_e32 v2, 1.0, v2, vcc
	v_mul_f32_e32 v2, v11, v2
	v_log_f32_e32 v2, v2
	v_cndmask_b32_e32 v3, 0, v3, vcc
	v_mul_f32_e32 v11, 0x3f317217, v2
	v_fma_f32 v11, v2, s9, -v11
	v_fmac_f32_e32 v11, 0x3377d1cf, v2
	v_fmac_f32_e32 v11, 0x3f317217, v2
	v_cmp_lt_f32_e64 vcc, |v2|, s10
	s_nop 1
	v_cndmask_b32_e32 v2, v2, v11, vcc
	v_sub_f32_e32 v2, v2, v3
	v_cmp_lt_f32_e32 vcc, s8, v4
	s_nop 1
	v_cndmask_b32_e32 v2, v2, v4, vcc
	v_mul_f32_e32 v3, 0x4f800000, v2
	v_cmp_gt_f32_e32 vcc, s11, v2
	s_nop 1
	v_cndmask_b32_e32 v2, v2, v3, vcc
	v_sqrt_f32_e32 v3, v2
	v_cmp_class_f32_e64 s[4:5], v2, v1
	v_add_u32_e32 v4, -1, v3
	v_add_u32_e32 v11, 1, v3
	v_fma_f32 v13, -v4, v3, v2
	v_fma_f32 v14, -v11, v3, v2
	v_cmp_ge_f32_e64 s[2:3], 0, v13
	s_nop 1
	v_cndmask_b32_e64 v3, v3, v4, s[2:3]
	v_cmp_lt_f32_e64 s[2:3], 0, v14
	s_nop 1
	v_cndmask_b32_e64 v3, v3, v11, s[2:3]
	v_mul_f32_e32 v4, 0x37800000, v3
	v_cndmask_b32_e32 v3, v3, v4, vcc
	v_cndmask_b32_e64 v4, 0, 1, s[6:7]
	v_cmp_ne_u32_e64 s[2:3], 1, v4
	s_andn2_b64 vcc, exec, s[6:7]
	v_cndmask_b32_e64 v1, v3, v2, s[4:5]
	s_cbranch_vccnz .LBB447_8
; %bb.7:
	global_load_dword v2, v10, s[22:23] offset:4
	s_waitcnt vmcnt(0)
	v_add_f32_e32 v1, v1, v2
.LBB447_8:
	v_lshlrev_b32_e32 v2, 16, v5
	v_mul_f32_e32 v3, 0x3fb8aa3b, v2
	v_exp_f32_e32 v3, v3
	s_mov_b32 s10, 0x800000
	v_mov_b32_e32 v4, 0x4f800000
	s_mov_b32 s7, 0x3f317217
	v_add_f32_e32 v3, 1.0, v3
	v_cmp_gt_f32_e32 vcc, s10, v3
	s_mov_b32 s8, 0x7f800000
	s_mov_b32 s6, 0x41a00000
	v_cndmask_b32_e32 v11, 1.0, v4, vcc
	v_mul_f32_e32 v3, v3, v11
	v_log_f32_e32 v3, v3
	s_mov_b32 s9, 0xf800000
	v_mul_f32_e32 v11, 0x3f317217, v3
	v_fma_f32 v11, v3, s7, -v11
	v_fmac_f32_e32 v11, 0x3377d1cf, v3
	v_fmac_f32_e32 v11, 0x3f317217, v3
	v_cmp_lt_f32_e64 s[4:5], |v3|, s8
	s_nop 1
	v_cndmask_b32_e64 v3, v3, v11, s[4:5]
	v_mov_b32_e32 v11, 0x41b17218
	v_cndmask_b32_e32 v13, 0, v11, vcc
	v_sub_f32_e32 v3, v3, v13
	v_cmp_lt_f32_e32 vcc, s6, v2
	s_nop 1
	v_cndmask_b32_e32 v2, v3, v2, vcc
	v_mul_f32_e32 v3, 0x4f800000, v2
	v_cmp_gt_f32_e32 vcc, s9, v2
	s_nop 1
	v_cndmask_b32_e32 v2, v2, v3, vcc
	v_sqrt_f32_e32 v3, v2
	s_nop 0
	v_add_u32_e32 v13, -1, v3
	v_fma_f32 v14, -v13, v3, v2
	v_cmp_ge_f32_e64 s[4:5], 0, v14
	v_add_u32_e32 v14, 1, v3
	s_nop 0
	v_cndmask_b32_e64 v13, v3, v13, s[4:5]
	v_fma_f32 v3, -v14, v3, v2
	v_cmp_lt_f32_e64 s[4:5], 0, v3
	s_nop 1
	v_cndmask_b32_e64 v3, v13, v14, s[4:5]
	v_mul_f32_e32 v13, 0x37800000, v3
	v_cndmask_b32_e32 v13, v3, v13, vcc
	v_mov_b32_e32 v3, 0x260
	v_cmp_class_f32_e64 s[4:5], v2, v3
	s_and_b64 vcc, exec, s[2:3]
	s_nop 0
	v_cndmask_b32_e64 v2, v13, v2, s[4:5]
	s_cbranch_vccnz .LBB447_10
; %bb.9:
	global_load_dword v13, v10, s[22:23] offset:8
	s_waitcnt vmcnt(0)
	v_add_f32_e32 v2, v2, v13
.LBB447_10:
	v_and_b32_e32 v5, 0xffff0000, v5
	v_mul_f32_e32 v13, 0x3fb8aa3b, v5
	v_exp_f32_e32 v13, v13
	s_nop 0
	v_add_f32_e32 v13, 1.0, v13
	v_cmp_gt_f32_e32 vcc, s10, v13
	s_nop 1
	v_cndmask_b32_e32 v4, 1.0, v4, vcc
	v_mul_f32_e32 v4, v13, v4
	v_log_f32_e32 v4, v4
	v_cndmask_b32_e32 v11, 0, v11, vcc
	v_mul_f32_e32 v13, 0x3f317217, v4
	v_fma_f32 v13, v4, s7, -v13
	v_fmac_f32_e32 v13, 0x3377d1cf, v4
	v_fmac_f32_e32 v13, 0x3f317217, v4
	v_cmp_lt_f32_e64 vcc, |v4|, s8
	s_nop 1
	v_cndmask_b32_e32 v4, v4, v13, vcc
	v_sub_f32_e32 v4, v4, v11
	v_cmp_lt_f32_e32 vcc, s6, v5
	s_nop 1
	v_cndmask_b32_e32 v4, v4, v5, vcc
	v_mul_f32_e32 v5, 0x4f800000, v4
	v_cmp_gt_f32_e32 vcc, s9, v4
	s_nop 1
	v_cndmask_b32_e32 v4, v4, v5, vcc
	v_sqrt_f32_e32 v5, v4
	s_nop 0
	v_add_u32_e32 v11, -1, v5
	v_add_u32_e32 v13, 1, v5
	v_fma_f32 v14, -v11, v5, v4
	v_fma_f32 v15, -v13, v5, v4
	v_cmp_ge_f32_e64 s[4:5], 0, v14
	s_nop 1
	v_cndmask_b32_e64 v5, v5, v11, s[4:5]
	v_cmp_lt_f32_e64 s[4:5], 0, v15
	s_nop 1
	v_cndmask_b32_e64 v5, v5, v13, s[4:5]
	v_mul_f32_e32 v11, 0x37800000, v5
	v_cndmask_b32_e32 v5, v5, v11, vcc
	v_cmp_class_f32_e64 s[4:5], v4, v3
	s_and_b64 vcc, exec, s[2:3]
	s_nop 0
	v_cndmask_b32_e64 v3, v5, v4, s[4:5]
	s_cbranch_vccnz .LBB447_12
; %bb.11:
	global_load_dword v4, v10, s[22:23] offset:12
	s_waitcnt vmcnt(0)
	v_add_f32_e32 v3, v3, v4
.LBB447_12:
	v_lshlrev_b32_e32 v4, 16, v6
	v_mul_f32_e32 v5, 0x3fb8aa3b, v4
	v_exp_f32_e32 v5, v5
	v_mov_b32_e32 v11, 0x4f800000
	v_add_f32_e32 v5, 1.0, v5
	v_cmp_gt_f32_e32 vcc, s10, v5
	s_nop 1
	v_cndmask_b32_e32 v13, 1.0, v11, vcc
	v_mul_f32_e32 v5, v5, v13
	v_log_f32_e32 v5, v5
	s_nop 0
	v_mul_f32_e32 v13, 0x3f317217, v5
	v_fma_f32 v13, v5, s7, -v13
	v_fmac_f32_e32 v13, 0x3377d1cf, v5
	v_fmac_f32_e32 v13, 0x3f317217, v5
	v_cmp_lt_f32_e64 s[4:5], |v5|, s8
	s_nop 1
	v_cndmask_b32_e64 v5, v5, v13, s[4:5]
	v_mov_b32_e32 v13, 0x41b17218
	v_cndmask_b32_e32 v14, 0, v13, vcc
	v_sub_f32_e32 v5, v5, v14
	v_cmp_lt_f32_e32 vcc, s6, v4
	s_nop 1
	v_cndmask_b32_e32 v4, v5, v4, vcc
	v_mul_f32_e32 v5, 0x4f800000, v4
	v_cmp_gt_f32_e32 vcc, s9, v4
	s_nop 1
	v_cndmask_b32_e32 v4, v4, v5, vcc
	v_sqrt_f32_e32 v5, v4
	s_nop 0
	v_add_u32_e32 v14, -1, v5
	v_fma_f32 v15, -v14, v5, v4
	v_cmp_ge_f32_e64 s[4:5], 0, v15
	v_add_u32_e32 v15, 1, v5
	s_nop 0
	v_cndmask_b32_e64 v14, v5, v14, s[4:5]
	v_fma_f32 v5, -v15, v5, v4
	v_cmp_lt_f32_e64 s[4:5], 0, v5
	s_nop 1
	v_cndmask_b32_e64 v5, v14, v15, s[4:5]
	v_mul_f32_e32 v14, 0x37800000, v5
	v_cndmask_b32_e32 v14, v5, v14, vcc
	v_mov_b32_e32 v5, 0x260
	v_cmp_class_f32_e64 s[4:5], v4, v5
	s_and_b64 vcc, exec, s[2:3]
	s_nop 0
	v_cndmask_b32_e64 v4, v14, v4, s[4:5]
	s_cbranch_vccnz .LBB447_14
; %bb.13:
	global_load_dword v14, v10, s[22:23] offset:16
	s_waitcnt vmcnt(0)
	v_add_f32_e32 v4, v4, v14
.LBB447_14:
	v_and_b32_e32 v6, 0xffff0000, v6
	v_mul_f32_e32 v14, 0x3fb8aa3b, v6
	v_exp_f32_e32 v14, v14
	s_nop 0
	v_add_f32_e32 v14, 1.0, v14
	v_cmp_gt_f32_e32 vcc, s10, v14
	s_nop 1
	v_cndmask_b32_e32 v11, 1.0, v11, vcc
	v_mul_f32_e32 v11, v14, v11
	v_log_f32_e32 v11, v11
	v_cndmask_b32_e32 v13, 0, v13, vcc
	v_mul_f32_e32 v14, 0x3f317217, v11
	v_fma_f32 v14, v11, s7, -v14
	v_fmac_f32_e32 v14, 0x3377d1cf, v11
	v_fmac_f32_e32 v14, 0x3f317217, v11
	v_cmp_lt_f32_e64 vcc, |v11|, s8
	s_nop 1
	v_cndmask_b32_e32 v11, v11, v14, vcc
	v_sub_f32_e32 v11, v11, v13
	v_cmp_lt_f32_e32 vcc, s6, v6
	s_nop 1
	v_cndmask_b32_e32 v6, v11, v6, vcc
	v_mul_f32_e32 v11, 0x4f800000, v6
	v_cmp_gt_f32_e32 vcc, s9, v6
	s_nop 1
	v_cndmask_b32_e32 v6, v6, v11, vcc
	v_sqrt_f32_e32 v11, v6
	s_nop 0
	v_add_u32_e32 v13, -1, v11
	v_add_u32_e32 v14, 1, v11
	v_fma_f32 v15, -v13, v11, v6
	v_fma_f32 v16, -v14, v11, v6
	v_cmp_ge_f32_e64 s[4:5], 0, v15
	s_nop 1
	v_cndmask_b32_e64 v11, v11, v13, s[4:5]
	v_cmp_lt_f32_e64 s[4:5], 0, v16
	s_nop 1
	v_cndmask_b32_e64 v11, v11, v14, s[4:5]
	v_mul_f32_e32 v13, 0x37800000, v11
	v_cndmask_b32_e32 v11, v11, v13, vcc
	v_cmp_class_f32_e64 s[4:5], v6, v5
	s_and_b64 vcc, exec, s[2:3]
	s_nop 0
	v_cndmask_b32_e64 v5, v11, v6, s[4:5]
	s_cbranch_vccnz .LBB447_16
; %bb.15:
	global_load_dword v6, v10, s[22:23] offset:20
	s_waitcnt vmcnt(0)
	v_add_f32_e32 v5, v5, v6
.LBB447_16:
	v_lshlrev_b32_e32 v6, 16, v7
	v_mul_f32_e32 v11, 0x3fb8aa3b, v6
	v_exp_f32_e32 v11, v11
	v_mov_b32_e32 v13, 0x4f800000
	v_add_f32_e32 v11, 1.0, v11
	v_cmp_gt_f32_e32 vcc, s10, v11
	s_nop 1
	v_cndmask_b32_e32 v14, 1.0, v13, vcc
	v_mul_f32_e32 v11, v11, v14
	v_log_f32_e32 v11, v11
	s_nop 0
	v_mul_f32_e32 v14, 0x3f317217, v11
	v_fma_f32 v14, v11, s7, -v14
	v_fmac_f32_e32 v14, 0x3377d1cf, v11
	v_fmac_f32_e32 v14, 0x3f317217, v11
	v_cmp_lt_f32_e64 s[4:5], |v11|, s8
	s_nop 1
	v_cndmask_b32_e64 v11, v11, v14, s[4:5]
	v_mov_b32_e32 v14, 0x41b17218
	v_cndmask_b32_e32 v15, 0, v14, vcc
	v_sub_f32_e32 v11, v11, v15
	v_cmp_lt_f32_e32 vcc, s6, v6
	s_nop 1
	v_cndmask_b32_e32 v6, v11, v6, vcc
	v_mul_f32_e32 v11, 0x4f800000, v6
	v_cmp_gt_f32_e32 vcc, s9, v6
	s_nop 1
	v_cndmask_b32_e32 v6, v6, v11, vcc
	v_sqrt_f32_e32 v11, v6
	s_nop 0
	v_add_u32_e32 v15, -1, v11
	v_fma_f32 v16, -v15, v11, v6
	v_cmp_ge_f32_e64 s[4:5], 0, v16
	v_add_u32_e32 v16, 1, v11
	s_nop 0
	v_cndmask_b32_e64 v15, v11, v15, s[4:5]
	v_fma_f32 v11, -v16, v11, v6
	v_cmp_lt_f32_e64 s[4:5], 0, v11
	s_nop 1
	v_cndmask_b32_e64 v11, v15, v16, s[4:5]
	v_mul_f32_e32 v15, 0x37800000, v11
	v_cndmask_b32_e32 v15, v11, v15, vcc
	v_mov_b32_e32 v11, 0x260
	v_cmp_class_f32_e64 s[4:5], v6, v11
	s_and_b64 vcc, exec, s[2:3]
	s_nop 0
	v_cndmask_b32_e64 v6, v15, v6, s[4:5]
	s_cbranch_vccnz .LBB447_18
; %bb.17:
	global_load_dword v15, v10, s[22:23] offset:24
	s_waitcnt vmcnt(0)
	v_add_f32_e32 v6, v6, v15
.LBB447_18:
	v_and_b32_e32 v7, 0xffff0000, v7
	v_mul_f32_e32 v15, 0x3fb8aa3b, v7
	v_exp_f32_e32 v15, v15
	s_nop 0
	v_add_f32_e32 v15, 1.0, v15
	v_cmp_gt_f32_e32 vcc, s10, v15
	s_nop 1
	v_cndmask_b32_e32 v13, 1.0, v13, vcc
	v_mul_f32_e32 v13, v15, v13
	v_log_f32_e32 v13, v13
	v_cndmask_b32_e32 v14, 0, v14, vcc
	v_mul_f32_e32 v15, 0x3f317217, v13
	v_fma_f32 v15, v13, s7, -v15
	v_fmac_f32_e32 v15, 0x3377d1cf, v13
	v_fmac_f32_e32 v15, 0x3f317217, v13
	v_cmp_lt_f32_e64 vcc, |v13|, s8
	s_nop 1
	v_cndmask_b32_e32 v13, v13, v15, vcc
	v_sub_f32_e32 v13, v13, v14
	v_cmp_lt_f32_e32 vcc, s6, v7
	s_nop 1
	v_cndmask_b32_e32 v7, v13, v7, vcc
	v_mul_f32_e32 v13, 0x4f800000, v7
	v_cmp_gt_f32_e32 vcc, s9, v7
	s_nop 1
	v_cndmask_b32_e32 v7, v7, v13, vcc
	v_sqrt_f32_e32 v13, v7
	s_nop 0
	v_add_u32_e32 v14, -1, v13
	v_add_u32_e32 v15, 1, v13
	v_fma_f32 v16, -v14, v13, v7
	v_fma_f32 v17, -v15, v13, v7
	v_cmp_ge_f32_e64 s[4:5], 0, v16
	s_nop 1
	v_cndmask_b32_e64 v13, v13, v14, s[4:5]
	v_cmp_lt_f32_e64 s[4:5], 0, v17
	s_nop 1
	v_cndmask_b32_e64 v13, v13, v15, s[4:5]
	v_mul_f32_e32 v14, 0x37800000, v13
	v_cndmask_b32_e32 v13, v13, v14, vcc
	v_cmp_class_f32_e64 s[4:5], v7, v11
	s_and_b64 vcc, exec, s[2:3]
	s_nop 0
	v_cndmask_b32_e64 v7, v13, v7, s[4:5]
	s_cbranch_vccnz .LBB447_20
; %bb.19:
	global_load_dword v10, v10, s[22:23] offset:28
	s_waitcnt vmcnt(0)
	v_add_f32_e32 v7, v7, v10
.LBB447_20:
	s_load_dwordx4 s[24:27], s[0:1], 0x30
	s_mov_b32 s42, 0
	v_cmp_eq_u32_e64 s[6:7], 0, v9
	s_waitcnt lgkmcnt(0)
	s_bitcmp1_b32 s27, 0
	s_cselect_b64 s[4:5], -1, 0
	s_cmp_gt_i32 s24, 0
	s_cselect_b64 s[38:39], -1, 0
	s_and_b64 vcc, exec, s[38:39]
	s_cbranch_vccz .LBB447_43
; %bb.21:
	v_mbcnt_lo_u32_b32 v10, -1, 0
	v_mbcnt_hi_u32_b32 v10, -1, v10
	v_and_b32_e32 v11, 0x78, v10
	v_add_u32_e32 v11, 8, v11
	v_xor_b32_e32 v13, 4, v10
	v_cmp_lt_i32_e32 vcc, v13, v11
	s_load_dwordx4 s[28:31], s[0:1], 0x20
	v_mul_lo_u32 v14, v8, s24
	v_cndmask_b32_e32 v13, v10, v13, vcc
	v_lshlrev_b32_e32 v15, 2, v13
	v_xor_b32_e32 v13, 2, v10
	v_cmp_lt_i32_e32 vcc, v13, v11
	v_mov_b32_e32 v18, 0xc61c4000
	v_mov_b32_e32 v19, v8
	v_cndmask_b32_e32 v13, v10, v13, vcc
	v_lshlrev_b32_e32 v16, 2, v13
	v_xor_b32_e32 v13, 1, v10
	v_cmp_lt_i32_e32 vcc, v13, v11
	s_nop 1
	v_cndmask_b32_e32 v10, v10, v13, vcc
	v_lshlrev_b32_e32 v17, 2, v10
	v_mov_b32_e32 v13, 0
	s_branch .LBB447_24
.LBB447_22:                             ;   in Loop: Header=BB447_24 Depth=1
	s_or_b64 exec, exec, s[40:41]
.LBB447_23:                             ;   in Loop: Header=BB447_24 Depth=1
	s_cmp_eq_u32 s24, s42
	v_add_u32_e32 v19, s33, v19
	s_cbranch_scc1 .LBB447_44
.LBB447_24:                             ; =>This Inner Loop Header: Depth=1
	v_cmp_gt_f32_e32 vcc, v1, v0
	s_nop 1
	v_cndmask_b32_e32 v11, v0, v1, vcc
	v_cndmask_b32_e64 v10, 0, 1, vcc
	v_cmp_gt_f32_e32 vcc, v2, v11
	s_nop 1
	v_cndmask_b32_e32 v11, v11, v2, vcc
	v_cndmask_b32_e64 v10, v10, 2, vcc
	v_cmp_gt_f32_e32 vcc, v3, v11
	s_nop 1
	v_cndmask_b32_e32 v11, v11, v3, vcc
	v_cndmask_b32_e64 v10, v10, 3, vcc
	v_cmp_gt_f32_e32 vcc, v4, v11
	s_nop 1
	v_cndmask_b32_e32 v11, v11, v4, vcc
	v_cndmask_b32_e64 v10, v10, 4, vcc
	v_cmp_gt_f32_e32 vcc, v5, v11
	s_nop 1
	v_cndmask_b32_e32 v11, v11, v5, vcc
	v_cndmask_b32_e64 v10, v10, 5, vcc
	v_cmp_gt_f32_e32 vcc, v6, v11
	s_nop 1
	v_cndmask_b32_e32 v11, v11, v6, vcc
	v_cndmask_b32_e64 v10, v10, 6, vcc
	v_cmp_gt_f32_e32 vcc, v7, v11
	s_nop 1
	v_cndmask_b32_e64 v10, v10, 7, vcc
	v_cndmask_b32_e32 v20, v11, v7, vcc
	ds_bpermute_b32 v11, v15, v20
	v_or_b32_e32 v10, v12, v10
	s_waitcnt lgkmcnt(0)
	ds_bpermute_b32 v21, v15, v10
	s_waitcnt lgkmcnt(0)
	v_cmp_lt_f32_e64 s[8:9], v20, v11
	v_cmp_nlt_f32_e32 vcc, v20, v11
	s_and_saveexec_b64 s[10:11], vcc
; %bb.25:                               ;   in Loop: Header=BB447_24 Depth=1
	v_cmp_eq_f32_e32 vcc, v20, v11
	v_cmp_lt_i32_e64 s[0:1], v21, v10
	s_and_b64 s[0:1], vcc, s[0:1]
	s_andn2_b64 s[8:9], s[8:9], exec
	s_and_b64 s[0:1], s[0:1], exec
	s_or_b64 s[8:9], s[8:9], s[0:1]
; %bb.26:                               ;   in Loop: Header=BB447_24 Depth=1
	s_or_b64 exec, exec, s[10:11]
	s_and_saveexec_b64 s[0:1], s[8:9]
; %bb.27:                               ;   in Loop: Header=BB447_24 Depth=1
	v_mov_b32_e32 v20, v11
	v_mov_b32_e32 v10, v21
; %bb.28:                               ;   in Loop: Header=BB447_24 Depth=1
	s_or_b64 exec, exec, s[0:1]
	ds_bpermute_b32 v11, v16, v20
	ds_bpermute_b32 v21, v16, v10
	s_waitcnt lgkmcnt(1)
	v_cmp_lt_f32_e64 s[8:9], v20, v11
	v_cmp_nlt_f32_e32 vcc, v20, v11
	s_and_saveexec_b64 s[10:11], vcc
	s_cbranch_execz .LBB447_30
; %bb.29:                               ;   in Loop: Header=BB447_24 Depth=1
	v_cmp_eq_f32_e32 vcc, v20, v11
	s_waitcnt lgkmcnt(0)
	v_cmp_lt_i32_e64 s[0:1], v21, v10
	s_and_b64 s[0:1], vcc, s[0:1]
	s_andn2_b64 s[8:9], s[8:9], exec
	s_and_b64 s[0:1], s[0:1], exec
	s_or_b64 s[8:9], s[8:9], s[0:1]
.LBB447_30:                             ;   in Loop: Header=BB447_24 Depth=1
	s_or_b64 exec, exec, s[10:11]
	s_and_saveexec_b64 s[0:1], s[8:9]
	s_cbranch_execz .LBB447_32
; %bb.31:                               ;   in Loop: Header=BB447_24 Depth=1
	v_mov_b32_e32 v20, v11
	s_waitcnt lgkmcnt(0)
	v_mov_b32_e32 v10, v21
.LBB447_32:                             ;   in Loop: Header=BB447_24 Depth=1
	s_or_b64 exec, exec, s[0:1]
	ds_bpermute_b32 v11, v17, v20
	s_waitcnt lgkmcnt(1)
	ds_bpermute_b32 v21, v17, v10
	s_waitcnt lgkmcnt(1)
	v_cmp_lt_f32_e64 s[8:9], v20, v11
	v_cmp_nlt_f32_e32 vcc, v20, v11
	s_and_saveexec_b64 s[10:11], vcc
	s_cbranch_execnz .LBB447_36
; %bb.33:                               ;   in Loop: Header=BB447_24 Depth=1
	s_or_b64 exec, exec, s[10:11]
	s_and_saveexec_b64 s[0:1], s[8:9]
	s_cbranch_execnz .LBB447_37
.LBB447_34:                             ;   in Loop: Header=BB447_24 Depth=1
	s_or_b64 exec, exec, s[0:1]
	s_and_saveexec_b64 s[8:9], s[6:7]
	s_cbranch_execnz .LBB447_38
.LBB447_35:                             ;   in Loop: Header=BB447_24 Depth=1
	s_or_b64 exec, exec, s[8:9]
	s_add_i32 s42, s42, 1
	s_cmp_ge_i32 s42, s24
	s_cbranch_scc1 .LBB447_23
	s_branch .LBB447_41
.LBB447_36:                             ;   in Loop: Header=BB447_24 Depth=1
	v_cmp_eq_f32_e32 vcc, v20, v11
	s_waitcnt lgkmcnt(0)
	v_cmp_lt_i32_e64 s[0:1], v21, v10
	s_and_b64 s[0:1], vcc, s[0:1]
	s_andn2_b64 s[8:9], s[8:9], exec
	s_and_b64 s[0:1], s[0:1], exec
	s_or_b64 s[8:9], s[8:9], s[0:1]
	s_or_b64 exec, exec, s[10:11]
	s_and_saveexec_b64 s[0:1], s[8:9]
	s_cbranch_execz .LBB447_34
.LBB447_37:                             ;   in Loop: Header=BB447_24 Depth=1
	s_waitcnt lgkmcnt(0)
	v_mov_b32_e32 v10, v21
	v_mov_b32_e32 v20, v11
	s_or_b64 exec, exec, s[0:1]
	s_and_saveexec_b64 s[8:9], s[6:7]
	s_cbranch_execz .LBB447_35
.LBB447_38:                             ;   in Loop: Header=BB447_24 Depth=1
	s_and_b64 vcc, exec, s[2:3]
	s_cbranch_vccnz .LBB447_40
; %bb.39:                               ;   in Loop: Header=BB447_24 Depth=1
	v_ashrrev_i32_e32 v11, 31, v10
	v_lshl_add_u64 v[22:23], v[10:11], 2, s[22:23]
	global_load_dword v11, v[22:23], off
	s_waitcnt vmcnt(0)
	v_sub_f32_e32 v20, v20, v11
.LBB447_40:                             ;   in Loop: Header=BB447_24 Depth=1
	v_add_u32_e32 v22, s42, v14
	v_cmp_le_i32_e32 vcc, s25, v10
	v_cmp_gt_i32_e64 s[0:1], s26, v10
	v_ashrrev_i32_e32 v23, 31, v22
	s_and_b64 s[0:1], vcc, s[0:1]
	v_lshlrev_b64 v[22:23], 2, v[22:23]
	v_lshl_add_u64 v[24:25], s[34:35], 0, v[22:23]
	v_subrev_u32_e32 v11, s25, v10
	s_and_b64 vcc, s[36:37], s[0:1]
	global_store_dword v[24:25], v20, off
	v_cndmask_b32_e32 v11, 64, v11, vcc
	v_lshl_add_u64 v[24:25], s[28:29], 0, v[22:23]
	global_store_dword v[24:25], v11, off
	v_add_f32_e32 v11, v13, v20
	v_lshl_add_u64 v[22:23], s[30:31], 0, v[22:23]
	v_cndmask_b32_e64 v13, v13, v11, s[4:5]
	global_store_dword v[22:23], v19, off
	s_or_b64 exec, exec, s[8:9]
	s_add_i32 s42, s42, 1
	s_cmp_ge_i32 s42, s24
	s_cbranch_scc1 .LBB447_23
.LBB447_41:                             ;   in Loop: Header=BB447_24 Depth=1
	v_ashrrev_i32_e32 v20, 31, v10
	v_lshrrev_b32_e32 v11, 29, v20
	v_add_u32_e32 v11, v10, v11
	v_ashrrev_i32_e32 v11, 3, v11
	s_waitcnt lgkmcnt(0)
	v_lshrrev_b32_e32 v21, 29, v11
	v_add_u32_e32 v21, v11, v21
	v_and_b32_e32 v21, -8, v21
	v_sub_u32_e32 v21, v11, v21
	v_cmp_eq_u32_e32 vcc, v9, v21
	s_and_saveexec_b64 s[40:41], vcc
	s_cbranch_execz .LBB447_22
; %bb.42:                               ;   in Loop: Header=BB447_24 Depth=1
	v_lshrrev_b32_e32 v20, 26, v20
	v_add_u32_e32 v20, v10, v20
	v_lshlrev_b32_e32 v11, 3, v11
	v_sub_u32_e32 v10, v10, v11
	v_ashrrev_i32_e32 v11, 6, v20
	v_lshl_add_u32 v10, v11, 3, v10
	v_cmp_ne_u32_e32 vcc, 6, v10
	v_cmp_ne_u32_e64 s[0:1], 5, v10
	v_cmp_ne_u32_e64 s[8:9], 4, v10
	;; [unrolled: 1-line block ×7, first 2 shown]
	v_cndmask_b32_e32 v6, v18, v6, vcc
	v_cndmask_b32_e64 v5, v18, v5, s[0:1]
	v_cndmask_b32_e64 v7, v18, v7, s[18:19]
	;; [unrolled: 1-line block ×7, first 2 shown]
	s_branch .LBB447_22
.LBB447_43:
	v_mov_b32_e32 v13, 0
.LBB447_44:
	v_cmp_eq_u32_e32 vcc, 0, v9
	s_and_b64 exec, exec, vcc
	s_cbranch_execz .LBB447_57
; %bb.45:
	s_andn2_b64 vcc, exec, s[4:5]
	v_cvt_f32_f64_e32 v0, s[20:21]
	s_cbranch_vccnz .LBB447_47
; %bb.46:
	v_cmp_lt_f32_e32 vcc, 0, v13
	s_nop 1
	v_cndmask_b32_e32 v1, 1.0, v13, vcc
	v_div_scale_f32 v2, s[0:1], v1, v1, v0
	v_rcp_f32_e32 v3, v2
	s_nop 0
	v_fma_f32 v4, -v2, v3, 1.0
	v_fmac_f32_e32 v3, v4, v3
	v_div_scale_f32 v4, vcc, v0, v1, v0
	v_mul_f32_e32 v5, v4, v3
	v_fma_f32 v6, -v2, v5, v4
	v_fmac_f32_e32 v5, v6, v3
	v_fma_f32 v2, -v2, v5, v4
	v_div_fmas_f32 v2, v2, v3, v5
	v_div_fixup_f32 v0, v2, v1, v0
.LBB447_47:
	s_andn2_b64 vcc, exec, s[38:39]
	s_cbranch_vccnz .LBB447_57
; %bb.48:
	v_mul_lo_u32 v2, v8, s24
	s_cmp_gt_u32 s24, 3
	v_ashrrev_i32_e32 v3, 31, v2
	s_cbranch_scc0 .LBB447_52
; %bb.49:
	s_and_b32 s0, s24, 0x7ffffffc
	v_lshl_add_u64 v[4:5], v[2:3], 2, s[34:35]
	v_mov_b32_e32 v1, v0
	v_lshl_add_u64 v[4:5], v[4:5], 0, 8
	s_mov_b32 s1, s0
.LBB447_50:                             ; =>This Inner Loop Header: Depth=1
	global_load_dwordx4 v[6:9], v[4:5], off offset:-8
	s_add_i32 s1, s1, -4
	s_cmp_lg_u32 s1, 0
	s_waitcnt vmcnt(0)
	v_pk_mul_f32 v[6:7], v[0:1], v[6:7]
	v_pk_mul_f32 v[8:9], v[0:1], v[8:9]
	global_store_dwordx4 v[4:5], v[6:9], off offset:-8
	v_lshl_add_u64 v[4:5], v[4:5], 0, 16
	s_cbranch_scc1 .LBB447_50
; %bb.51:
	s_cmp_lg_u32 s0, s24
	s_cselect_b64 s[2:3], -1, 0
	s_branch .LBB447_54
.LBB447_52:
	s_mov_b64 s[2:3], 0
                                        ; implicit-def: $sgpr0
	s_cbranch_execz .LBB447_54
; %bb.53:
	s_mov_b64 s[2:3], -1
	s_mov_b32 s0, 0
.LBB447_54:
	s_andn2_b64 vcc, exec, s[2:3]
	s_cbranch_vccnz .LBB447_57
; %bb.55:
	s_mov_b32 s1, 0
	v_lshl_add_u64 v[2:3], v[2:3], 0, s[0:1]
	s_sub_i32 s2, s24, s0
	v_lshl_add_u64 v[2:3], v[2:3], 2, s[34:35]
.LBB447_56:                             ; =>This Inner Loop Header: Depth=1
	global_load_dword v1, v[2:3], off
	s_add_i32 s2, s2, -1
	s_cmp_lg_u32 s2, 0
	s_waitcnt vmcnt(0)
	v_mul_f32_e32 v1, v0, v1
	global_store_dword v[2:3], v1, off
	v_lshl_add_u64 v[2:3], v[2:3], 0, 4
	s_cbranch_scc1 .LBB447_56
.LBB447_57:
	s_endpgm
	.section	.rodata,"a",@progbits
	.p2align	6, 0x0
	.amdhsa_kernel _ZN4vllm3moe22topkGatingSoftplusSqrtILi8ELi64ELi4ELi16ELi32ELb0Ej14__hip_bfloat16EEvPKT6_PKbPfiPT5_PiiiibdPKfPKS9_SF_
		.amdhsa_group_segment_fixed_size 0
		.amdhsa_private_segment_fixed_size 0
		.amdhsa_kernarg_size 96
		.amdhsa_user_sgpr_count 2
		.amdhsa_user_sgpr_dispatch_ptr 0
		.amdhsa_user_sgpr_queue_ptr 0
		.amdhsa_user_sgpr_kernarg_segment_ptr 1
		.amdhsa_user_sgpr_dispatch_id 0
		.amdhsa_user_sgpr_kernarg_preload_length 0
		.amdhsa_user_sgpr_kernarg_preload_offset 0
		.amdhsa_user_sgpr_private_segment_size 0
		.amdhsa_uses_dynamic_stack 0
		.amdhsa_enable_private_segment 0
		.amdhsa_system_sgpr_workgroup_id_x 1
		.amdhsa_system_sgpr_workgroup_id_y 0
		.amdhsa_system_sgpr_workgroup_id_z 0
		.amdhsa_system_sgpr_workgroup_info 0
		.amdhsa_system_vgpr_workitem_id 1
		.amdhsa_next_free_vgpr 26
		.amdhsa_next_free_sgpr 43
		.amdhsa_accum_offset 28
		.amdhsa_reserve_vcc 1
		.amdhsa_float_round_mode_32 0
		.amdhsa_float_round_mode_16_64 0
		.amdhsa_float_denorm_mode_32 3
		.amdhsa_float_denorm_mode_16_64 3
		.amdhsa_dx10_clamp 1
		.amdhsa_ieee_mode 1
		.amdhsa_fp16_overflow 0
		.amdhsa_tg_split 0
		.amdhsa_exception_fp_ieee_invalid_op 0
		.amdhsa_exception_fp_denorm_src 0
		.amdhsa_exception_fp_ieee_div_zero 0
		.amdhsa_exception_fp_ieee_overflow 0
		.amdhsa_exception_fp_ieee_underflow 0
		.amdhsa_exception_fp_ieee_inexact 0
		.amdhsa_exception_int_div_zero 0
	.end_amdhsa_kernel
	.section	.text._ZN4vllm3moe22topkGatingSoftplusSqrtILi8ELi64ELi4ELi16ELi32ELb0Ej14__hip_bfloat16EEvPKT6_PKbPfiPT5_PiiiibdPKfPKS9_SF_,"axG",@progbits,_ZN4vllm3moe22topkGatingSoftplusSqrtILi8ELi64ELi4ELi16ELi32ELb0Ej14__hip_bfloat16EEvPKT6_PKbPfiPT5_PiiiibdPKfPKS9_SF_,comdat
.Lfunc_end447:
	.size	_ZN4vllm3moe22topkGatingSoftplusSqrtILi8ELi64ELi4ELi16ELi32ELb0Ej14__hip_bfloat16EEvPKT6_PKbPfiPT5_PiiiibdPKfPKS9_SF_, .Lfunc_end447-_ZN4vllm3moe22topkGatingSoftplusSqrtILi8ELi64ELi4ELi16ELi32ELb0Ej14__hip_bfloat16EEvPKT6_PKbPfiPT5_PiiiibdPKfPKS9_SF_
                                        ; -- End function
	.section	.AMDGPU.csdata,"",@progbits
; Kernel info:
; codeLenInByte = 3860
; NumSgprs: 49
; NumVgprs: 26
; NumAgprs: 0
; TotalNumVgprs: 26
; ScratchSize: 0
; MemoryBound: 0
; FloatMode: 240
; IeeeMode: 1
; LDSByteSize: 0 bytes/workgroup (compile time only)
; SGPRBlocks: 6
; VGPRBlocks: 3
; NumSGPRsForWavesPerEU: 49
; NumVGPRsForWavesPerEU: 26
; AccumOffset: 28
; Occupancy: 8
; WaveLimiterHint : 0
; COMPUTE_PGM_RSRC2:SCRATCH_EN: 0
; COMPUTE_PGM_RSRC2:USER_SGPR: 2
; COMPUTE_PGM_RSRC2:TRAP_HANDLER: 0
; COMPUTE_PGM_RSRC2:TGID_X_EN: 1
; COMPUTE_PGM_RSRC2:TGID_Y_EN: 0
; COMPUTE_PGM_RSRC2:TGID_Z_EN: 0
; COMPUTE_PGM_RSRC2:TIDIG_COMP_CNT: 1
; COMPUTE_PGM_RSRC3_GFX90A:ACCUM_OFFSET: 6
; COMPUTE_PGM_RSRC3_GFX90A:TG_SPLIT: 0
	.section	.text._ZN4vllm3moe22topkGatingSoftplusSqrtILi8ELi128ELi4ELi16ELi64ELb1Ej14__hip_bfloat16EEvPKT6_PKbPfiPT5_PiiiibdPKfPKS9_SF_,"axG",@progbits,_ZN4vllm3moe22topkGatingSoftplusSqrtILi8ELi128ELi4ELi16ELi64ELb1Ej14__hip_bfloat16EEvPKT6_PKbPfiPT5_PiiiibdPKfPKS9_SF_,comdat
	.protected	_ZN4vllm3moe22topkGatingSoftplusSqrtILi8ELi128ELi4ELi16ELi64ELb1Ej14__hip_bfloat16EEvPKT6_PKbPfiPT5_PiiiibdPKfPKS9_SF_ ; -- Begin function _ZN4vllm3moe22topkGatingSoftplusSqrtILi8ELi128ELi4ELi16ELi64ELb1Ej14__hip_bfloat16EEvPKT6_PKbPfiPT5_PiiiibdPKfPKS9_SF_
	.globl	_ZN4vllm3moe22topkGatingSoftplusSqrtILi8ELi128ELi4ELi16ELi64ELb1Ej14__hip_bfloat16EEvPKT6_PKbPfiPT5_PiiiibdPKfPKS9_SF_
	.p2align	8
	.type	_ZN4vllm3moe22topkGatingSoftplusSqrtILi8ELi128ELi4ELi16ELi64ELb1Ej14__hip_bfloat16EEvPKT6_PKbPfiPT5_PiiiibdPKfPKS9_SF_,@function
_ZN4vllm3moe22topkGatingSoftplusSqrtILi8ELi128ELi4ELi16ELi64ELb1Ej14__hip_bfloat16EEvPKT6_PKbPfiPT5_PiiiibdPKfPKS9_SF_: ; @_ZN4vllm3moe22topkGatingSoftplusSqrtILi8ELi128ELi4ELi16ELi64ELb1Ej14__hip_bfloat16EEvPKT6_PKbPfiPT5_PiiiibdPKfPKS9_SF_
; %bb.0:
	s_load_dword s3, s[0:1], 0x18
	v_bfe_u32 v1, v0, 10, 10
	v_and_b32_e32 v8, 0x3ff, v0
	s_lshl_b32 s2, s2, 4
	v_lshlrev_b32_e32 v1, 2, v1
	v_lshrrev_b32_e32 v0, 4, v8
	v_add3_u32 v6, s2, v1, v0
	s_waitcnt lgkmcnt(0)
	v_cmp_gt_i32_e32 vcc, s3, v6
	s_and_saveexec_b64 s[2:3], vcc
	s_cbranch_execz .LBB448_32
; %bb.1:
	s_load_dwordx2 s[2:3], s[0:1], 0x0
	s_load_dword s33, s[0:1], 0x30
	v_lshlrev_b32_e32 v0, 7, v6
	v_lshlrev_b32_e32 v2, 3, v8
	v_ashrrev_i32_e32 v1, 31, v0
	v_and_b32_e32 v10, 0x78, v2
	s_waitcnt lgkmcnt(0)
	v_lshl_add_u64 v[0:1], v[0:1], 1, s[2:3]
	v_lshlrev_b32_e32 v4, 1, v10
	v_mov_b32_e32 v5, 0
	v_lshl_add_u64 v[0:1], v[0:1], 0, v[4:5]
	global_load_dwordx4 v[0:3], v[0:1], off
	s_load_dwordx4 s[8:11], s[0:1], 0x50
	v_ashrrev_i32_e32 v7, 31, v6
	s_mov_b32 s15, 0x800000
	s_mov_b32 s13, 0x3f317217
	;; [unrolled: 1-line block ×3, first 2 shown]
	s_waitcnt lgkmcnt(0)
	v_mov_b32_e32 v12, s8
	v_mov_b32_e32 v13, s9
	v_lshl_add_u64 v[12:13], v[6:7], 2, v[12:13]
	global_load_dword v4, v[12:13], off
	v_mov_b32_e32 v7, 0x4f800000
	v_mov_b32_e32 v9, 0x41b17218
	s_mov_b32 s9, 0x41a00000
	s_mov_b32 s12, 0xf800000
	v_mov_b32_e32 v17, 0x260
	s_cmp_gt_i32 s33, 0
	s_mov_b32 s8, 0
	s_waitcnt vmcnt(1)
	v_and_b32_e32 v11, 0xffff0000, v0
	v_lshlrev_b32_e32 v14, 16, v0
	v_and_b32_e32 v15, 0xffff0000, v1
	v_lshlrev_b32_e32 v16, 16, v1
	v_mul_f32_e32 v0, 0x3fb8aa3b, v14
	v_mul_f32_e32 v1, 0x3fb8aa3b, v11
	v_exp_f32_e32 v0, v0
	v_exp_f32_e32 v1, v1
	v_mul_f32_e32 v12, 0x3fb8aa3b, v16
	v_mul_f32_e32 v13, 0x3fb8aa3b, v15
	v_exp_f32_e32 v12, v12
	v_exp_f32_e32 v13, v13
	v_pk_add_f32 v[0:1], v[0:1], 1.0 op_sel_hi:[1,0]
	s_waitcnt vmcnt(0)
	v_mul_lo_u32 v4, v4, s33
	v_cmp_gt_f32_e32 vcc, s15, v1
	v_pk_add_f32 v[12:13], v[12:13], 1.0 op_sel_hi:[1,0]
	v_cmp_gt_f32_e64 s[2:3], s15, v0
	v_cndmask_b32_e32 v18, 1.0, v7, vcc
	v_cmp_gt_f32_e64 s[4:5], s15, v13
	v_cndmask_b32_e64 v19, 1.0, v7, s[2:3]
	v_mul_f32_e32 v1, v1, v18
	v_cndmask_b32_e64 v20, 1.0, v7, s[4:5]
	v_mul_f32_e32 v0, v0, v19
	v_log_f32_e32 v1, v1
	v_cmp_gt_f32_e64 s[6:7], s15, v12
	v_mul_f32_e32 v13, v13, v20
	v_log_f32_e32 v0, v0
	v_cndmask_b32_e64 v21, 1.0, v7, s[6:7]
	v_log_f32_e32 v13, v13
	v_mul_f32_e32 v12, v12, v21
	v_log_f32_e32 v21, v12
	v_mul_f32_e32 v12, 0x3f317217, v1
	v_mul_f32_e32 v22, 0x3f317217, v0
	v_fma_f32 v12, v1, s13, -v12
	v_mul_f32_e32 v23, 0x3f317217, v13
	v_fma_f32 v22, v0, s13, -v22
	v_fmac_f32_e32 v12, 0x3377d1cf, v1
	v_cndmask_b32_e32 v18, 0, v9, vcc
	v_fma_f32 v23, v13, s13, -v23
	v_fmac_f32_e32 v22, 0x3377d1cf, v0
	v_fmac_f32_e32 v12, 0x3f317217, v1
	v_cmp_lt_f32_e64 vcc, |v1|, s14
	v_fmac_f32_e32 v23, 0x3377d1cf, v13
	v_fmac_f32_e32 v22, 0x3f317217, v0
	v_cndmask_b32_e32 v1, v1, v12, vcc
	v_cmp_lt_f32_e64 vcc, |v0|, s14
	v_cndmask_b32_e64 v19, 0, v9, s[2:3]
	v_fmac_f32_e32 v23, 0x3f317217, v13
	v_cndmask_b32_e32 v0, v0, v22, vcc
	v_cmp_lt_f32_e64 vcc, |v13|, s14
	v_sub_f32_e32 v0, v0, v19
	v_sub_f32_e32 v1, v1, v18
	v_cndmask_b32_e32 v12, v13, v23, vcc
	v_cmp_lt_f32_e32 vcc, s9, v14
	v_cndmask_b32_e64 v20, 0, v9, s[4:5]
	v_mul_f32_e32 v24, 0x3f317217, v21
	v_cndmask_b32_e32 v0, v0, v14, vcc
	v_cmp_lt_f32_e32 vcc, s9, v11
	v_mul_f32_e32 v13, 0x4f800000, v0
	v_cmp_gt_f32_e64 s[2:3], s12, v0
	v_cndmask_b32_e32 v1, v1, v11, vcc
	v_mul_f32_e32 v11, 0x4f800000, v1
	v_cmp_gt_f32_e32 vcc, s12, v1
	v_cndmask_b32_e64 v0, v0, v13, s[2:3]
	v_sqrt_f32_e32 v13, v0
	v_cndmask_b32_e32 v1, v1, v11, vcc
	v_sqrt_f32_e32 v11, v1
	v_sub_f32_e32 v14, v12, v20
	v_add_u32_e32 v19, -1, v13
	v_fma_f32 v25, -v19, v13, v0
	v_add_u32_e32 v12, -1, v11
	v_fma_f32 v22, -v12, v11, v1
	v_add_u32_e32 v18, 1, v11
	v_cmp_ge_f32_e64 s[4:5], 0, v22
	v_add_u32_e32 v20, 1, v13
	v_fma_f32 v23, -v18, v11, v1
	v_cndmask_b32_e64 v11, v11, v12, s[4:5]
	v_cmp_ge_f32_e64 s[4:5], 0, v25
	v_fma_f32 v26, -v20, v13, v0
	v_fma_f32 v24, v21, s13, -v24
	v_cndmask_b32_e64 v12, v13, v19, s[4:5]
	v_cmp_lt_f32_e64 s[4:5], 0, v23
	v_fmac_f32_e32 v24, 0x3377d1cf, v21
	v_fmac_f32_e32 v24, 0x3f317217, v21
	v_cndmask_b32_e64 v11, v11, v18, s[4:5]
	v_cmp_lt_f32_e64 s[4:5], 0, v26
	v_mul_f32_e32 v13, 0x37800000, v11
	v_cndmask_b32_e32 v11, v11, v13, vcc
	v_cndmask_b32_e64 v12, v12, v20, s[4:5]
	v_mul_f32_e32 v18, 0x37800000, v12
	v_cmp_class_f32_e32 vcc, v1, v17
	v_cndmask_b32_e64 v12, v12, v18, s[2:3]
	v_cmp_lt_f32_e64 s[2:3], s9, v16
	v_cndmask_b32_e32 v13, v11, v1, vcc
	v_cmp_class_f32_e32 vcc, v0, v17
	v_cndmask_b32_e64 v1, 0, v9, s[6:7]
	v_and_b32_e32 v19, 0xffff0000, v2
	v_cndmask_b32_e32 v12, v12, v0, vcc
	v_cmp_lt_f32_e64 vcc, |v21|, s14
	v_lshlrev_b32_e32 v2, 16, v2
	s_nop 0
	v_cndmask_b32_e32 v0, v21, v24, vcc
	v_cmp_lt_f32_e32 vcc, s9, v15
	v_sub_f32_e32 v0, v0, v1
	v_cndmask_b32_e64 v0, v0, v16, s[2:3]
	v_cndmask_b32_e32 v11, v14, v15, vcc
	v_mul_f32_e32 v14, 0x4f800000, v11
	v_cmp_gt_f32_e32 vcc, s12, v11
	s_nop 1
	v_cndmask_b32_e32 v11, v11, v14, vcc
	v_sqrt_f32_e32 v14, v11
	s_nop 0
	v_add_u32_e32 v1, -1, v14
	v_fma_f32 v15, -v1, v14, v11
	v_cmp_ge_f32_e64 s[2:3], 0, v15
	v_add_u32_e32 v15, 1, v14
	s_nop 0
	v_cndmask_b32_e64 v1, v14, v1, s[2:3]
	v_fma_f32 v14, -v15, v14, v11
	v_cmp_lt_f32_e64 s[2:3], 0, v14
	s_nop 1
	v_cndmask_b32_e64 v1, v1, v15, s[2:3]
	v_mul_f32_e32 v15, 0x4f800000, v0
	v_cmp_gt_f32_e64 s[2:3], s12, v0
	v_mul_f32_e32 v14, 0x37800000, v1
	v_cndmask_b32_e32 v1, v1, v14, vcc
	v_cndmask_b32_e64 v16, v0, v15, s[2:3]
	v_sqrt_f32_e32 v0, v16
	v_cmp_class_f32_e32 vcc, v11, v17
	v_add_u32_e32 v14, 1, v0
	s_nop 0
	v_cndmask_b32_e32 v15, v1, v11, vcc
	v_add_u32_e32 v1, -1, v0
	v_fma_f32 v11, -v1, v0, v16
	v_cmp_ge_f32_e32 vcc, 0, v11
	v_fma_f32 v18, -v14, v0, v16
	s_nop 0
	v_cndmask_b32_e32 v11, v0, v1, vcc
	v_mul_f32_e32 v0, 0x3fb8aa3b, v2
	v_mul_f32_e32 v1, 0x3fb8aa3b, v19
	v_exp_f32_e32 v0, v0
	v_exp_f32_e32 v1, v1
	v_cmp_lt_f32_e32 vcc, 0, v18
	v_pk_add_f32 v[0:1], v[0:1], 1.0 op_sel_hi:[1,0]
	s_nop 0
	v_cndmask_b32_e32 v11, v11, v14, vcc
	v_mul_f32_e32 v14, 0x37800000, v11
	v_cmp_gt_f32_e32 vcc, s15, v1
	v_cndmask_b32_e64 v11, v11, v14, s[2:3]
	v_cmp_class_f32_e64 s[2:3], v16, v17
	v_cndmask_b32_e32 v14, 1.0, v7, vcc
	v_mul_f32_e32 v1, v1, v14
	v_log_f32_e32 v1, v1
	v_cndmask_b32_e64 v14, v11, v16, s[2:3]
	v_cmp_gt_f32_e64 s[2:3], s15, v0
	scratch_store_dwordx4 off, v[12:15], off
	v_mul_f32_e32 v11, 0x3f317217, v1
	v_fma_f32 v11, v1, s13, -v11
	v_cndmask_b32_e64 v12, 1.0, v7, s[2:3]
	v_mul_f32_e32 v0, v0, v12
	v_log_f32_e32 v0, v0
	v_fmac_f32_e32 v11, 0x3377d1cf, v1
	v_fmac_f32_e32 v11, 0x3f317217, v1
	v_cmp_lt_f32_e64 s[4:5], |v1|, s14
	v_and_b32_e32 v14, 0xffff0000, v3
	v_lshlrev_b32_e32 v15, 16, v3
	v_cndmask_b32_e64 v1, v1, v11, s[4:5]
	v_cndmask_b32_e32 v11, 0, v9, vcc
	v_sub_f32_e32 v1, v1, v11
	v_mul_f32_e32 v11, 0x3f317217, v0
	v_fma_f32 v11, v0, s13, -v11
	v_fmac_f32_e32 v11, 0x3377d1cf, v0
	v_fmac_f32_e32 v11, 0x3f317217, v0
	v_cmp_lt_f32_e64 vcc, |v0|, s14
	v_mul_f32_e32 v3, 0x3fb8aa3b, v14
	v_exp_f32_e32 v3, v3
	v_cndmask_b32_e32 v0, v0, v11, vcc
	v_cmp_lt_f32_e32 vcc, s9, v19
	v_cndmask_b32_e64 v11, 0, v9, s[2:3]
	v_sub_f32_e32 v0, v0, v11
	v_cndmask_b32_e32 v1, v1, v19, vcc
	v_mul_f32_e32 v12, 0x4f800000, v1
	v_cmp_gt_f32_e32 vcc, s12, v1
	v_cmp_lt_f32_e64 s[2:3], s9, v2
	s_nop 0
	v_cndmask_b32_e32 v1, v1, v12, vcc
	v_sqrt_f32_e32 v12, v1
	v_cndmask_b32_e64 v0, v0, v2, s[2:3]
	v_add_u32_e32 v2, -1, v12
	v_fma_f32 v11, -v2, v12, v1
	v_cmp_ge_f32_e64 s[2:3], 0, v11
	v_add_u32_e32 v11, 1, v12
	s_nop 0
	v_cndmask_b32_e64 v2, v12, v2, s[2:3]
	v_fma_f32 v12, -v11, v12, v1
	v_cmp_lt_f32_e64 s[2:3], 0, v12
	v_mul_f32_e32 v12, 0x4f800000, v0
	s_nop 0
	v_cndmask_b32_e64 v2, v2, v11, s[2:3]
	v_cmp_gt_f32_e64 s[2:3], s12, v0
	v_mul_f32_e32 v11, 0x37800000, v2
	v_cndmask_b32_e32 v2, v2, v11, vcc
	v_cndmask_b32_e64 v0, v0, v12, s[2:3]
	v_sqrt_f32_e32 v12, v0
	v_cmp_class_f32_e32 vcc, v1, v17
	v_add_u32_e32 v13, 1, v12
	s_nop 0
	v_cndmask_b32_e32 v1, v2, v1, vcc
	v_add_u32_e32 v2, -1, v12
	v_fma_f32 v11, -v2, v12, v0
	v_cmp_ge_f32_e32 vcc, 0, v11
	s_nop 1
	v_cndmask_b32_e32 v11, v12, v2, vcc
	v_mul_f32_e32 v2, 0x3fb8aa3b, v15
	v_exp_f32_e32 v2, v2
	v_fma_f32 v12, -v13, v12, v0
	v_cmp_lt_f32_e32 vcc, 0, v12
	v_pk_add_f32 v[2:3], v[2:3], 1.0 op_sel_hi:[1,0]
	s_nop 0
	v_cndmask_b32_e32 v11, v11, v13, vcc
	v_cmp_gt_f32_e32 vcc, s15, v3
	v_mul_f32_e32 v12, 0x37800000, v11
	v_cndmask_b32_e64 v11, v11, v12, s[2:3]
	v_cndmask_b32_e32 v13, 1.0, v7, vcc
	v_mul_f32_e32 v3, v3, v13
	v_log_f32_e32 v3, v3
	v_cmp_class_f32_e64 s[2:3], v0, v17
	v_cmp_lt_f32_e64 s[4:5], |v3|, s14
	s_nop 0
	v_cndmask_b32_e64 v0, v11, v0, s[2:3]
	v_cmp_gt_f32_e64 s[2:3], s15, v2
	v_mul_f32_e32 v11, 0x3f317217, v3
	v_fma_f32 v11, v3, s13, -v11
	v_cndmask_b32_e64 v7, 1.0, v7, s[2:3]
	v_mul_f32_e32 v2, v2, v7
	v_log_f32_e32 v2, v2
	v_fmac_f32_e32 v11, 0x3377d1cf, v3
	v_fmac_f32_e32 v11, 0x3f317217, v3
	v_cndmask_b32_e64 v3, v3, v11, s[4:5]
	v_cndmask_b32_e32 v7, 0, v9, vcc
	v_sub_f32_e32 v3, v3, v7
	v_mul_f32_e32 v7, 0x3f317217, v2
	v_fma_f32 v7, v2, s13, -v7
	v_fmac_f32_e32 v7, 0x3377d1cf, v2
	v_fmac_f32_e32 v7, 0x3f317217, v2
	v_cmp_lt_f32_e64 vcc, |v2|, s14
	s_cselect_b64 s[4:5], -1, 0
	s_cmp_lt_i32 s33, 1
	v_cndmask_b32_e32 v2, v2, v7, vcc
	v_cmp_lt_f32_e32 vcc, s9, v14
	v_cndmask_b32_e64 v7, 0, v9, s[2:3]
	v_sub_f32_e32 v2, v2, v7
	v_cndmask_b32_e32 v3, v3, v14, vcc
	v_mul_f32_e32 v9, 0x4f800000, v3
	v_cmp_gt_f32_e32 vcc, s12, v3
	v_cmp_lt_f32_e64 s[2:3], s9, v15
	s_nop 0
	v_cndmask_b32_e32 v3, v3, v9, vcc
	v_sqrt_f32_e32 v9, v3
	v_cndmask_b32_e64 v2, v2, v15, s[2:3]
	v_add_u32_e32 v7, -1, v9
	v_fma_f32 v11, -v7, v9, v3
	v_cmp_ge_f32_e64 s[2:3], 0, v11
	v_add_u32_e32 v11, 1, v9
	s_nop 0
	v_cndmask_b32_e64 v7, v9, v7, s[2:3]
	v_fma_f32 v9, -v11, v9, v3
	v_cmp_lt_f32_e64 s[2:3], 0, v9
	s_nop 1
	v_cndmask_b32_e64 v7, v7, v11, s[2:3]
	v_mul_f32_e32 v11, 0x4f800000, v2
	v_cmp_gt_f32_e64 s[2:3], s12, v2
	v_mul_f32_e32 v9, 0x37800000, v7
	v_cndmask_b32_e32 v7, v7, v9, vcc
	v_cndmask_b32_e64 v2, v2, v11, s[2:3]
	v_sqrt_f32_e32 v11, v2
	v_cmp_class_f32_e32 vcc, v3, v17
	s_nop 1
	v_cndmask_b32_e32 v3, v7, v3, vcc
	v_add_u32_e32 v7, -1, v11
	v_fma_f32 v9, -v7, v11, v2
	v_cmp_ge_f32_e32 vcc, 0, v9
	v_add_u32_e32 v9, 1, v11
	s_nop 0
	v_cndmask_b32_e32 v7, v11, v7, vcc
	v_fma_f32 v11, -v9, v11, v2
	v_cmp_lt_f32_e32 vcc, 0, v11
	s_nop 1
	v_cndmask_b32_e32 v7, v7, v9, vcc
	v_mul_f32_e32 v9, 0x37800000, v7
	v_cndmask_b32_e64 v7, v7, v9, s[2:3]
	v_cmp_class_f32_e32 vcc, v2, v17
	s_nop 1
	v_cndmask_b32_e32 v2, v7, v2, vcc
	scratch_store_dwordx4 off, v[0:3], off offset:16
	s_nop 1
	v_lshl_add_u64 v[2:3], v[4:5], 2, s[10:11]
	v_mul_lo_u32 v0, v6, s33
	s_cbranch_scc1 .LBB448_29
; %bb.2:
	s_load_dwordx2 s[6:7], s[0:1], 0x20
	s_cmp_lt_u32 s33, 4
	v_and_b32_e32 v4, 15, v8
	s_cbranch_scc1 .LBB448_21
; %bb.3:
	v_lshlrev_b32_e32 v5, 3, v4
	s_mov_b32 s11, 0
	s_and_b32 s8, s33, 0x7ffffffc
	v_ashrrev_i32_e32 v1, 31, v0
	v_sub_u32_e32 v11, 0, v5
	v_mov_b32_e32 v5, 0
	s_mov_b32 s10, s11
	s_branch .LBB448_5
.LBB448_4:                              ;   in Loop: Header=BB448_5 Depth=1
	s_or_b64 exec, exec, s[12:13]
	s_add_i32 s10, s10, 4
	s_cmp_eq_u32 s10, s8
	s_cbranch_scc1 .LBB448_22
.LBB448_5:                              ; =>This Loop Header: Depth=1
                                        ;     Child Loop BB448_7 Depth 2
                                        ;     Child Loop BB448_11 Depth 2
	;; [unrolled: 1-line block ×4, first 2 shown]
	v_lshl_add_u64 v[6:7], s[10:11], 2, v[2:3]
	global_load_dword v12, v[6:7], off
	v_add_u32_e32 v8, s10, v0
	v_ashrrev_i32_e32 v9, 31, v8
	v_mov_b32_e32 v13, 0
	s_mov_b64 s[12:13], 0
	s_waitcnt lgkmcnt(0)
	v_lshl_add_u64 v[8:9], v[8:9], 2, s[6:7]
	s_mov_b32 s9, 0
	s_waitcnt vmcnt(0)
	v_add_u32_e32 v14, v11, v12
	s_branch .LBB448_7
.LBB448_6:                              ;   in Loop: Header=BB448_7 Depth=2
	s_or_b64 exec, exec, s[14:15]
	s_add_i32 s16, s9, 1
	s_cmp_gt_u32 s9, 6
	s_cselect_b64 s[2:3], -1, 0
	s_xor_b64 s[14:15], vcc, -1
	s_or_b64 s[2:3], s[14:15], s[2:3]
	s_and_b64 s[2:3], exec, s[2:3]
	v_add_u32_e32 v13, 4, v13
	s_or_b64 s[12:13], s[2:3], s[12:13]
	s_mov_b32 s9, s16
	s_andn2_b64 exec, exec, s[12:13]
	s_cbranch_execz .LBB448_9
.LBB448_7:                              ;   Parent Loop BB448_5 Depth=1
                                        ; =>  This Inner Loop Header: Depth=2
	v_cmp_ne_u32_e32 vcc, s9, v14
	v_cmp_eq_u32_e64 s[2:3], s9, v14
	s_and_saveexec_b64 s[14:15], s[2:3]
	s_cbranch_execz .LBB448_6
; %bb.8:                                ;   in Loop: Header=BB448_7 Depth=2
	scratch_load_dword v15, v13, off
	s_waitcnt vmcnt(0)
	v_add_f32_e32 v5, v5, v15
	global_store_dword v[8:9], v12, off
	s_branch .LBB448_6
.LBB448_9:                              ;   in Loop: Header=BB448_5 Depth=1
	s_or_b64 exec, exec, s[12:13]
	global_load_dword v12, v[6:7], off offset:4
	s_ashr_i32 s3, s10, 31
	s_mov_b32 s2, s10
	v_lshl_add_u64 v[8:9], s[2:3], 0, v[0:1]
	v_mov_b32_e32 v13, 0
	s_mov_b32 s9, 0
	v_lshl_add_u64 v[8:9], v[8:9], 2, s[6:7]
	s_mov_b64 s[12:13], 0
	s_waitcnt vmcnt(0)
	v_add_u32_e32 v14, v11, v12
	s_branch .LBB448_11
.LBB448_10:                             ;   in Loop: Header=BB448_11 Depth=2
	s_or_b64 exec, exec, s[14:15]
	s_add_i32 s16, s9, 1
	s_cmp_gt_u32 s9, 6
	s_cselect_b64 s[2:3], -1, 0
	s_xor_b64 s[14:15], vcc, -1
	s_or_b64 s[2:3], s[14:15], s[2:3]
	s_and_b64 s[2:3], exec, s[2:3]
	v_add_u32_e32 v13, 4, v13
	s_or_b64 s[12:13], s[2:3], s[12:13]
	s_mov_b32 s9, s16
	s_andn2_b64 exec, exec, s[12:13]
	s_cbranch_execz .LBB448_13
.LBB448_11:                             ;   Parent Loop BB448_5 Depth=1
                                        ; =>  This Inner Loop Header: Depth=2
	v_cmp_ne_u32_e32 vcc, s9, v14
	v_cmp_eq_u32_e64 s[2:3], s9, v14
	s_and_saveexec_b64 s[14:15], s[2:3]
	s_cbranch_execz .LBB448_10
; %bb.12:                               ;   in Loop: Header=BB448_11 Depth=2
	scratch_load_dword v15, v13, off
	s_waitcnt vmcnt(0)
	v_add_f32_e32 v5, v5, v15
	global_store_dword v[8:9], v12, off offset:4
	s_branch .LBB448_10
.LBB448_13:                             ;   in Loop: Header=BB448_5 Depth=1
	s_or_b64 exec, exec, s[12:13]
	global_load_dword v12, v[6:7], off offset:8
	v_mov_b32_e32 v13, 0
	s_mov_b32 s9, 0
	s_mov_b64 s[12:13], 0
	s_waitcnt vmcnt(0)
	v_add_u32_e32 v14, v11, v12
	s_branch .LBB448_15
.LBB448_14:                             ;   in Loop: Header=BB448_15 Depth=2
	s_or_b64 exec, exec, s[14:15]
	s_add_i32 s16, s9, 1
	s_cmp_gt_u32 s9, 6
	s_cselect_b64 s[2:3], -1, 0
	s_xor_b64 s[14:15], vcc, -1
	s_or_b64 s[2:3], s[14:15], s[2:3]
	s_and_b64 s[2:3], exec, s[2:3]
	v_add_u32_e32 v13, 4, v13
	s_or_b64 s[12:13], s[2:3], s[12:13]
	s_mov_b32 s9, s16
	s_andn2_b64 exec, exec, s[12:13]
	s_cbranch_execz .LBB448_17
.LBB448_15:                             ;   Parent Loop BB448_5 Depth=1
                                        ; =>  This Inner Loop Header: Depth=2
	v_cmp_ne_u32_e32 vcc, s9, v14
	v_cmp_eq_u32_e64 s[2:3], s9, v14
	s_and_saveexec_b64 s[14:15], s[2:3]
	s_cbranch_execz .LBB448_14
; %bb.16:                               ;   in Loop: Header=BB448_15 Depth=2
	scratch_load_dword v15, v13, off
	s_waitcnt vmcnt(0)
	v_add_f32_e32 v5, v5, v15
	global_store_dword v[8:9], v12, off offset:8
	s_branch .LBB448_14
.LBB448_17:                             ;   in Loop: Header=BB448_5 Depth=1
	s_or_b64 exec, exec, s[12:13]
	global_load_dword v6, v[6:7], off offset:12
	v_mov_b32_e32 v7, 0
	s_mov_b32 s9, 0
	s_mov_b64 s[12:13], 0
	s_waitcnt vmcnt(0)
	v_add_u32_e32 v12, v11, v6
	s_branch .LBB448_19
.LBB448_18:                             ;   in Loop: Header=BB448_19 Depth=2
	s_or_b64 exec, exec, s[14:15]
	s_add_i32 s16, s9, 1
	s_cmp_gt_u32 s9, 6
	s_cselect_b64 s[2:3], -1, 0
	s_xor_b64 s[14:15], vcc, -1
	s_or_b64 s[2:3], s[14:15], s[2:3]
	s_and_b64 s[2:3], exec, s[2:3]
	v_add_u32_e32 v7, 4, v7
	s_or_b64 s[12:13], s[2:3], s[12:13]
	s_mov_b32 s9, s16
	s_andn2_b64 exec, exec, s[12:13]
	s_cbranch_execz .LBB448_4
.LBB448_19:                             ;   Parent Loop BB448_5 Depth=1
                                        ; =>  This Inner Loop Header: Depth=2
	v_cmp_ne_u32_e32 vcc, s9, v12
	v_cmp_eq_u32_e64 s[2:3], s9, v12
	s_and_saveexec_b64 s[14:15], s[2:3]
	s_cbranch_execz .LBB448_18
; %bb.20:                               ;   in Loop: Header=BB448_19 Depth=2
	scratch_load_dword v13, v7, off
	s_waitcnt vmcnt(0)
	v_add_f32_e32 v5, v5, v13
	global_store_dword v[8:9], v6, off offset:12
	s_branch .LBB448_18
.LBB448_21:
	v_mov_b32_e32 v5, 0
.LBB448_22:
	s_and_b32 s14, s33, 3
	s_cmp_eq_u32 s14, 0
	s_mov_b32 s9, 0
	s_cbranch_scc1 .LBB448_29
; %bb.23:
	v_lshlrev_b32_e32 v1, 3, v4
	v_sub_u32_e32 v1, 0, v1
	s_mov_b32 s15, s9
	s_branch .LBB448_25
.LBB448_24:                             ;   in Loop: Header=BB448_25 Depth=1
	s_or_b64 exec, exec, s[10:11]
	s_add_i32 s8, s8, 1
	s_add_i32 s15, s15, 1
	s_cmp_lg_u32 s15, s14
	s_cbranch_scc0 .LBB448_29
.LBB448_25:                             ; =>This Loop Header: Depth=1
                                        ;     Child Loop BB448_27 Depth 2
	v_lshl_add_u64 v[6:7], s[8:9], 2, v[2:3]
	global_load_dword v4, v[6:7], off
	v_add_u32_e32 v6, s8, v0
	v_ashrrev_i32_e32 v7, 31, v6
	v_mov_b32_e32 v8, 0
	s_mov_b32 s16, 0
	s_waitcnt lgkmcnt(0)
	v_lshl_add_u64 v[6:7], v[6:7], 2, s[6:7]
	s_mov_b64 s[10:11], 0
	s_waitcnt vmcnt(0)
	v_add_u32_e32 v9, v1, v4
	s_branch .LBB448_27
.LBB448_26:                             ;   in Loop: Header=BB448_27 Depth=2
	s_or_b64 exec, exec, s[12:13]
	s_add_i32 s17, s16, 1
	s_cmp_gt_u32 s16, 6
	s_cselect_b64 s[2:3], -1, 0
	s_xor_b64 s[12:13], vcc, -1
	s_or_b64 s[2:3], s[12:13], s[2:3]
	s_and_b64 s[2:3], exec, s[2:3]
	v_add_u32_e32 v8, 4, v8
	s_or_b64 s[10:11], s[2:3], s[10:11]
	s_mov_b32 s16, s17
	s_andn2_b64 exec, exec, s[10:11]
	s_cbranch_execz .LBB448_24
.LBB448_27:                             ;   Parent Loop BB448_25 Depth=1
                                        ; =>  This Inner Loop Header: Depth=2
	v_cmp_ne_u32_e32 vcc, s16, v9
	v_cmp_eq_u32_e64 s[2:3], s16, v9
	s_and_saveexec_b64 s[12:13], s[2:3]
	s_cbranch_execz .LBB448_26
; %bb.28:                               ;   in Loop: Header=BB448_27 Depth=2
	scratch_load_dword v11, v8, off
	s_waitcnt vmcnt(0)
	v_add_f32_e32 v5, v5, v11
	global_store_dword v[6:7], v4, off
	s_branch .LBB448_26
.LBB448_29:
	s_waitcnt lgkmcnt(0)
	s_load_dword s6, s[0:1], 0x3c
	s_waitcnt lgkmcnt(0)
	s_bitcmp1_b32 s6, 0
	s_cselect_b64 s[2:3], -1, 0
	s_bitcmp0_b32 s6, 0
	s_cbranch_scc0 .LBB448_33
; %bb.30:
	s_load_dwordx2 s[6:7], s[0:1], 0x40
	s_andn2_b64 vcc, exec, s[2:3]
	s_waitcnt lgkmcnt(0)
	v_cvt_f32_f64_e32 v8, s[6:7]
	s_cbranch_vccz .LBB448_34
.LBB448_31:
	s_andn2_b64 vcc, exec, s[4:5]
	s_cbranch_vccz .LBB448_35
.LBB448_32:
	s_endpgm
.LBB448_33:
	v_mbcnt_lo_u32_b32 v1, -1, 0
	v_mbcnt_hi_u32_b32 v1, -1, v1
	v_and_b32_e32 v4, 0x70, v1
	v_add_u32_e32 v4, 16, v4
	v_xor_b32_e32 v6, 8, v1
	v_cmp_lt_i32_e32 vcc, v6, v4
	v_xor_b32_e32 v7, 4, v1
	s_nop 0
	v_cndmask_b32_e32 v6, v1, v6, vcc
	v_lshlrev_b32_e32 v6, 2, v6
	ds_bpermute_b32 v6, v6, v5
	v_cmp_lt_i32_e32 vcc, v7, v4
	s_waitcnt lgkmcnt(0)
	v_add_f32_e32 v5, v5, v6
	v_cndmask_b32_e32 v6, v1, v7, vcc
	v_lshlrev_b32_e32 v6, 2, v6
	ds_bpermute_b32 v6, v6, v5
	v_xor_b32_e32 v7, 2, v1
	v_cmp_lt_i32_e32 vcc, v7, v4
	s_waitcnt lgkmcnt(0)
	v_add_f32_e32 v5, v5, v6
	v_cndmask_b32_e32 v6, v1, v7, vcc
	v_lshlrev_b32_e32 v6, 2, v6
	ds_bpermute_b32 v6, v6, v5
	v_xor_b32_e32 v7, 1, v1
	v_cmp_lt_i32_e32 vcc, v7, v4
	s_waitcnt lgkmcnt(0)
	v_add_f32_e32 v5, v5, v6
	v_cndmask_b32_e32 v1, v1, v7, vcc
	v_lshlrev_b32_e32 v1, 2, v1
	ds_bpermute_b32 v1, v1, v5
	s_waitcnt lgkmcnt(0)
	v_add_f32_e32 v5, v5, v1
	s_load_dwordx2 s[6:7], s[0:1], 0x40
	s_andn2_b64 vcc, exec, s[2:3]
	s_waitcnt lgkmcnt(0)
	v_cvt_f32_f64_e32 v8, s[6:7]
	s_cbranch_vccnz .LBB448_31
.LBB448_34:
	v_cmp_lt_f32_e32 vcc, 0, v5
	s_nop 1
	v_cndmask_b32_e32 v1, 1.0, v5, vcc
	v_div_scale_f32 v4, s[2:3], v1, v1, v8
	v_rcp_f32_e32 v5, v4
	s_nop 0
	v_fma_f32 v6, -v4, v5, 1.0
	v_fmac_f32_e32 v5, v6, v5
	v_div_scale_f32 v6, vcc, v8, v1, v8
	v_mul_f32_e32 v7, v6, v5
	v_fma_f32 v9, -v4, v7, v6
	v_fmac_f32_e32 v7, v9, v5
	v_fma_f32 v4, -v4, v7, v6
	v_div_fmas_f32 v4, v4, v5, v7
	v_div_fixup_f32 v8, v4, v1, v8
	s_andn2_b64 vcc, exec, s[4:5]
	s_cbranch_vccnz .LBB448_32
.LBB448_35:
	s_load_dwordx2 s[12:13], s[0:1], 0x10
	v_mov_b32_e32 v1, 0
	v_or_b32_e32 v20, 4, v1
	v_or_b32_e32 v18, 8, v1
	;; [unrolled: 1-line block ×3, first 2 shown]
	v_add_u32_e32 v14, 16, v1
	v_add_u32_e32 v12, 20, v1
	;; [unrolled: 1-line block ×4, first 2 shown]
	v_or_b32_e32 v23, 1, v10
	v_or_b32_e32 v22, 2, v10
	;; [unrolled: 1-line block ×7, first 2 shown]
	s_cmp_eq_u32 s33, 1
	s_mov_b32 s14, 0
	s_cbranch_scc1 .LBB448_70
; %bb.36:
	v_ashrrev_i32_e32 v1, 31, v0
	s_waitcnt lgkmcnt(0)
	v_lshl_add_u64 v[4:5], v[0:1], 2, s[12:13]
	s_and_b32 s14, s33, 0x7ffffffe
	v_lshl_add_u64 v[4:5], v[4:5], 0, 4
	v_lshl_add_u64 v[6:7], v[2:3], 0, 4
	s_mov_b32 s15, 0
	s_branch .LBB448_38
.LBB448_37:                             ;   in Loop: Header=BB448_38 Depth=1
	s_or_b64 exec, exec, s[0:1]
	s_add_i32 s15, s15, 2
	v_lshl_add_u64 v[4:5], v[4:5], 0, 8
	s_cmp_eq_u32 s14, s15
	v_lshl_add_u64 v[6:7], v[6:7], 0, 8
	s_cbranch_scc1 .LBB448_70
.LBB448_38:                             ; =>This Inner Loop Header: Depth=1
	global_load_dword v24, v[6:7], off offset:-4
	v_mov_b32_e32 v1, 0
	s_waitcnt vmcnt(0)
	v_cmp_eq_u32_e32 vcc, v24, v10
	v_cmp_ne_u32_e64 s[0:1], v24, v10
	s_and_saveexec_b64 s[16:17], s[0:1]
	s_cbranch_execz .LBB448_52
; %bb.39:                               ;   in Loop: Header=BB448_38 Depth=1
	v_cmp_eq_u32_e64 s[0:1], v24, v23
	v_cmp_ne_u32_e64 s[2:3], v24, v23
	v_mov_b32_e32 v1, v20
	s_and_saveexec_b64 s[18:19], s[2:3]
	s_cbranch_execz .LBB448_51
; %bb.40:                               ;   in Loop: Header=BB448_38 Depth=1
	v_cmp_eq_u32_e64 s[2:3], v24, v22
	v_cmp_ne_u32_e64 s[4:5], v24, v22
	v_mov_b32_e32 v1, v18
	;; [unrolled: 6-line block ×6, first 2 shown]
	s_and_saveexec_b64 s[30:31], s[10:11]
	s_xor_b64 s[30:31], exec, s[30:31]
; %bb.45:                               ;   in Loop: Header=BB448_38 Depth=1
	v_cmp_eq_u32_e64 s[10:11], v24, v13
	s_andn2_b64 s[28:29], s[28:29], exec
	s_and_b64 s[10:11], s[10:11], exec
	s_or_b64 s[28:29], s[28:29], s[10:11]
	v_mov_b32_e32 v1, v11
; %bb.46:                               ;   in Loop: Header=BB448_38 Depth=1
	s_or_b64 exec, exec, s[30:31]
	s_andn2_b64 s[8:9], s[8:9], exec
	s_and_b64 s[10:11], s[28:29], exec
	s_or_b64 s[8:9], s[8:9], s[10:11]
.LBB448_47:                             ;   in Loop: Header=BB448_38 Depth=1
	s_or_b64 exec, exec, s[26:27]
	s_andn2_b64 s[6:7], s[6:7], exec
	s_and_b64 s[8:9], s[8:9], exec
	s_or_b64 s[6:7], s[6:7], s[8:9]
.LBB448_48:                             ;   in Loop: Header=BB448_38 Depth=1
	s_or_b64 exec, exec, s[24:25]
	s_andn2_b64 s[4:5], s[4:5], exec
	s_and_b64 s[6:7], s[6:7], exec
	s_or_b64 s[4:5], s[4:5], s[6:7]
.LBB448_49:                             ;   in Loop: Header=BB448_38 Depth=1
	s_or_b64 exec, exec, s[22:23]
	s_andn2_b64 s[2:3], s[2:3], exec
	s_and_b64 s[4:5], s[4:5], exec
	s_or_b64 s[2:3], s[2:3], s[4:5]
.LBB448_50:                             ;   in Loop: Header=BB448_38 Depth=1
	s_or_b64 exec, exec, s[20:21]
	s_andn2_b64 s[0:1], s[0:1], exec
	s_and_b64 s[2:3], s[2:3], exec
	s_or_b64 s[0:1], s[0:1], s[2:3]
.LBB448_51:                             ;   in Loop: Header=BB448_38 Depth=1
	s_or_b64 exec, exec, s[18:19]
	s_andn2_b64 s[2:3], vcc, exec
	s_and_b64 s[0:1], s[0:1], exec
	s_or_b64 vcc, s[2:3], s[0:1]
.LBB448_52:                             ;   in Loop: Header=BB448_38 Depth=1
	s_or_b64 exec, exec, s[16:17]
	s_and_saveexec_b64 s[0:1], vcc
	s_cbranch_execz .LBB448_54
; %bb.53:                               ;   in Loop: Header=BB448_38 Depth=1
	scratch_load_dword v1, v1, off
	v_add_u32_e32 v24, s15, v0
	v_ashrrev_i32_e32 v25, 31, v24
	v_lshl_add_u64 v[24:25], v[24:25], 2, s[12:13]
	s_waitcnt vmcnt(0)
	v_mul_f32_e32 v1, v8, v1
	global_store_dword v[24:25], v1, off
.LBB448_54:                             ;   in Loop: Header=BB448_38 Depth=1
	s_or_b64 exec, exec, s[0:1]
	global_load_dword v24, v[6:7], off
	v_mov_b32_e32 v1, 0
	s_waitcnt vmcnt(0)
	v_cmp_eq_u32_e64 s[8:9], v24, v10
	v_cmp_ne_u32_e32 vcc, v24, v10
	s_and_saveexec_b64 s[10:11], vcc
	s_cbranch_execz .LBB448_68
; %bb.55:                               ;   in Loop: Header=BB448_38 Depth=1
	v_cmp_eq_u32_e32 vcc, v24, v23
	v_cmp_ne_u32_e64 s[0:1], v24, v23
	v_mov_b32_e32 v1, v20
	s_and_saveexec_b64 s[16:17], s[0:1]
	s_cbranch_execz .LBB448_67
; %bb.56:                               ;   in Loop: Header=BB448_38 Depth=1
	v_cmp_eq_u32_e64 s[0:1], v24, v22
	v_cmp_ne_u32_e64 s[2:3], v24, v22
	v_mov_b32_e32 v1, v18
	s_and_saveexec_b64 s[18:19], s[2:3]
	s_cbranch_execz .LBB448_66
; %bb.57:                               ;   in Loop: Header=BB448_38 Depth=1
	v_cmp_eq_u32_e64 s[2:3], v24, v21
	v_cmp_ne_u32_e64 s[4:5], v24, v21
	v_mov_b32_e32 v1, v16
	s_and_saveexec_b64 s[20:21], s[4:5]
	s_cbranch_execz .LBB448_65
; %bb.58:                               ;   in Loop: Header=BB448_38 Depth=1
	v_cmp_eq_u32_e64 s[4:5], v24, v19
	v_cmp_ne_u32_e64 s[6:7], v24, v19
	v_mov_b32_e32 v1, v14
	s_and_saveexec_b64 s[22:23], s[6:7]
	s_cbranch_execz .LBB448_64
; %bb.59:                               ;   in Loop: Header=BB448_38 Depth=1
	v_cmp_eq_u32_e64 s[24:25], v24, v17
	v_cmp_ne_u32_e64 s[6:7], v24, v17
	v_mov_b32_e32 v1, v12
	s_and_saveexec_b64 s[26:27], s[6:7]
	s_cbranch_execz .LBB448_63
; %bb.60:                               ;   in Loop: Header=BB448_38 Depth=1
	v_cmp_eq_u32_e64 s[28:29], v24, v15
	v_cmp_ne_u32_e64 s[6:7], v24, v15
	v_mov_b32_e32 v1, v9
	s_and_saveexec_b64 s[30:31], s[6:7]
; %bb.61:                               ;   in Loop: Header=BB448_38 Depth=1
	v_cmp_eq_u32_e64 s[6:7], v24, v13
	s_andn2_b64 s[28:29], s[28:29], exec
	s_and_b64 s[6:7], s[6:7], exec
	s_or_b64 s[28:29], s[28:29], s[6:7]
	v_mov_b32_e32 v1, v11
; %bb.62:                               ;   in Loop: Header=BB448_38 Depth=1
	s_or_b64 exec, exec, s[30:31]
	s_andn2_b64 s[6:7], s[24:25], exec
	s_and_b64 s[24:25], s[28:29], exec
	s_or_b64 s[24:25], s[6:7], s[24:25]
.LBB448_63:                             ;   in Loop: Header=BB448_38 Depth=1
	s_or_b64 exec, exec, s[26:27]
	s_andn2_b64 s[4:5], s[4:5], exec
	s_and_b64 s[6:7], s[24:25], exec
	s_or_b64 s[4:5], s[4:5], s[6:7]
.LBB448_64:                             ;   in Loop: Header=BB448_38 Depth=1
	s_or_b64 exec, exec, s[22:23]
	s_andn2_b64 s[2:3], s[2:3], exec
	s_and_b64 s[4:5], s[4:5], exec
	s_or_b64 s[2:3], s[2:3], s[4:5]
.LBB448_65:                             ;   in Loop: Header=BB448_38 Depth=1
	s_or_b64 exec, exec, s[20:21]
	s_andn2_b64 s[0:1], s[0:1], exec
	s_and_b64 s[2:3], s[2:3], exec
	s_or_b64 s[0:1], s[0:1], s[2:3]
.LBB448_66:                             ;   in Loop: Header=BB448_38 Depth=1
	s_or_b64 exec, exec, s[18:19]
	s_andn2_b64 s[2:3], vcc, exec
	s_and_b64 s[0:1], s[0:1], exec
	s_or_b64 vcc, s[2:3], s[0:1]
.LBB448_67:                             ;   in Loop: Header=BB448_38 Depth=1
	s_or_b64 exec, exec, s[16:17]
	s_andn2_b64 s[0:1], s[8:9], exec
	s_and_b64 s[2:3], vcc, exec
	s_or_b64 s[8:9], s[0:1], s[2:3]
.LBB448_68:                             ;   in Loop: Header=BB448_38 Depth=1
	s_or_b64 exec, exec, s[10:11]
	s_and_saveexec_b64 s[0:1], s[8:9]
	s_cbranch_execz .LBB448_37
; %bb.69:                               ;   in Loop: Header=BB448_38 Depth=1
	scratch_load_dword v1, v1, off
	s_waitcnt vmcnt(0)
	v_mul_f32_e32 v1, v8, v1
	global_store_dword v[4:5], v1, off
	s_branch .LBB448_37
.LBB448_70:
	s_bitcmp0_b32 s33, 0
	s_mov_b32 s15, 0
	s_cbranch_scc1 .LBB448_32
; %bb.71:
	v_lshl_add_u64 v[2:3], s[14:15], 2, v[2:3]
	global_load_dword v1, v[2:3], off
	v_mov_b32_e32 v2, 0
	s_waitcnt vmcnt(0)
	v_cmp_eq_u32_e64 s[8:9], v1, v10
	v_cmp_ne_u32_e32 vcc, v1, v10
	s_and_saveexec_b64 s[10:11], vcc
	s_cbranch_execz .LBB448_85
; %bb.72:
	v_cmp_eq_u32_e32 vcc, v1, v23
	v_cmp_ne_u32_e64 s[0:1], v1, v23
	s_and_saveexec_b64 s[16:17], s[0:1]
	s_cbranch_execz .LBB448_84
; %bb.73:
	v_cmp_eq_u32_e64 s[0:1], v1, v22
	v_cmp_ne_u32_e64 s[2:3], v1, v22
	s_and_saveexec_b64 s[18:19], s[2:3]
	s_cbranch_execz .LBB448_83
; %bb.74:
	v_cmp_eq_u32_e64 s[2:3], v1, v21
	v_cmp_ne_u32_e64 s[4:5], v1, v21
	s_and_saveexec_b64 s[20:21], s[4:5]
	s_cbranch_execz .LBB448_82
; %bb.75:
	v_cmp_eq_u32_e64 s[4:5], v1, v19
	v_cmp_ne_u32_e64 s[6:7], v1, v19
	s_and_saveexec_b64 s[22:23], s[6:7]
	s_cbranch_execz .LBB448_81
; %bb.76:
	v_cmp_eq_u32_e64 s[24:25], v1, v17
	v_cmp_ne_u32_e64 s[6:7], v1, v17
	s_and_saveexec_b64 s[26:27], s[6:7]
	s_cbranch_execz .LBB448_80
; %bb.77:
	v_cmp_eq_u32_e64 s[28:29], v1, v15
	v_cmp_ne_u32_e64 s[6:7], v1, v15
	s_and_saveexec_b64 s[30:31], s[6:7]
; %bb.78:
	v_cmp_eq_u32_e64 s[6:7], v1, v13
	s_andn2_b64 s[28:29], s[28:29], exec
	s_and_b64 s[6:7], s[6:7], exec
	s_or_b64 s[28:29], s[28:29], s[6:7]
	v_mov_b32_e32 v9, v11
; %bb.79:
	s_or_b64 exec, exec, s[30:31]
	s_andn2_b64 s[6:7], s[24:25], exec
	s_and_b64 s[24:25], s[28:29], exec
	s_or_b64 s[24:25], s[6:7], s[24:25]
	v_mov_b32_e32 v12, v9
.LBB448_80:
	s_or_b64 exec, exec, s[26:27]
	s_andn2_b64 s[4:5], s[4:5], exec
	s_and_b64 s[6:7], s[24:25], exec
	s_or_b64 s[4:5], s[4:5], s[6:7]
	v_mov_b32_e32 v14, v12
.LBB448_81:
	s_or_b64 exec, exec, s[22:23]
	s_andn2_b64 s[2:3], s[2:3], exec
	s_and_b64 s[4:5], s[4:5], exec
	s_or_b64 s[2:3], s[2:3], s[4:5]
	v_mov_b32_e32 v16, v14
.LBB448_82:
	s_or_b64 exec, exec, s[20:21]
	s_andn2_b64 s[0:1], s[0:1], exec
	s_and_b64 s[2:3], s[2:3], exec
	s_or_b64 s[0:1], s[0:1], s[2:3]
	v_mov_b32_e32 v18, v16
.LBB448_83:
	s_or_b64 exec, exec, s[18:19]
	s_andn2_b64 s[2:3], vcc, exec
	s_and_b64 s[0:1], s[0:1], exec
	s_or_b64 vcc, s[2:3], s[0:1]
	v_mov_b32_e32 v20, v18
.LBB448_84:
	s_or_b64 exec, exec, s[16:17]
	s_andn2_b64 s[0:1], s[8:9], exec
	s_and_b64 s[2:3], vcc, exec
	s_or_b64 s[8:9], s[0:1], s[2:3]
	v_mov_b32_e32 v2, v20
.LBB448_85:
	s_or_b64 exec, exec, s[10:11]
	s_and_b64 exec, exec, s[8:9]
	s_cbranch_execz .LBB448_32
; %bb.86:
	scratch_load_dword v2, v2, off
	v_add_u32_e32 v0, s14, v0
	v_ashrrev_i32_e32 v1, 31, v0
	s_waitcnt lgkmcnt(0)
	v_lshl_add_u64 v[0:1], v[0:1], 2, s[12:13]
	s_waitcnt vmcnt(0)
	v_mul_f32_e32 v2, v8, v2
	global_store_dword v[0:1], v2, off
	s_endpgm
	.section	.rodata,"a",@progbits
	.p2align	6, 0x0
	.amdhsa_kernel _ZN4vllm3moe22topkGatingSoftplusSqrtILi8ELi128ELi4ELi16ELi64ELb1Ej14__hip_bfloat16EEvPKT6_PKbPfiPT5_PiiiibdPKfPKS9_SF_
		.amdhsa_group_segment_fixed_size 0
		.amdhsa_private_segment_fixed_size 48
		.amdhsa_kernarg_size 96
		.amdhsa_user_sgpr_count 2
		.amdhsa_user_sgpr_dispatch_ptr 0
		.amdhsa_user_sgpr_queue_ptr 0
		.amdhsa_user_sgpr_kernarg_segment_ptr 1
		.amdhsa_user_sgpr_dispatch_id 0
		.amdhsa_user_sgpr_kernarg_preload_length 0
		.amdhsa_user_sgpr_kernarg_preload_offset 0
		.amdhsa_user_sgpr_private_segment_size 0
		.amdhsa_uses_dynamic_stack 0
		.amdhsa_enable_private_segment 1
		.amdhsa_system_sgpr_workgroup_id_x 1
		.amdhsa_system_sgpr_workgroup_id_y 0
		.amdhsa_system_sgpr_workgroup_id_z 0
		.amdhsa_system_sgpr_workgroup_info 0
		.amdhsa_system_vgpr_workitem_id 1
		.amdhsa_next_free_vgpr 27
		.amdhsa_next_free_sgpr 34
		.amdhsa_accum_offset 28
		.amdhsa_reserve_vcc 1
		.amdhsa_float_round_mode_32 0
		.amdhsa_float_round_mode_16_64 0
		.amdhsa_float_denorm_mode_32 3
		.amdhsa_float_denorm_mode_16_64 3
		.amdhsa_dx10_clamp 1
		.amdhsa_ieee_mode 1
		.amdhsa_fp16_overflow 0
		.amdhsa_tg_split 0
		.amdhsa_exception_fp_ieee_invalid_op 0
		.amdhsa_exception_fp_denorm_src 0
		.amdhsa_exception_fp_ieee_div_zero 0
		.amdhsa_exception_fp_ieee_overflow 0
		.amdhsa_exception_fp_ieee_underflow 0
		.amdhsa_exception_fp_ieee_inexact 0
		.amdhsa_exception_int_div_zero 0
	.end_amdhsa_kernel
	.section	.text._ZN4vllm3moe22topkGatingSoftplusSqrtILi8ELi128ELi4ELi16ELi64ELb1Ej14__hip_bfloat16EEvPKT6_PKbPfiPT5_PiiiibdPKfPKS9_SF_,"axG",@progbits,_ZN4vllm3moe22topkGatingSoftplusSqrtILi8ELi128ELi4ELi16ELi64ELb1Ej14__hip_bfloat16EEvPKT6_PKbPfiPT5_PiiiibdPKfPKS9_SF_,comdat
.Lfunc_end448:
	.size	_ZN4vllm3moe22topkGatingSoftplusSqrtILi8ELi128ELi4ELi16ELi64ELb1Ej14__hip_bfloat16EEvPKT6_PKbPfiPT5_PiiiibdPKfPKS9_SF_, .Lfunc_end448-_ZN4vllm3moe22topkGatingSoftplusSqrtILi8ELi128ELi4ELi16ELi64ELb1Ej14__hip_bfloat16EEvPKT6_PKbPfiPT5_PiiiibdPKfPKS9_SF_
                                        ; -- End function
	.section	.AMDGPU.csdata,"",@progbits
; Kernel info:
; codeLenInByte = 4556
; NumSgprs: 40
; NumVgprs: 27
; NumAgprs: 0
; TotalNumVgprs: 27
; ScratchSize: 48
; MemoryBound: 0
; FloatMode: 240
; IeeeMode: 1
; LDSByteSize: 0 bytes/workgroup (compile time only)
; SGPRBlocks: 4
; VGPRBlocks: 3
; NumSGPRsForWavesPerEU: 40
; NumVGPRsForWavesPerEU: 27
; AccumOffset: 28
; Occupancy: 8
; WaveLimiterHint : 1
; COMPUTE_PGM_RSRC2:SCRATCH_EN: 1
; COMPUTE_PGM_RSRC2:USER_SGPR: 2
; COMPUTE_PGM_RSRC2:TRAP_HANDLER: 0
; COMPUTE_PGM_RSRC2:TGID_X_EN: 1
; COMPUTE_PGM_RSRC2:TGID_Y_EN: 0
; COMPUTE_PGM_RSRC2:TGID_Z_EN: 0
; COMPUTE_PGM_RSRC2:TIDIG_COMP_CNT: 1
; COMPUTE_PGM_RSRC3_GFX90A:ACCUM_OFFSET: 6
; COMPUTE_PGM_RSRC3_GFX90A:TG_SPLIT: 0
	.section	.text._ZN4vllm3moe22topkGatingSoftplusSqrtILi8ELi128ELi4ELi16ELi64ELb0Ej14__hip_bfloat16EEvPKT6_PKbPfiPT5_PiiiibdPKfPKS9_SF_,"axG",@progbits,_ZN4vllm3moe22topkGatingSoftplusSqrtILi8ELi128ELi4ELi16ELi64ELb0Ej14__hip_bfloat16EEvPKT6_PKbPfiPT5_PiiiibdPKfPKS9_SF_,comdat
	.protected	_ZN4vllm3moe22topkGatingSoftplusSqrtILi8ELi128ELi4ELi16ELi64ELb0Ej14__hip_bfloat16EEvPKT6_PKbPfiPT5_PiiiibdPKfPKS9_SF_ ; -- Begin function _ZN4vllm3moe22topkGatingSoftplusSqrtILi8ELi128ELi4ELi16ELi64ELb0Ej14__hip_bfloat16EEvPKT6_PKbPfiPT5_PiiiibdPKfPKS9_SF_
	.globl	_ZN4vllm3moe22topkGatingSoftplusSqrtILi8ELi128ELi4ELi16ELi64ELb0Ej14__hip_bfloat16EEvPKT6_PKbPfiPT5_PiiiibdPKfPKS9_SF_
	.p2align	8
	.type	_ZN4vllm3moe22topkGatingSoftplusSqrtILi8ELi128ELi4ELi16ELi64ELb0Ej14__hip_bfloat16EEvPKT6_PKbPfiPT5_PiiiibdPKfPKS9_SF_,@function
_ZN4vllm3moe22topkGatingSoftplusSqrtILi8ELi128ELi4ELi16ELi64ELb0Ej14__hip_bfloat16EEvPKT6_PKbPfiPT5_PiiiibdPKfPKS9_SF_: ; @_ZN4vllm3moe22topkGatingSoftplusSqrtILi8ELi128ELi4ELi16ELi64ELb0Ej14__hip_bfloat16EEvPKT6_PKbPfiPT5_PiiiibdPKfPKS9_SF_
; %bb.0:
	s_load_dword s33, s[0:1], 0x18
	v_bfe_u32 v1, v0, 10, 10
	v_and_b32_e32 v0, 0x3ff, v0
	s_lshl_b32 s2, s2, 4
	v_lshlrev_b32_e32 v1, 2, v1
	v_lshrrev_b32_e32 v2, 4, v0
	v_add3_u32 v8, s2, v1, v2
	s_waitcnt lgkmcnt(0)
	v_cmp_gt_i32_e32 vcc, s33, v8
	s_and_saveexec_b64 s[2:3], vcc
	s_cbranch_execz .LBB449_61
; %bb.1:
	s_load_dwordx4 s[4:7], s[0:1], 0x0
	s_load_dwordx2 s[34:35], s[0:1], 0x10
	s_waitcnt lgkmcnt(0)
	s_cmp_eq_u64 s[6:7], 0
	s_cbranch_scc1 .LBB449_3
; %bb.2:
	v_ashrrev_i32_e32 v9, 31, v8
	v_lshl_add_u64 v[2:3], s[6:7], 0, v[8:9]
	global_load_ubyte v1, v[2:3], off
	s_waitcnt vmcnt(0)
	v_and_b32_e32 v1, 1, v1
	v_cmp_eq_u32_e32 vcc, 1, v1
	s_xor_b64 s[2:3], vcc, -1
	s_orn2_b64 s[36:37], s[2:3], exec
	s_branch .LBB449_4
.LBB449_3:
	s_mov_b64 s[36:37], -1
.LBB449_4:
	v_lshlrev_b32_e32 v4, 7, v8
	v_mov_b32_e32 v2, s4
	v_mov_b32_e32 v3, s5
	v_ashrrev_i32_e32 v5, 31, v4
	v_and_b32_e32 v9, 15, v0
	v_lshl_add_u64 v[2:3], v[4:5], 1, v[2:3]
	v_mov_b32_e32 v1, 0
	v_lshlrev_b32_e32 v0, 4, v9
	v_lshl_add_u64 v[0:1], v[2:3], 0, v[0:1]
	global_load_dwordx4 v[4:7], v[0:1], off
	s_mov_b32 s12, 0x800000
	v_mov_b32_e32 v2, 0x4f800000
	s_mov_b32 s9, 0x3f317217
	s_mov_b32 s10, 0x7f800000
	v_mov_b32_e32 v3, 0x41b17218
	s_mov_b32 s8, 0x41a00000
	s_mov_b32 s11, 0xf800000
	s_load_dwordx4 s[20:23], s[0:1], 0x40
	v_lshlrev_b32_e32 v12, 3, v9
	s_waitcnt lgkmcnt(0)
	s_cmp_lg_u64 s[22:23], 0
	s_cselect_b64 s[6:7], -1, 0
	s_and_b64 s[2:3], exec, s[6:7]
	s_waitcnt vmcnt(0)
	v_lshlrev_b32_e32 v0, 16, v4
	v_mul_f32_e32 v1, 0x3fb8aa3b, v0
	v_exp_f32_e32 v10, v1
	v_mov_b32_e32 v1, 0x260
	v_add_f32_e32 v10, 1.0, v10
	v_cmp_gt_f32_e32 vcc, s12, v10
	s_nop 1
	v_cndmask_b32_e32 v11, 1.0, v2, vcc
	v_mul_f32_e32 v10, v10, v11
	v_log_f32_e32 v11, v10
	v_cndmask_b32_e32 v13, 0, v3, vcc
	v_lshlrev_b32_e32 v10, 2, v12
	v_mul_f32_e32 v14, 0x3f317217, v11
	v_fma_f32 v14, v11, s9, -v14
	v_fmac_f32_e32 v14, 0x3377d1cf, v11
	v_fmac_f32_e32 v14, 0x3f317217, v11
	v_cmp_lt_f32_e64 vcc, |v11|, s10
	s_nop 1
	v_cndmask_b32_e32 v11, v11, v14, vcc
	v_sub_f32_e32 v11, v11, v13
	v_cmp_lt_f32_e32 vcc, s8, v0
	s_nop 1
	v_cndmask_b32_e32 v0, v11, v0, vcc
	v_mul_f32_e32 v11, 0x4f800000, v0
	v_cmp_gt_f32_e32 vcc, s11, v0
	s_nop 1
	v_cndmask_b32_e32 v0, v0, v11, vcc
	v_sqrt_f32_e32 v11, v0
	s_nop 0
	v_add_u32_e32 v13, -1, v11
	v_add_u32_e32 v14, 1, v11
	v_fma_f32 v15, -v13, v11, v0
	v_fma_f32 v16, -v14, v11, v0
	v_cmp_ge_f32_e64 s[4:5], 0, v15
	s_nop 1
	v_cndmask_b32_e64 v11, v11, v13, s[4:5]
	v_cmp_lt_f32_e64 s[4:5], 0, v16
	s_nop 1
	v_cndmask_b32_e64 v11, v11, v14, s[4:5]
	v_mul_f32_e32 v13, 0x37800000, v11
	v_cndmask_b32_e32 v11, v11, v13, vcc
	v_cmp_class_f32_e32 vcc, v0, v1
	s_nop 1
	v_cndmask_b32_e32 v0, v11, v0, vcc
	s_mov_b64 vcc, s[2:3]
	s_cbranch_vccz .LBB449_6
; %bb.5:
	global_load_dword v11, v10, s[22:23]
	s_waitcnt vmcnt(0)
	v_add_f32_e32 v0, v0, v11
.LBB449_6:
	v_and_b32_e32 v4, 0xffff0000, v4
	v_mul_f32_e32 v11, 0x3fb8aa3b, v4
	v_exp_f32_e32 v11, v11
	s_nop 0
	v_add_f32_e32 v11, 1.0, v11
	v_cmp_gt_f32_e32 vcc, s12, v11
	s_nop 1
	v_cndmask_b32_e32 v2, 1.0, v2, vcc
	v_mul_f32_e32 v2, v11, v2
	v_log_f32_e32 v2, v2
	v_cndmask_b32_e32 v3, 0, v3, vcc
	v_mul_f32_e32 v11, 0x3f317217, v2
	v_fma_f32 v11, v2, s9, -v11
	v_fmac_f32_e32 v11, 0x3377d1cf, v2
	v_fmac_f32_e32 v11, 0x3f317217, v2
	v_cmp_lt_f32_e64 vcc, |v2|, s10
	s_nop 1
	v_cndmask_b32_e32 v2, v2, v11, vcc
	v_sub_f32_e32 v2, v2, v3
	v_cmp_lt_f32_e32 vcc, s8, v4
	s_nop 1
	v_cndmask_b32_e32 v2, v2, v4, vcc
	v_mul_f32_e32 v3, 0x4f800000, v2
	v_cmp_gt_f32_e32 vcc, s11, v2
	s_nop 1
	v_cndmask_b32_e32 v2, v2, v3, vcc
	v_sqrt_f32_e32 v3, v2
	v_cmp_class_f32_e64 s[4:5], v2, v1
	v_add_u32_e32 v4, -1, v3
	v_add_u32_e32 v11, 1, v3
	v_fma_f32 v13, -v4, v3, v2
	v_fma_f32 v14, -v11, v3, v2
	v_cmp_ge_f32_e64 s[2:3], 0, v13
	s_nop 1
	v_cndmask_b32_e64 v3, v3, v4, s[2:3]
	v_cmp_lt_f32_e64 s[2:3], 0, v14
	s_nop 1
	v_cndmask_b32_e64 v3, v3, v11, s[2:3]
	v_mul_f32_e32 v4, 0x37800000, v3
	v_cndmask_b32_e32 v3, v3, v4, vcc
	v_cndmask_b32_e64 v4, 0, 1, s[6:7]
	v_cmp_ne_u32_e64 s[2:3], 1, v4
	s_andn2_b64 vcc, exec, s[6:7]
	v_cndmask_b32_e64 v1, v3, v2, s[4:5]
	s_cbranch_vccnz .LBB449_8
; %bb.7:
	global_load_dword v2, v10, s[22:23] offset:4
	s_waitcnt vmcnt(0)
	v_add_f32_e32 v1, v1, v2
.LBB449_8:
	v_lshlrev_b32_e32 v2, 16, v5
	v_mul_f32_e32 v3, 0x3fb8aa3b, v2
	v_exp_f32_e32 v3, v3
	s_mov_b32 s10, 0x800000
	v_mov_b32_e32 v4, 0x4f800000
	s_mov_b32 s7, 0x3f317217
	v_add_f32_e32 v3, 1.0, v3
	v_cmp_gt_f32_e32 vcc, s10, v3
	s_mov_b32 s8, 0x7f800000
	s_mov_b32 s6, 0x41a00000
	v_cndmask_b32_e32 v11, 1.0, v4, vcc
	v_mul_f32_e32 v3, v3, v11
	v_log_f32_e32 v3, v3
	s_mov_b32 s9, 0xf800000
	v_mul_f32_e32 v11, 0x3f317217, v3
	v_fma_f32 v11, v3, s7, -v11
	v_fmac_f32_e32 v11, 0x3377d1cf, v3
	v_fmac_f32_e32 v11, 0x3f317217, v3
	v_cmp_lt_f32_e64 s[4:5], |v3|, s8
	s_nop 1
	v_cndmask_b32_e64 v3, v3, v11, s[4:5]
	v_mov_b32_e32 v11, 0x41b17218
	v_cndmask_b32_e32 v13, 0, v11, vcc
	v_sub_f32_e32 v3, v3, v13
	v_cmp_lt_f32_e32 vcc, s6, v2
	s_nop 1
	v_cndmask_b32_e32 v2, v3, v2, vcc
	v_mul_f32_e32 v3, 0x4f800000, v2
	v_cmp_gt_f32_e32 vcc, s9, v2
	s_nop 1
	v_cndmask_b32_e32 v2, v2, v3, vcc
	v_sqrt_f32_e32 v3, v2
	s_nop 0
	v_add_u32_e32 v13, -1, v3
	v_fma_f32 v14, -v13, v3, v2
	v_cmp_ge_f32_e64 s[4:5], 0, v14
	v_add_u32_e32 v14, 1, v3
	s_nop 0
	v_cndmask_b32_e64 v13, v3, v13, s[4:5]
	v_fma_f32 v3, -v14, v3, v2
	v_cmp_lt_f32_e64 s[4:5], 0, v3
	s_nop 1
	v_cndmask_b32_e64 v3, v13, v14, s[4:5]
	v_mul_f32_e32 v13, 0x37800000, v3
	v_cndmask_b32_e32 v13, v3, v13, vcc
	v_mov_b32_e32 v3, 0x260
	v_cmp_class_f32_e64 s[4:5], v2, v3
	s_and_b64 vcc, exec, s[2:3]
	s_nop 0
	v_cndmask_b32_e64 v2, v13, v2, s[4:5]
	s_cbranch_vccnz .LBB449_10
; %bb.9:
	global_load_dword v13, v10, s[22:23] offset:8
	s_waitcnt vmcnt(0)
	v_add_f32_e32 v2, v2, v13
.LBB449_10:
	v_and_b32_e32 v5, 0xffff0000, v5
	v_mul_f32_e32 v13, 0x3fb8aa3b, v5
	v_exp_f32_e32 v13, v13
	s_nop 0
	v_add_f32_e32 v13, 1.0, v13
	v_cmp_gt_f32_e32 vcc, s10, v13
	s_nop 1
	v_cndmask_b32_e32 v4, 1.0, v4, vcc
	v_mul_f32_e32 v4, v13, v4
	v_log_f32_e32 v4, v4
	v_cndmask_b32_e32 v11, 0, v11, vcc
	v_mul_f32_e32 v13, 0x3f317217, v4
	v_fma_f32 v13, v4, s7, -v13
	v_fmac_f32_e32 v13, 0x3377d1cf, v4
	v_fmac_f32_e32 v13, 0x3f317217, v4
	v_cmp_lt_f32_e64 vcc, |v4|, s8
	s_nop 1
	v_cndmask_b32_e32 v4, v4, v13, vcc
	v_sub_f32_e32 v4, v4, v11
	v_cmp_lt_f32_e32 vcc, s6, v5
	s_nop 1
	v_cndmask_b32_e32 v4, v4, v5, vcc
	v_mul_f32_e32 v5, 0x4f800000, v4
	v_cmp_gt_f32_e32 vcc, s9, v4
	s_nop 1
	v_cndmask_b32_e32 v4, v4, v5, vcc
	v_sqrt_f32_e32 v5, v4
	s_nop 0
	v_add_u32_e32 v11, -1, v5
	v_add_u32_e32 v13, 1, v5
	v_fma_f32 v14, -v11, v5, v4
	v_fma_f32 v15, -v13, v5, v4
	v_cmp_ge_f32_e64 s[4:5], 0, v14
	s_nop 1
	v_cndmask_b32_e64 v5, v5, v11, s[4:5]
	v_cmp_lt_f32_e64 s[4:5], 0, v15
	s_nop 1
	v_cndmask_b32_e64 v5, v5, v13, s[4:5]
	v_mul_f32_e32 v11, 0x37800000, v5
	v_cndmask_b32_e32 v5, v5, v11, vcc
	v_cmp_class_f32_e64 s[4:5], v4, v3
	s_and_b64 vcc, exec, s[2:3]
	s_nop 0
	v_cndmask_b32_e64 v3, v5, v4, s[4:5]
	s_cbranch_vccnz .LBB449_12
; %bb.11:
	global_load_dword v4, v10, s[22:23] offset:12
	s_waitcnt vmcnt(0)
	v_add_f32_e32 v3, v3, v4
.LBB449_12:
	v_lshlrev_b32_e32 v4, 16, v6
	v_mul_f32_e32 v5, 0x3fb8aa3b, v4
	v_exp_f32_e32 v5, v5
	v_mov_b32_e32 v11, 0x4f800000
	v_add_f32_e32 v5, 1.0, v5
	v_cmp_gt_f32_e32 vcc, s10, v5
	s_nop 1
	v_cndmask_b32_e32 v13, 1.0, v11, vcc
	v_mul_f32_e32 v5, v5, v13
	v_log_f32_e32 v5, v5
	s_nop 0
	v_mul_f32_e32 v13, 0x3f317217, v5
	v_fma_f32 v13, v5, s7, -v13
	v_fmac_f32_e32 v13, 0x3377d1cf, v5
	v_fmac_f32_e32 v13, 0x3f317217, v5
	v_cmp_lt_f32_e64 s[4:5], |v5|, s8
	s_nop 1
	v_cndmask_b32_e64 v5, v5, v13, s[4:5]
	v_mov_b32_e32 v13, 0x41b17218
	v_cndmask_b32_e32 v14, 0, v13, vcc
	v_sub_f32_e32 v5, v5, v14
	v_cmp_lt_f32_e32 vcc, s6, v4
	s_nop 1
	v_cndmask_b32_e32 v4, v5, v4, vcc
	v_mul_f32_e32 v5, 0x4f800000, v4
	v_cmp_gt_f32_e32 vcc, s9, v4
	s_nop 1
	v_cndmask_b32_e32 v4, v4, v5, vcc
	v_sqrt_f32_e32 v5, v4
	s_nop 0
	v_add_u32_e32 v14, -1, v5
	v_fma_f32 v15, -v14, v5, v4
	v_cmp_ge_f32_e64 s[4:5], 0, v15
	v_add_u32_e32 v15, 1, v5
	s_nop 0
	v_cndmask_b32_e64 v14, v5, v14, s[4:5]
	v_fma_f32 v5, -v15, v5, v4
	v_cmp_lt_f32_e64 s[4:5], 0, v5
	s_nop 1
	v_cndmask_b32_e64 v5, v14, v15, s[4:5]
	v_mul_f32_e32 v14, 0x37800000, v5
	v_cndmask_b32_e32 v14, v5, v14, vcc
	v_mov_b32_e32 v5, 0x260
	v_cmp_class_f32_e64 s[4:5], v4, v5
	s_and_b64 vcc, exec, s[2:3]
	s_nop 0
	v_cndmask_b32_e64 v4, v14, v4, s[4:5]
	s_cbranch_vccnz .LBB449_14
; %bb.13:
	global_load_dword v14, v10, s[22:23] offset:16
	s_waitcnt vmcnt(0)
	v_add_f32_e32 v4, v4, v14
.LBB449_14:
	v_and_b32_e32 v6, 0xffff0000, v6
	v_mul_f32_e32 v14, 0x3fb8aa3b, v6
	v_exp_f32_e32 v14, v14
	s_nop 0
	v_add_f32_e32 v14, 1.0, v14
	v_cmp_gt_f32_e32 vcc, s10, v14
	s_nop 1
	v_cndmask_b32_e32 v11, 1.0, v11, vcc
	v_mul_f32_e32 v11, v14, v11
	v_log_f32_e32 v11, v11
	v_cndmask_b32_e32 v13, 0, v13, vcc
	v_mul_f32_e32 v14, 0x3f317217, v11
	v_fma_f32 v14, v11, s7, -v14
	v_fmac_f32_e32 v14, 0x3377d1cf, v11
	v_fmac_f32_e32 v14, 0x3f317217, v11
	v_cmp_lt_f32_e64 vcc, |v11|, s8
	s_nop 1
	v_cndmask_b32_e32 v11, v11, v14, vcc
	v_sub_f32_e32 v11, v11, v13
	v_cmp_lt_f32_e32 vcc, s6, v6
	s_nop 1
	v_cndmask_b32_e32 v6, v11, v6, vcc
	v_mul_f32_e32 v11, 0x4f800000, v6
	v_cmp_gt_f32_e32 vcc, s9, v6
	s_nop 1
	v_cndmask_b32_e32 v6, v6, v11, vcc
	v_sqrt_f32_e32 v11, v6
	s_nop 0
	v_add_u32_e32 v13, -1, v11
	v_add_u32_e32 v14, 1, v11
	v_fma_f32 v15, -v13, v11, v6
	v_fma_f32 v16, -v14, v11, v6
	v_cmp_ge_f32_e64 s[4:5], 0, v15
	s_nop 1
	v_cndmask_b32_e64 v11, v11, v13, s[4:5]
	v_cmp_lt_f32_e64 s[4:5], 0, v16
	s_nop 1
	v_cndmask_b32_e64 v11, v11, v14, s[4:5]
	v_mul_f32_e32 v13, 0x37800000, v11
	v_cndmask_b32_e32 v11, v11, v13, vcc
	v_cmp_class_f32_e64 s[4:5], v6, v5
	s_and_b64 vcc, exec, s[2:3]
	s_nop 0
	v_cndmask_b32_e64 v5, v11, v6, s[4:5]
	s_cbranch_vccnz .LBB449_16
; %bb.15:
	global_load_dword v6, v10, s[22:23] offset:20
	s_waitcnt vmcnt(0)
	v_add_f32_e32 v5, v5, v6
.LBB449_16:
	v_lshlrev_b32_e32 v6, 16, v7
	v_mul_f32_e32 v11, 0x3fb8aa3b, v6
	v_exp_f32_e32 v11, v11
	v_mov_b32_e32 v13, 0x4f800000
	v_add_f32_e32 v11, 1.0, v11
	v_cmp_gt_f32_e32 vcc, s10, v11
	s_nop 1
	v_cndmask_b32_e32 v14, 1.0, v13, vcc
	v_mul_f32_e32 v11, v11, v14
	v_log_f32_e32 v11, v11
	s_nop 0
	v_mul_f32_e32 v14, 0x3f317217, v11
	v_fma_f32 v14, v11, s7, -v14
	v_fmac_f32_e32 v14, 0x3377d1cf, v11
	v_fmac_f32_e32 v14, 0x3f317217, v11
	v_cmp_lt_f32_e64 s[4:5], |v11|, s8
	s_nop 1
	v_cndmask_b32_e64 v11, v11, v14, s[4:5]
	v_mov_b32_e32 v14, 0x41b17218
	v_cndmask_b32_e32 v15, 0, v14, vcc
	v_sub_f32_e32 v11, v11, v15
	v_cmp_lt_f32_e32 vcc, s6, v6
	s_nop 1
	v_cndmask_b32_e32 v6, v11, v6, vcc
	v_mul_f32_e32 v11, 0x4f800000, v6
	v_cmp_gt_f32_e32 vcc, s9, v6
	s_nop 1
	v_cndmask_b32_e32 v6, v6, v11, vcc
	v_sqrt_f32_e32 v11, v6
	s_nop 0
	v_add_u32_e32 v15, -1, v11
	v_fma_f32 v16, -v15, v11, v6
	v_cmp_ge_f32_e64 s[4:5], 0, v16
	v_add_u32_e32 v16, 1, v11
	s_nop 0
	v_cndmask_b32_e64 v15, v11, v15, s[4:5]
	v_fma_f32 v11, -v16, v11, v6
	v_cmp_lt_f32_e64 s[4:5], 0, v11
	s_nop 1
	v_cndmask_b32_e64 v11, v15, v16, s[4:5]
	v_mul_f32_e32 v15, 0x37800000, v11
	v_cndmask_b32_e32 v15, v11, v15, vcc
	v_mov_b32_e32 v11, 0x260
	v_cmp_class_f32_e64 s[4:5], v6, v11
	s_and_b64 vcc, exec, s[2:3]
	s_nop 0
	v_cndmask_b32_e64 v6, v15, v6, s[4:5]
	s_cbranch_vccnz .LBB449_18
; %bb.17:
	global_load_dword v15, v10, s[22:23] offset:24
	s_waitcnt vmcnt(0)
	v_add_f32_e32 v6, v6, v15
.LBB449_18:
	v_and_b32_e32 v7, 0xffff0000, v7
	v_mul_f32_e32 v15, 0x3fb8aa3b, v7
	v_exp_f32_e32 v15, v15
	s_nop 0
	v_add_f32_e32 v15, 1.0, v15
	v_cmp_gt_f32_e32 vcc, s10, v15
	s_nop 1
	v_cndmask_b32_e32 v13, 1.0, v13, vcc
	v_mul_f32_e32 v13, v15, v13
	v_log_f32_e32 v13, v13
	v_cndmask_b32_e32 v14, 0, v14, vcc
	v_mul_f32_e32 v15, 0x3f317217, v13
	v_fma_f32 v15, v13, s7, -v15
	v_fmac_f32_e32 v15, 0x3377d1cf, v13
	v_fmac_f32_e32 v15, 0x3f317217, v13
	v_cmp_lt_f32_e64 vcc, |v13|, s8
	s_nop 1
	v_cndmask_b32_e32 v13, v13, v15, vcc
	v_sub_f32_e32 v13, v13, v14
	v_cmp_lt_f32_e32 vcc, s6, v7
	s_nop 1
	v_cndmask_b32_e32 v7, v13, v7, vcc
	v_mul_f32_e32 v13, 0x4f800000, v7
	v_cmp_gt_f32_e32 vcc, s9, v7
	s_nop 1
	v_cndmask_b32_e32 v7, v7, v13, vcc
	v_sqrt_f32_e32 v13, v7
	s_nop 0
	v_add_u32_e32 v14, -1, v13
	v_add_u32_e32 v15, 1, v13
	v_fma_f32 v16, -v14, v13, v7
	v_fma_f32 v17, -v15, v13, v7
	v_cmp_ge_f32_e64 s[4:5], 0, v16
	s_nop 1
	v_cndmask_b32_e64 v13, v13, v14, s[4:5]
	v_cmp_lt_f32_e64 s[4:5], 0, v17
	s_nop 1
	v_cndmask_b32_e64 v13, v13, v15, s[4:5]
	v_mul_f32_e32 v14, 0x37800000, v13
	v_cndmask_b32_e32 v13, v13, v14, vcc
	v_cmp_class_f32_e64 s[4:5], v7, v11
	s_and_b64 vcc, exec, s[2:3]
	s_nop 0
	v_cndmask_b32_e64 v7, v13, v7, s[4:5]
	s_cbranch_vccnz .LBB449_20
; %bb.19:
	global_load_dword v10, v10, s[22:23] offset:28
	s_waitcnt vmcnt(0)
	v_add_f32_e32 v7, v7, v10
.LBB449_20:
	s_load_dwordx4 s[24:27], s[0:1], 0x30
	s_mov_b32 s42, 0
	v_cmp_eq_u32_e64 s[6:7], 0, v9
	s_waitcnt lgkmcnt(0)
	s_bitcmp1_b32 s27, 0
	s_cselect_b64 s[4:5], -1, 0
	s_cmp_gt_i32 s24, 0
	s_cselect_b64 s[38:39], -1, 0
	s_and_b64 vcc, exec, s[38:39]
	s_cbranch_vccz .LBB449_47
; %bb.21:
	v_mbcnt_lo_u32_b32 v10, -1, 0
	v_mbcnt_hi_u32_b32 v10, -1, v10
	v_and_b32_e32 v11, 0x70, v10
	v_add_u32_e32 v11, 16, v11
	v_xor_b32_e32 v13, 8, v10
	v_cmp_lt_i32_e32 vcc, v13, v11
	s_load_dwordx4 s[28:31], s[0:1], 0x20
	v_mul_lo_u32 v14, v8, s24
	v_cndmask_b32_e32 v13, v10, v13, vcc
	v_lshlrev_b32_e32 v15, 2, v13
	v_xor_b32_e32 v13, 4, v10
	v_cmp_lt_i32_e32 vcc, v13, v11
	v_mov_b32_e32 v19, 0x80
	v_mov_b32_e32 v20, 0xc61c4000
	v_cndmask_b32_e32 v13, v10, v13, vcc
	v_lshlrev_b32_e32 v16, 2, v13
	v_xor_b32_e32 v13, 2, v10
	v_cmp_lt_i32_e32 vcc, v13, v11
	v_mov_b32_e32 v21, v8
	s_nop 0
	v_cndmask_b32_e32 v13, v10, v13, vcc
	v_lshlrev_b32_e32 v17, 2, v13
	v_xor_b32_e32 v13, 1, v10
	v_cmp_lt_i32_e32 vcc, v13, v11
	s_nop 1
	v_cndmask_b32_e32 v10, v10, v13, vcc
	v_lshlrev_b32_e32 v18, 2, v10
	v_mov_b32_e32 v13, 0
	s_branch .LBB449_24
.LBB449_22:                             ;   in Loop: Header=BB449_24 Depth=1
	s_or_b64 exec, exec, s[40:41]
.LBB449_23:                             ;   in Loop: Header=BB449_24 Depth=1
	s_cmp_eq_u32 s24, s42
	v_add_u32_e32 v21, s33, v21
	s_cbranch_scc1 .LBB449_48
.LBB449_24:                             ; =>This Inner Loop Header: Depth=1
	v_cmp_gt_f32_e32 vcc, v1, v0
	s_nop 1
	v_cndmask_b32_e32 v11, v0, v1, vcc
	v_cndmask_b32_e64 v10, 0, 1, vcc
	v_cmp_gt_f32_e32 vcc, v2, v11
	s_nop 1
	v_cndmask_b32_e32 v11, v11, v2, vcc
	v_cndmask_b32_e64 v10, v10, 2, vcc
	;; [unrolled: 4-line block ×6, first 2 shown]
	v_cmp_gt_f32_e32 vcc, v7, v11
	s_nop 1
	v_cndmask_b32_e64 v10, v10, 7, vcc
	v_cndmask_b32_e32 v22, v11, v7, vcc
	ds_bpermute_b32 v11, v15, v22
	v_or_b32_e32 v10, v12, v10
	s_waitcnt lgkmcnt(0)
	ds_bpermute_b32 v23, v15, v10
	s_waitcnt lgkmcnt(0)
	v_cmp_lt_f32_e64 s[8:9], v22, v11
	v_cmp_nlt_f32_e32 vcc, v22, v11
	s_and_saveexec_b64 s[10:11], vcc
; %bb.25:                               ;   in Loop: Header=BB449_24 Depth=1
	v_cmp_eq_f32_e32 vcc, v22, v11
	v_cmp_lt_i32_e64 s[0:1], v23, v10
	s_and_b64 s[0:1], vcc, s[0:1]
	s_andn2_b64 s[8:9], s[8:9], exec
	s_and_b64 s[0:1], s[0:1], exec
	s_or_b64 s[8:9], s[8:9], s[0:1]
; %bb.26:                               ;   in Loop: Header=BB449_24 Depth=1
	s_or_b64 exec, exec, s[10:11]
	s_and_saveexec_b64 s[0:1], s[8:9]
; %bb.27:                               ;   in Loop: Header=BB449_24 Depth=1
	v_mov_b32_e32 v22, v11
	v_mov_b32_e32 v10, v23
; %bb.28:                               ;   in Loop: Header=BB449_24 Depth=1
	s_or_b64 exec, exec, s[0:1]
	ds_bpermute_b32 v11, v16, v22
	ds_bpermute_b32 v23, v16, v10
	s_waitcnt lgkmcnt(1)
	v_cmp_lt_f32_e64 s[8:9], v22, v11
	v_cmp_nlt_f32_e32 vcc, v22, v11
	s_and_saveexec_b64 s[10:11], vcc
	s_cbranch_execz .LBB449_30
; %bb.29:                               ;   in Loop: Header=BB449_24 Depth=1
	v_cmp_eq_f32_e32 vcc, v22, v11
	s_waitcnt lgkmcnt(0)
	v_cmp_lt_i32_e64 s[0:1], v23, v10
	s_and_b64 s[0:1], vcc, s[0:1]
	s_andn2_b64 s[8:9], s[8:9], exec
	s_and_b64 s[0:1], s[0:1], exec
	s_or_b64 s[8:9], s[8:9], s[0:1]
.LBB449_30:                             ;   in Loop: Header=BB449_24 Depth=1
	s_or_b64 exec, exec, s[10:11]
	s_and_saveexec_b64 s[0:1], s[8:9]
	s_cbranch_execz .LBB449_32
; %bb.31:                               ;   in Loop: Header=BB449_24 Depth=1
	v_mov_b32_e32 v22, v11
	s_waitcnt lgkmcnt(0)
	v_mov_b32_e32 v10, v23
.LBB449_32:                             ;   in Loop: Header=BB449_24 Depth=1
	s_or_b64 exec, exec, s[0:1]
	ds_bpermute_b32 v11, v17, v22
	s_waitcnt lgkmcnt(1)
	ds_bpermute_b32 v23, v17, v10
	s_waitcnt lgkmcnt(1)
	v_cmp_lt_f32_e64 s[8:9], v22, v11
	v_cmp_nlt_f32_e32 vcc, v22, v11
	s_and_saveexec_b64 s[10:11], vcc
	s_cbranch_execz .LBB449_34
; %bb.33:                               ;   in Loop: Header=BB449_24 Depth=1
	v_cmp_eq_f32_e32 vcc, v22, v11
	s_waitcnt lgkmcnt(0)
	v_cmp_lt_i32_e64 s[0:1], v23, v10
	s_and_b64 s[0:1], vcc, s[0:1]
	s_andn2_b64 s[8:9], s[8:9], exec
	s_and_b64 s[0:1], s[0:1], exec
	s_or_b64 s[8:9], s[8:9], s[0:1]
.LBB449_34:                             ;   in Loop: Header=BB449_24 Depth=1
	s_or_b64 exec, exec, s[10:11]
	s_and_saveexec_b64 s[0:1], s[8:9]
	s_cbranch_execz .LBB449_36
; %bb.35:                               ;   in Loop: Header=BB449_24 Depth=1
	v_mov_b32_e32 v22, v11
	s_waitcnt lgkmcnt(0)
	v_mov_b32_e32 v10, v23
.LBB449_36:                             ;   in Loop: Header=BB449_24 Depth=1
	s_or_b64 exec, exec, s[0:1]
	ds_bpermute_b32 v11, v18, v22
	s_waitcnt lgkmcnt(1)
	ds_bpermute_b32 v23, v18, v10
	s_waitcnt lgkmcnt(1)
	v_cmp_lt_f32_e64 s[8:9], v22, v11
	v_cmp_nlt_f32_e32 vcc, v22, v11
	s_and_saveexec_b64 s[10:11], vcc
	s_cbranch_execnz .LBB449_40
; %bb.37:                               ;   in Loop: Header=BB449_24 Depth=1
	s_or_b64 exec, exec, s[10:11]
	s_and_saveexec_b64 s[0:1], s[8:9]
	s_cbranch_execnz .LBB449_41
.LBB449_38:                             ;   in Loop: Header=BB449_24 Depth=1
	s_or_b64 exec, exec, s[0:1]
	s_and_saveexec_b64 s[8:9], s[6:7]
	s_cbranch_execnz .LBB449_42
.LBB449_39:                             ;   in Loop: Header=BB449_24 Depth=1
	s_or_b64 exec, exec, s[8:9]
	s_add_i32 s42, s42, 1
	s_cmp_ge_i32 s42, s24
	s_cbranch_scc1 .LBB449_23
	s_branch .LBB449_45
.LBB449_40:                             ;   in Loop: Header=BB449_24 Depth=1
	v_cmp_eq_f32_e32 vcc, v22, v11
	s_waitcnt lgkmcnt(0)
	v_cmp_lt_i32_e64 s[0:1], v23, v10
	s_and_b64 s[0:1], vcc, s[0:1]
	s_andn2_b64 s[8:9], s[8:9], exec
	s_and_b64 s[0:1], s[0:1], exec
	s_or_b64 s[8:9], s[8:9], s[0:1]
	s_or_b64 exec, exec, s[10:11]
	s_and_saveexec_b64 s[0:1], s[8:9]
	s_cbranch_execz .LBB449_38
.LBB449_41:                             ;   in Loop: Header=BB449_24 Depth=1
	s_waitcnt lgkmcnt(0)
	v_mov_b32_e32 v10, v23
	v_mov_b32_e32 v22, v11
	s_or_b64 exec, exec, s[0:1]
	s_and_saveexec_b64 s[8:9], s[6:7]
	s_cbranch_execz .LBB449_39
.LBB449_42:                             ;   in Loop: Header=BB449_24 Depth=1
	s_and_b64 vcc, exec, s[2:3]
	s_cbranch_vccnz .LBB449_44
; %bb.43:                               ;   in Loop: Header=BB449_24 Depth=1
	v_ashrrev_i32_e32 v11, 31, v10
	v_lshl_add_u64 v[24:25], v[10:11], 2, s[22:23]
	global_load_dword v11, v[24:25], off
	s_waitcnt vmcnt(0)
	v_sub_f32_e32 v22, v22, v11
.LBB449_44:                             ;   in Loop: Header=BB449_24 Depth=1
	v_add_u32_e32 v24, s42, v14
	v_cmp_le_i32_e32 vcc, s25, v10
	v_cmp_gt_i32_e64 s[0:1], s26, v10
	v_ashrrev_i32_e32 v25, 31, v24
	s_and_b64 s[0:1], vcc, s[0:1]
	v_lshlrev_b64 v[24:25], 2, v[24:25]
	v_lshl_add_u64 v[26:27], s[34:35], 0, v[24:25]
	v_subrev_u32_e32 v11, s25, v10
	s_and_b64 vcc, s[36:37], s[0:1]
	global_store_dword v[26:27], v22, off
	v_cndmask_b32_e32 v11, v19, v11, vcc
	v_lshl_add_u64 v[26:27], s[28:29], 0, v[24:25]
	global_store_dword v[26:27], v11, off
	v_add_f32_e32 v11, v13, v22
	v_lshl_add_u64 v[24:25], s[30:31], 0, v[24:25]
	v_cndmask_b32_e64 v13, v13, v11, s[4:5]
	global_store_dword v[24:25], v21, off
	s_or_b64 exec, exec, s[8:9]
	s_add_i32 s42, s42, 1
	s_cmp_ge_i32 s42, s24
	s_cbranch_scc1 .LBB449_23
.LBB449_45:                             ;   in Loop: Header=BB449_24 Depth=1
	v_ashrrev_i32_e32 v22, 31, v10
	v_lshrrev_b32_e32 v11, 29, v22
	v_add_u32_e32 v11, v10, v11
	v_ashrrev_i32_e32 v11, 3, v11
	s_waitcnt lgkmcnt(0)
	v_lshrrev_b32_e32 v23, 28, v11
	v_add_u32_e32 v23, v11, v23
	v_and_b32_e32 v23, -16, v23
	v_sub_u32_e32 v23, v11, v23
	v_cmp_eq_u32_e32 vcc, v9, v23
	s_and_saveexec_b64 s[40:41], vcc
	s_cbranch_execz .LBB449_22
; %bb.46:                               ;   in Loop: Header=BB449_24 Depth=1
	v_lshrrev_b32_e32 v22, 25, v22
	v_add_u32_e32 v22, v10, v22
	v_lshlrev_b32_e32 v11, 3, v11
	v_sub_u32_e32 v10, v10, v11
	v_ashrrev_i32_e32 v11, 7, v22
	v_lshl_add_u32 v10, v11, 3, v10
	v_cmp_ne_u32_e32 vcc, 6, v10
	v_cmp_ne_u32_e64 s[0:1], 5, v10
	v_cmp_ne_u32_e64 s[8:9], 4, v10
	;; [unrolled: 1-line block ×7, first 2 shown]
	v_cndmask_b32_e32 v6, v20, v6, vcc
	v_cndmask_b32_e64 v5, v20, v5, s[0:1]
	v_cndmask_b32_e64 v7, v20, v7, s[18:19]
	;; [unrolled: 1-line block ×7, first 2 shown]
	s_branch .LBB449_22
.LBB449_47:
	v_mov_b32_e32 v13, 0
.LBB449_48:
	v_cmp_eq_u32_e32 vcc, 0, v9
	s_and_b64 exec, exec, vcc
	s_cbranch_execz .LBB449_61
; %bb.49:
	s_andn2_b64 vcc, exec, s[4:5]
	v_cvt_f32_f64_e32 v0, s[20:21]
	s_cbranch_vccnz .LBB449_51
; %bb.50:
	v_cmp_lt_f32_e32 vcc, 0, v13
	s_nop 1
	v_cndmask_b32_e32 v1, 1.0, v13, vcc
	v_div_scale_f32 v2, s[0:1], v1, v1, v0
	v_rcp_f32_e32 v3, v2
	s_nop 0
	v_fma_f32 v4, -v2, v3, 1.0
	v_fmac_f32_e32 v3, v4, v3
	v_div_scale_f32 v4, vcc, v0, v1, v0
	v_mul_f32_e32 v5, v4, v3
	v_fma_f32 v6, -v2, v5, v4
	v_fmac_f32_e32 v5, v6, v3
	v_fma_f32 v2, -v2, v5, v4
	v_div_fmas_f32 v2, v2, v3, v5
	v_div_fixup_f32 v0, v2, v1, v0
.LBB449_51:
	s_andn2_b64 vcc, exec, s[38:39]
	s_cbranch_vccnz .LBB449_61
; %bb.52:
	v_mul_lo_u32 v2, v8, s24
	s_cmp_gt_u32 s24, 3
	v_ashrrev_i32_e32 v3, 31, v2
	s_cbranch_scc0 .LBB449_56
; %bb.53:
	s_and_b32 s0, s24, 0x7ffffffc
	v_lshl_add_u64 v[4:5], v[2:3], 2, s[34:35]
	v_mov_b32_e32 v1, v0
	v_lshl_add_u64 v[4:5], v[4:5], 0, 8
	s_mov_b32 s1, s0
.LBB449_54:                             ; =>This Inner Loop Header: Depth=1
	global_load_dwordx4 v[6:9], v[4:5], off offset:-8
	s_add_i32 s1, s1, -4
	s_cmp_lg_u32 s1, 0
	s_waitcnt vmcnt(0)
	v_pk_mul_f32 v[6:7], v[0:1], v[6:7]
	v_pk_mul_f32 v[8:9], v[0:1], v[8:9]
	global_store_dwordx4 v[4:5], v[6:9], off offset:-8
	v_lshl_add_u64 v[4:5], v[4:5], 0, 16
	s_cbranch_scc1 .LBB449_54
; %bb.55:
	s_cmp_lg_u32 s0, s24
	s_cselect_b64 s[2:3], -1, 0
	s_branch .LBB449_58
.LBB449_56:
	s_mov_b64 s[2:3], 0
                                        ; implicit-def: $sgpr0
	s_cbranch_execz .LBB449_58
; %bb.57:
	s_mov_b64 s[2:3], -1
	s_mov_b32 s0, 0
.LBB449_58:
	s_andn2_b64 vcc, exec, s[2:3]
	s_cbranch_vccnz .LBB449_61
; %bb.59:
	s_mov_b32 s1, 0
	v_lshl_add_u64 v[2:3], v[2:3], 0, s[0:1]
	s_sub_i32 s2, s24, s0
	v_lshl_add_u64 v[2:3], v[2:3], 2, s[34:35]
.LBB449_60:                             ; =>This Inner Loop Header: Depth=1
	global_load_dword v1, v[2:3], off
	s_add_i32 s2, s2, -1
	s_cmp_lg_u32 s2, 0
	s_waitcnt vmcnt(0)
	v_mul_f32_e32 v1, v0, v1
	global_store_dword v[2:3], v1, off
	v_lshl_add_u64 v[2:3], v[2:3], 0, 4
	s_cbranch_scc1 .LBB449_60
.LBB449_61:
	s_endpgm
	.section	.rodata,"a",@progbits
	.p2align	6, 0x0
	.amdhsa_kernel _ZN4vllm3moe22topkGatingSoftplusSqrtILi8ELi128ELi4ELi16ELi64ELb0Ej14__hip_bfloat16EEvPKT6_PKbPfiPT5_PiiiibdPKfPKS9_SF_
		.amdhsa_group_segment_fixed_size 0
		.amdhsa_private_segment_fixed_size 0
		.amdhsa_kernarg_size 96
		.amdhsa_user_sgpr_count 2
		.amdhsa_user_sgpr_dispatch_ptr 0
		.amdhsa_user_sgpr_queue_ptr 0
		.amdhsa_user_sgpr_kernarg_segment_ptr 1
		.amdhsa_user_sgpr_dispatch_id 0
		.amdhsa_user_sgpr_kernarg_preload_length 0
		.amdhsa_user_sgpr_kernarg_preload_offset 0
		.amdhsa_user_sgpr_private_segment_size 0
		.amdhsa_uses_dynamic_stack 0
		.amdhsa_enable_private_segment 0
		.amdhsa_system_sgpr_workgroup_id_x 1
		.amdhsa_system_sgpr_workgroup_id_y 0
		.amdhsa_system_sgpr_workgroup_id_z 0
		.amdhsa_system_sgpr_workgroup_info 0
		.amdhsa_system_vgpr_workitem_id 1
		.amdhsa_next_free_vgpr 28
		.amdhsa_next_free_sgpr 43
		.amdhsa_accum_offset 28
		.amdhsa_reserve_vcc 1
		.amdhsa_float_round_mode_32 0
		.amdhsa_float_round_mode_16_64 0
		.amdhsa_float_denorm_mode_32 3
		.amdhsa_float_denorm_mode_16_64 3
		.amdhsa_dx10_clamp 1
		.amdhsa_ieee_mode 1
		.amdhsa_fp16_overflow 0
		.amdhsa_tg_split 0
		.amdhsa_exception_fp_ieee_invalid_op 0
		.amdhsa_exception_fp_denorm_src 0
		.amdhsa_exception_fp_ieee_div_zero 0
		.amdhsa_exception_fp_ieee_overflow 0
		.amdhsa_exception_fp_ieee_underflow 0
		.amdhsa_exception_fp_ieee_inexact 0
		.amdhsa_exception_int_div_zero 0
	.end_amdhsa_kernel
	.section	.text._ZN4vllm3moe22topkGatingSoftplusSqrtILi8ELi128ELi4ELi16ELi64ELb0Ej14__hip_bfloat16EEvPKT6_PKbPfiPT5_PiiiibdPKfPKS9_SF_,"axG",@progbits,_ZN4vllm3moe22topkGatingSoftplusSqrtILi8ELi128ELi4ELi16ELi64ELb0Ej14__hip_bfloat16EEvPKT6_PKbPfiPT5_PiiiibdPKfPKS9_SF_,comdat
.Lfunc_end449:
	.size	_ZN4vllm3moe22topkGatingSoftplusSqrtILi8ELi128ELi4ELi16ELi64ELb0Ej14__hip_bfloat16EEvPKT6_PKbPfiPT5_PiiiibdPKfPKS9_SF_, .Lfunc_end449-_ZN4vllm3moe22topkGatingSoftplusSqrtILi8ELi128ELi4ELi16ELi64ELb0Ej14__hip_bfloat16EEvPKT6_PKbPfiPT5_PiiiibdPKfPKS9_SF_
                                        ; -- End function
	.section	.AMDGPU.csdata,"",@progbits
; Kernel info:
; codeLenInByte = 3992
; NumSgprs: 49
; NumVgprs: 28
; NumAgprs: 0
; TotalNumVgprs: 28
; ScratchSize: 0
; MemoryBound: 0
; FloatMode: 240
; IeeeMode: 1
; LDSByteSize: 0 bytes/workgroup (compile time only)
; SGPRBlocks: 6
; VGPRBlocks: 3
; NumSGPRsForWavesPerEU: 49
; NumVGPRsForWavesPerEU: 28
; AccumOffset: 28
; Occupancy: 8
; WaveLimiterHint : 0
; COMPUTE_PGM_RSRC2:SCRATCH_EN: 0
; COMPUTE_PGM_RSRC2:USER_SGPR: 2
; COMPUTE_PGM_RSRC2:TRAP_HANDLER: 0
; COMPUTE_PGM_RSRC2:TGID_X_EN: 1
; COMPUTE_PGM_RSRC2:TGID_Y_EN: 0
; COMPUTE_PGM_RSRC2:TGID_Z_EN: 0
; COMPUTE_PGM_RSRC2:TIDIG_COMP_CNT: 1
; COMPUTE_PGM_RSRC3_GFX90A:ACCUM_OFFSET: 6
; COMPUTE_PGM_RSRC3_GFX90A:TG_SPLIT: 0
	.section	.text._ZN4vllm3moe22topkGatingSoftplusSqrtILi8ELi128ELi4ELi16ELi32ELb1Ej14__hip_bfloat16EEvPKT6_PKbPfiPT5_PiiiibdPKfPKS9_SF_,"axG",@progbits,_ZN4vllm3moe22topkGatingSoftplusSqrtILi8ELi128ELi4ELi16ELi32ELb1Ej14__hip_bfloat16EEvPKT6_PKbPfiPT5_PiiiibdPKfPKS9_SF_,comdat
	.protected	_ZN4vllm3moe22topkGatingSoftplusSqrtILi8ELi128ELi4ELi16ELi32ELb1Ej14__hip_bfloat16EEvPKT6_PKbPfiPT5_PiiiibdPKfPKS9_SF_ ; -- Begin function _ZN4vllm3moe22topkGatingSoftplusSqrtILi8ELi128ELi4ELi16ELi32ELb1Ej14__hip_bfloat16EEvPKT6_PKbPfiPT5_PiiiibdPKfPKS9_SF_
	.globl	_ZN4vllm3moe22topkGatingSoftplusSqrtILi8ELi128ELi4ELi16ELi32ELb1Ej14__hip_bfloat16EEvPKT6_PKbPfiPT5_PiiiibdPKfPKS9_SF_
	.p2align	8
	.type	_ZN4vllm3moe22topkGatingSoftplusSqrtILi8ELi128ELi4ELi16ELi32ELb1Ej14__hip_bfloat16EEvPKT6_PKbPfiPT5_PiiiibdPKfPKS9_SF_,@function
_ZN4vllm3moe22topkGatingSoftplusSqrtILi8ELi128ELi4ELi16ELi32ELb1Ej14__hip_bfloat16EEvPKT6_PKbPfiPT5_PiiiibdPKfPKS9_SF_: ; @_ZN4vllm3moe22topkGatingSoftplusSqrtILi8ELi128ELi4ELi16ELi32ELb1Ej14__hip_bfloat16EEvPKT6_PKbPfiPT5_PiiiibdPKfPKS9_SF_
; %bb.0:
	s_load_dword s3, s[0:1], 0x18
	v_bfe_u32 v1, v0, 10, 10
	v_and_b32_e32 v8, 0x3ff, v0
	s_lshl_b32 s2, s2, 3
	v_lshlrev_b32_e32 v1, 1, v1
	v_lshrrev_b32_e32 v0, 4, v8
	v_add3_u32 v6, s2, v1, v0
	s_waitcnt lgkmcnt(0)
	v_cmp_gt_i32_e32 vcc, s3, v6
	s_and_saveexec_b64 s[2:3], vcc
	s_cbranch_execz .LBB450_32
; %bb.1:
	s_load_dwordx2 s[2:3], s[0:1], 0x0
	s_load_dword s33, s[0:1], 0x30
	v_lshlrev_b32_e32 v0, 7, v6
	v_lshlrev_b32_e32 v2, 3, v8
	v_ashrrev_i32_e32 v1, 31, v0
	v_and_b32_e32 v10, 0x78, v2
	s_waitcnt lgkmcnt(0)
	v_lshl_add_u64 v[0:1], v[0:1], 1, s[2:3]
	v_lshlrev_b32_e32 v4, 1, v10
	v_mov_b32_e32 v5, 0
	v_lshl_add_u64 v[0:1], v[0:1], 0, v[4:5]
	global_load_dwordx4 v[0:3], v[0:1], off
	s_load_dwordx4 s[8:11], s[0:1], 0x50
	v_ashrrev_i32_e32 v7, 31, v6
	s_mov_b32 s15, 0x800000
	s_mov_b32 s13, 0x3f317217
	;; [unrolled: 1-line block ×3, first 2 shown]
	s_waitcnt lgkmcnt(0)
	v_mov_b32_e32 v12, s8
	v_mov_b32_e32 v13, s9
	v_lshl_add_u64 v[12:13], v[6:7], 2, v[12:13]
	global_load_dword v4, v[12:13], off
	v_mov_b32_e32 v7, 0x4f800000
	v_mov_b32_e32 v9, 0x41b17218
	s_mov_b32 s9, 0x41a00000
	s_mov_b32 s12, 0xf800000
	v_mov_b32_e32 v17, 0x260
	s_cmp_gt_i32 s33, 0
	s_mov_b32 s8, 0
	s_waitcnt vmcnt(1)
	v_and_b32_e32 v11, 0xffff0000, v0
	v_lshlrev_b32_e32 v14, 16, v0
	v_and_b32_e32 v15, 0xffff0000, v1
	v_lshlrev_b32_e32 v16, 16, v1
	v_mul_f32_e32 v0, 0x3fb8aa3b, v14
	v_mul_f32_e32 v1, 0x3fb8aa3b, v11
	v_exp_f32_e32 v0, v0
	v_exp_f32_e32 v1, v1
	v_mul_f32_e32 v12, 0x3fb8aa3b, v16
	v_mul_f32_e32 v13, 0x3fb8aa3b, v15
	v_exp_f32_e32 v12, v12
	v_exp_f32_e32 v13, v13
	v_pk_add_f32 v[0:1], v[0:1], 1.0 op_sel_hi:[1,0]
	s_waitcnt vmcnt(0)
	v_mul_lo_u32 v4, v4, s33
	v_cmp_gt_f32_e32 vcc, s15, v1
	v_pk_add_f32 v[12:13], v[12:13], 1.0 op_sel_hi:[1,0]
	v_cmp_gt_f32_e64 s[2:3], s15, v0
	v_cndmask_b32_e32 v18, 1.0, v7, vcc
	v_cmp_gt_f32_e64 s[4:5], s15, v13
	v_cndmask_b32_e64 v19, 1.0, v7, s[2:3]
	v_mul_f32_e32 v1, v1, v18
	v_cndmask_b32_e64 v20, 1.0, v7, s[4:5]
	v_mul_f32_e32 v0, v0, v19
	v_log_f32_e32 v1, v1
	v_cmp_gt_f32_e64 s[6:7], s15, v12
	v_mul_f32_e32 v13, v13, v20
	v_log_f32_e32 v0, v0
	v_cndmask_b32_e64 v21, 1.0, v7, s[6:7]
	v_log_f32_e32 v13, v13
	v_mul_f32_e32 v12, v12, v21
	v_log_f32_e32 v21, v12
	v_mul_f32_e32 v12, 0x3f317217, v1
	v_mul_f32_e32 v22, 0x3f317217, v0
	v_fma_f32 v12, v1, s13, -v12
	v_mul_f32_e32 v23, 0x3f317217, v13
	v_fma_f32 v22, v0, s13, -v22
	v_fmac_f32_e32 v12, 0x3377d1cf, v1
	v_cndmask_b32_e32 v18, 0, v9, vcc
	v_fma_f32 v23, v13, s13, -v23
	v_fmac_f32_e32 v22, 0x3377d1cf, v0
	v_fmac_f32_e32 v12, 0x3f317217, v1
	v_cmp_lt_f32_e64 vcc, |v1|, s14
	v_fmac_f32_e32 v23, 0x3377d1cf, v13
	v_fmac_f32_e32 v22, 0x3f317217, v0
	v_cndmask_b32_e32 v1, v1, v12, vcc
	v_cmp_lt_f32_e64 vcc, |v0|, s14
	v_cndmask_b32_e64 v19, 0, v9, s[2:3]
	v_fmac_f32_e32 v23, 0x3f317217, v13
	v_cndmask_b32_e32 v0, v0, v22, vcc
	v_cmp_lt_f32_e64 vcc, |v13|, s14
	v_sub_f32_e32 v0, v0, v19
	v_sub_f32_e32 v1, v1, v18
	v_cndmask_b32_e32 v12, v13, v23, vcc
	v_cmp_lt_f32_e32 vcc, s9, v14
	v_cndmask_b32_e64 v20, 0, v9, s[4:5]
	v_mul_f32_e32 v24, 0x3f317217, v21
	v_cndmask_b32_e32 v0, v0, v14, vcc
	v_cmp_lt_f32_e32 vcc, s9, v11
	v_mul_f32_e32 v13, 0x4f800000, v0
	v_cmp_gt_f32_e64 s[2:3], s12, v0
	v_cndmask_b32_e32 v1, v1, v11, vcc
	v_mul_f32_e32 v11, 0x4f800000, v1
	v_cmp_gt_f32_e32 vcc, s12, v1
	v_cndmask_b32_e64 v0, v0, v13, s[2:3]
	v_sqrt_f32_e32 v13, v0
	v_cndmask_b32_e32 v1, v1, v11, vcc
	v_sqrt_f32_e32 v11, v1
	v_sub_f32_e32 v14, v12, v20
	v_add_u32_e32 v19, -1, v13
	v_fma_f32 v25, -v19, v13, v0
	v_add_u32_e32 v12, -1, v11
	v_fma_f32 v22, -v12, v11, v1
	v_add_u32_e32 v18, 1, v11
	v_cmp_ge_f32_e64 s[4:5], 0, v22
	v_add_u32_e32 v20, 1, v13
	v_fma_f32 v23, -v18, v11, v1
	v_cndmask_b32_e64 v11, v11, v12, s[4:5]
	v_cmp_ge_f32_e64 s[4:5], 0, v25
	v_fma_f32 v26, -v20, v13, v0
	v_fma_f32 v24, v21, s13, -v24
	v_cndmask_b32_e64 v12, v13, v19, s[4:5]
	v_cmp_lt_f32_e64 s[4:5], 0, v23
	v_fmac_f32_e32 v24, 0x3377d1cf, v21
	v_fmac_f32_e32 v24, 0x3f317217, v21
	v_cndmask_b32_e64 v11, v11, v18, s[4:5]
	v_cmp_lt_f32_e64 s[4:5], 0, v26
	v_mul_f32_e32 v13, 0x37800000, v11
	v_cndmask_b32_e32 v11, v11, v13, vcc
	v_cndmask_b32_e64 v12, v12, v20, s[4:5]
	v_mul_f32_e32 v18, 0x37800000, v12
	v_cmp_class_f32_e32 vcc, v1, v17
	v_cndmask_b32_e64 v12, v12, v18, s[2:3]
	v_cmp_lt_f32_e64 s[2:3], s9, v16
	v_cndmask_b32_e32 v13, v11, v1, vcc
	v_cmp_class_f32_e32 vcc, v0, v17
	v_cndmask_b32_e64 v1, 0, v9, s[6:7]
	v_and_b32_e32 v19, 0xffff0000, v2
	v_cndmask_b32_e32 v12, v12, v0, vcc
	v_cmp_lt_f32_e64 vcc, |v21|, s14
	v_lshlrev_b32_e32 v2, 16, v2
	s_nop 0
	v_cndmask_b32_e32 v0, v21, v24, vcc
	v_cmp_lt_f32_e32 vcc, s9, v15
	v_sub_f32_e32 v0, v0, v1
	v_cndmask_b32_e64 v0, v0, v16, s[2:3]
	v_cndmask_b32_e32 v11, v14, v15, vcc
	v_mul_f32_e32 v14, 0x4f800000, v11
	v_cmp_gt_f32_e32 vcc, s12, v11
	s_nop 1
	v_cndmask_b32_e32 v11, v11, v14, vcc
	v_sqrt_f32_e32 v14, v11
	s_nop 0
	v_add_u32_e32 v1, -1, v14
	v_fma_f32 v15, -v1, v14, v11
	v_cmp_ge_f32_e64 s[2:3], 0, v15
	v_add_u32_e32 v15, 1, v14
	s_nop 0
	v_cndmask_b32_e64 v1, v14, v1, s[2:3]
	v_fma_f32 v14, -v15, v14, v11
	v_cmp_lt_f32_e64 s[2:3], 0, v14
	s_nop 1
	v_cndmask_b32_e64 v1, v1, v15, s[2:3]
	v_mul_f32_e32 v15, 0x4f800000, v0
	v_cmp_gt_f32_e64 s[2:3], s12, v0
	v_mul_f32_e32 v14, 0x37800000, v1
	v_cndmask_b32_e32 v1, v1, v14, vcc
	v_cndmask_b32_e64 v16, v0, v15, s[2:3]
	v_sqrt_f32_e32 v0, v16
	v_cmp_class_f32_e32 vcc, v11, v17
	v_add_u32_e32 v14, 1, v0
	s_nop 0
	v_cndmask_b32_e32 v15, v1, v11, vcc
	v_add_u32_e32 v1, -1, v0
	v_fma_f32 v11, -v1, v0, v16
	v_cmp_ge_f32_e32 vcc, 0, v11
	v_fma_f32 v18, -v14, v0, v16
	s_nop 0
	v_cndmask_b32_e32 v11, v0, v1, vcc
	v_mul_f32_e32 v0, 0x3fb8aa3b, v2
	v_mul_f32_e32 v1, 0x3fb8aa3b, v19
	v_exp_f32_e32 v0, v0
	v_exp_f32_e32 v1, v1
	v_cmp_lt_f32_e32 vcc, 0, v18
	v_pk_add_f32 v[0:1], v[0:1], 1.0 op_sel_hi:[1,0]
	s_nop 0
	v_cndmask_b32_e32 v11, v11, v14, vcc
	v_mul_f32_e32 v14, 0x37800000, v11
	v_cmp_gt_f32_e32 vcc, s15, v1
	v_cndmask_b32_e64 v11, v11, v14, s[2:3]
	v_cmp_class_f32_e64 s[2:3], v16, v17
	v_cndmask_b32_e32 v14, 1.0, v7, vcc
	v_mul_f32_e32 v1, v1, v14
	v_log_f32_e32 v1, v1
	v_cndmask_b32_e64 v14, v11, v16, s[2:3]
	v_cmp_gt_f32_e64 s[2:3], s15, v0
	scratch_store_dwordx4 off, v[12:15], off
	v_mul_f32_e32 v11, 0x3f317217, v1
	v_fma_f32 v11, v1, s13, -v11
	v_cndmask_b32_e64 v12, 1.0, v7, s[2:3]
	v_mul_f32_e32 v0, v0, v12
	v_log_f32_e32 v0, v0
	v_fmac_f32_e32 v11, 0x3377d1cf, v1
	v_fmac_f32_e32 v11, 0x3f317217, v1
	v_cmp_lt_f32_e64 s[4:5], |v1|, s14
	v_and_b32_e32 v14, 0xffff0000, v3
	v_lshlrev_b32_e32 v15, 16, v3
	v_cndmask_b32_e64 v1, v1, v11, s[4:5]
	v_cndmask_b32_e32 v11, 0, v9, vcc
	v_sub_f32_e32 v1, v1, v11
	v_mul_f32_e32 v11, 0x3f317217, v0
	v_fma_f32 v11, v0, s13, -v11
	v_fmac_f32_e32 v11, 0x3377d1cf, v0
	v_fmac_f32_e32 v11, 0x3f317217, v0
	v_cmp_lt_f32_e64 vcc, |v0|, s14
	v_mul_f32_e32 v3, 0x3fb8aa3b, v14
	v_exp_f32_e32 v3, v3
	v_cndmask_b32_e32 v0, v0, v11, vcc
	v_cmp_lt_f32_e32 vcc, s9, v19
	v_cndmask_b32_e64 v11, 0, v9, s[2:3]
	v_sub_f32_e32 v0, v0, v11
	v_cndmask_b32_e32 v1, v1, v19, vcc
	v_mul_f32_e32 v12, 0x4f800000, v1
	v_cmp_gt_f32_e32 vcc, s12, v1
	v_cmp_lt_f32_e64 s[2:3], s9, v2
	s_nop 0
	v_cndmask_b32_e32 v1, v1, v12, vcc
	v_sqrt_f32_e32 v12, v1
	v_cndmask_b32_e64 v0, v0, v2, s[2:3]
	v_add_u32_e32 v2, -1, v12
	v_fma_f32 v11, -v2, v12, v1
	v_cmp_ge_f32_e64 s[2:3], 0, v11
	v_add_u32_e32 v11, 1, v12
	s_nop 0
	v_cndmask_b32_e64 v2, v12, v2, s[2:3]
	v_fma_f32 v12, -v11, v12, v1
	v_cmp_lt_f32_e64 s[2:3], 0, v12
	v_mul_f32_e32 v12, 0x4f800000, v0
	s_nop 0
	v_cndmask_b32_e64 v2, v2, v11, s[2:3]
	v_cmp_gt_f32_e64 s[2:3], s12, v0
	v_mul_f32_e32 v11, 0x37800000, v2
	v_cndmask_b32_e32 v2, v2, v11, vcc
	v_cndmask_b32_e64 v0, v0, v12, s[2:3]
	v_sqrt_f32_e32 v12, v0
	v_cmp_class_f32_e32 vcc, v1, v17
	v_add_u32_e32 v13, 1, v12
	s_nop 0
	v_cndmask_b32_e32 v1, v2, v1, vcc
	v_add_u32_e32 v2, -1, v12
	v_fma_f32 v11, -v2, v12, v0
	v_cmp_ge_f32_e32 vcc, 0, v11
	s_nop 1
	v_cndmask_b32_e32 v11, v12, v2, vcc
	v_mul_f32_e32 v2, 0x3fb8aa3b, v15
	v_exp_f32_e32 v2, v2
	v_fma_f32 v12, -v13, v12, v0
	v_cmp_lt_f32_e32 vcc, 0, v12
	v_pk_add_f32 v[2:3], v[2:3], 1.0 op_sel_hi:[1,0]
	s_nop 0
	v_cndmask_b32_e32 v11, v11, v13, vcc
	v_cmp_gt_f32_e32 vcc, s15, v3
	v_mul_f32_e32 v12, 0x37800000, v11
	v_cndmask_b32_e64 v11, v11, v12, s[2:3]
	v_cndmask_b32_e32 v13, 1.0, v7, vcc
	v_mul_f32_e32 v3, v3, v13
	v_log_f32_e32 v3, v3
	v_cmp_class_f32_e64 s[2:3], v0, v17
	v_cmp_lt_f32_e64 s[4:5], |v3|, s14
	s_nop 0
	v_cndmask_b32_e64 v0, v11, v0, s[2:3]
	v_cmp_gt_f32_e64 s[2:3], s15, v2
	v_mul_f32_e32 v11, 0x3f317217, v3
	v_fma_f32 v11, v3, s13, -v11
	v_cndmask_b32_e64 v7, 1.0, v7, s[2:3]
	v_mul_f32_e32 v2, v2, v7
	v_log_f32_e32 v2, v2
	v_fmac_f32_e32 v11, 0x3377d1cf, v3
	v_fmac_f32_e32 v11, 0x3f317217, v3
	v_cndmask_b32_e64 v3, v3, v11, s[4:5]
	v_cndmask_b32_e32 v7, 0, v9, vcc
	v_sub_f32_e32 v3, v3, v7
	v_mul_f32_e32 v7, 0x3f317217, v2
	v_fma_f32 v7, v2, s13, -v7
	v_fmac_f32_e32 v7, 0x3377d1cf, v2
	v_fmac_f32_e32 v7, 0x3f317217, v2
	v_cmp_lt_f32_e64 vcc, |v2|, s14
	s_cselect_b64 s[4:5], -1, 0
	s_cmp_lt_i32 s33, 1
	v_cndmask_b32_e32 v2, v2, v7, vcc
	v_cmp_lt_f32_e32 vcc, s9, v14
	v_cndmask_b32_e64 v7, 0, v9, s[2:3]
	v_sub_f32_e32 v2, v2, v7
	v_cndmask_b32_e32 v3, v3, v14, vcc
	v_mul_f32_e32 v9, 0x4f800000, v3
	v_cmp_gt_f32_e32 vcc, s12, v3
	v_cmp_lt_f32_e64 s[2:3], s9, v15
	s_nop 0
	v_cndmask_b32_e32 v3, v3, v9, vcc
	v_sqrt_f32_e32 v9, v3
	v_cndmask_b32_e64 v2, v2, v15, s[2:3]
	v_add_u32_e32 v7, -1, v9
	v_fma_f32 v11, -v7, v9, v3
	v_cmp_ge_f32_e64 s[2:3], 0, v11
	v_add_u32_e32 v11, 1, v9
	s_nop 0
	v_cndmask_b32_e64 v7, v9, v7, s[2:3]
	v_fma_f32 v9, -v11, v9, v3
	v_cmp_lt_f32_e64 s[2:3], 0, v9
	s_nop 1
	v_cndmask_b32_e64 v7, v7, v11, s[2:3]
	v_mul_f32_e32 v11, 0x4f800000, v2
	v_cmp_gt_f32_e64 s[2:3], s12, v2
	v_mul_f32_e32 v9, 0x37800000, v7
	v_cndmask_b32_e32 v7, v7, v9, vcc
	v_cndmask_b32_e64 v2, v2, v11, s[2:3]
	v_sqrt_f32_e32 v11, v2
	v_cmp_class_f32_e32 vcc, v3, v17
	s_nop 1
	v_cndmask_b32_e32 v3, v7, v3, vcc
	v_add_u32_e32 v7, -1, v11
	v_fma_f32 v9, -v7, v11, v2
	v_cmp_ge_f32_e32 vcc, 0, v9
	v_add_u32_e32 v9, 1, v11
	s_nop 0
	v_cndmask_b32_e32 v7, v11, v7, vcc
	v_fma_f32 v11, -v9, v11, v2
	v_cmp_lt_f32_e32 vcc, 0, v11
	s_nop 1
	v_cndmask_b32_e32 v7, v7, v9, vcc
	v_mul_f32_e32 v9, 0x37800000, v7
	v_cndmask_b32_e64 v7, v7, v9, s[2:3]
	v_cmp_class_f32_e32 vcc, v2, v17
	s_nop 1
	v_cndmask_b32_e32 v2, v7, v2, vcc
	scratch_store_dwordx4 off, v[0:3], off offset:16
	s_nop 1
	v_lshl_add_u64 v[2:3], v[4:5], 2, s[10:11]
	v_mul_lo_u32 v0, v6, s33
	s_cbranch_scc1 .LBB450_29
; %bb.2:
	s_load_dwordx2 s[6:7], s[0:1], 0x20
	s_cmp_lt_u32 s33, 4
	v_and_b32_e32 v4, 15, v8
	s_cbranch_scc1 .LBB450_21
; %bb.3:
	v_lshlrev_b32_e32 v5, 3, v4
	s_mov_b32 s11, 0
	s_and_b32 s8, s33, 0x7ffffffc
	v_ashrrev_i32_e32 v1, 31, v0
	v_sub_u32_e32 v11, 0, v5
	v_mov_b32_e32 v5, 0
	s_mov_b32 s10, s11
	s_branch .LBB450_5
.LBB450_4:                              ;   in Loop: Header=BB450_5 Depth=1
	s_or_b64 exec, exec, s[12:13]
	s_add_i32 s10, s10, 4
	s_cmp_eq_u32 s10, s8
	s_cbranch_scc1 .LBB450_22
.LBB450_5:                              ; =>This Loop Header: Depth=1
                                        ;     Child Loop BB450_7 Depth 2
                                        ;     Child Loop BB450_11 Depth 2
                                        ;     Child Loop BB450_15 Depth 2
                                        ;     Child Loop BB450_19 Depth 2
	v_lshl_add_u64 v[6:7], s[10:11], 2, v[2:3]
	global_load_dword v12, v[6:7], off
	v_add_u32_e32 v8, s10, v0
	v_ashrrev_i32_e32 v9, 31, v8
	v_mov_b32_e32 v13, 0
	s_mov_b64 s[12:13], 0
	s_waitcnt lgkmcnt(0)
	v_lshl_add_u64 v[8:9], v[8:9], 2, s[6:7]
	s_mov_b32 s9, 0
	s_waitcnt vmcnt(0)
	v_add_u32_e32 v14, v11, v12
	s_branch .LBB450_7
.LBB450_6:                              ;   in Loop: Header=BB450_7 Depth=2
	s_or_b64 exec, exec, s[14:15]
	s_add_i32 s16, s9, 1
	s_cmp_gt_u32 s9, 6
	s_cselect_b64 s[2:3], -1, 0
	s_xor_b64 s[14:15], vcc, -1
	s_or_b64 s[2:3], s[14:15], s[2:3]
	s_and_b64 s[2:3], exec, s[2:3]
	v_add_u32_e32 v13, 4, v13
	s_or_b64 s[12:13], s[2:3], s[12:13]
	s_mov_b32 s9, s16
	s_andn2_b64 exec, exec, s[12:13]
	s_cbranch_execz .LBB450_9
.LBB450_7:                              ;   Parent Loop BB450_5 Depth=1
                                        ; =>  This Inner Loop Header: Depth=2
	v_cmp_ne_u32_e32 vcc, s9, v14
	v_cmp_eq_u32_e64 s[2:3], s9, v14
	s_and_saveexec_b64 s[14:15], s[2:3]
	s_cbranch_execz .LBB450_6
; %bb.8:                                ;   in Loop: Header=BB450_7 Depth=2
	scratch_load_dword v15, v13, off
	s_waitcnt vmcnt(0)
	v_add_f32_e32 v5, v5, v15
	global_store_dword v[8:9], v12, off
	s_branch .LBB450_6
.LBB450_9:                              ;   in Loop: Header=BB450_5 Depth=1
	s_or_b64 exec, exec, s[12:13]
	global_load_dword v12, v[6:7], off offset:4
	s_ashr_i32 s3, s10, 31
	s_mov_b32 s2, s10
	v_lshl_add_u64 v[8:9], s[2:3], 0, v[0:1]
	v_mov_b32_e32 v13, 0
	s_mov_b32 s9, 0
	v_lshl_add_u64 v[8:9], v[8:9], 2, s[6:7]
	s_mov_b64 s[12:13], 0
	s_waitcnt vmcnt(0)
	v_add_u32_e32 v14, v11, v12
	s_branch .LBB450_11
.LBB450_10:                             ;   in Loop: Header=BB450_11 Depth=2
	s_or_b64 exec, exec, s[14:15]
	s_add_i32 s16, s9, 1
	s_cmp_gt_u32 s9, 6
	s_cselect_b64 s[2:3], -1, 0
	s_xor_b64 s[14:15], vcc, -1
	s_or_b64 s[2:3], s[14:15], s[2:3]
	s_and_b64 s[2:3], exec, s[2:3]
	v_add_u32_e32 v13, 4, v13
	s_or_b64 s[12:13], s[2:3], s[12:13]
	s_mov_b32 s9, s16
	s_andn2_b64 exec, exec, s[12:13]
	s_cbranch_execz .LBB450_13
.LBB450_11:                             ;   Parent Loop BB450_5 Depth=1
                                        ; =>  This Inner Loop Header: Depth=2
	v_cmp_ne_u32_e32 vcc, s9, v14
	v_cmp_eq_u32_e64 s[2:3], s9, v14
	s_and_saveexec_b64 s[14:15], s[2:3]
	s_cbranch_execz .LBB450_10
; %bb.12:                               ;   in Loop: Header=BB450_11 Depth=2
	scratch_load_dword v15, v13, off
	s_waitcnt vmcnt(0)
	v_add_f32_e32 v5, v5, v15
	global_store_dword v[8:9], v12, off offset:4
	s_branch .LBB450_10
.LBB450_13:                             ;   in Loop: Header=BB450_5 Depth=1
	s_or_b64 exec, exec, s[12:13]
	global_load_dword v12, v[6:7], off offset:8
	v_mov_b32_e32 v13, 0
	s_mov_b32 s9, 0
	s_mov_b64 s[12:13], 0
	s_waitcnt vmcnt(0)
	v_add_u32_e32 v14, v11, v12
	s_branch .LBB450_15
.LBB450_14:                             ;   in Loop: Header=BB450_15 Depth=2
	s_or_b64 exec, exec, s[14:15]
	s_add_i32 s16, s9, 1
	s_cmp_gt_u32 s9, 6
	s_cselect_b64 s[2:3], -1, 0
	s_xor_b64 s[14:15], vcc, -1
	s_or_b64 s[2:3], s[14:15], s[2:3]
	s_and_b64 s[2:3], exec, s[2:3]
	v_add_u32_e32 v13, 4, v13
	s_or_b64 s[12:13], s[2:3], s[12:13]
	s_mov_b32 s9, s16
	s_andn2_b64 exec, exec, s[12:13]
	s_cbranch_execz .LBB450_17
.LBB450_15:                             ;   Parent Loop BB450_5 Depth=1
                                        ; =>  This Inner Loop Header: Depth=2
	v_cmp_ne_u32_e32 vcc, s9, v14
	v_cmp_eq_u32_e64 s[2:3], s9, v14
	s_and_saveexec_b64 s[14:15], s[2:3]
	s_cbranch_execz .LBB450_14
; %bb.16:                               ;   in Loop: Header=BB450_15 Depth=2
	scratch_load_dword v15, v13, off
	s_waitcnt vmcnt(0)
	v_add_f32_e32 v5, v5, v15
	global_store_dword v[8:9], v12, off offset:8
	s_branch .LBB450_14
.LBB450_17:                             ;   in Loop: Header=BB450_5 Depth=1
	s_or_b64 exec, exec, s[12:13]
	global_load_dword v6, v[6:7], off offset:12
	v_mov_b32_e32 v7, 0
	s_mov_b32 s9, 0
	s_mov_b64 s[12:13], 0
	s_waitcnt vmcnt(0)
	v_add_u32_e32 v12, v11, v6
	s_branch .LBB450_19
.LBB450_18:                             ;   in Loop: Header=BB450_19 Depth=2
	s_or_b64 exec, exec, s[14:15]
	s_add_i32 s16, s9, 1
	s_cmp_gt_u32 s9, 6
	s_cselect_b64 s[2:3], -1, 0
	s_xor_b64 s[14:15], vcc, -1
	s_or_b64 s[2:3], s[14:15], s[2:3]
	s_and_b64 s[2:3], exec, s[2:3]
	v_add_u32_e32 v7, 4, v7
	s_or_b64 s[12:13], s[2:3], s[12:13]
	s_mov_b32 s9, s16
	s_andn2_b64 exec, exec, s[12:13]
	s_cbranch_execz .LBB450_4
.LBB450_19:                             ;   Parent Loop BB450_5 Depth=1
                                        ; =>  This Inner Loop Header: Depth=2
	v_cmp_ne_u32_e32 vcc, s9, v12
	v_cmp_eq_u32_e64 s[2:3], s9, v12
	s_and_saveexec_b64 s[14:15], s[2:3]
	s_cbranch_execz .LBB450_18
; %bb.20:                               ;   in Loop: Header=BB450_19 Depth=2
	scratch_load_dword v13, v7, off
	s_waitcnt vmcnt(0)
	v_add_f32_e32 v5, v5, v13
	global_store_dword v[8:9], v6, off offset:12
	s_branch .LBB450_18
.LBB450_21:
	v_mov_b32_e32 v5, 0
.LBB450_22:
	s_and_b32 s14, s33, 3
	s_cmp_eq_u32 s14, 0
	s_mov_b32 s9, 0
	s_cbranch_scc1 .LBB450_29
; %bb.23:
	v_lshlrev_b32_e32 v1, 3, v4
	v_sub_u32_e32 v1, 0, v1
	s_mov_b32 s15, s9
	s_branch .LBB450_25
.LBB450_24:                             ;   in Loop: Header=BB450_25 Depth=1
	s_or_b64 exec, exec, s[10:11]
	s_add_i32 s8, s8, 1
	s_add_i32 s15, s15, 1
	s_cmp_lg_u32 s15, s14
	s_cbranch_scc0 .LBB450_29
.LBB450_25:                             ; =>This Loop Header: Depth=1
                                        ;     Child Loop BB450_27 Depth 2
	v_lshl_add_u64 v[6:7], s[8:9], 2, v[2:3]
	global_load_dword v4, v[6:7], off
	v_add_u32_e32 v6, s8, v0
	v_ashrrev_i32_e32 v7, 31, v6
	v_mov_b32_e32 v8, 0
	s_mov_b32 s16, 0
	s_waitcnt lgkmcnt(0)
	v_lshl_add_u64 v[6:7], v[6:7], 2, s[6:7]
	s_mov_b64 s[10:11], 0
	s_waitcnt vmcnt(0)
	v_add_u32_e32 v9, v1, v4
	s_branch .LBB450_27
.LBB450_26:                             ;   in Loop: Header=BB450_27 Depth=2
	s_or_b64 exec, exec, s[12:13]
	s_add_i32 s17, s16, 1
	s_cmp_gt_u32 s16, 6
	s_cselect_b64 s[2:3], -1, 0
	s_xor_b64 s[12:13], vcc, -1
	s_or_b64 s[2:3], s[12:13], s[2:3]
	s_and_b64 s[2:3], exec, s[2:3]
	v_add_u32_e32 v8, 4, v8
	s_or_b64 s[10:11], s[2:3], s[10:11]
	s_mov_b32 s16, s17
	s_andn2_b64 exec, exec, s[10:11]
	s_cbranch_execz .LBB450_24
.LBB450_27:                             ;   Parent Loop BB450_25 Depth=1
                                        ; =>  This Inner Loop Header: Depth=2
	v_cmp_ne_u32_e32 vcc, s16, v9
	v_cmp_eq_u32_e64 s[2:3], s16, v9
	s_and_saveexec_b64 s[12:13], s[2:3]
	s_cbranch_execz .LBB450_26
; %bb.28:                               ;   in Loop: Header=BB450_27 Depth=2
	scratch_load_dword v11, v8, off
	s_waitcnt vmcnt(0)
	v_add_f32_e32 v5, v5, v11
	global_store_dword v[6:7], v4, off
	s_branch .LBB450_26
.LBB450_29:
	s_waitcnt lgkmcnt(0)
	s_load_dword s6, s[0:1], 0x3c
	s_waitcnt lgkmcnt(0)
	s_bitcmp1_b32 s6, 0
	s_cselect_b64 s[2:3], -1, 0
	s_bitcmp0_b32 s6, 0
	s_cbranch_scc0 .LBB450_33
; %bb.30:
	s_load_dwordx2 s[6:7], s[0:1], 0x40
	s_andn2_b64 vcc, exec, s[2:3]
	s_waitcnt lgkmcnt(0)
	v_cvt_f32_f64_e32 v8, s[6:7]
	s_cbranch_vccz .LBB450_34
.LBB450_31:
	s_andn2_b64 vcc, exec, s[4:5]
	s_cbranch_vccz .LBB450_35
.LBB450_32:
	s_endpgm
.LBB450_33:
	v_mbcnt_lo_u32_b32 v1, -1, 0
	v_mbcnt_hi_u32_b32 v1, -1, v1
	v_and_b32_e32 v4, 0x70, v1
	v_add_u32_e32 v4, 16, v4
	v_xor_b32_e32 v6, 8, v1
	v_cmp_lt_i32_e32 vcc, v6, v4
	v_xor_b32_e32 v7, 4, v1
	s_nop 0
	v_cndmask_b32_e32 v6, v1, v6, vcc
	v_lshlrev_b32_e32 v6, 2, v6
	ds_bpermute_b32 v6, v6, v5
	v_cmp_lt_i32_e32 vcc, v7, v4
	s_waitcnt lgkmcnt(0)
	v_add_f32_e32 v5, v5, v6
	v_cndmask_b32_e32 v6, v1, v7, vcc
	v_lshlrev_b32_e32 v6, 2, v6
	ds_bpermute_b32 v6, v6, v5
	v_xor_b32_e32 v7, 2, v1
	v_cmp_lt_i32_e32 vcc, v7, v4
	s_waitcnt lgkmcnt(0)
	v_add_f32_e32 v5, v5, v6
	v_cndmask_b32_e32 v6, v1, v7, vcc
	v_lshlrev_b32_e32 v6, 2, v6
	ds_bpermute_b32 v6, v6, v5
	v_xor_b32_e32 v7, 1, v1
	v_cmp_lt_i32_e32 vcc, v7, v4
	s_waitcnt lgkmcnt(0)
	v_add_f32_e32 v5, v5, v6
	v_cndmask_b32_e32 v1, v1, v7, vcc
	v_lshlrev_b32_e32 v1, 2, v1
	ds_bpermute_b32 v1, v1, v5
	s_waitcnt lgkmcnt(0)
	v_add_f32_e32 v5, v5, v1
	s_load_dwordx2 s[6:7], s[0:1], 0x40
	s_andn2_b64 vcc, exec, s[2:3]
	s_waitcnt lgkmcnt(0)
	v_cvt_f32_f64_e32 v8, s[6:7]
	s_cbranch_vccnz .LBB450_31
.LBB450_34:
	v_cmp_lt_f32_e32 vcc, 0, v5
	s_nop 1
	v_cndmask_b32_e32 v1, 1.0, v5, vcc
	v_div_scale_f32 v4, s[2:3], v1, v1, v8
	v_rcp_f32_e32 v5, v4
	s_nop 0
	v_fma_f32 v6, -v4, v5, 1.0
	v_fmac_f32_e32 v5, v6, v5
	v_div_scale_f32 v6, vcc, v8, v1, v8
	v_mul_f32_e32 v7, v6, v5
	v_fma_f32 v9, -v4, v7, v6
	v_fmac_f32_e32 v7, v9, v5
	v_fma_f32 v4, -v4, v7, v6
	v_div_fmas_f32 v4, v4, v5, v7
	v_div_fixup_f32 v8, v4, v1, v8
	s_andn2_b64 vcc, exec, s[4:5]
	s_cbranch_vccnz .LBB450_32
.LBB450_35:
	s_load_dwordx2 s[12:13], s[0:1], 0x10
	v_mov_b32_e32 v1, 0
	v_or_b32_e32 v20, 4, v1
	v_or_b32_e32 v18, 8, v1
	v_or_b32_e32 v16, 12, v1
	v_add_u32_e32 v14, 16, v1
	v_add_u32_e32 v12, 20, v1
	;; [unrolled: 1-line block ×4, first 2 shown]
	v_or_b32_e32 v23, 1, v10
	v_or_b32_e32 v22, 2, v10
	;; [unrolled: 1-line block ×7, first 2 shown]
	s_cmp_eq_u32 s33, 1
	s_mov_b32 s14, 0
	s_cbranch_scc1 .LBB450_70
; %bb.36:
	v_ashrrev_i32_e32 v1, 31, v0
	s_waitcnt lgkmcnt(0)
	v_lshl_add_u64 v[4:5], v[0:1], 2, s[12:13]
	s_and_b32 s14, s33, 0x7ffffffe
	v_lshl_add_u64 v[4:5], v[4:5], 0, 4
	v_lshl_add_u64 v[6:7], v[2:3], 0, 4
	s_mov_b32 s15, 0
	s_branch .LBB450_38
.LBB450_37:                             ;   in Loop: Header=BB450_38 Depth=1
	s_or_b64 exec, exec, s[0:1]
	s_add_i32 s15, s15, 2
	v_lshl_add_u64 v[4:5], v[4:5], 0, 8
	s_cmp_eq_u32 s14, s15
	v_lshl_add_u64 v[6:7], v[6:7], 0, 8
	s_cbranch_scc1 .LBB450_70
.LBB450_38:                             ; =>This Inner Loop Header: Depth=1
	global_load_dword v24, v[6:7], off offset:-4
	v_mov_b32_e32 v1, 0
	s_waitcnt vmcnt(0)
	v_cmp_eq_u32_e32 vcc, v24, v10
	v_cmp_ne_u32_e64 s[0:1], v24, v10
	s_and_saveexec_b64 s[16:17], s[0:1]
	s_cbranch_execz .LBB450_52
; %bb.39:                               ;   in Loop: Header=BB450_38 Depth=1
	v_cmp_eq_u32_e64 s[0:1], v24, v23
	v_cmp_ne_u32_e64 s[2:3], v24, v23
	v_mov_b32_e32 v1, v20
	s_and_saveexec_b64 s[18:19], s[2:3]
	s_cbranch_execz .LBB450_51
; %bb.40:                               ;   in Loop: Header=BB450_38 Depth=1
	v_cmp_eq_u32_e64 s[2:3], v24, v22
	v_cmp_ne_u32_e64 s[4:5], v24, v22
	v_mov_b32_e32 v1, v18
	;; [unrolled: 6-line block ×6, first 2 shown]
	s_and_saveexec_b64 s[30:31], s[10:11]
	s_xor_b64 s[30:31], exec, s[30:31]
; %bb.45:                               ;   in Loop: Header=BB450_38 Depth=1
	v_cmp_eq_u32_e64 s[10:11], v24, v13
	s_andn2_b64 s[28:29], s[28:29], exec
	s_and_b64 s[10:11], s[10:11], exec
	s_or_b64 s[28:29], s[28:29], s[10:11]
	v_mov_b32_e32 v1, v11
; %bb.46:                               ;   in Loop: Header=BB450_38 Depth=1
	s_or_b64 exec, exec, s[30:31]
	s_andn2_b64 s[8:9], s[8:9], exec
	s_and_b64 s[10:11], s[28:29], exec
	s_or_b64 s[8:9], s[8:9], s[10:11]
.LBB450_47:                             ;   in Loop: Header=BB450_38 Depth=1
	s_or_b64 exec, exec, s[26:27]
	s_andn2_b64 s[6:7], s[6:7], exec
	s_and_b64 s[8:9], s[8:9], exec
	s_or_b64 s[6:7], s[6:7], s[8:9]
.LBB450_48:                             ;   in Loop: Header=BB450_38 Depth=1
	s_or_b64 exec, exec, s[24:25]
	s_andn2_b64 s[4:5], s[4:5], exec
	s_and_b64 s[6:7], s[6:7], exec
	s_or_b64 s[4:5], s[4:5], s[6:7]
.LBB450_49:                             ;   in Loop: Header=BB450_38 Depth=1
	s_or_b64 exec, exec, s[22:23]
	s_andn2_b64 s[2:3], s[2:3], exec
	s_and_b64 s[4:5], s[4:5], exec
	s_or_b64 s[2:3], s[2:3], s[4:5]
.LBB450_50:                             ;   in Loop: Header=BB450_38 Depth=1
	s_or_b64 exec, exec, s[20:21]
	s_andn2_b64 s[0:1], s[0:1], exec
	s_and_b64 s[2:3], s[2:3], exec
	s_or_b64 s[0:1], s[0:1], s[2:3]
.LBB450_51:                             ;   in Loop: Header=BB450_38 Depth=1
	s_or_b64 exec, exec, s[18:19]
	s_andn2_b64 s[2:3], vcc, exec
	s_and_b64 s[0:1], s[0:1], exec
	s_or_b64 vcc, s[2:3], s[0:1]
.LBB450_52:                             ;   in Loop: Header=BB450_38 Depth=1
	s_or_b64 exec, exec, s[16:17]
	s_and_saveexec_b64 s[0:1], vcc
	s_cbranch_execz .LBB450_54
; %bb.53:                               ;   in Loop: Header=BB450_38 Depth=1
	scratch_load_dword v1, v1, off
	v_add_u32_e32 v24, s15, v0
	v_ashrrev_i32_e32 v25, 31, v24
	v_lshl_add_u64 v[24:25], v[24:25], 2, s[12:13]
	s_waitcnt vmcnt(0)
	v_mul_f32_e32 v1, v8, v1
	global_store_dword v[24:25], v1, off
.LBB450_54:                             ;   in Loop: Header=BB450_38 Depth=1
	s_or_b64 exec, exec, s[0:1]
	global_load_dword v24, v[6:7], off
	v_mov_b32_e32 v1, 0
	s_waitcnt vmcnt(0)
	v_cmp_eq_u32_e64 s[8:9], v24, v10
	v_cmp_ne_u32_e32 vcc, v24, v10
	s_and_saveexec_b64 s[10:11], vcc
	s_cbranch_execz .LBB450_68
; %bb.55:                               ;   in Loop: Header=BB450_38 Depth=1
	v_cmp_eq_u32_e32 vcc, v24, v23
	v_cmp_ne_u32_e64 s[0:1], v24, v23
	v_mov_b32_e32 v1, v20
	s_and_saveexec_b64 s[16:17], s[0:1]
	s_cbranch_execz .LBB450_67
; %bb.56:                               ;   in Loop: Header=BB450_38 Depth=1
	v_cmp_eq_u32_e64 s[0:1], v24, v22
	v_cmp_ne_u32_e64 s[2:3], v24, v22
	v_mov_b32_e32 v1, v18
	s_and_saveexec_b64 s[18:19], s[2:3]
	s_cbranch_execz .LBB450_66
; %bb.57:                               ;   in Loop: Header=BB450_38 Depth=1
	v_cmp_eq_u32_e64 s[2:3], v24, v21
	;; [unrolled: 6-line block ×5, first 2 shown]
	v_cmp_ne_u32_e64 s[6:7], v24, v15
	v_mov_b32_e32 v1, v9
	s_and_saveexec_b64 s[30:31], s[6:7]
; %bb.61:                               ;   in Loop: Header=BB450_38 Depth=1
	v_cmp_eq_u32_e64 s[6:7], v24, v13
	s_andn2_b64 s[28:29], s[28:29], exec
	s_and_b64 s[6:7], s[6:7], exec
	s_or_b64 s[28:29], s[28:29], s[6:7]
	v_mov_b32_e32 v1, v11
; %bb.62:                               ;   in Loop: Header=BB450_38 Depth=1
	s_or_b64 exec, exec, s[30:31]
	s_andn2_b64 s[6:7], s[24:25], exec
	s_and_b64 s[24:25], s[28:29], exec
	s_or_b64 s[24:25], s[6:7], s[24:25]
.LBB450_63:                             ;   in Loop: Header=BB450_38 Depth=1
	s_or_b64 exec, exec, s[26:27]
	s_andn2_b64 s[4:5], s[4:5], exec
	s_and_b64 s[6:7], s[24:25], exec
	s_or_b64 s[4:5], s[4:5], s[6:7]
.LBB450_64:                             ;   in Loop: Header=BB450_38 Depth=1
	s_or_b64 exec, exec, s[22:23]
	s_andn2_b64 s[2:3], s[2:3], exec
	s_and_b64 s[4:5], s[4:5], exec
	s_or_b64 s[2:3], s[2:3], s[4:5]
.LBB450_65:                             ;   in Loop: Header=BB450_38 Depth=1
	s_or_b64 exec, exec, s[20:21]
	s_andn2_b64 s[0:1], s[0:1], exec
	s_and_b64 s[2:3], s[2:3], exec
	s_or_b64 s[0:1], s[0:1], s[2:3]
.LBB450_66:                             ;   in Loop: Header=BB450_38 Depth=1
	s_or_b64 exec, exec, s[18:19]
	s_andn2_b64 s[2:3], vcc, exec
	s_and_b64 s[0:1], s[0:1], exec
	s_or_b64 vcc, s[2:3], s[0:1]
.LBB450_67:                             ;   in Loop: Header=BB450_38 Depth=1
	s_or_b64 exec, exec, s[16:17]
	s_andn2_b64 s[0:1], s[8:9], exec
	s_and_b64 s[2:3], vcc, exec
	s_or_b64 s[8:9], s[0:1], s[2:3]
.LBB450_68:                             ;   in Loop: Header=BB450_38 Depth=1
	s_or_b64 exec, exec, s[10:11]
	s_and_saveexec_b64 s[0:1], s[8:9]
	s_cbranch_execz .LBB450_37
; %bb.69:                               ;   in Loop: Header=BB450_38 Depth=1
	scratch_load_dword v1, v1, off
	s_waitcnt vmcnt(0)
	v_mul_f32_e32 v1, v8, v1
	global_store_dword v[4:5], v1, off
	s_branch .LBB450_37
.LBB450_70:
	s_bitcmp0_b32 s33, 0
	s_mov_b32 s15, 0
	s_cbranch_scc1 .LBB450_32
; %bb.71:
	v_lshl_add_u64 v[2:3], s[14:15], 2, v[2:3]
	global_load_dword v1, v[2:3], off
	v_mov_b32_e32 v2, 0
	s_waitcnt vmcnt(0)
	v_cmp_eq_u32_e64 s[8:9], v1, v10
	v_cmp_ne_u32_e32 vcc, v1, v10
	s_and_saveexec_b64 s[10:11], vcc
	s_cbranch_execz .LBB450_85
; %bb.72:
	v_cmp_eq_u32_e32 vcc, v1, v23
	v_cmp_ne_u32_e64 s[0:1], v1, v23
	s_and_saveexec_b64 s[16:17], s[0:1]
	s_cbranch_execz .LBB450_84
; %bb.73:
	v_cmp_eq_u32_e64 s[0:1], v1, v22
	v_cmp_ne_u32_e64 s[2:3], v1, v22
	s_and_saveexec_b64 s[18:19], s[2:3]
	s_cbranch_execz .LBB450_83
; %bb.74:
	v_cmp_eq_u32_e64 s[2:3], v1, v21
	;; [unrolled: 5-line block ×5, first 2 shown]
	v_cmp_ne_u32_e64 s[6:7], v1, v15
	s_and_saveexec_b64 s[30:31], s[6:7]
; %bb.78:
	v_cmp_eq_u32_e64 s[6:7], v1, v13
	s_andn2_b64 s[28:29], s[28:29], exec
	s_and_b64 s[6:7], s[6:7], exec
	s_or_b64 s[28:29], s[28:29], s[6:7]
	v_mov_b32_e32 v9, v11
; %bb.79:
	s_or_b64 exec, exec, s[30:31]
	s_andn2_b64 s[6:7], s[24:25], exec
	s_and_b64 s[24:25], s[28:29], exec
	s_or_b64 s[24:25], s[6:7], s[24:25]
	v_mov_b32_e32 v12, v9
.LBB450_80:
	s_or_b64 exec, exec, s[26:27]
	s_andn2_b64 s[4:5], s[4:5], exec
	s_and_b64 s[6:7], s[24:25], exec
	s_or_b64 s[4:5], s[4:5], s[6:7]
	v_mov_b32_e32 v14, v12
.LBB450_81:
	s_or_b64 exec, exec, s[22:23]
	s_andn2_b64 s[2:3], s[2:3], exec
	s_and_b64 s[4:5], s[4:5], exec
	s_or_b64 s[2:3], s[2:3], s[4:5]
	v_mov_b32_e32 v16, v14
.LBB450_82:
	s_or_b64 exec, exec, s[20:21]
	s_andn2_b64 s[0:1], s[0:1], exec
	s_and_b64 s[2:3], s[2:3], exec
	s_or_b64 s[0:1], s[0:1], s[2:3]
	v_mov_b32_e32 v18, v16
.LBB450_83:
	s_or_b64 exec, exec, s[18:19]
	s_andn2_b64 s[2:3], vcc, exec
	s_and_b64 s[0:1], s[0:1], exec
	s_or_b64 vcc, s[2:3], s[0:1]
	v_mov_b32_e32 v20, v18
.LBB450_84:
	s_or_b64 exec, exec, s[16:17]
	s_andn2_b64 s[0:1], s[8:9], exec
	s_and_b64 s[2:3], vcc, exec
	s_or_b64 s[8:9], s[0:1], s[2:3]
	v_mov_b32_e32 v2, v20
.LBB450_85:
	s_or_b64 exec, exec, s[10:11]
	s_and_b64 exec, exec, s[8:9]
	s_cbranch_execz .LBB450_32
; %bb.86:
	scratch_load_dword v2, v2, off
	v_add_u32_e32 v0, s14, v0
	v_ashrrev_i32_e32 v1, 31, v0
	s_waitcnt lgkmcnt(0)
	v_lshl_add_u64 v[0:1], v[0:1], 2, s[12:13]
	s_waitcnt vmcnt(0)
	v_mul_f32_e32 v2, v8, v2
	global_store_dword v[0:1], v2, off
	s_endpgm
	.section	.rodata,"a",@progbits
	.p2align	6, 0x0
	.amdhsa_kernel _ZN4vllm3moe22topkGatingSoftplusSqrtILi8ELi128ELi4ELi16ELi32ELb1Ej14__hip_bfloat16EEvPKT6_PKbPfiPT5_PiiiibdPKfPKS9_SF_
		.amdhsa_group_segment_fixed_size 0
		.amdhsa_private_segment_fixed_size 48
		.amdhsa_kernarg_size 96
		.amdhsa_user_sgpr_count 2
		.amdhsa_user_sgpr_dispatch_ptr 0
		.amdhsa_user_sgpr_queue_ptr 0
		.amdhsa_user_sgpr_kernarg_segment_ptr 1
		.amdhsa_user_sgpr_dispatch_id 0
		.amdhsa_user_sgpr_kernarg_preload_length 0
		.amdhsa_user_sgpr_kernarg_preload_offset 0
		.amdhsa_user_sgpr_private_segment_size 0
		.amdhsa_uses_dynamic_stack 0
		.amdhsa_enable_private_segment 1
		.amdhsa_system_sgpr_workgroup_id_x 1
		.amdhsa_system_sgpr_workgroup_id_y 0
		.amdhsa_system_sgpr_workgroup_id_z 0
		.amdhsa_system_sgpr_workgroup_info 0
		.amdhsa_system_vgpr_workitem_id 1
		.amdhsa_next_free_vgpr 27
		.amdhsa_next_free_sgpr 34
		.amdhsa_accum_offset 28
		.amdhsa_reserve_vcc 1
		.amdhsa_float_round_mode_32 0
		.amdhsa_float_round_mode_16_64 0
		.amdhsa_float_denorm_mode_32 3
		.amdhsa_float_denorm_mode_16_64 3
		.amdhsa_dx10_clamp 1
		.amdhsa_ieee_mode 1
		.amdhsa_fp16_overflow 0
		.amdhsa_tg_split 0
		.amdhsa_exception_fp_ieee_invalid_op 0
		.amdhsa_exception_fp_denorm_src 0
		.amdhsa_exception_fp_ieee_div_zero 0
		.amdhsa_exception_fp_ieee_overflow 0
		.amdhsa_exception_fp_ieee_underflow 0
		.amdhsa_exception_fp_ieee_inexact 0
		.amdhsa_exception_int_div_zero 0
	.end_amdhsa_kernel
	.section	.text._ZN4vllm3moe22topkGatingSoftplusSqrtILi8ELi128ELi4ELi16ELi32ELb1Ej14__hip_bfloat16EEvPKT6_PKbPfiPT5_PiiiibdPKfPKS9_SF_,"axG",@progbits,_ZN4vllm3moe22topkGatingSoftplusSqrtILi8ELi128ELi4ELi16ELi32ELb1Ej14__hip_bfloat16EEvPKT6_PKbPfiPT5_PiiiibdPKfPKS9_SF_,comdat
.Lfunc_end450:
	.size	_ZN4vllm3moe22topkGatingSoftplusSqrtILi8ELi128ELi4ELi16ELi32ELb1Ej14__hip_bfloat16EEvPKT6_PKbPfiPT5_PiiiibdPKfPKS9_SF_, .Lfunc_end450-_ZN4vllm3moe22topkGatingSoftplusSqrtILi8ELi128ELi4ELi16ELi32ELb1Ej14__hip_bfloat16EEvPKT6_PKbPfiPT5_PiiiibdPKfPKS9_SF_
                                        ; -- End function
	.section	.AMDGPU.csdata,"",@progbits
; Kernel info:
; codeLenInByte = 4556
; NumSgprs: 40
; NumVgprs: 27
; NumAgprs: 0
; TotalNumVgprs: 27
; ScratchSize: 48
; MemoryBound: 0
; FloatMode: 240
; IeeeMode: 1
; LDSByteSize: 0 bytes/workgroup (compile time only)
; SGPRBlocks: 4
; VGPRBlocks: 3
; NumSGPRsForWavesPerEU: 40
; NumVGPRsForWavesPerEU: 27
; AccumOffset: 28
; Occupancy: 8
; WaveLimiterHint : 1
; COMPUTE_PGM_RSRC2:SCRATCH_EN: 1
; COMPUTE_PGM_RSRC2:USER_SGPR: 2
; COMPUTE_PGM_RSRC2:TRAP_HANDLER: 0
; COMPUTE_PGM_RSRC2:TGID_X_EN: 1
; COMPUTE_PGM_RSRC2:TGID_Y_EN: 0
; COMPUTE_PGM_RSRC2:TGID_Z_EN: 0
; COMPUTE_PGM_RSRC2:TIDIG_COMP_CNT: 1
; COMPUTE_PGM_RSRC3_GFX90A:ACCUM_OFFSET: 6
; COMPUTE_PGM_RSRC3_GFX90A:TG_SPLIT: 0
	.section	.text._ZN4vllm3moe22topkGatingSoftplusSqrtILi8ELi128ELi4ELi16ELi32ELb0Ej14__hip_bfloat16EEvPKT6_PKbPfiPT5_PiiiibdPKfPKS9_SF_,"axG",@progbits,_ZN4vllm3moe22topkGatingSoftplusSqrtILi8ELi128ELi4ELi16ELi32ELb0Ej14__hip_bfloat16EEvPKT6_PKbPfiPT5_PiiiibdPKfPKS9_SF_,comdat
	.protected	_ZN4vllm3moe22topkGatingSoftplusSqrtILi8ELi128ELi4ELi16ELi32ELb0Ej14__hip_bfloat16EEvPKT6_PKbPfiPT5_PiiiibdPKfPKS9_SF_ ; -- Begin function _ZN4vllm3moe22topkGatingSoftplusSqrtILi8ELi128ELi4ELi16ELi32ELb0Ej14__hip_bfloat16EEvPKT6_PKbPfiPT5_PiiiibdPKfPKS9_SF_
	.globl	_ZN4vllm3moe22topkGatingSoftplusSqrtILi8ELi128ELi4ELi16ELi32ELb0Ej14__hip_bfloat16EEvPKT6_PKbPfiPT5_PiiiibdPKfPKS9_SF_
	.p2align	8
	.type	_ZN4vllm3moe22topkGatingSoftplusSqrtILi8ELi128ELi4ELi16ELi32ELb0Ej14__hip_bfloat16EEvPKT6_PKbPfiPT5_PiiiibdPKfPKS9_SF_,@function
_ZN4vllm3moe22topkGatingSoftplusSqrtILi8ELi128ELi4ELi16ELi32ELb0Ej14__hip_bfloat16EEvPKT6_PKbPfiPT5_PiiiibdPKfPKS9_SF_: ; @_ZN4vllm3moe22topkGatingSoftplusSqrtILi8ELi128ELi4ELi16ELi32ELb0Ej14__hip_bfloat16EEvPKT6_PKbPfiPT5_PiiiibdPKfPKS9_SF_
; %bb.0:
	s_load_dword s33, s[0:1], 0x18
	v_bfe_u32 v1, v0, 10, 10
	v_and_b32_e32 v0, 0x3ff, v0
	s_lshl_b32 s2, s2, 3
	v_lshlrev_b32_e32 v1, 1, v1
	v_lshrrev_b32_e32 v2, 4, v0
	v_add3_u32 v8, s2, v1, v2
	s_waitcnt lgkmcnt(0)
	v_cmp_gt_i32_e32 vcc, s33, v8
	s_and_saveexec_b64 s[2:3], vcc
	s_cbranch_execz .LBB451_61
; %bb.1:
	s_load_dwordx4 s[4:7], s[0:1], 0x0
	s_load_dwordx2 s[34:35], s[0:1], 0x10
	s_waitcnt lgkmcnt(0)
	s_cmp_eq_u64 s[6:7], 0
	s_cbranch_scc1 .LBB451_3
; %bb.2:
	v_ashrrev_i32_e32 v9, 31, v8
	v_lshl_add_u64 v[2:3], s[6:7], 0, v[8:9]
	global_load_ubyte v1, v[2:3], off
	s_waitcnt vmcnt(0)
	v_and_b32_e32 v1, 1, v1
	v_cmp_eq_u32_e32 vcc, 1, v1
	s_xor_b64 s[2:3], vcc, -1
	s_orn2_b64 s[36:37], s[2:3], exec
	s_branch .LBB451_4
.LBB451_3:
	s_mov_b64 s[36:37], -1
.LBB451_4:
	v_lshlrev_b32_e32 v4, 7, v8
	v_mov_b32_e32 v2, s4
	v_mov_b32_e32 v3, s5
	v_ashrrev_i32_e32 v5, 31, v4
	v_and_b32_e32 v9, 15, v0
	v_lshl_add_u64 v[2:3], v[4:5], 1, v[2:3]
	v_mov_b32_e32 v1, 0
	v_lshlrev_b32_e32 v0, 4, v9
	v_lshl_add_u64 v[0:1], v[2:3], 0, v[0:1]
	global_load_dwordx4 v[4:7], v[0:1], off
	s_mov_b32 s12, 0x800000
	v_mov_b32_e32 v2, 0x4f800000
	s_mov_b32 s9, 0x3f317217
	s_mov_b32 s10, 0x7f800000
	v_mov_b32_e32 v3, 0x41b17218
	s_mov_b32 s8, 0x41a00000
	s_mov_b32 s11, 0xf800000
	s_load_dwordx4 s[20:23], s[0:1], 0x40
	v_lshlrev_b32_e32 v12, 3, v9
	s_waitcnt lgkmcnt(0)
	s_cmp_lg_u64 s[22:23], 0
	s_cselect_b64 s[6:7], -1, 0
	s_and_b64 s[2:3], exec, s[6:7]
	s_waitcnt vmcnt(0)
	v_lshlrev_b32_e32 v0, 16, v4
	v_mul_f32_e32 v1, 0x3fb8aa3b, v0
	v_exp_f32_e32 v10, v1
	v_mov_b32_e32 v1, 0x260
	v_add_f32_e32 v10, 1.0, v10
	v_cmp_gt_f32_e32 vcc, s12, v10
	s_nop 1
	v_cndmask_b32_e32 v11, 1.0, v2, vcc
	v_mul_f32_e32 v10, v10, v11
	v_log_f32_e32 v11, v10
	v_cndmask_b32_e32 v13, 0, v3, vcc
	v_lshlrev_b32_e32 v10, 2, v12
	v_mul_f32_e32 v14, 0x3f317217, v11
	v_fma_f32 v14, v11, s9, -v14
	v_fmac_f32_e32 v14, 0x3377d1cf, v11
	v_fmac_f32_e32 v14, 0x3f317217, v11
	v_cmp_lt_f32_e64 vcc, |v11|, s10
	s_nop 1
	v_cndmask_b32_e32 v11, v11, v14, vcc
	v_sub_f32_e32 v11, v11, v13
	v_cmp_lt_f32_e32 vcc, s8, v0
	s_nop 1
	v_cndmask_b32_e32 v0, v11, v0, vcc
	v_mul_f32_e32 v11, 0x4f800000, v0
	v_cmp_gt_f32_e32 vcc, s11, v0
	s_nop 1
	v_cndmask_b32_e32 v0, v0, v11, vcc
	v_sqrt_f32_e32 v11, v0
	s_nop 0
	v_add_u32_e32 v13, -1, v11
	v_add_u32_e32 v14, 1, v11
	v_fma_f32 v15, -v13, v11, v0
	v_fma_f32 v16, -v14, v11, v0
	v_cmp_ge_f32_e64 s[4:5], 0, v15
	s_nop 1
	v_cndmask_b32_e64 v11, v11, v13, s[4:5]
	v_cmp_lt_f32_e64 s[4:5], 0, v16
	s_nop 1
	v_cndmask_b32_e64 v11, v11, v14, s[4:5]
	v_mul_f32_e32 v13, 0x37800000, v11
	v_cndmask_b32_e32 v11, v11, v13, vcc
	v_cmp_class_f32_e32 vcc, v0, v1
	s_nop 1
	v_cndmask_b32_e32 v0, v11, v0, vcc
	s_mov_b64 vcc, s[2:3]
	s_cbranch_vccz .LBB451_6
; %bb.5:
	global_load_dword v11, v10, s[22:23]
	s_waitcnt vmcnt(0)
	v_add_f32_e32 v0, v0, v11
.LBB451_6:
	v_and_b32_e32 v4, 0xffff0000, v4
	v_mul_f32_e32 v11, 0x3fb8aa3b, v4
	v_exp_f32_e32 v11, v11
	s_nop 0
	v_add_f32_e32 v11, 1.0, v11
	v_cmp_gt_f32_e32 vcc, s12, v11
	s_nop 1
	v_cndmask_b32_e32 v2, 1.0, v2, vcc
	v_mul_f32_e32 v2, v11, v2
	v_log_f32_e32 v2, v2
	v_cndmask_b32_e32 v3, 0, v3, vcc
	v_mul_f32_e32 v11, 0x3f317217, v2
	v_fma_f32 v11, v2, s9, -v11
	v_fmac_f32_e32 v11, 0x3377d1cf, v2
	v_fmac_f32_e32 v11, 0x3f317217, v2
	v_cmp_lt_f32_e64 vcc, |v2|, s10
	s_nop 1
	v_cndmask_b32_e32 v2, v2, v11, vcc
	v_sub_f32_e32 v2, v2, v3
	v_cmp_lt_f32_e32 vcc, s8, v4
	s_nop 1
	v_cndmask_b32_e32 v2, v2, v4, vcc
	v_mul_f32_e32 v3, 0x4f800000, v2
	v_cmp_gt_f32_e32 vcc, s11, v2
	s_nop 1
	v_cndmask_b32_e32 v2, v2, v3, vcc
	v_sqrt_f32_e32 v3, v2
	v_cmp_class_f32_e64 s[4:5], v2, v1
	v_add_u32_e32 v4, -1, v3
	v_add_u32_e32 v11, 1, v3
	v_fma_f32 v13, -v4, v3, v2
	v_fma_f32 v14, -v11, v3, v2
	v_cmp_ge_f32_e64 s[2:3], 0, v13
	s_nop 1
	v_cndmask_b32_e64 v3, v3, v4, s[2:3]
	v_cmp_lt_f32_e64 s[2:3], 0, v14
	s_nop 1
	v_cndmask_b32_e64 v3, v3, v11, s[2:3]
	v_mul_f32_e32 v4, 0x37800000, v3
	v_cndmask_b32_e32 v3, v3, v4, vcc
	v_cndmask_b32_e64 v4, 0, 1, s[6:7]
	v_cmp_ne_u32_e64 s[2:3], 1, v4
	s_andn2_b64 vcc, exec, s[6:7]
	v_cndmask_b32_e64 v1, v3, v2, s[4:5]
	s_cbranch_vccnz .LBB451_8
; %bb.7:
	global_load_dword v2, v10, s[22:23] offset:4
	s_waitcnt vmcnt(0)
	v_add_f32_e32 v1, v1, v2
.LBB451_8:
	v_lshlrev_b32_e32 v2, 16, v5
	v_mul_f32_e32 v3, 0x3fb8aa3b, v2
	v_exp_f32_e32 v3, v3
	s_mov_b32 s10, 0x800000
	v_mov_b32_e32 v4, 0x4f800000
	s_mov_b32 s7, 0x3f317217
	v_add_f32_e32 v3, 1.0, v3
	v_cmp_gt_f32_e32 vcc, s10, v3
	s_mov_b32 s8, 0x7f800000
	s_mov_b32 s6, 0x41a00000
	v_cndmask_b32_e32 v11, 1.0, v4, vcc
	v_mul_f32_e32 v3, v3, v11
	v_log_f32_e32 v3, v3
	s_mov_b32 s9, 0xf800000
	v_mul_f32_e32 v11, 0x3f317217, v3
	v_fma_f32 v11, v3, s7, -v11
	v_fmac_f32_e32 v11, 0x3377d1cf, v3
	v_fmac_f32_e32 v11, 0x3f317217, v3
	v_cmp_lt_f32_e64 s[4:5], |v3|, s8
	s_nop 1
	v_cndmask_b32_e64 v3, v3, v11, s[4:5]
	v_mov_b32_e32 v11, 0x41b17218
	v_cndmask_b32_e32 v13, 0, v11, vcc
	v_sub_f32_e32 v3, v3, v13
	v_cmp_lt_f32_e32 vcc, s6, v2
	s_nop 1
	v_cndmask_b32_e32 v2, v3, v2, vcc
	v_mul_f32_e32 v3, 0x4f800000, v2
	v_cmp_gt_f32_e32 vcc, s9, v2
	s_nop 1
	v_cndmask_b32_e32 v2, v2, v3, vcc
	v_sqrt_f32_e32 v3, v2
	s_nop 0
	v_add_u32_e32 v13, -1, v3
	v_fma_f32 v14, -v13, v3, v2
	v_cmp_ge_f32_e64 s[4:5], 0, v14
	v_add_u32_e32 v14, 1, v3
	s_nop 0
	v_cndmask_b32_e64 v13, v3, v13, s[4:5]
	v_fma_f32 v3, -v14, v3, v2
	v_cmp_lt_f32_e64 s[4:5], 0, v3
	s_nop 1
	v_cndmask_b32_e64 v3, v13, v14, s[4:5]
	v_mul_f32_e32 v13, 0x37800000, v3
	v_cndmask_b32_e32 v13, v3, v13, vcc
	v_mov_b32_e32 v3, 0x260
	v_cmp_class_f32_e64 s[4:5], v2, v3
	s_and_b64 vcc, exec, s[2:3]
	s_nop 0
	v_cndmask_b32_e64 v2, v13, v2, s[4:5]
	s_cbranch_vccnz .LBB451_10
; %bb.9:
	global_load_dword v13, v10, s[22:23] offset:8
	s_waitcnt vmcnt(0)
	v_add_f32_e32 v2, v2, v13
.LBB451_10:
	v_and_b32_e32 v5, 0xffff0000, v5
	v_mul_f32_e32 v13, 0x3fb8aa3b, v5
	v_exp_f32_e32 v13, v13
	s_nop 0
	v_add_f32_e32 v13, 1.0, v13
	v_cmp_gt_f32_e32 vcc, s10, v13
	s_nop 1
	v_cndmask_b32_e32 v4, 1.0, v4, vcc
	v_mul_f32_e32 v4, v13, v4
	v_log_f32_e32 v4, v4
	v_cndmask_b32_e32 v11, 0, v11, vcc
	v_mul_f32_e32 v13, 0x3f317217, v4
	v_fma_f32 v13, v4, s7, -v13
	v_fmac_f32_e32 v13, 0x3377d1cf, v4
	v_fmac_f32_e32 v13, 0x3f317217, v4
	v_cmp_lt_f32_e64 vcc, |v4|, s8
	s_nop 1
	v_cndmask_b32_e32 v4, v4, v13, vcc
	v_sub_f32_e32 v4, v4, v11
	v_cmp_lt_f32_e32 vcc, s6, v5
	s_nop 1
	v_cndmask_b32_e32 v4, v4, v5, vcc
	v_mul_f32_e32 v5, 0x4f800000, v4
	v_cmp_gt_f32_e32 vcc, s9, v4
	s_nop 1
	v_cndmask_b32_e32 v4, v4, v5, vcc
	v_sqrt_f32_e32 v5, v4
	s_nop 0
	v_add_u32_e32 v11, -1, v5
	v_add_u32_e32 v13, 1, v5
	v_fma_f32 v14, -v11, v5, v4
	v_fma_f32 v15, -v13, v5, v4
	v_cmp_ge_f32_e64 s[4:5], 0, v14
	s_nop 1
	v_cndmask_b32_e64 v5, v5, v11, s[4:5]
	v_cmp_lt_f32_e64 s[4:5], 0, v15
	s_nop 1
	v_cndmask_b32_e64 v5, v5, v13, s[4:5]
	v_mul_f32_e32 v11, 0x37800000, v5
	v_cndmask_b32_e32 v5, v5, v11, vcc
	v_cmp_class_f32_e64 s[4:5], v4, v3
	s_and_b64 vcc, exec, s[2:3]
	s_nop 0
	v_cndmask_b32_e64 v3, v5, v4, s[4:5]
	s_cbranch_vccnz .LBB451_12
; %bb.11:
	global_load_dword v4, v10, s[22:23] offset:12
	s_waitcnt vmcnt(0)
	v_add_f32_e32 v3, v3, v4
.LBB451_12:
	v_lshlrev_b32_e32 v4, 16, v6
	v_mul_f32_e32 v5, 0x3fb8aa3b, v4
	v_exp_f32_e32 v5, v5
	v_mov_b32_e32 v11, 0x4f800000
	v_add_f32_e32 v5, 1.0, v5
	v_cmp_gt_f32_e32 vcc, s10, v5
	s_nop 1
	v_cndmask_b32_e32 v13, 1.0, v11, vcc
	v_mul_f32_e32 v5, v5, v13
	v_log_f32_e32 v5, v5
	s_nop 0
	v_mul_f32_e32 v13, 0x3f317217, v5
	v_fma_f32 v13, v5, s7, -v13
	v_fmac_f32_e32 v13, 0x3377d1cf, v5
	v_fmac_f32_e32 v13, 0x3f317217, v5
	v_cmp_lt_f32_e64 s[4:5], |v5|, s8
	s_nop 1
	v_cndmask_b32_e64 v5, v5, v13, s[4:5]
	v_mov_b32_e32 v13, 0x41b17218
	v_cndmask_b32_e32 v14, 0, v13, vcc
	v_sub_f32_e32 v5, v5, v14
	v_cmp_lt_f32_e32 vcc, s6, v4
	s_nop 1
	v_cndmask_b32_e32 v4, v5, v4, vcc
	v_mul_f32_e32 v5, 0x4f800000, v4
	v_cmp_gt_f32_e32 vcc, s9, v4
	s_nop 1
	v_cndmask_b32_e32 v4, v4, v5, vcc
	v_sqrt_f32_e32 v5, v4
	s_nop 0
	v_add_u32_e32 v14, -1, v5
	v_fma_f32 v15, -v14, v5, v4
	v_cmp_ge_f32_e64 s[4:5], 0, v15
	v_add_u32_e32 v15, 1, v5
	s_nop 0
	v_cndmask_b32_e64 v14, v5, v14, s[4:5]
	v_fma_f32 v5, -v15, v5, v4
	v_cmp_lt_f32_e64 s[4:5], 0, v5
	s_nop 1
	v_cndmask_b32_e64 v5, v14, v15, s[4:5]
	v_mul_f32_e32 v14, 0x37800000, v5
	v_cndmask_b32_e32 v14, v5, v14, vcc
	v_mov_b32_e32 v5, 0x260
	v_cmp_class_f32_e64 s[4:5], v4, v5
	s_and_b64 vcc, exec, s[2:3]
	s_nop 0
	v_cndmask_b32_e64 v4, v14, v4, s[4:5]
	s_cbranch_vccnz .LBB451_14
; %bb.13:
	global_load_dword v14, v10, s[22:23] offset:16
	s_waitcnt vmcnt(0)
	v_add_f32_e32 v4, v4, v14
.LBB451_14:
	v_and_b32_e32 v6, 0xffff0000, v6
	v_mul_f32_e32 v14, 0x3fb8aa3b, v6
	v_exp_f32_e32 v14, v14
	s_nop 0
	v_add_f32_e32 v14, 1.0, v14
	v_cmp_gt_f32_e32 vcc, s10, v14
	s_nop 1
	v_cndmask_b32_e32 v11, 1.0, v11, vcc
	v_mul_f32_e32 v11, v14, v11
	v_log_f32_e32 v11, v11
	v_cndmask_b32_e32 v13, 0, v13, vcc
	v_mul_f32_e32 v14, 0x3f317217, v11
	v_fma_f32 v14, v11, s7, -v14
	v_fmac_f32_e32 v14, 0x3377d1cf, v11
	v_fmac_f32_e32 v14, 0x3f317217, v11
	v_cmp_lt_f32_e64 vcc, |v11|, s8
	s_nop 1
	v_cndmask_b32_e32 v11, v11, v14, vcc
	v_sub_f32_e32 v11, v11, v13
	v_cmp_lt_f32_e32 vcc, s6, v6
	s_nop 1
	v_cndmask_b32_e32 v6, v11, v6, vcc
	v_mul_f32_e32 v11, 0x4f800000, v6
	v_cmp_gt_f32_e32 vcc, s9, v6
	s_nop 1
	v_cndmask_b32_e32 v6, v6, v11, vcc
	v_sqrt_f32_e32 v11, v6
	s_nop 0
	v_add_u32_e32 v13, -1, v11
	v_add_u32_e32 v14, 1, v11
	v_fma_f32 v15, -v13, v11, v6
	v_fma_f32 v16, -v14, v11, v6
	v_cmp_ge_f32_e64 s[4:5], 0, v15
	s_nop 1
	v_cndmask_b32_e64 v11, v11, v13, s[4:5]
	v_cmp_lt_f32_e64 s[4:5], 0, v16
	s_nop 1
	v_cndmask_b32_e64 v11, v11, v14, s[4:5]
	v_mul_f32_e32 v13, 0x37800000, v11
	v_cndmask_b32_e32 v11, v11, v13, vcc
	v_cmp_class_f32_e64 s[4:5], v6, v5
	s_and_b64 vcc, exec, s[2:3]
	s_nop 0
	v_cndmask_b32_e64 v5, v11, v6, s[4:5]
	s_cbranch_vccnz .LBB451_16
; %bb.15:
	global_load_dword v6, v10, s[22:23] offset:20
	s_waitcnt vmcnt(0)
	v_add_f32_e32 v5, v5, v6
.LBB451_16:
	v_lshlrev_b32_e32 v6, 16, v7
	v_mul_f32_e32 v11, 0x3fb8aa3b, v6
	v_exp_f32_e32 v11, v11
	v_mov_b32_e32 v13, 0x4f800000
	v_add_f32_e32 v11, 1.0, v11
	v_cmp_gt_f32_e32 vcc, s10, v11
	s_nop 1
	v_cndmask_b32_e32 v14, 1.0, v13, vcc
	v_mul_f32_e32 v11, v11, v14
	v_log_f32_e32 v11, v11
	s_nop 0
	v_mul_f32_e32 v14, 0x3f317217, v11
	v_fma_f32 v14, v11, s7, -v14
	v_fmac_f32_e32 v14, 0x3377d1cf, v11
	v_fmac_f32_e32 v14, 0x3f317217, v11
	v_cmp_lt_f32_e64 s[4:5], |v11|, s8
	s_nop 1
	v_cndmask_b32_e64 v11, v11, v14, s[4:5]
	v_mov_b32_e32 v14, 0x41b17218
	v_cndmask_b32_e32 v15, 0, v14, vcc
	v_sub_f32_e32 v11, v11, v15
	v_cmp_lt_f32_e32 vcc, s6, v6
	s_nop 1
	v_cndmask_b32_e32 v6, v11, v6, vcc
	v_mul_f32_e32 v11, 0x4f800000, v6
	v_cmp_gt_f32_e32 vcc, s9, v6
	s_nop 1
	v_cndmask_b32_e32 v6, v6, v11, vcc
	v_sqrt_f32_e32 v11, v6
	s_nop 0
	v_add_u32_e32 v15, -1, v11
	v_fma_f32 v16, -v15, v11, v6
	v_cmp_ge_f32_e64 s[4:5], 0, v16
	v_add_u32_e32 v16, 1, v11
	s_nop 0
	v_cndmask_b32_e64 v15, v11, v15, s[4:5]
	v_fma_f32 v11, -v16, v11, v6
	v_cmp_lt_f32_e64 s[4:5], 0, v11
	s_nop 1
	v_cndmask_b32_e64 v11, v15, v16, s[4:5]
	v_mul_f32_e32 v15, 0x37800000, v11
	v_cndmask_b32_e32 v15, v11, v15, vcc
	v_mov_b32_e32 v11, 0x260
	v_cmp_class_f32_e64 s[4:5], v6, v11
	s_and_b64 vcc, exec, s[2:3]
	s_nop 0
	v_cndmask_b32_e64 v6, v15, v6, s[4:5]
	s_cbranch_vccnz .LBB451_18
; %bb.17:
	global_load_dword v15, v10, s[22:23] offset:24
	s_waitcnt vmcnt(0)
	v_add_f32_e32 v6, v6, v15
.LBB451_18:
	v_and_b32_e32 v7, 0xffff0000, v7
	v_mul_f32_e32 v15, 0x3fb8aa3b, v7
	v_exp_f32_e32 v15, v15
	s_nop 0
	v_add_f32_e32 v15, 1.0, v15
	v_cmp_gt_f32_e32 vcc, s10, v15
	s_nop 1
	v_cndmask_b32_e32 v13, 1.0, v13, vcc
	v_mul_f32_e32 v13, v15, v13
	v_log_f32_e32 v13, v13
	v_cndmask_b32_e32 v14, 0, v14, vcc
	v_mul_f32_e32 v15, 0x3f317217, v13
	v_fma_f32 v15, v13, s7, -v15
	v_fmac_f32_e32 v15, 0x3377d1cf, v13
	v_fmac_f32_e32 v15, 0x3f317217, v13
	v_cmp_lt_f32_e64 vcc, |v13|, s8
	s_nop 1
	v_cndmask_b32_e32 v13, v13, v15, vcc
	v_sub_f32_e32 v13, v13, v14
	v_cmp_lt_f32_e32 vcc, s6, v7
	s_nop 1
	v_cndmask_b32_e32 v7, v13, v7, vcc
	v_mul_f32_e32 v13, 0x4f800000, v7
	v_cmp_gt_f32_e32 vcc, s9, v7
	s_nop 1
	v_cndmask_b32_e32 v7, v7, v13, vcc
	v_sqrt_f32_e32 v13, v7
	s_nop 0
	v_add_u32_e32 v14, -1, v13
	v_add_u32_e32 v15, 1, v13
	v_fma_f32 v16, -v14, v13, v7
	v_fma_f32 v17, -v15, v13, v7
	v_cmp_ge_f32_e64 s[4:5], 0, v16
	s_nop 1
	v_cndmask_b32_e64 v13, v13, v14, s[4:5]
	v_cmp_lt_f32_e64 s[4:5], 0, v17
	s_nop 1
	v_cndmask_b32_e64 v13, v13, v15, s[4:5]
	v_mul_f32_e32 v14, 0x37800000, v13
	v_cndmask_b32_e32 v13, v13, v14, vcc
	v_cmp_class_f32_e64 s[4:5], v7, v11
	s_and_b64 vcc, exec, s[2:3]
	s_nop 0
	v_cndmask_b32_e64 v7, v13, v7, s[4:5]
	s_cbranch_vccnz .LBB451_20
; %bb.19:
	global_load_dword v10, v10, s[22:23] offset:28
	s_waitcnt vmcnt(0)
	v_add_f32_e32 v7, v7, v10
.LBB451_20:
	s_load_dwordx4 s[24:27], s[0:1], 0x30
	s_mov_b32 s42, 0
	v_cmp_eq_u32_e64 s[6:7], 0, v9
	s_waitcnt lgkmcnt(0)
	s_bitcmp1_b32 s27, 0
	s_cselect_b64 s[4:5], -1, 0
	s_cmp_gt_i32 s24, 0
	s_cselect_b64 s[38:39], -1, 0
	s_and_b64 vcc, exec, s[38:39]
	s_cbranch_vccz .LBB451_47
; %bb.21:
	v_mbcnt_lo_u32_b32 v10, -1, 0
	v_mbcnt_hi_u32_b32 v10, -1, v10
	v_and_b32_e32 v11, 0x70, v10
	v_add_u32_e32 v11, 16, v11
	v_xor_b32_e32 v13, 8, v10
	v_cmp_lt_i32_e32 vcc, v13, v11
	s_load_dwordx4 s[28:31], s[0:1], 0x20
	v_mul_lo_u32 v14, v8, s24
	v_cndmask_b32_e32 v13, v10, v13, vcc
	v_lshlrev_b32_e32 v15, 2, v13
	v_xor_b32_e32 v13, 4, v10
	v_cmp_lt_i32_e32 vcc, v13, v11
	v_mov_b32_e32 v19, 0x80
	v_mov_b32_e32 v20, 0xc61c4000
	v_cndmask_b32_e32 v13, v10, v13, vcc
	v_lshlrev_b32_e32 v16, 2, v13
	v_xor_b32_e32 v13, 2, v10
	v_cmp_lt_i32_e32 vcc, v13, v11
	v_mov_b32_e32 v21, v8
	s_nop 0
	v_cndmask_b32_e32 v13, v10, v13, vcc
	v_lshlrev_b32_e32 v17, 2, v13
	v_xor_b32_e32 v13, 1, v10
	v_cmp_lt_i32_e32 vcc, v13, v11
	s_nop 1
	v_cndmask_b32_e32 v10, v10, v13, vcc
	v_lshlrev_b32_e32 v18, 2, v10
	v_mov_b32_e32 v13, 0
	s_branch .LBB451_24
.LBB451_22:                             ;   in Loop: Header=BB451_24 Depth=1
	s_or_b64 exec, exec, s[40:41]
.LBB451_23:                             ;   in Loop: Header=BB451_24 Depth=1
	s_cmp_eq_u32 s24, s42
	v_add_u32_e32 v21, s33, v21
	s_cbranch_scc1 .LBB451_48
.LBB451_24:                             ; =>This Inner Loop Header: Depth=1
	v_cmp_gt_f32_e32 vcc, v1, v0
	s_nop 1
	v_cndmask_b32_e32 v11, v0, v1, vcc
	v_cndmask_b32_e64 v10, 0, 1, vcc
	v_cmp_gt_f32_e32 vcc, v2, v11
	s_nop 1
	v_cndmask_b32_e32 v11, v11, v2, vcc
	v_cndmask_b32_e64 v10, v10, 2, vcc
	v_cmp_gt_f32_e32 vcc, v3, v11
	s_nop 1
	v_cndmask_b32_e32 v11, v11, v3, vcc
	v_cndmask_b32_e64 v10, v10, 3, vcc
	v_cmp_gt_f32_e32 vcc, v4, v11
	s_nop 1
	v_cndmask_b32_e32 v11, v11, v4, vcc
	v_cndmask_b32_e64 v10, v10, 4, vcc
	v_cmp_gt_f32_e32 vcc, v5, v11
	s_nop 1
	v_cndmask_b32_e32 v11, v11, v5, vcc
	v_cndmask_b32_e64 v10, v10, 5, vcc
	v_cmp_gt_f32_e32 vcc, v6, v11
	s_nop 1
	v_cndmask_b32_e32 v11, v11, v6, vcc
	v_cndmask_b32_e64 v10, v10, 6, vcc
	v_cmp_gt_f32_e32 vcc, v7, v11
	s_nop 1
	v_cndmask_b32_e64 v10, v10, 7, vcc
	v_cndmask_b32_e32 v22, v11, v7, vcc
	ds_bpermute_b32 v11, v15, v22
	v_or_b32_e32 v10, v12, v10
	s_waitcnt lgkmcnt(0)
	ds_bpermute_b32 v23, v15, v10
	s_waitcnt lgkmcnt(0)
	v_cmp_lt_f32_e64 s[8:9], v22, v11
	v_cmp_nlt_f32_e32 vcc, v22, v11
	s_and_saveexec_b64 s[10:11], vcc
; %bb.25:                               ;   in Loop: Header=BB451_24 Depth=1
	v_cmp_eq_f32_e32 vcc, v22, v11
	v_cmp_lt_i32_e64 s[0:1], v23, v10
	s_and_b64 s[0:1], vcc, s[0:1]
	s_andn2_b64 s[8:9], s[8:9], exec
	s_and_b64 s[0:1], s[0:1], exec
	s_or_b64 s[8:9], s[8:9], s[0:1]
; %bb.26:                               ;   in Loop: Header=BB451_24 Depth=1
	s_or_b64 exec, exec, s[10:11]
	s_and_saveexec_b64 s[0:1], s[8:9]
; %bb.27:                               ;   in Loop: Header=BB451_24 Depth=1
	v_mov_b32_e32 v22, v11
	v_mov_b32_e32 v10, v23
; %bb.28:                               ;   in Loop: Header=BB451_24 Depth=1
	s_or_b64 exec, exec, s[0:1]
	ds_bpermute_b32 v11, v16, v22
	ds_bpermute_b32 v23, v16, v10
	s_waitcnt lgkmcnt(1)
	v_cmp_lt_f32_e64 s[8:9], v22, v11
	v_cmp_nlt_f32_e32 vcc, v22, v11
	s_and_saveexec_b64 s[10:11], vcc
	s_cbranch_execz .LBB451_30
; %bb.29:                               ;   in Loop: Header=BB451_24 Depth=1
	v_cmp_eq_f32_e32 vcc, v22, v11
	s_waitcnt lgkmcnt(0)
	v_cmp_lt_i32_e64 s[0:1], v23, v10
	s_and_b64 s[0:1], vcc, s[0:1]
	s_andn2_b64 s[8:9], s[8:9], exec
	s_and_b64 s[0:1], s[0:1], exec
	s_or_b64 s[8:9], s[8:9], s[0:1]
.LBB451_30:                             ;   in Loop: Header=BB451_24 Depth=1
	s_or_b64 exec, exec, s[10:11]
	s_and_saveexec_b64 s[0:1], s[8:9]
	s_cbranch_execz .LBB451_32
; %bb.31:                               ;   in Loop: Header=BB451_24 Depth=1
	v_mov_b32_e32 v22, v11
	s_waitcnt lgkmcnt(0)
	v_mov_b32_e32 v10, v23
.LBB451_32:                             ;   in Loop: Header=BB451_24 Depth=1
	s_or_b64 exec, exec, s[0:1]
	ds_bpermute_b32 v11, v17, v22
	s_waitcnt lgkmcnt(1)
	ds_bpermute_b32 v23, v17, v10
	s_waitcnt lgkmcnt(1)
	v_cmp_lt_f32_e64 s[8:9], v22, v11
	v_cmp_nlt_f32_e32 vcc, v22, v11
	s_and_saveexec_b64 s[10:11], vcc
	s_cbranch_execz .LBB451_34
; %bb.33:                               ;   in Loop: Header=BB451_24 Depth=1
	v_cmp_eq_f32_e32 vcc, v22, v11
	s_waitcnt lgkmcnt(0)
	v_cmp_lt_i32_e64 s[0:1], v23, v10
	s_and_b64 s[0:1], vcc, s[0:1]
	s_andn2_b64 s[8:9], s[8:9], exec
	s_and_b64 s[0:1], s[0:1], exec
	s_or_b64 s[8:9], s[8:9], s[0:1]
.LBB451_34:                             ;   in Loop: Header=BB451_24 Depth=1
	s_or_b64 exec, exec, s[10:11]
	s_and_saveexec_b64 s[0:1], s[8:9]
	s_cbranch_execz .LBB451_36
; %bb.35:                               ;   in Loop: Header=BB451_24 Depth=1
	v_mov_b32_e32 v22, v11
	s_waitcnt lgkmcnt(0)
	v_mov_b32_e32 v10, v23
.LBB451_36:                             ;   in Loop: Header=BB451_24 Depth=1
	s_or_b64 exec, exec, s[0:1]
	ds_bpermute_b32 v11, v18, v22
	s_waitcnt lgkmcnt(1)
	ds_bpermute_b32 v23, v18, v10
	s_waitcnt lgkmcnt(1)
	v_cmp_lt_f32_e64 s[8:9], v22, v11
	v_cmp_nlt_f32_e32 vcc, v22, v11
	s_and_saveexec_b64 s[10:11], vcc
	s_cbranch_execnz .LBB451_40
; %bb.37:                               ;   in Loop: Header=BB451_24 Depth=1
	s_or_b64 exec, exec, s[10:11]
	s_and_saveexec_b64 s[0:1], s[8:9]
	s_cbranch_execnz .LBB451_41
.LBB451_38:                             ;   in Loop: Header=BB451_24 Depth=1
	s_or_b64 exec, exec, s[0:1]
	s_and_saveexec_b64 s[8:9], s[6:7]
	s_cbranch_execnz .LBB451_42
.LBB451_39:                             ;   in Loop: Header=BB451_24 Depth=1
	s_or_b64 exec, exec, s[8:9]
	s_add_i32 s42, s42, 1
	s_cmp_ge_i32 s42, s24
	s_cbranch_scc1 .LBB451_23
	s_branch .LBB451_45
.LBB451_40:                             ;   in Loop: Header=BB451_24 Depth=1
	v_cmp_eq_f32_e32 vcc, v22, v11
	s_waitcnt lgkmcnt(0)
	v_cmp_lt_i32_e64 s[0:1], v23, v10
	s_and_b64 s[0:1], vcc, s[0:1]
	s_andn2_b64 s[8:9], s[8:9], exec
	s_and_b64 s[0:1], s[0:1], exec
	s_or_b64 s[8:9], s[8:9], s[0:1]
	s_or_b64 exec, exec, s[10:11]
	s_and_saveexec_b64 s[0:1], s[8:9]
	s_cbranch_execz .LBB451_38
.LBB451_41:                             ;   in Loop: Header=BB451_24 Depth=1
	s_waitcnt lgkmcnt(0)
	v_mov_b32_e32 v10, v23
	v_mov_b32_e32 v22, v11
	s_or_b64 exec, exec, s[0:1]
	s_and_saveexec_b64 s[8:9], s[6:7]
	s_cbranch_execz .LBB451_39
.LBB451_42:                             ;   in Loop: Header=BB451_24 Depth=1
	s_and_b64 vcc, exec, s[2:3]
	s_cbranch_vccnz .LBB451_44
; %bb.43:                               ;   in Loop: Header=BB451_24 Depth=1
	v_ashrrev_i32_e32 v11, 31, v10
	v_lshl_add_u64 v[24:25], v[10:11], 2, s[22:23]
	global_load_dword v11, v[24:25], off
	s_waitcnt vmcnt(0)
	v_sub_f32_e32 v22, v22, v11
.LBB451_44:                             ;   in Loop: Header=BB451_24 Depth=1
	v_add_u32_e32 v24, s42, v14
	v_cmp_le_i32_e32 vcc, s25, v10
	v_cmp_gt_i32_e64 s[0:1], s26, v10
	v_ashrrev_i32_e32 v25, 31, v24
	s_and_b64 s[0:1], vcc, s[0:1]
	v_lshlrev_b64 v[24:25], 2, v[24:25]
	v_lshl_add_u64 v[26:27], s[34:35], 0, v[24:25]
	v_subrev_u32_e32 v11, s25, v10
	s_and_b64 vcc, s[36:37], s[0:1]
	global_store_dword v[26:27], v22, off
	v_cndmask_b32_e32 v11, v19, v11, vcc
	v_lshl_add_u64 v[26:27], s[28:29], 0, v[24:25]
	global_store_dword v[26:27], v11, off
	v_add_f32_e32 v11, v13, v22
	v_lshl_add_u64 v[24:25], s[30:31], 0, v[24:25]
	v_cndmask_b32_e64 v13, v13, v11, s[4:5]
	global_store_dword v[24:25], v21, off
	s_or_b64 exec, exec, s[8:9]
	s_add_i32 s42, s42, 1
	s_cmp_ge_i32 s42, s24
	s_cbranch_scc1 .LBB451_23
.LBB451_45:                             ;   in Loop: Header=BB451_24 Depth=1
	v_ashrrev_i32_e32 v22, 31, v10
	v_lshrrev_b32_e32 v11, 29, v22
	v_add_u32_e32 v11, v10, v11
	v_ashrrev_i32_e32 v11, 3, v11
	s_waitcnt lgkmcnt(0)
	v_lshrrev_b32_e32 v23, 28, v11
	v_add_u32_e32 v23, v11, v23
	v_and_b32_e32 v23, -16, v23
	v_sub_u32_e32 v23, v11, v23
	v_cmp_eq_u32_e32 vcc, v9, v23
	s_and_saveexec_b64 s[40:41], vcc
	s_cbranch_execz .LBB451_22
; %bb.46:                               ;   in Loop: Header=BB451_24 Depth=1
	v_lshrrev_b32_e32 v22, 25, v22
	v_add_u32_e32 v22, v10, v22
	v_lshlrev_b32_e32 v11, 3, v11
	v_sub_u32_e32 v10, v10, v11
	v_ashrrev_i32_e32 v11, 7, v22
	v_lshl_add_u32 v10, v11, 3, v10
	v_cmp_ne_u32_e32 vcc, 6, v10
	v_cmp_ne_u32_e64 s[0:1], 5, v10
	v_cmp_ne_u32_e64 s[8:9], 4, v10
	;; [unrolled: 1-line block ×7, first 2 shown]
	v_cndmask_b32_e32 v6, v20, v6, vcc
	v_cndmask_b32_e64 v5, v20, v5, s[0:1]
	v_cndmask_b32_e64 v7, v20, v7, s[18:19]
	;; [unrolled: 1-line block ×7, first 2 shown]
	s_branch .LBB451_22
.LBB451_47:
	v_mov_b32_e32 v13, 0
.LBB451_48:
	v_cmp_eq_u32_e32 vcc, 0, v9
	s_and_b64 exec, exec, vcc
	s_cbranch_execz .LBB451_61
; %bb.49:
	s_andn2_b64 vcc, exec, s[4:5]
	v_cvt_f32_f64_e32 v0, s[20:21]
	s_cbranch_vccnz .LBB451_51
; %bb.50:
	v_cmp_lt_f32_e32 vcc, 0, v13
	s_nop 1
	v_cndmask_b32_e32 v1, 1.0, v13, vcc
	v_div_scale_f32 v2, s[0:1], v1, v1, v0
	v_rcp_f32_e32 v3, v2
	s_nop 0
	v_fma_f32 v4, -v2, v3, 1.0
	v_fmac_f32_e32 v3, v4, v3
	v_div_scale_f32 v4, vcc, v0, v1, v0
	v_mul_f32_e32 v5, v4, v3
	v_fma_f32 v6, -v2, v5, v4
	v_fmac_f32_e32 v5, v6, v3
	v_fma_f32 v2, -v2, v5, v4
	v_div_fmas_f32 v2, v2, v3, v5
	v_div_fixup_f32 v0, v2, v1, v0
.LBB451_51:
	s_andn2_b64 vcc, exec, s[38:39]
	s_cbranch_vccnz .LBB451_61
; %bb.52:
	v_mul_lo_u32 v2, v8, s24
	s_cmp_gt_u32 s24, 3
	v_ashrrev_i32_e32 v3, 31, v2
	s_cbranch_scc0 .LBB451_56
; %bb.53:
	s_and_b32 s0, s24, 0x7ffffffc
	v_lshl_add_u64 v[4:5], v[2:3], 2, s[34:35]
	v_mov_b32_e32 v1, v0
	v_lshl_add_u64 v[4:5], v[4:5], 0, 8
	s_mov_b32 s1, s0
.LBB451_54:                             ; =>This Inner Loop Header: Depth=1
	global_load_dwordx4 v[6:9], v[4:5], off offset:-8
	s_add_i32 s1, s1, -4
	s_cmp_lg_u32 s1, 0
	s_waitcnt vmcnt(0)
	v_pk_mul_f32 v[6:7], v[0:1], v[6:7]
	v_pk_mul_f32 v[8:9], v[0:1], v[8:9]
	global_store_dwordx4 v[4:5], v[6:9], off offset:-8
	v_lshl_add_u64 v[4:5], v[4:5], 0, 16
	s_cbranch_scc1 .LBB451_54
; %bb.55:
	s_cmp_lg_u32 s0, s24
	s_cselect_b64 s[2:3], -1, 0
	s_branch .LBB451_58
.LBB451_56:
	s_mov_b64 s[2:3], 0
                                        ; implicit-def: $sgpr0
	s_cbranch_execz .LBB451_58
; %bb.57:
	s_mov_b64 s[2:3], -1
	s_mov_b32 s0, 0
.LBB451_58:
	s_andn2_b64 vcc, exec, s[2:3]
	s_cbranch_vccnz .LBB451_61
; %bb.59:
	s_mov_b32 s1, 0
	v_lshl_add_u64 v[2:3], v[2:3], 0, s[0:1]
	s_sub_i32 s2, s24, s0
	v_lshl_add_u64 v[2:3], v[2:3], 2, s[34:35]
.LBB451_60:                             ; =>This Inner Loop Header: Depth=1
	global_load_dword v1, v[2:3], off
	s_add_i32 s2, s2, -1
	s_cmp_lg_u32 s2, 0
	s_waitcnt vmcnt(0)
	v_mul_f32_e32 v1, v0, v1
	global_store_dword v[2:3], v1, off
	v_lshl_add_u64 v[2:3], v[2:3], 0, 4
	s_cbranch_scc1 .LBB451_60
.LBB451_61:
	s_endpgm
	.section	.rodata,"a",@progbits
	.p2align	6, 0x0
	.amdhsa_kernel _ZN4vllm3moe22topkGatingSoftplusSqrtILi8ELi128ELi4ELi16ELi32ELb0Ej14__hip_bfloat16EEvPKT6_PKbPfiPT5_PiiiibdPKfPKS9_SF_
		.amdhsa_group_segment_fixed_size 0
		.amdhsa_private_segment_fixed_size 0
		.amdhsa_kernarg_size 96
		.amdhsa_user_sgpr_count 2
		.amdhsa_user_sgpr_dispatch_ptr 0
		.amdhsa_user_sgpr_queue_ptr 0
		.amdhsa_user_sgpr_kernarg_segment_ptr 1
		.amdhsa_user_sgpr_dispatch_id 0
		.amdhsa_user_sgpr_kernarg_preload_length 0
		.amdhsa_user_sgpr_kernarg_preload_offset 0
		.amdhsa_user_sgpr_private_segment_size 0
		.amdhsa_uses_dynamic_stack 0
		.amdhsa_enable_private_segment 0
		.amdhsa_system_sgpr_workgroup_id_x 1
		.amdhsa_system_sgpr_workgroup_id_y 0
		.amdhsa_system_sgpr_workgroup_id_z 0
		.amdhsa_system_sgpr_workgroup_info 0
		.amdhsa_system_vgpr_workitem_id 1
		.amdhsa_next_free_vgpr 28
		.amdhsa_next_free_sgpr 43
		.amdhsa_accum_offset 28
		.amdhsa_reserve_vcc 1
		.amdhsa_float_round_mode_32 0
		.amdhsa_float_round_mode_16_64 0
		.amdhsa_float_denorm_mode_32 3
		.amdhsa_float_denorm_mode_16_64 3
		.amdhsa_dx10_clamp 1
		.amdhsa_ieee_mode 1
		.amdhsa_fp16_overflow 0
		.amdhsa_tg_split 0
		.amdhsa_exception_fp_ieee_invalid_op 0
		.amdhsa_exception_fp_denorm_src 0
		.amdhsa_exception_fp_ieee_div_zero 0
		.amdhsa_exception_fp_ieee_overflow 0
		.amdhsa_exception_fp_ieee_underflow 0
		.amdhsa_exception_fp_ieee_inexact 0
		.amdhsa_exception_int_div_zero 0
	.end_amdhsa_kernel
	.section	.text._ZN4vllm3moe22topkGatingSoftplusSqrtILi8ELi128ELi4ELi16ELi32ELb0Ej14__hip_bfloat16EEvPKT6_PKbPfiPT5_PiiiibdPKfPKS9_SF_,"axG",@progbits,_ZN4vllm3moe22topkGatingSoftplusSqrtILi8ELi128ELi4ELi16ELi32ELb0Ej14__hip_bfloat16EEvPKT6_PKbPfiPT5_PiiiibdPKfPKS9_SF_,comdat
.Lfunc_end451:
	.size	_ZN4vllm3moe22topkGatingSoftplusSqrtILi8ELi128ELi4ELi16ELi32ELb0Ej14__hip_bfloat16EEvPKT6_PKbPfiPT5_PiiiibdPKfPKS9_SF_, .Lfunc_end451-_ZN4vllm3moe22topkGatingSoftplusSqrtILi8ELi128ELi4ELi16ELi32ELb0Ej14__hip_bfloat16EEvPKT6_PKbPfiPT5_PiiiibdPKfPKS9_SF_
                                        ; -- End function
	.section	.AMDGPU.csdata,"",@progbits
; Kernel info:
; codeLenInByte = 3992
; NumSgprs: 49
; NumVgprs: 28
; NumAgprs: 0
; TotalNumVgprs: 28
; ScratchSize: 0
; MemoryBound: 0
; FloatMode: 240
; IeeeMode: 1
; LDSByteSize: 0 bytes/workgroup (compile time only)
; SGPRBlocks: 6
; VGPRBlocks: 3
; NumSGPRsForWavesPerEU: 49
; NumVGPRsForWavesPerEU: 28
; AccumOffset: 28
; Occupancy: 8
; WaveLimiterHint : 0
; COMPUTE_PGM_RSRC2:SCRATCH_EN: 0
; COMPUTE_PGM_RSRC2:USER_SGPR: 2
; COMPUTE_PGM_RSRC2:TRAP_HANDLER: 0
; COMPUTE_PGM_RSRC2:TGID_X_EN: 1
; COMPUTE_PGM_RSRC2:TGID_Y_EN: 0
; COMPUTE_PGM_RSRC2:TGID_Z_EN: 0
; COMPUTE_PGM_RSRC2:TIDIG_COMP_CNT: 1
; COMPUTE_PGM_RSRC3_GFX90A:ACCUM_OFFSET: 6
; COMPUTE_PGM_RSRC3_GFX90A:TG_SPLIT: 0
	.section	.text._ZN4vllm3moe22topkGatingSoftplusSqrtILi8ELi256ELi4ELi16ELi64ELb1Ej14__hip_bfloat16EEvPKT6_PKbPfiPT5_PiiiibdPKfPKS9_SF_,"axG",@progbits,_ZN4vllm3moe22topkGatingSoftplusSqrtILi8ELi256ELi4ELi16ELi64ELb1Ej14__hip_bfloat16EEvPKT6_PKbPfiPT5_PiiiibdPKfPKS9_SF_,comdat
	.protected	_ZN4vllm3moe22topkGatingSoftplusSqrtILi8ELi256ELi4ELi16ELi64ELb1Ej14__hip_bfloat16EEvPKT6_PKbPfiPT5_PiiiibdPKfPKS9_SF_ ; -- Begin function _ZN4vllm3moe22topkGatingSoftplusSqrtILi8ELi256ELi4ELi16ELi64ELb1Ej14__hip_bfloat16EEvPKT6_PKbPfiPT5_PiiiibdPKfPKS9_SF_
	.globl	_ZN4vllm3moe22topkGatingSoftplusSqrtILi8ELi256ELi4ELi16ELi64ELb1Ej14__hip_bfloat16EEvPKT6_PKbPfiPT5_PiiiibdPKfPKS9_SF_
	.p2align	8
	.type	_ZN4vllm3moe22topkGatingSoftplusSqrtILi8ELi256ELi4ELi16ELi64ELb1Ej14__hip_bfloat16EEvPKT6_PKbPfiPT5_PiiiibdPKfPKS9_SF_,@function
_ZN4vllm3moe22topkGatingSoftplusSqrtILi8ELi256ELi4ELi16ELi64ELb1Ej14__hip_bfloat16EEvPKT6_PKbPfiPT5_PiiiibdPKfPKS9_SF_: ; @_ZN4vllm3moe22topkGatingSoftplusSqrtILi8ELi256ELi4ELi16ELi64ELb1Ej14__hip_bfloat16EEvPKT6_PKbPfiPT5_PiiiibdPKfPKS9_SF_
; %bb.0:
	s_load_dword s3, s[0:1], 0x18
	v_bfe_u32 v1, v0, 10, 10
	v_and_b32_e32 v8, 0x3ff, v0
	s_lshl_b32 s2, s2, 3
	v_lshlrev_b32_e32 v1, 1, v1
	v_lshrrev_b32_e32 v0, 5, v8
	v_add3_u32 v6, s2, v1, v0
	s_waitcnt lgkmcnt(0)
	v_cmp_gt_i32_e32 vcc, s3, v6
	s_and_saveexec_b64 s[2:3], vcc
	s_cbranch_execz .LBB452_32
; %bb.1:
	s_load_dwordx2 s[2:3], s[0:1], 0x0
	s_load_dword s33, s[0:1], 0x30
	v_lshlrev_b32_e32 v0, 8, v6
	v_lshlrev_b32_e32 v2, 3, v8
	v_ashrrev_i32_e32 v1, 31, v0
	v_and_b32_e32 v10, 0xf8, v2
	s_waitcnt lgkmcnt(0)
	v_lshl_add_u64 v[0:1], v[0:1], 1, s[2:3]
	v_lshlrev_b32_e32 v4, 1, v10
	v_mov_b32_e32 v5, 0
	v_lshl_add_u64 v[0:1], v[0:1], 0, v[4:5]
	global_load_dwordx4 v[0:3], v[0:1], off
	s_load_dwordx4 s[8:11], s[0:1], 0x50
	v_ashrrev_i32_e32 v7, 31, v6
	s_mov_b32 s15, 0x800000
	s_mov_b32 s13, 0x3f317217
	;; [unrolled: 1-line block ×3, first 2 shown]
	s_waitcnt lgkmcnt(0)
	v_mov_b32_e32 v12, s8
	v_mov_b32_e32 v13, s9
	v_lshl_add_u64 v[12:13], v[6:7], 2, v[12:13]
	global_load_dword v4, v[12:13], off
	v_mov_b32_e32 v7, 0x4f800000
	v_mov_b32_e32 v9, 0x41b17218
	s_mov_b32 s9, 0x41a00000
	s_mov_b32 s12, 0xf800000
	v_mov_b32_e32 v17, 0x260
	s_cmp_gt_i32 s33, 0
	s_mov_b32 s8, 0
	s_waitcnt vmcnt(1)
	v_and_b32_e32 v11, 0xffff0000, v0
	v_lshlrev_b32_e32 v14, 16, v0
	v_and_b32_e32 v15, 0xffff0000, v1
	v_lshlrev_b32_e32 v16, 16, v1
	v_mul_f32_e32 v0, 0x3fb8aa3b, v14
	v_mul_f32_e32 v1, 0x3fb8aa3b, v11
	v_exp_f32_e32 v0, v0
	v_exp_f32_e32 v1, v1
	v_mul_f32_e32 v12, 0x3fb8aa3b, v16
	v_mul_f32_e32 v13, 0x3fb8aa3b, v15
	v_exp_f32_e32 v12, v12
	v_exp_f32_e32 v13, v13
	v_pk_add_f32 v[0:1], v[0:1], 1.0 op_sel_hi:[1,0]
	s_waitcnt vmcnt(0)
	v_mul_lo_u32 v4, v4, s33
	v_cmp_gt_f32_e32 vcc, s15, v1
	v_pk_add_f32 v[12:13], v[12:13], 1.0 op_sel_hi:[1,0]
	v_cmp_gt_f32_e64 s[2:3], s15, v0
	v_cndmask_b32_e32 v18, 1.0, v7, vcc
	v_cmp_gt_f32_e64 s[4:5], s15, v13
	v_cndmask_b32_e64 v19, 1.0, v7, s[2:3]
	v_mul_f32_e32 v1, v1, v18
	v_cndmask_b32_e64 v20, 1.0, v7, s[4:5]
	v_mul_f32_e32 v0, v0, v19
	v_log_f32_e32 v1, v1
	v_cmp_gt_f32_e64 s[6:7], s15, v12
	v_mul_f32_e32 v13, v13, v20
	v_log_f32_e32 v0, v0
	v_cndmask_b32_e64 v21, 1.0, v7, s[6:7]
	v_log_f32_e32 v13, v13
	v_mul_f32_e32 v12, v12, v21
	v_log_f32_e32 v21, v12
	v_mul_f32_e32 v12, 0x3f317217, v1
	v_mul_f32_e32 v22, 0x3f317217, v0
	v_fma_f32 v12, v1, s13, -v12
	v_mul_f32_e32 v23, 0x3f317217, v13
	v_fma_f32 v22, v0, s13, -v22
	v_fmac_f32_e32 v12, 0x3377d1cf, v1
	v_cndmask_b32_e32 v18, 0, v9, vcc
	v_fma_f32 v23, v13, s13, -v23
	v_fmac_f32_e32 v22, 0x3377d1cf, v0
	v_fmac_f32_e32 v12, 0x3f317217, v1
	v_cmp_lt_f32_e64 vcc, |v1|, s14
	v_fmac_f32_e32 v23, 0x3377d1cf, v13
	v_fmac_f32_e32 v22, 0x3f317217, v0
	v_cndmask_b32_e32 v1, v1, v12, vcc
	v_cmp_lt_f32_e64 vcc, |v0|, s14
	v_cndmask_b32_e64 v19, 0, v9, s[2:3]
	v_fmac_f32_e32 v23, 0x3f317217, v13
	v_cndmask_b32_e32 v0, v0, v22, vcc
	v_cmp_lt_f32_e64 vcc, |v13|, s14
	v_sub_f32_e32 v0, v0, v19
	v_sub_f32_e32 v1, v1, v18
	v_cndmask_b32_e32 v12, v13, v23, vcc
	v_cmp_lt_f32_e32 vcc, s9, v14
	v_cndmask_b32_e64 v20, 0, v9, s[4:5]
	v_mul_f32_e32 v24, 0x3f317217, v21
	v_cndmask_b32_e32 v0, v0, v14, vcc
	v_cmp_lt_f32_e32 vcc, s9, v11
	v_mul_f32_e32 v13, 0x4f800000, v0
	v_cmp_gt_f32_e64 s[2:3], s12, v0
	v_cndmask_b32_e32 v1, v1, v11, vcc
	v_mul_f32_e32 v11, 0x4f800000, v1
	v_cmp_gt_f32_e32 vcc, s12, v1
	v_cndmask_b32_e64 v0, v0, v13, s[2:3]
	v_sqrt_f32_e32 v13, v0
	v_cndmask_b32_e32 v1, v1, v11, vcc
	v_sqrt_f32_e32 v11, v1
	v_sub_f32_e32 v14, v12, v20
	v_add_u32_e32 v19, -1, v13
	v_fma_f32 v25, -v19, v13, v0
	v_add_u32_e32 v12, -1, v11
	v_fma_f32 v22, -v12, v11, v1
	v_add_u32_e32 v18, 1, v11
	v_cmp_ge_f32_e64 s[4:5], 0, v22
	v_add_u32_e32 v20, 1, v13
	v_fma_f32 v23, -v18, v11, v1
	v_cndmask_b32_e64 v11, v11, v12, s[4:5]
	v_cmp_ge_f32_e64 s[4:5], 0, v25
	v_fma_f32 v26, -v20, v13, v0
	v_fma_f32 v24, v21, s13, -v24
	v_cndmask_b32_e64 v12, v13, v19, s[4:5]
	v_cmp_lt_f32_e64 s[4:5], 0, v23
	v_fmac_f32_e32 v24, 0x3377d1cf, v21
	v_fmac_f32_e32 v24, 0x3f317217, v21
	v_cndmask_b32_e64 v11, v11, v18, s[4:5]
	v_cmp_lt_f32_e64 s[4:5], 0, v26
	v_mul_f32_e32 v13, 0x37800000, v11
	v_cndmask_b32_e32 v11, v11, v13, vcc
	v_cndmask_b32_e64 v12, v12, v20, s[4:5]
	v_mul_f32_e32 v18, 0x37800000, v12
	v_cmp_class_f32_e32 vcc, v1, v17
	v_cndmask_b32_e64 v12, v12, v18, s[2:3]
	v_cmp_lt_f32_e64 s[2:3], s9, v16
	v_cndmask_b32_e32 v13, v11, v1, vcc
	v_cmp_class_f32_e32 vcc, v0, v17
	v_cndmask_b32_e64 v1, 0, v9, s[6:7]
	v_and_b32_e32 v19, 0xffff0000, v2
	v_cndmask_b32_e32 v12, v12, v0, vcc
	v_cmp_lt_f32_e64 vcc, |v21|, s14
	v_lshlrev_b32_e32 v2, 16, v2
	s_nop 0
	v_cndmask_b32_e32 v0, v21, v24, vcc
	v_cmp_lt_f32_e32 vcc, s9, v15
	v_sub_f32_e32 v0, v0, v1
	v_cndmask_b32_e64 v0, v0, v16, s[2:3]
	v_cndmask_b32_e32 v11, v14, v15, vcc
	v_mul_f32_e32 v14, 0x4f800000, v11
	v_cmp_gt_f32_e32 vcc, s12, v11
	s_nop 1
	v_cndmask_b32_e32 v11, v11, v14, vcc
	v_sqrt_f32_e32 v14, v11
	s_nop 0
	v_add_u32_e32 v1, -1, v14
	v_fma_f32 v15, -v1, v14, v11
	v_cmp_ge_f32_e64 s[2:3], 0, v15
	v_add_u32_e32 v15, 1, v14
	s_nop 0
	v_cndmask_b32_e64 v1, v14, v1, s[2:3]
	v_fma_f32 v14, -v15, v14, v11
	v_cmp_lt_f32_e64 s[2:3], 0, v14
	s_nop 1
	v_cndmask_b32_e64 v1, v1, v15, s[2:3]
	v_mul_f32_e32 v15, 0x4f800000, v0
	v_cmp_gt_f32_e64 s[2:3], s12, v0
	v_mul_f32_e32 v14, 0x37800000, v1
	v_cndmask_b32_e32 v1, v1, v14, vcc
	v_cndmask_b32_e64 v16, v0, v15, s[2:3]
	v_sqrt_f32_e32 v0, v16
	v_cmp_class_f32_e32 vcc, v11, v17
	v_add_u32_e32 v14, 1, v0
	s_nop 0
	v_cndmask_b32_e32 v15, v1, v11, vcc
	v_add_u32_e32 v1, -1, v0
	v_fma_f32 v11, -v1, v0, v16
	v_cmp_ge_f32_e32 vcc, 0, v11
	v_fma_f32 v18, -v14, v0, v16
	s_nop 0
	v_cndmask_b32_e32 v11, v0, v1, vcc
	v_mul_f32_e32 v0, 0x3fb8aa3b, v2
	v_mul_f32_e32 v1, 0x3fb8aa3b, v19
	v_exp_f32_e32 v0, v0
	v_exp_f32_e32 v1, v1
	v_cmp_lt_f32_e32 vcc, 0, v18
	v_pk_add_f32 v[0:1], v[0:1], 1.0 op_sel_hi:[1,0]
	s_nop 0
	v_cndmask_b32_e32 v11, v11, v14, vcc
	v_mul_f32_e32 v14, 0x37800000, v11
	v_cmp_gt_f32_e32 vcc, s15, v1
	v_cndmask_b32_e64 v11, v11, v14, s[2:3]
	v_cmp_class_f32_e64 s[2:3], v16, v17
	v_cndmask_b32_e32 v14, 1.0, v7, vcc
	v_mul_f32_e32 v1, v1, v14
	v_log_f32_e32 v1, v1
	v_cndmask_b32_e64 v14, v11, v16, s[2:3]
	v_cmp_gt_f32_e64 s[2:3], s15, v0
	scratch_store_dwordx4 off, v[12:15], off
	v_mul_f32_e32 v11, 0x3f317217, v1
	v_fma_f32 v11, v1, s13, -v11
	v_cndmask_b32_e64 v12, 1.0, v7, s[2:3]
	v_mul_f32_e32 v0, v0, v12
	v_log_f32_e32 v0, v0
	v_fmac_f32_e32 v11, 0x3377d1cf, v1
	v_fmac_f32_e32 v11, 0x3f317217, v1
	v_cmp_lt_f32_e64 s[4:5], |v1|, s14
	v_and_b32_e32 v14, 0xffff0000, v3
	v_lshlrev_b32_e32 v15, 16, v3
	v_cndmask_b32_e64 v1, v1, v11, s[4:5]
	v_cndmask_b32_e32 v11, 0, v9, vcc
	v_sub_f32_e32 v1, v1, v11
	v_mul_f32_e32 v11, 0x3f317217, v0
	v_fma_f32 v11, v0, s13, -v11
	v_fmac_f32_e32 v11, 0x3377d1cf, v0
	v_fmac_f32_e32 v11, 0x3f317217, v0
	v_cmp_lt_f32_e64 vcc, |v0|, s14
	v_mul_f32_e32 v3, 0x3fb8aa3b, v14
	v_exp_f32_e32 v3, v3
	v_cndmask_b32_e32 v0, v0, v11, vcc
	v_cmp_lt_f32_e32 vcc, s9, v19
	v_cndmask_b32_e64 v11, 0, v9, s[2:3]
	v_sub_f32_e32 v0, v0, v11
	v_cndmask_b32_e32 v1, v1, v19, vcc
	v_mul_f32_e32 v12, 0x4f800000, v1
	v_cmp_gt_f32_e32 vcc, s12, v1
	v_cmp_lt_f32_e64 s[2:3], s9, v2
	s_nop 0
	v_cndmask_b32_e32 v1, v1, v12, vcc
	v_sqrt_f32_e32 v12, v1
	v_cndmask_b32_e64 v0, v0, v2, s[2:3]
	v_add_u32_e32 v2, -1, v12
	v_fma_f32 v11, -v2, v12, v1
	v_cmp_ge_f32_e64 s[2:3], 0, v11
	v_add_u32_e32 v11, 1, v12
	s_nop 0
	v_cndmask_b32_e64 v2, v12, v2, s[2:3]
	v_fma_f32 v12, -v11, v12, v1
	v_cmp_lt_f32_e64 s[2:3], 0, v12
	v_mul_f32_e32 v12, 0x4f800000, v0
	s_nop 0
	v_cndmask_b32_e64 v2, v2, v11, s[2:3]
	v_cmp_gt_f32_e64 s[2:3], s12, v0
	v_mul_f32_e32 v11, 0x37800000, v2
	v_cndmask_b32_e32 v2, v2, v11, vcc
	v_cndmask_b32_e64 v0, v0, v12, s[2:3]
	v_sqrt_f32_e32 v12, v0
	v_cmp_class_f32_e32 vcc, v1, v17
	v_add_u32_e32 v13, 1, v12
	s_nop 0
	v_cndmask_b32_e32 v1, v2, v1, vcc
	v_add_u32_e32 v2, -1, v12
	v_fma_f32 v11, -v2, v12, v0
	v_cmp_ge_f32_e32 vcc, 0, v11
	s_nop 1
	v_cndmask_b32_e32 v11, v12, v2, vcc
	v_mul_f32_e32 v2, 0x3fb8aa3b, v15
	v_exp_f32_e32 v2, v2
	v_fma_f32 v12, -v13, v12, v0
	v_cmp_lt_f32_e32 vcc, 0, v12
	v_pk_add_f32 v[2:3], v[2:3], 1.0 op_sel_hi:[1,0]
	s_nop 0
	v_cndmask_b32_e32 v11, v11, v13, vcc
	v_cmp_gt_f32_e32 vcc, s15, v3
	v_mul_f32_e32 v12, 0x37800000, v11
	v_cndmask_b32_e64 v11, v11, v12, s[2:3]
	v_cndmask_b32_e32 v13, 1.0, v7, vcc
	v_mul_f32_e32 v3, v3, v13
	v_log_f32_e32 v3, v3
	v_cmp_class_f32_e64 s[2:3], v0, v17
	v_cmp_lt_f32_e64 s[4:5], |v3|, s14
	s_nop 0
	v_cndmask_b32_e64 v0, v11, v0, s[2:3]
	v_cmp_gt_f32_e64 s[2:3], s15, v2
	v_mul_f32_e32 v11, 0x3f317217, v3
	v_fma_f32 v11, v3, s13, -v11
	v_cndmask_b32_e64 v7, 1.0, v7, s[2:3]
	v_mul_f32_e32 v2, v2, v7
	v_log_f32_e32 v2, v2
	v_fmac_f32_e32 v11, 0x3377d1cf, v3
	v_fmac_f32_e32 v11, 0x3f317217, v3
	v_cndmask_b32_e64 v3, v3, v11, s[4:5]
	v_cndmask_b32_e32 v7, 0, v9, vcc
	v_sub_f32_e32 v3, v3, v7
	v_mul_f32_e32 v7, 0x3f317217, v2
	v_fma_f32 v7, v2, s13, -v7
	v_fmac_f32_e32 v7, 0x3377d1cf, v2
	v_fmac_f32_e32 v7, 0x3f317217, v2
	v_cmp_lt_f32_e64 vcc, |v2|, s14
	s_cselect_b64 s[4:5], -1, 0
	s_cmp_lt_i32 s33, 1
	v_cndmask_b32_e32 v2, v2, v7, vcc
	v_cmp_lt_f32_e32 vcc, s9, v14
	v_cndmask_b32_e64 v7, 0, v9, s[2:3]
	v_sub_f32_e32 v2, v2, v7
	v_cndmask_b32_e32 v3, v3, v14, vcc
	v_mul_f32_e32 v9, 0x4f800000, v3
	v_cmp_gt_f32_e32 vcc, s12, v3
	v_cmp_lt_f32_e64 s[2:3], s9, v15
	s_nop 0
	v_cndmask_b32_e32 v3, v3, v9, vcc
	v_sqrt_f32_e32 v9, v3
	v_cndmask_b32_e64 v2, v2, v15, s[2:3]
	v_add_u32_e32 v7, -1, v9
	v_fma_f32 v11, -v7, v9, v3
	v_cmp_ge_f32_e64 s[2:3], 0, v11
	v_add_u32_e32 v11, 1, v9
	s_nop 0
	v_cndmask_b32_e64 v7, v9, v7, s[2:3]
	v_fma_f32 v9, -v11, v9, v3
	v_cmp_lt_f32_e64 s[2:3], 0, v9
	s_nop 1
	v_cndmask_b32_e64 v7, v7, v11, s[2:3]
	v_mul_f32_e32 v11, 0x4f800000, v2
	v_cmp_gt_f32_e64 s[2:3], s12, v2
	v_mul_f32_e32 v9, 0x37800000, v7
	v_cndmask_b32_e32 v7, v7, v9, vcc
	v_cndmask_b32_e64 v2, v2, v11, s[2:3]
	v_sqrt_f32_e32 v11, v2
	v_cmp_class_f32_e32 vcc, v3, v17
	s_nop 1
	v_cndmask_b32_e32 v3, v7, v3, vcc
	v_add_u32_e32 v7, -1, v11
	v_fma_f32 v9, -v7, v11, v2
	v_cmp_ge_f32_e32 vcc, 0, v9
	v_add_u32_e32 v9, 1, v11
	s_nop 0
	v_cndmask_b32_e32 v7, v11, v7, vcc
	v_fma_f32 v11, -v9, v11, v2
	v_cmp_lt_f32_e32 vcc, 0, v11
	s_nop 1
	v_cndmask_b32_e32 v7, v7, v9, vcc
	v_mul_f32_e32 v9, 0x37800000, v7
	v_cndmask_b32_e64 v7, v7, v9, s[2:3]
	v_cmp_class_f32_e32 vcc, v2, v17
	s_nop 1
	v_cndmask_b32_e32 v2, v7, v2, vcc
	scratch_store_dwordx4 off, v[0:3], off offset:16
	s_nop 1
	v_lshl_add_u64 v[2:3], v[4:5], 2, s[10:11]
	v_mul_lo_u32 v0, v6, s33
	s_cbranch_scc1 .LBB452_29
; %bb.2:
	s_load_dwordx2 s[6:7], s[0:1], 0x20
	s_cmp_lt_u32 s33, 4
	v_and_b32_e32 v4, 31, v8
	s_cbranch_scc1 .LBB452_21
; %bb.3:
	v_lshlrev_b32_e32 v5, 3, v4
	s_mov_b32 s11, 0
	s_and_b32 s8, s33, 0x7ffffffc
	v_ashrrev_i32_e32 v1, 31, v0
	v_sub_u32_e32 v11, 0, v5
	v_mov_b32_e32 v5, 0
	s_mov_b32 s10, s11
	s_branch .LBB452_5
.LBB452_4:                              ;   in Loop: Header=BB452_5 Depth=1
	s_or_b64 exec, exec, s[12:13]
	s_add_i32 s10, s10, 4
	s_cmp_eq_u32 s10, s8
	s_cbranch_scc1 .LBB452_22
.LBB452_5:                              ; =>This Loop Header: Depth=1
                                        ;     Child Loop BB452_7 Depth 2
                                        ;     Child Loop BB452_11 Depth 2
	;; [unrolled: 1-line block ×4, first 2 shown]
	v_lshl_add_u64 v[6:7], s[10:11], 2, v[2:3]
	global_load_dword v12, v[6:7], off
	v_add_u32_e32 v8, s10, v0
	v_ashrrev_i32_e32 v9, 31, v8
	v_mov_b32_e32 v13, 0
	s_mov_b64 s[12:13], 0
	s_waitcnt lgkmcnt(0)
	v_lshl_add_u64 v[8:9], v[8:9], 2, s[6:7]
	s_mov_b32 s9, 0
	s_waitcnt vmcnt(0)
	v_add_u32_e32 v14, v11, v12
	s_branch .LBB452_7
.LBB452_6:                              ;   in Loop: Header=BB452_7 Depth=2
	s_or_b64 exec, exec, s[14:15]
	s_add_i32 s16, s9, 1
	s_cmp_gt_u32 s9, 6
	s_cselect_b64 s[2:3], -1, 0
	s_xor_b64 s[14:15], vcc, -1
	s_or_b64 s[2:3], s[14:15], s[2:3]
	s_and_b64 s[2:3], exec, s[2:3]
	v_add_u32_e32 v13, 4, v13
	s_or_b64 s[12:13], s[2:3], s[12:13]
	s_mov_b32 s9, s16
	s_andn2_b64 exec, exec, s[12:13]
	s_cbranch_execz .LBB452_9
.LBB452_7:                              ;   Parent Loop BB452_5 Depth=1
                                        ; =>  This Inner Loop Header: Depth=2
	v_cmp_ne_u32_e32 vcc, s9, v14
	v_cmp_eq_u32_e64 s[2:3], s9, v14
	s_and_saveexec_b64 s[14:15], s[2:3]
	s_cbranch_execz .LBB452_6
; %bb.8:                                ;   in Loop: Header=BB452_7 Depth=2
	scratch_load_dword v15, v13, off
	s_waitcnt vmcnt(0)
	v_add_f32_e32 v5, v5, v15
	global_store_dword v[8:9], v12, off
	s_branch .LBB452_6
.LBB452_9:                              ;   in Loop: Header=BB452_5 Depth=1
	s_or_b64 exec, exec, s[12:13]
	global_load_dword v12, v[6:7], off offset:4
	s_ashr_i32 s3, s10, 31
	s_mov_b32 s2, s10
	v_lshl_add_u64 v[8:9], s[2:3], 0, v[0:1]
	v_mov_b32_e32 v13, 0
	s_mov_b32 s9, 0
	v_lshl_add_u64 v[8:9], v[8:9], 2, s[6:7]
	s_mov_b64 s[12:13], 0
	s_waitcnt vmcnt(0)
	v_add_u32_e32 v14, v11, v12
	s_branch .LBB452_11
.LBB452_10:                             ;   in Loop: Header=BB452_11 Depth=2
	s_or_b64 exec, exec, s[14:15]
	s_add_i32 s16, s9, 1
	s_cmp_gt_u32 s9, 6
	s_cselect_b64 s[2:3], -1, 0
	s_xor_b64 s[14:15], vcc, -1
	s_or_b64 s[2:3], s[14:15], s[2:3]
	s_and_b64 s[2:3], exec, s[2:3]
	v_add_u32_e32 v13, 4, v13
	s_or_b64 s[12:13], s[2:3], s[12:13]
	s_mov_b32 s9, s16
	s_andn2_b64 exec, exec, s[12:13]
	s_cbranch_execz .LBB452_13
.LBB452_11:                             ;   Parent Loop BB452_5 Depth=1
                                        ; =>  This Inner Loop Header: Depth=2
	v_cmp_ne_u32_e32 vcc, s9, v14
	v_cmp_eq_u32_e64 s[2:3], s9, v14
	s_and_saveexec_b64 s[14:15], s[2:3]
	s_cbranch_execz .LBB452_10
; %bb.12:                               ;   in Loop: Header=BB452_11 Depth=2
	scratch_load_dword v15, v13, off
	s_waitcnt vmcnt(0)
	v_add_f32_e32 v5, v5, v15
	global_store_dword v[8:9], v12, off offset:4
	s_branch .LBB452_10
.LBB452_13:                             ;   in Loop: Header=BB452_5 Depth=1
	s_or_b64 exec, exec, s[12:13]
	global_load_dword v12, v[6:7], off offset:8
	v_mov_b32_e32 v13, 0
	s_mov_b32 s9, 0
	s_mov_b64 s[12:13], 0
	s_waitcnt vmcnt(0)
	v_add_u32_e32 v14, v11, v12
	s_branch .LBB452_15
.LBB452_14:                             ;   in Loop: Header=BB452_15 Depth=2
	s_or_b64 exec, exec, s[14:15]
	s_add_i32 s16, s9, 1
	s_cmp_gt_u32 s9, 6
	s_cselect_b64 s[2:3], -1, 0
	s_xor_b64 s[14:15], vcc, -1
	s_or_b64 s[2:3], s[14:15], s[2:3]
	s_and_b64 s[2:3], exec, s[2:3]
	v_add_u32_e32 v13, 4, v13
	s_or_b64 s[12:13], s[2:3], s[12:13]
	s_mov_b32 s9, s16
	s_andn2_b64 exec, exec, s[12:13]
	s_cbranch_execz .LBB452_17
.LBB452_15:                             ;   Parent Loop BB452_5 Depth=1
                                        ; =>  This Inner Loop Header: Depth=2
	v_cmp_ne_u32_e32 vcc, s9, v14
	v_cmp_eq_u32_e64 s[2:3], s9, v14
	s_and_saveexec_b64 s[14:15], s[2:3]
	s_cbranch_execz .LBB452_14
; %bb.16:                               ;   in Loop: Header=BB452_15 Depth=2
	scratch_load_dword v15, v13, off
	s_waitcnt vmcnt(0)
	v_add_f32_e32 v5, v5, v15
	global_store_dword v[8:9], v12, off offset:8
	s_branch .LBB452_14
.LBB452_17:                             ;   in Loop: Header=BB452_5 Depth=1
	s_or_b64 exec, exec, s[12:13]
	global_load_dword v6, v[6:7], off offset:12
	v_mov_b32_e32 v7, 0
	s_mov_b32 s9, 0
	s_mov_b64 s[12:13], 0
	s_waitcnt vmcnt(0)
	v_add_u32_e32 v12, v11, v6
	s_branch .LBB452_19
.LBB452_18:                             ;   in Loop: Header=BB452_19 Depth=2
	s_or_b64 exec, exec, s[14:15]
	s_add_i32 s16, s9, 1
	s_cmp_gt_u32 s9, 6
	s_cselect_b64 s[2:3], -1, 0
	s_xor_b64 s[14:15], vcc, -1
	s_or_b64 s[2:3], s[14:15], s[2:3]
	s_and_b64 s[2:3], exec, s[2:3]
	v_add_u32_e32 v7, 4, v7
	s_or_b64 s[12:13], s[2:3], s[12:13]
	s_mov_b32 s9, s16
	s_andn2_b64 exec, exec, s[12:13]
	s_cbranch_execz .LBB452_4
.LBB452_19:                             ;   Parent Loop BB452_5 Depth=1
                                        ; =>  This Inner Loop Header: Depth=2
	v_cmp_ne_u32_e32 vcc, s9, v12
	v_cmp_eq_u32_e64 s[2:3], s9, v12
	s_and_saveexec_b64 s[14:15], s[2:3]
	s_cbranch_execz .LBB452_18
; %bb.20:                               ;   in Loop: Header=BB452_19 Depth=2
	scratch_load_dword v13, v7, off
	s_waitcnt vmcnt(0)
	v_add_f32_e32 v5, v5, v13
	global_store_dword v[8:9], v6, off offset:12
	s_branch .LBB452_18
.LBB452_21:
	v_mov_b32_e32 v5, 0
.LBB452_22:
	s_and_b32 s14, s33, 3
	s_cmp_eq_u32 s14, 0
	s_mov_b32 s9, 0
	s_cbranch_scc1 .LBB452_29
; %bb.23:
	v_lshlrev_b32_e32 v1, 3, v4
	v_sub_u32_e32 v1, 0, v1
	s_mov_b32 s15, s9
	s_branch .LBB452_25
.LBB452_24:                             ;   in Loop: Header=BB452_25 Depth=1
	s_or_b64 exec, exec, s[10:11]
	s_add_i32 s8, s8, 1
	s_add_i32 s15, s15, 1
	s_cmp_lg_u32 s15, s14
	s_cbranch_scc0 .LBB452_29
.LBB452_25:                             ; =>This Loop Header: Depth=1
                                        ;     Child Loop BB452_27 Depth 2
	v_lshl_add_u64 v[6:7], s[8:9], 2, v[2:3]
	global_load_dword v4, v[6:7], off
	v_add_u32_e32 v6, s8, v0
	v_ashrrev_i32_e32 v7, 31, v6
	v_mov_b32_e32 v8, 0
	s_mov_b32 s16, 0
	s_waitcnt lgkmcnt(0)
	v_lshl_add_u64 v[6:7], v[6:7], 2, s[6:7]
	s_mov_b64 s[10:11], 0
	s_waitcnt vmcnt(0)
	v_add_u32_e32 v9, v1, v4
	s_branch .LBB452_27
.LBB452_26:                             ;   in Loop: Header=BB452_27 Depth=2
	s_or_b64 exec, exec, s[12:13]
	s_add_i32 s17, s16, 1
	s_cmp_gt_u32 s16, 6
	s_cselect_b64 s[2:3], -1, 0
	s_xor_b64 s[12:13], vcc, -1
	s_or_b64 s[2:3], s[12:13], s[2:3]
	s_and_b64 s[2:3], exec, s[2:3]
	v_add_u32_e32 v8, 4, v8
	s_or_b64 s[10:11], s[2:3], s[10:11]
	s_mov_b32 s16, s17
	s_andn2_b64 exec, exec, s[10:11]
	s_cbranch_execz .LBB452_24
.LBB452_27:                             ;   Parent Loop BB452_25 Depth=1
                                        ; =>  This Inner Loop Header: Depth=2
	v_cmp_ne_u32_e32 vcc, s16, v9
	v_cmp_eq_u32_e64 s[2:3], s16, v9
	s_and_saveexec_b64 s[12:13], s[2:3]
	s_cbranch_execz .LBB452_26
; %bb.28:                               ;   in Loop: Header=BB452_27 Depth=2
	scratch_load_dword v11, v8, off
	s_waitcnt vmcnt(0)
	v_add_f32_e32 v5, v5, v11
	global_store_dword v[6:7], v4, off
	s_branch .LBB452_26
.LBB452_29:
	s_waitcnt lgkmcnt(0)
	s_load_dword s6, s[0:1], 0x3c
	s_waitcnt lgkmcnt(0)
	s_bitcmp1_b32 s6, 0
	s_cselect_b64 s[2:3], -1, 0
	s_bitcmp0_b32 s6, 0
	s_cbranch_scc0 .LBB452_33
; %bb.30:
	s_load_dwordx2 s[6:7], s[0:1], 0x40
	s_andn2_b64 vcc, exec, s[2:3]
	s_waitcnt lgkmcnt(0)
	v_cvt_f32_f64_e32 v8, s[6:7]
	s_cbranch_vccz .LBB452_34
.LBB452_31:
	s_andn2_b64 vcc, exec, s[4:5]
	s_cbranch_vccz .LBB452_35
.LBB452_32:
	s_endpgm
.LBB452_33:
	v_mbcnt_lo_u32_b32 v1, -1, 0
	v_mbcnt_hi_u32_b32 v1, -1, v1
	v_and_b32_e32 v4, 0x60, v1
	v_add_u32_e32 v4, 32, v4
	v_xor_b32_e32 v6, 16, v1
	v_cmp_lt_i32_e32 vcc, v6, v4
	v_xor_b32_e32 v7, 8, v1
	s_nop 0
	v_cndmask_b32_e32 v6, v1, v6, vcc
	v_lshlrev_b32_e32 v6, 2, v6
	ds_bpermute_b32 v6, v6, v5
	v_cmp_lt_i32_e32 vcc, v7, v4
	s_waitcnt lgkmcnt(0)
	v_add_f32_e32 v5, v5, v6
	v_cndmask_b32_e32 v6, v1, v7, vcc
	v_lshlrev_b32_e32 v6, 2, v6
	ds_bpermute_b32 v6, v6, v5
	v_xor_b32_e32 v7, 4, v1
	v_cmp_lt_i32_e32 vcc, v7, v4
	s_waitcnt lgkmcnt(0)
	v_add_f32_e32 v5, v5, v6
	v_cndmask_b32_e32 v6, v1, v7, vcc
	v_lshlrev_b32_e32 v6, 2, v6
	ds_bpermute_b32 v6, v6, v5
	v_xor_b32_e32 v7, 2, v1
	;; [unrolled: 7-line block ×3, first 2 shown]
	v_cmp_lt_i32_e32 vcc, v7, v4
	s_waitcnt lgkmcnt(0)
	v_add_f32_e32 v5, v5, v6
	v_cndmask_b32_e32 v1, v1, v7, vcc
	v_lshlrev_b32_e32 v1, 2, v1
	ds_bpermute_b32 v1, v1, v5
	s_waitcnt lgkmcnt(0)
	v_add_f32_e32 v5, v5, v1
	s_load_dwordx2 s[6:7], s[0:1], 0x40
	s_andn2_b64 vcc, exec, s[2:3]
	s_waitcnt lgkmcnt(0)
	v_cvt_f32_f64_e32 v8, s[6:7]
	s_cbranch_vccnz .LBB452_31
.LBB452_34:
	v_cmp_lt_f32_e32 vcc, 0, v5
	s_nop 1
	v_cndmask_b32_e32 v1, 1.0, v5, vcc
	v_div_scale_f32 v4, s[2:3], v1, v1, v8
	v_rcp_f32_e32 v5, v4
	s_nop 0
	v_fma_f32 v6, -v4, v5, 1.0
	v_fmac_f32_e32 v5, v6, v5
	v_div_scale_f32 v6, vcc, v8, v1, v8
	v_mul_f32_e32 v7, v6, v5
	v_fma_f32 v9, -v4, v7, v6
	v_fmac_f32_e32 v7, v9, v5
	v_fma_f32 v4, -v4, v7, v6
	v_div_fmas_f32 v4, v4, v5, v7
	v_div_fixup_f32 v8, v4, v1, v8
	s_andn2_b64 vcc, exec, s[4:5]
	s_cbranch_vccnz .LBB452_32
.LBB452_35:
	s_load_dwordx2 s[12:13], s[0:1], 0x10
	v_mov_b32_e32 v1, 0
	v_or_b32_e32 v20, 4, v1
	v_or_b32_e32 v18, 8, v1
	;; [unrolled: 1-line block ×3, first 2 shown]
	v_add_u32_e32 v14, 16, v1
	v_add_u32_e32 v12, 20, v1
	;; [unrolled: 1-line block ×4, first 2 shown]
	v_or_b32_e32 v23, 1, v10
	v_or_b32_e32 v22, 2, v10
	;; [unrolled: 1-line block ×7, first 2 shown]
	s_cmp_eq_u32 s33, 1
	s_mov_b32 s14, 0
	s_cbranch_scc1 .LBB452_70
; %bb.36:
	v_ashrrev_i32_e32 v1, 31, v0
	s_waitcnt lgkmcnt(0)
	v_lshl_add_u64 v[4:5], v[0:1], 2, s[12:13]
	s_and_b32 s14, s33, 0x7ffffffe
	v_lshl_add_u64 v[4:5], v[4:5], 0, 4
	v_lshl_add_u64 v[6:7], v[2:3], 0, 4
	s_mov_b32 s15, 0
	s_branch .LBB452_38
.LBB452_37:                             ;   in Loop: Header=BB452_38 Depth=1
	s_or_b64 exec, exec, s[0:1]
	s_add_i32 s15, s15, 2
	v_lshl_add_u64 v[4:5], v[4:5], 0, 8
	s_cmp_eq_u32 s14, s15
	v_lshl_add_u64 v[6:7], v[6:7], 0, 8
	s_cbranch_scc1 .LBB452_70
.LBB452_38:                             ; =>This Inner Loop Header: Depth=1
	global_load_dword v24, v[6:7], off offset:-4
	v_mov_b32_e32 v1, 0
	s_waitcnt vmcnt(0)
	v_cmp_eq_u32_e32 vcc, v24, v10
	v_cmp_ne_u32_e64 s[0:1], v24, v10
	s_and_saveexec_b64 s[16:17], s[0:1]
	s_cbranch_execz .LBB452_52
; %bb.39:                               ;   in Loop: Header=BB452_38 Depth=1
	v_cmp_eq_u32_e64 s[0:1], v24, v23
	v_cmp_ne_u32_e64 s[2:3], v24, v23
	v_mov_b32_e32 v1, v20
	s_and_saveexec_b64 s[18:19], s[2:3]
	s_cbranch_execz .LBB452_51
; %bb.40:                               ;   in Loop: Header=BB452_38 Depth=1
	v_cmp_eq_u32_e64 s[2:3], v24, v22
	v_cmp_ne_u32_e64 s[4:5], v24, v22
	v_mov_b32_e32 v1, v18
	;; [unrolled: 6-line block ×6, first 2 shown]
	s_and_saveexec_b64 s[30:31], s[10:11]
	s_xor_b64 s[30:31], exec, s[30:31]
; %bb.45:                               ;   in Loop: Header=BB452_38 Depth=1
	v_cmp_eq_u32_e64 s[10:11], v24, v13
	s_andn2_b64 s[28:29], s[28:29], exec
	s_and_b64 s[10:11], s[10:11], exec
	s_or_b64 s[28:29], s[28:29], s[10:11]
	v_mov_b32_e32 v1, v11
; %bb.46:                               ;   in Loop: Header=BB452_38 Depth=1
	s_or_b64 exec, exec, s[30:31]
	s_andn2_b64 s[8:9], s[8:9], exec
	s_and_b64 s[10:11], s[28:29], exec
	s_or_b64 s[8:9], s[8:9], s[10:11]
.LBB452_47:                             ;   in Loop: Header=BB452_38 Depth=1
	s_or_b64 exec, exec, s[26:27]
	s_andn2_b64 s[6:7], s[6:7], exec
	s_and_b64 s[8:9], s[8:9], exec
	s_or_b64 s[6:7], s[6:7], s[8:9]
.LBB452_48:                             ;   in Loop: Header=BB452_38 Depth=1
	s_or_b64 exec, exec, s[24:25]
	s_andn2_b64 s[4:5], s[4:5], exec
	s_and_b64 s[6:7], s[6:7], exec
	s_or_b64 s[4:5], s[4:5], s[6:7]
.LBB452_49:                             ;   in Loop: Header=BB452_38 Depth=1
	s_or_b64 exec, exec, s[22:23]
	s_andn2_b64 s[2:3], s[2:3], exec
	s_and_b64 s[4:5], s[4:5], exec
	s_or_b64 s[2:3], s[2:3], s[4:5]
.LBB452_50:                             ;   in Loop: Header=BB452_38 Depth=1
	s_or_b64 exec, exec, s[20:21]
	s_andn2_b64 s[0:1], s[0:1], exec
	s_and_b64 s[2:3], s[2:3], exec
	s_or_b64 s[0:1], s[0:1], s[2:3]
.LBB452_51:                             ;   in Loop: Header=BB452_38 Depth=1
	s_or_b64 exec, exec, s[18:19]
	s_andn2_b64 s[2:3], vcc, exec
	s_and_b64 s[0:1], s[0:1], exec
	s_or_b64 vcc, s[2:3], s[0:1]
.LBB452_52:                             ;   in Loop: Header=BB452_38 Depth=1
	s_or_b64 exec, exec, s[16:17]
	s_and_saveexec_b64 s[0:1], vcc
	s_cbranch_execz .LBB452_54
; %bb.53:                               ;   in Loop: Header=BB452_38 Depth=1
	scratch_load_dword v1, v1, off
	v_add_u32_e32 v24, s15, v0
	v_ashrrev_i32_e32 v25, 31, v24
	v_lshl_add_u64 v[24:25], v[24:25], 2, s[12:13]
	s_waitcnt vmcnt(0)
	v_mul_f32_e32 v1, v8, v1
	global_store_dword v[24:25], v1, off
.LBB452_54:                             ;   in Loop: Header=BB452_38 Depth=1
	s_or_b64 exec, exec, s[0:1]
	global_load_dword v24, v[6:7], off
	v_mov_b32_e32 v1, 0
	s_waitcnt vmcnt(0)
	v_cmp_eq_u32_e64 s[8:9], v24, v10
	v_cmp_ne_u32_e32 vcc, v24, v10
	s_and_saveexec_b64 s[10:11], vcc
	s_cbranch_execz .LBB452_68
; %bb.55:                               ;   in Loop: Header=BB452_38 Depth=1
	v_cmp_eq_u32_e32 vcc, v24, v23
	v_cmp_ne_u32_e64 s[0:1], v24, v23
	v_mov_b32_e32 v1, v20
	s_and_saveexec_b64 s[16:17], s[0:1]
	s_cbranch_execz .LBB452_67
; %bb.56:                               ;   in Loop: Header=BB452_38 Depth=1
	v_cmp_eq_u32_e64 s[0:1], v24, v22
	v_cmp_ne_u32_e64 s[2:3], v24, v22
	v_mov_b32_e32 v1, v18
	s_and_saveexec_b64 s[18:19], s[2:3]
	s_cbranch_execz .LBB452_66
; %bb.57:                               ;   in Loop: Header=BB452_38 Depth=1
	v_cmp_eq_u32_e64 s[2:3], v24, v21
	;; [unrolled: 6-line block ×5, first 2 shown]
	v_cmp_ne_u32_e64 s[6:7], v24, v15
	v_mov_b32_e32 v1, v9
	s_and_saveexec_b64 s[30:31], s[6:7]
; %bb.61:                               ;   in Loop: Header=BB452_38 Depth=1
	v_cmp_eq_u32_e64 s[6:7], v24, v13
	s_andn2_b64 s[28:29], s[28:29], exec
	s_and_b64 s[6:7], s[6:7], exec
	s_or_b64 s[28:29], s[28:29], s[6:7]
	v_mov_b32_e32 v1, v11
; %bb.62:                               ;   in Loop: Header=BB452_38 Depth=1
	s_or_b64 exec, exec, s[30:31]
	s_andn2_b64 s[6:7], s[24:25], exec
	s_and_b64 s[24:25], s[28:29], exec
	s_or_b64 s[24:25], s[6:7], s[24:25]
.LBB452_63:                             ;   in Loop: Header=BB452_38 Depth=1
	s_or_b64 exec, exec, s[26:27]
	s_andn2_b64 s[4:5], s[4:5], exec
	s_and_b64 s[6:7], s[24:25], exec
	s_or_b64 s[4:5], s[4:5], s[6:7]
.LBB452_64:                             ;   in Loop: Header=BB452_38 Depth=1
	s_or_b64 exec, exec, s[22:23]
	s_andn2_b64 s[2:3], s[2:3], exec
	s_and_b64 s[4:5], s[4:5], exec
	s_or_b64 s[2:3], s[2:3], s[4:5]
.LBB452_65:                             ;   in Loop: Header=BB452_38 Depth=1
	s_or_b64 exec, exec, s[20:21]
	s_andn2_b64 s[0:1], s[0:1], exec
	s_and_b64 s[2:3], s[2:3], exec
	s_or_b64 s[0:1], s[0:1], s[2:3]
.LBB452_66:                             ;   in Loop: Header=BB452_38 Depth=1
	s_or_b64 exec, exec, s[18:19]
	s_andn2_b64 s[2:3], vcc, exec
	s_and_b64 s[0:1], s[0:1], exec
	s_or_b64 vcc, s[2:3], s[0:1]
.LBB452_67:                             ;   in Loop: Header=BB452_38 Depth=1
	s_or_b64 exec, exec, s[16:17]
	s_andn2_b64 s[0:1], s[8:9], exec
	s_and_b64 s[2:3], vcc, exec
	s_or_b64 s[8:9], s[0:1], s[2:3]
.LBB452_68:                             ;   in Loop: Header=BB452_38 Depth=1
	s_or_b64 exec, exec, s[10:11]
	s_and_saveexec_b64 s[0:1], s[8:9]
	s_cbranch_execz .LBB452_37
; %bb.69:                               ;   in Loop: Header=BB452_38 Depth=1
	scratch_load_dword v1, v1, off
	s_waitcnt vmcnt(0)
	v_mul_f32_e32 v1, v8, v1
	global_store_dword v[4:5], v1, off
	s_branch .LBB452_37
.LBB452_70:
	s_bitcmp0_b32 s33, 0
	s_mov_b32 s15, 0
	s_cbranch_scc1 .LBB452_32
; %bb.71:
	v_lshl_add_u64 v[2:3], s[14:15], 2, v[2:3]
	global_load_dword v1, v[2:3], off
	v_mov_b32_e32 v2, 0
	s_waitcnt vmcnt(0)
	v_cmp_eq_u32_e64 s[8:9], v1, v10
	v_cmp_ne_u32_e32 vcc, v1, v10
	s_and_saveexec_b64 s[10:11], vcc
	s_cbranch_execz .LBB452_85
; %bb.72:
	v_cmp_eq_u32_e32 vcc, v1, v23
	v_cmp_ne_u32_e64 s[0:1], v1, v23
	s_and_saveexec_b64 s[16:17], s[0:1]
	s_cbranch_execz .LBB452_84
; %bb.73:
	v_cmp_eq_u32_e64 s[0:1], v1, v22
	v_cmp_ne_u32_e64 s[2:3], v1, v22
	s_and_saveexec_b64 s[18:19], s[2:3]
	s_cbranch_execz .LBB452_83
; %bb.74:
	v_cmp_eq_u32_e64 s[2:3], v1, v21
	;; [unrolled: 5-line block ×5, first 2 shown]
	v_cmp_ne_u32_e64 s[6:7], v1, v15
	s_and_saveexec_b64 s[30:31], s[6:7]
; %bb.78:
	v_cmp_eq_u32_e64 s[6:7], v1, v13
	s_andn2_b64 s[28:29], s[28:29], exec
	s_and_b64 s[6:7], s[6:7], exec
	s_or_b64 s[28:29], s[28:29], s[6:7]
	v_mov_b32_e32 v9, v11
; %bb.79:
	s_or_b64 exec, exec, s[30:31]
	s_andn2_b64 s[6:7], s[24:25], exec
	s_and_b64 s[24:25], s[28:29], exec
	s_or_b64 s[24:25], s[6:7], s[24:25]
	v_mov_b32_e32 v12, v9
.LBB452_80:
	s_or_b64 exec, exec, s[26:27]
	s_andn2_b64 s[4:5], s[4:5], exec
	s_and_b64 s[6:7], s[24:25], exec
	s_or_b64 s[4:5], s[4:5], s[6:7]
	v_mov_b32_e32 v14, v12
.LBB452_81:
	s_or_b64 exec, exec, s[22:23]
	s_andn2_b64 s[2:3], s[2:3], exec
	s_and_b64 s[4:5], s[4:5], exec
	s_or_b64 s[2:3], s[2:3], s[4:5]
	v_mov_b32_e32 v16, v14
.LBB452_82:
	s_or_b64 exec, exec, s[20:21]
	s_andn2_b64 s[0:1], s[0:1], exec
	s_and_b64 s[2:3], s[2:3], exec
	s_or_b64 s[0:1], s[0:1], s[2:3]
	v_mov_b32_e32 v18, v16
.LBB452_83:
	s_or_b64 exec, exec, s[18:19]
	s_andn2_b64 s[2:3], vcc, exec
	s_and_b64 s[0:1], s[0:1], exec
	s_or_b64 vcc, s[2:3], s[0:1]
	v_mov_b32_e32 v20, v18
.LBB452_84:
	s_or_b64 exec, exec, s[16:17]
	s_andn2_b64 s[0:1], s[8:9], exec
	s_and_b64 s[2:3], vcc, exec
	s_or_b64 s[8:9], s[0:1], s[2:3]
	v_mov_b32_e32 v2, v20
.LBB452_85:
	s_or_b64 exec, exec, s[10:11]
	s_and_b64 exec, exec, s[8:9]
	s_cbranch_execz .LBB452_32
; %bb.86:
	scratch_load_dword v2, v2, off
	v_add_u32_e32 v0, s14, v0
	v_ashrrev_i32_e32 v1, 31, v0
	s_waitcnt lgkmcnt(0)
	v_lshl_add_u64 v[0:1], v[0:1], 2, s[12:13]
	s_waitcnt vmcnt(0)
	v_mul_f32_e32 v2, v8, v2
	global_store_dword v[0:1], v2, off
	s_endpgm
	.section	.rodata,"a",@progbits
	.p2align	6, 0x0
	.amdhsa_kernel _ZN4vllm3moe22topkGatingSoftplusSqrtILi8ELi256ELi4ELi16ELi64ELb1Ej14__hip_bfloat16EEvPKT6_PKbPfiPT5_PiiiibdPKfPKS9_SF_
		.amdhsa_group_segment_fixed_size 0
		.amdhsa_private_segment_fixed_size 48
		.amdhsa_kernarg_size 96
		.amdhsa_user_sgpr_count 2
		.amdhsa_user_sgpr_dispatch_ptr 0
		.amdhsa_user_sgpr_queue_ptr 0
		.amdhsa_user_sgpr_kernarg_segment_ptr 1
		.amdhsa_user_sgpr_dispatch_id 0
		.amdhsa_user_sgpr_kernarg_preload_length 0
		.amdhsa_user_sgpr_kernarg_preload_offset 0
		.amdhsa_user_sgpr_private_segment_size 0
		.amdhsa_uses_dynamic_stack 0
		.amdhsa_enable_private_segment 1
		.amdhsa_system_sgpr_workgroup_id_x 1
		.amdhsa_system_sgpr_workgroup_id_y 0
		.amdhsa_system_sgpr_workgroup_id_z 0
		.amdhsa_system_sgpr_workgroup_info 0
		.amdhsa_system_vgpr_workitem_id 1
		.amdhsa_next_free_vgpr 27
		.amdhsa_next_free_sgpr 34
		.amdhsa_accum_offset 28
		.amdhsa_reserve_vcc 1
		.amdhsa_float_round_mode_32 0
		.amdhsa_float_round_mode_16_64 0
		.amdhsa_float_denorm_mode_32 3
		.amdhsa_float_denorm_mode_16_64 3
		.amdhsa_dx10_clamp 1
		.amdhsa_ieee_mode 1
		.amdhsa_fp16_overflow 0
		.amdhsa_tg_split 0
		.amdhsa_exception_fp_ieee_invalid_op 0
		.amdhsa_exception_fp_denorm_src 0
		.amdhsa_exception_fp_ieee_div_zero 0
		.amdhsa_exception_fp_ieee_overflow 0
		.amdhsa_exception_fp_ieee_underflow 0
		.amdhsa_exception_fp_ieee_inexact 0
		.amdhsa_exception_int_div_zero 0
	.end_amdhsa_kernel
	.section	.text._ZN4vllm3moe22topkGatingSoftplusSqrtILi8ELi256ELi4ELi16ELi64ELb1Ej14__hip_bfloat16EEvPKT6_PKbPfiPT5_PiiiibdPKfPKS9_SF_,"axG",@progbits,_ZN4vllm3moe22topkGatingSoftplusSqrtILi8ELi256ELi4ELi16ELi64ELb1Ej14__hip_bfloat16EEvPKT6_PKbPfiPT5_PiiiibdPKfPKS9_SF_,comdat
.Lfunc_end452:
	.size	_ZN4vllm3moe22topkGatingSoftplusSqrtILi8ELi256ELi4ELi16ELi64ELb1Ej14__hip_bfloat16EEvPKT6_PKbPfiPT5_PiiiibdPKfPKS9_SF_, .Lfunc_end452-_ZN4vllm3moe22topkGatingSoftplusSqrtILi8ELi256ELi4ELi16ELi64ELb1Ej14__hip_bfloat16EEvPKT6_PKbPfiPT5_PiiiibdPKfPKS9_SF_
                                        ; -- End function
	.section	.AMDGPU.csdata,"",@progbits
; Kernel info:
; codeLenInByte = 4588
; NumSgprs: 40
; NumVgprs: 27
; NumAgprs: 0
; TotalNumVgprs: 27
; ScratchSize: 48
; MemoryBound: 0
; FloatMode: 240
; IeeeMode: 1
; LDSByteSize: 0 bytes/workgroup (compile time only)
; SGPRBlocks: 4
; VGPRBlocks: 3
; NumSGPRsForWavesPerEU: 40
; NumVGPRsForWavesPerEU: 27
; AccumOffset: 28
; Occupancy: 8
; WaveLimiterHint : 1
; COMPUTE_PGM_RSRC2:SCRATCH_EN: 1
; COMPUTE_PGM_RSRC2:USER_SGPR: 2
; COMPUTE_PGM_RSRC2:TRAP_HANDLER: 0
; COMPUTE_PGM_RSRC2:TGID_X_EN: 1
; COMPUTE_PGM_RSRC2:TGID_Y_EN: 0
; COMPUTE_PGM_RSRC2:TGID_Z_EN: 0
; COMPUTE_PGM_RSRC2:TIDIG_COMP_CNT: 1
; COMPUTE_PGM_RSRC3_GFX90A:ACCUM_OFFSET: 6
; COMPUTE_PGM_RSRC3_GFX90A:TG_SPLIT: 0
	.section	.text._ZN4vllm3moe22topkGatingSoftplusSqrtILi8ELi256ELi4ELi16ELi64ELb0Ej14__hip_bfloat16EEvPKT6_PKbPfiPT5_PiiiibdPKfPKS9_SF_,"axG",@progbits,_ZN4vllm3moe22topkGatingSoftplusSqrtILi8ELi256ELi4ELi16ELi64ELb0Ej14__hip_bfloat16EEvPKT6_PKbPfiPT5_PiiiibdPKfPKS9_SF_,comdat
	.protected	_ZN4vllm3moe22topkGatingSoftplusSqrtILi8ELi256ELi4ELi16ELi64ELb0Ej14__hip_bfloat16EEvPKT6_PKbPfiPT5_PiiiibdPKfPKS9_SF_ ; -- Begin function _ZN4vllm3moe22topkGatingSoftplusSqrtILi8ELi256ELi4ELi16ELi64ELb0Ej14__hip_bfloat16EEvPKT6_PKbPfiPT5_PiiiibdPKfPKS9_SF_
	.globl	_ZN4vllm3moe22topkGatingSoftplusSqrtILi8ELi256ELi4ELi16ELi64ELb0Ej14__hip_bfloat16EEvPKT6_PKbPfiPT5_PiiiibdPKfPKS9_SF_
	.p2align	8
	.type	_ZN4vllm3moe22topkGatingSoftplusSqrtILi8ELi256ELi4ELi16ELi64ELb0Ej14__hip_bfloat16EEvPKT6_PKbPfiPT5_PiiiibdPKfPKS9_SF_,@function
_ZN4vllm3moe22topkGatingSoftplusSqrtILi8ELi256ELi4ELi16ELi64ELb0Ej14__hip_bfloat16EEvPKT6_PKbPfiPT5_PiiiibdPKfPKS9_SF_: ; @_ZN4vllm3moe22topkGatingSoftplusSqrtILi8ELi256ELi4ELi16ELi64ELb0Ej14__hip_bfloat16EEvPKT6_PKbPfiPT5_PiiiibdPKfPKS9_SF_
; %bb.0:
	s_load_dword s33, s[0:1], 0x18
	v_bfe_u32 v1, v0, 10, 10
	v_and_b32_e32 v0, 0x3ff, v0
	s_lshl_b32 s2, s2, 3
	v_lshlrev_b32_e32 v1, 1, v1
	v_lshrrev_b32_e32 v2, 5, v0
	v_add3_u32 v8, s2, v1, v2
	s_waitcnt lgkmcnt(0)
	v_cmp_gt_i32_e32 vcc, s33, v8
	s_and_saveexec_b64 s[2:3], vcc
	s_cbranch_execz .LBB453_65
; %bb.1:
	s_load_dwordx4 s[4:7], s[0:1], 0x0
	s_load_dwordx2 s[34:35], s[0:1], 0x10
	s_waitcnt lgkmcnt(0)
	s_cmp_eq_u64 s[6:7], 0
	s_cbranch_scc1 .LBB453_3
; %bb.2:
	v_ashrrev_i32_e32 v9, 31, v8
	v_lshl_add_u64 v[2:3], s[6:7], 0, v[8:9]
	global_load_ubyte v1, v[2:3], off
	s_waitcnt vmcnt(0)
	v_and_b32_e32 v1, 1, v1
	v_cmp_eq_u32_e32 vcc, 1, v1
	s_xor_b64 s[2:3], vcc, -1
	s_orn2_b64 s[36:37], s[2:3], exec
	s_branch .LBB453_4
.LBB453_3:
	s_mov_b64 s[36:37], -1
.LBB453_4:
	v_lshlrev_b32_e32 v4, 8, v8
	v_mov_b32_e32 v2, s4
	v_mov_b32_e32 v3, s5
	v_ashrrev_i32_e32 v5, 31, v4
	v_and_b32_e32 v9, 31, v0
	v_lshl_add_u64 v[2:3], v[4:5], 1, v[2:3]
	v_mov_b32_e32 v1, 0
	v_lshlrev_b32_e32 v0, 4, v9
	v_lshl_add_u64 v[0:1], v[2:3], 0, v[0:1]
	global_load_dwordx4 v[4:7], v[0:1], off
	s_mov_b32 s12, 0x800000
	v_mov_b32_e32 v2, 0x4f800000
	s_mov_b32 s9, 0x3f317217
	s_mov_b32 s10, 0x7f800000
	v_mov_b32_e32 v3, 0x41b17218
	s_mov_b32 s8, 0x41a00000
	s_mov_b32 s11, 0xf800000
	s_load_dwordx4 s[20:23], s[0:1], 0x40
	v_lshlrev_b32_e32 v12, 3, v9
	s_waitcnt lgkmcnt(0)
	s_cmp_lg_u64 s[22:23], 0
	s_cselect_b64 s[6:7], -1, 0
	s_and_b64 s[2:3], exec, s[6:7]
	s_waitcnt vmcnt(0)
	v_lshlrev_b32_e32 v0, 16, v4
	v_mul_f32_e32 v1, 0x3fb8aa3b, v0
	v_exp_f32_e32 v10, v1
	v_mov_b32_e32 v1, 0x260
	v_add_f32_e32 v10, 1.0, v10
	v_cmp_gt_f32_e32 vcc, s12, v10
	s_nop 1
	v_cndmask_b32_e32 v11, 1.0, v2, vcc
	v_mul_f32_e32 v10, v10, v11
	v_log_f32_e32 v11, v10
	v_cndmask_b32_e32 v13, 0, v3, vcc
	v_lshlrev_b32_e32 v10, 2, v12
	v_mul_f32_e32 v14, 0x3f317217, v11
	v_fma_f32 v14, v11, s9, -v14
	v_fmac_f32_e32 v14, 0x3377d1cf, v11
	v_fmac_f32_e32 v14, 0x3f317217, v11
	v_cmp_lt_f32_e64 vcc, |v11|, s10
	s_nop 1
	v_cndmask_b32_e32 v11, v11, v14, vcc
	v_sub_f32_e32 v11, v11, v13
	v_cmp_lt_f32_e32 vcc, s8, v0
	s_nop 1
	v_cndmask_b32_e32 v0, v11, v0, vcc
	v_mul_f32_e32 v11, 0x4f800000, v0
	v_cmp_gt_f32_e32 vcc, s11, v0
	s_nop 1
	v_cndmask_b32_e32 v0, v0, v11, vcc
	v_sqrt_f32_e32 v11, v0
	s_nop 0
	v_add_u32_e32 v13, -1, v11
	v_add_u32_e32 v14, 1, v11
	v_fma_f32 v15, -v13, v11, v0
	v_fma_f32 v16, -v14, v11, v0
	v_cmp_ge_f32_e64 s[4:5], 0, v15
	s_nop 1
	v_cndmask_b32_e64 v11, v11, v13, s[4:5]
	v_cmp_lt_f32_e64 s[4:5], 0, v16
	s_nop 1
	v_cndmask_b32_e64 v11, v11, v14, s[4:5]
	v_mul_f32_e32 v13, 0x37800000, v11
	v_cndmask_b32_e32 v11, v11, v13, vcc
	v_cmp_class_f32_e32 vcc, v0, v1
	s_nop 1
	v_cndmask_b32_e32 v0, v11, v0, vcc
	s_mov_b64 vcc, s[2:3]
	s_cbranch_vccz .LBB453_6
; %bb.5:
	global_load_dword v11, v10, s[22:23]
	s_waitcnt vmcnt(0)
	v_add_f32_e32 v0, v0, v11
.LBB453_6:
	v_and_b32_e32 v4, 0xffff0000, v4
	v_mul_f32_e32 v11, 0x3fb8aa3b, v4
	v_exp_f32_e32 v11, v11
	s_nop 0
	v_add_f32_e32 v11, 1.0, v11
	v_cmp_gt_f32_e32 vcc, s12, v11
	s_nop 1
	v_cndmask_b32_e32 v2, 1.0, v2, vcc
	v_mul_f32_e32 v2, v11, v2
	v_log_f32_e32 v2, v2
	v_cndmask_b32_e32 v3, 0, v3, vcc
	v_mul_f32_e32 v11, 0x3f317217, v2
	v_fma_f32 v11, v2, s9, -v11
	v_fmac_f32_e32 v11, 0x3377d1cf, v2
	v_fmac_f32_e32 v11, 0x3f317217, v2
	v_cmp_lt_f32_e64 vcc, |v2|, s10
	s_nop 1
	v_cndmask_b32_e32 v2, v2, v11, vcc
	v_sub_f32_e32 v2, v2, v3
	v_cmp_lt_f32_e32 vcc, s8, v4
	s_nop 1
	v_cndmask_b32_e32 v2, v2, v4, vcc
	v_mul_f32_e32 v3, 0x4f800000, v2
	v_cmp_gt_f32_e32 vcc, s11, v2
	s_nop 1
	v_cndmask_b32_e32 v2, v2, v3, vcc
	v_sqrt_f32_e32 v3, v2
	v_cmp_class_f32_e64 s[4:5], v2, v1
	v_add_u32_e32 v4, -1, v3
	v_add_u32_e32 v11, 1, v3
	v_fma_f32 v13, -v4, v3, v2
	v_fma_f32 v14, -v11, v3, v2
	v_cmp_ge_f32_e64 s[2:3], 0, v13
	s_nop 1
	v_cndmask_b32_e64 v3, v3, v4, s[2:3]
	v_cmp_lt_f32_e64 s[2:3], 0, v14
	s_nop 1
	v_cndmask_b32_e64 v3, v3, v11, s[2:3]
	v_mul_f32_e32 v4, 0x37800000, v3
	v_cndmask_b32_e32 v3, v3, v4, vcc
	v_cndmask_b32_e64 v4, 0, 1, s[6:7]
	v_cmp_ne_u32_e64 s[2:3], 1, v4
	s_andn2_b64 vcc, exec, s[6:7]
	v_cndmask_b32_e64 v1, v3, v2, s[4:5]
	s_cbranch_vccnz .LBB453_8
; %bb.7:
	global_load_dword v2, v10, s[22:23] offset:4
	s_waitcnt vmcnt(0)
	v_add_f32_e32 v1, v1, v2
.LBB453_8:
	v_lshlrev_b32_e32 v2, 16, v5
	v_mul_f32_e32 v3, 0x3fb8aa3b, v2
	v_exp_f32_e32 v3, v3
	s_mov_b32 s10, 0x800000
	v_mov_b32_e32 v4, 0x4f800000
	s_mov_b32 s7, 0x3f317217
	v_add_f32_e32 v3, 1.0, v3
	v_cmp_gt_f32_e32 vcc, s10, v3
	s_mov_b32 s8, 0x7f800000
	s_mov_b32 s6, 0x41a00000
	v_cndmask_b32_e32 v11, 1.0, v4, vcc
	v_mul_f32_e32 v3, v3, v11
	v_log_f32_e32 v3, v3
	s_mov_b32 s9, 0xf800000
	v_mul_f32_e32 v11, 0x3f317217, v3
	v_fma_f32 v11, v3, s7, -v11
	v_fmac_f32_e32 v11, 0x3377d1cf, v3
	v_fmac_f32_e32 v11, 0x3f317217, v3
	v_cmp_lt_f32_e64 s[4:5], |v3|, s8
	s_nop 1
	v_cndmask_b32_e64 v3, v3, v11, s[4:5]
	v_mov_b32_e32 v11, 0x41b17218
	v_cndmask_b32_e32 v13, 0, v11, vcc
	v_sub_f32_e32 v3, v3, v13
	v_cmp_lt_f32_e32 vcc, s6, v2
	s_nop 1
	v_cndmask_b32_e32 v2, v3, v2, vcc
	v_mul_f32_e32 v3, 0x4f800000, v2
	v_cmp_gt_f32_e32 vcc, s9, v2
	s_nop 1
	v_cndmask_b32_e32 v2, v2, v3, vcc
	v_sqrt_f32_e32 v3, v2
	s_nop 0
	v_add_u32_e32 v13, -1, v3
	v_fma_f32 v14, -v13, v3, v2
	v_cmp_ge_f32_e64 s[4:5], 0, v14
	v_add_u32_e32 v14, 1, v3
	s_nop 0
	v_cndmask_b32_e64 v13, v3, v13, s[4:5]
	v_fma_f32 v3, -v14, v3, v2
	v_cmp_lt_f32_e64 s[4:5], 0, v3
	s_nop 1
	v_cndmask_b32_e64 v3, v13, v14, s[4:5]
	v_mul_f32_e32 v13, 0x37800000, v3
	v_cndmask_b32_e32 v13, v3, v13, vcc
	v_mov_b32_e32 v3, 0x260
	v_cmp_class_f32_e64 s[4:5], v2, v3
	s_and_b64 vcc, exec, s[2:3]
	s_nop 0
	v_cndmask_b32_e64 v2, v13, v2, s[4:5]
	s_cbranch_vccnz .LBB453_10
; %bb.9:
	global_load_dword v13, v10, s[22:23] offset:8
	s_waitcnt vmcnt(0)
	v_add_f32_e32 v2, v2, v13
.LBB453_10:
	v_and_b32_e32 v5, 0xffff0000, v5
	v_mul_f32_e32 v13, 0x3fb8aa3b, v5
	v_exp_f32_e32 v13, v13
	s_nop 0
	v_add_f32_e32 v13, 1.0, v13
	v_cmp_gt_f32_e32 vcc, s10, v13
	s_nop 1
	v_cndmask_b32_e32 v4, 1.0, v4, vcc
	v_mul_f32_e32 v4, v13, v4
	v_log_f32_e32 v4, v4
	v_cndmask_b32_e32 v11, 0, v11, vcc
	v_mul_f32_e32 v13, 0x3f317217, v4
	v_fma_f32 v13, v4, s7, -v13
	v_fmac_f32_e32 v13, 0x3377d1cf, v4
	v_fmac_f32_e32 v13, 0x3f317217, v4
	v_cmp_lt_f32_e64 vcc, |v4|, s8
	s_nop 1
	v_cndmask_b32_e32 v4, v4, v13, vcc
	v_sub_f32_e32 v4, v4, v11
	v_cmp_lt_f32_e32 vcc, s6, v5
	s_nop 1
	v_cndmask_b32_e32 v4, v4, v5, vcc
	v_mul_f32_e32 v5, 0x4f800000, v4
	v_cmp_gt_f32_e32 vcc, s9, v4
	s_nop 1
	v_cndmask_b32_e32 v4, v4, v5, vcc
	v_sqrt_f32_e32 v5, v4
	s_nop 0
	v_add_u32_e32 v11, -1, v5
	v_add_u32_e32 v13, 1, v5
	v_fma_f32 v14, -v11, v5, v4
	v_fma_f32 v15, -v13, v5, v4
	v_cmp_ge_f32_e64 s[4:5], 0, v14
	s_nop 1
	v_cndmask_b32_e64 v5, v5, v11, s[4:5]
	v_cmp_lt_f32_e64 s[4:5], 0, v15
	s_nop 1
	v_cndmask_b32_e64 v5, v5, v13, s[4:5]
	v_mul_f32_e32 v11, 0x37800000, v5
	v_cndmask_b32_e32 v5, v5, v11, vcc
	v_cmp_class_f32_e64 s[4:5], v4, v3
	s_and_b64 vcc, exec, s[2:3]
	s_nop 0
	v_cndmask_b32_e64 v3, v5, v4, s[4:5]
	s_cbranch_vccnz .LBB453_12
; %bb.11:
	global_load_dword v4, v10, s[22:23] offset:12
	s_waitcnt vmcnt(0)
	v_add_f32_e32 v3, v3, v4
.LBB453_12:
	v_lshlrev_b32_e32 v4, 16, v6
	v_mul_f32_e32 v5, 0x3fb8aa3b, v4
	v_exp_f32_e32 v5, v5
	v_mov_b32_e32 v11, 0x4f800000
	v_add_f32_e32 v5, 1.0, v5
	v_cmp_gt_f32_e32 vcc, s10, v5
	s_nop 1
	v_cndmask_b32_e32 v13, 1.0, v11, vcc
	v_mul_f32_e32 v5, v5, v13
	v_log_f32_e32 v5, v5
	s_nop 0
	v_mul_f32_e32 v13, 0x3f317217, v5
	v_fma_f32 v13, v5, s7, -v13
	v_fmac_f32_e32 v13, 0x3377d1cf, v5
	v_fmac_f32_e32 v13, 0x3f317217, v5
	v_cmp_lt_f32_e64 s[4:5], |v5|, s8
	s_nop 1
	v_cndmask_b32_e64 v5, v5, v13, s[4:5]
	v_mov_b32_e32 v13, 0x41b17218
	v_cndmask_b32_e32 v14, 0, v13, vcc
	v_sub_f32_e32 v5, v5, v14
	v_cmp_lt_f32_e32 vcc, s6, v4
	s_nop 1
	v_cndmask_b32_e32 v4, v5, v4, vcc
	v_mul_f32_e32 v5, 0x4f800000, v4
	v_cmp_gt_f32_e32 vcc, s9, v4
	s_nop 1
	v_cndmask_b32_e32 v4, v4, v5, vcc
	v_sqrt_f32_e32 v5, v4
	s_nop 0
	v_add_u32_e32 v14, -1, v5
	v_fma_f32 v15, -v14, v5, v4
	v_cmp_ge_f32_e64 s[4:5], 0, v15
	v_add_u32_e32 v15, 1, v5
	s_nop 0
	v_cndmask_b32_e64 v14, v5, v14, s[4:5]
	v_fma_f32 v5, -v15, v5, v4
	v_cmp_lt_f32_e64 s[4:5], 0, v5
	s_nop 1
	v_cndmask_b32_e64 v5, v14, v15, s[4:5]
	v_mul_f32_e32 v14, 0x37800000, v5
	v_cndmask_b32_e32 v14, v5, v14, vcc
	v_mov_b32_e32 v5, 0x260
	v_cmp_class_f32_e64 s[4:5], v4, v5
	s_and_b64 vcc, exec, s[2:3]
	s_nop 0
	v_cndmask_b32_e64 v4, v14, v4, s[4:5]
	s_cbranch_vccnz .LBB453_14
; %bb.13:
	global_load_dword v14, v10, s[22:23] offset:16
	s_waitcnt vmcnt(0)
	v_add_f32_e32 v4, v4, v14
.LBB453_14:
	v_and_b32_e32 v6, 0xffff0000, v6
	v_mul_f32_e32 v14, 0x3fb8aa3b, v6
	v_exp_f32_e32 v14, v14
	s_nop 0
	v_add_f32_e32 v14, 1.0, v14
	v_cmp_gt_f32_e32 vcc, s10, v14
	s_nop 1
	v_cndmask_b32_e32 v11, 1.0, v11, vcc
	v_mul_f32_e32 v11, v14, v11
	v_log_f32_e32 v11, v11
	v_cndmask_b32_e32 v13, 0, v13, vcc
	v_mul_f32_e32 v14, 0x3f317217, v11
	v_fma_f32 v14, v11, s7, -v14
	v_fmac_f32_e32 v14, 0x3377d1cf, v11
	v_fmac_f32_e32 v14, 0x3f317217, v11
	v_cmp_lt_f32_e64 vcc, |v11|, s8
	s_nop 1
	v_cndmask_b32_e32 v11, v11, v14, vcc
	v_sub_f32_e32 v11, v11, v13
	v_cmp_lt_f32_e32 vcc, s6, v6
	s_nop 1
	v_cndmask_b32_e32 v6, v11, v6, vcc
	v_mul_f32_e32 v11, 0x4f800000, v6
	v_cmp_gt_f32_e32 vcc, s9, v6
	s_nop 1
	v_cndmask_b32_e32 v6, v6, v11, vcc
	v_sqrt_f32_e32 v11, v6
	s_nop 0
	v_add_u32_e32 v13, -1, v11
	v_add_u32_e32 v14, 1, v11
	v_fma_f32 v15, -v13, v11, v6
	v_fma_f32 v16, -v14, v11, v6
	v_cmp_ge_f32_e64 s[4:5], 0, v15
	s_nop 1
	v_cndmask_b32_e64 v11, v11, v13, s[4:5]
	v_cmp_lt_f32_e64 s[4:5], 0, v16
	s_nop 1
	v_cndmask_b32_e64 v11, v11, v14, s[4:5]
	v_mul_f32_e32 v13, 0x37800000, v11
	v_cndmask_b32_e32 v11, v11, v13, vcc
	v_cmp_class_f32_e64 s[4:5], v6, v5
	s_and_b64 vcc, exec, s[2:3]
	s_nop 0
	v_cndmask_b32_e64 v5, v11, v6, s[4:5]
	s_cbranch_vccnz .LBB453_16
; %bb.15:
	global_load_dword v6, v10, s[22:23] offset:20
	s_waitcnt vmcnt(0)
	v_add_f32_e32 v5, v5, v6
.LBB453_16:
	v_lshlrev_b32_e32 v6, 16, v7
	v_mul_f32_e32 v11, 0x3fb8aa3b, v6
	v_exp_f32_e32 v11, v11
	v_mov_b32_e32 v13, 0x4f800000
	v_add_f32_e32 v11, 1.0, v11
	v_cmp_gt_f32_e32 vcc, s10, v11
	s_nop 1
	v_cndmask_b32_e32 v14, 1.0, v13, vcc
	v_mul_f32_e32 v11, v11, v14
	v_log_f32_e32 v11, v11
	s_nop 0
	v_mul_f32_e32 v14, 0x3f317217, v11
	v_fma_f32 v14, v11, s7, -v14
	v_fmac_f32_e32 v14, 0x3377d1cf, v11
	v_fmac_f32_e32 v14, 0x3f317217, v11
	v_cmp_lt_f32_e64 s[4:5], |v11|, s8
	s_nop 1
	v_cndmask_b32_e64 v11, v11, v14, s[4:5]
	v_mov_b32_e32 v14, 0x41b17218
	v_cndmask_b32_e32 v15, 0, v14, vcc
	v_sub_f32_e32 v11, v11, v15
	v_cmp_lt_f32_e32 vcc, s6, v6
	s_nop 1
	v_cndmask_b32_e32 v6, v11, v6, vcc
	v_mul_f32_e32 v11, 0x4f800000, v6
	v_cmp_gt_f32_e32 vcc, s9, v6
	s_nop 1
	v_cndmask_b32_e32 v6, v6, v11, vcc
	v_sqrt_f32_e32 v11, v6
	s_nop 0
	v_add_u32_e32 v15, -1, v11
	v_fma_f32 v16, -v15, v11, v6
	v_cmp_ge_f32_e64 s[4:5], 0, v16
	v_add_u32_e32 v16, 1, v11
	s_nop 0
	v_cndmask_b32_e64 v15, v11, v15, s[4:5]
	v_fma_f32 v11, -v16, v11, v6
	v_cmp_lt_f32_e64 s[4:5], 0, v11
	s_nop 1
	v_cndmask_b32_e64 v11, v15, v16, s[4:5]
	v_mul_f32_e32 v15, 0x37800000, v11
	v_cndmask_b32_e32 v15, v11, v15, vcc
	v_mov_b32_e32 v11, 0x260
	v_cmp_class_f32_e64 s[4:5], v6, v11
	s_and_b64 vcc, exec, s[2:3]
	s_nop 0
	v_cndmask_b32_e64 v6, v15, v6, s[4:5]
	s_cbranch_vccnz .LBB453_18
; %bb.17:
	global_load_dword v15, v10, s[22:23] offset:24
	s_waitcnt vmcnt(0)
	v_add_f32_e32 v6, v6, v15
.LBB453_18:
	v_and_b32_e32 v7, 0xffff0000, v7
	v_mul_f32_e32 v15, 0x3fb8aa3b, v7
	v_exp_f32_e32 v15, v15
	s_nop 0
	v_add_f32_e32 v15, 1.0, v15
	v_cmp_gt_f32_e32 vcc, s10, v15
	s_nop 1
	v_cndmask_b32_e32 v13, 1.0, v13, vcc
	v_mul_f32_e32 v13, v15, v13
	v_log_f32_e32 v13, v13
	v_cndmask_b32_e32 v14, 0, v14, vcc
	v_mul_f32_e32 v15, 0x3f317217, v13
	v_fma_f32 v15, v13, s7, -v15
	v_fmac_f32_e32 v15, 0x3377d1cf, v13
	v_fmac_f32_e32 v15, 0x3f317217, v13
	v_cmp_lt_f32_e64 vcc, |v13|, s8
	s_nop 1
	v_cndmask_b32_e32 v13, v13, v15, vcc
	v_sub_f32_e32 v13, v13, v14
	v_cmp_lt_f32_e32 vcc, s6, v7
	s_nop 1
	v_cndmask_b32_e32 v7, v13, v7, vcc
	v_mul_f32_e32 v13, 0x4f800000, v7
	v_cmp_gt_f32_e32 vcc, s9, v7
	s_nop 1
	v_cndmask_b32_e32 v7, v7, v13, vcc
	v_sqrt_f32_e32 v13, v7
	s_nop 0
	v_add_u32_e32 v14, -1, v13
	v_add_u32_e32 v15, 1, v13
	v_fma_f32 v16, -v14, v13, v7
	v_fma_f32 v17, -v15, v13, v7
	v_cmp_ge_f32_e64 s[4:5], 0, v16
	s_nop 1
	v_cndmask_b32_e64 v13, v13, v14, s[4:5]
	v_cmp_lt_f32_e64 s[4:5], 0, v17
	s_nop 1
	v_cndmask_b32_e64 v13, v13, v15, s[4:5]
	v_mul_f32_e32 v14, 0x37800000, v13
	v_cndmask_b32_e32 v13, v13, v14, vcc
	v_cmp_class_f32_e64 s[4:5], v7, v11
	s_and_b64 vcc, exec, s[2:3]
	s_nop 0
	v_cndmask_b32_e64 v7, v13, v7, s[4:5]
	s_cbranch_vccnz .LBB453_20
; %bb.19:
	global_load_dword v10, v10, s[22:23] offset:28
	s_waitcnt vmcnt(0)
	v_add_f32_e32 v7, v7, v10
.LBB453_20:
	s_load_dwordx4 s[24:27], s[0:1], 0x30
	s_mov_b32 s42, 0
	v_cmp_eq_u32_e64 s[6:7], 0, v9
	s_waitcnt lgkmcnt(0)
	s_bitcmp1_b32 s27, 0
	s_cselect_b64 s[4:5], -1, 0
	s_cmp_gt_i32 s24, 0
	s_cselect_b64 s[38:39], -1, 0
	s_and_b64 vcc, exec, s[38:39]
	s_cbranch_vccz .LBB453_51
; %bb.21:
	v_mbcnt_lo_u32_b32 v10, -1, 0
	v_mbcnt_hi_u32_b32 v10, -1, v10
	v_and_b32_e32 v11, 0x60, v10
	v_add_u32_e32 v11, 32, v11
	v_xor_b32_e32 v13, 16, v10
	v_cmp_lt_i32_e32 vcc, v13, v11
	s_load_dwordx4 s[28:31], s[0:1], 0x20
	v_mul_lo_u32 v14, v8, s24
	v_cndmask_b32_e32 v13, v10, v13, vcc
	v_lshlrev_b32_e32 v15, 2, v13
	v_xor_b32_e32 v13, 8, v10
	v_cmp_lt_i32_e32 vcc, v13, v11
	v_mov_b32_e32 v20, 0x100
	v_mov_b32_e32 v21, 0xc61c4000
	v_cndmask_b32_e32 v13, v10, v13, vcc
	v_lshlrev_b32_e32 v16, 2, v13
	v_xor_b32_e32 v13, 4, v10
	v_cmp_lt_i32_e32 vcc, v13, v11
	v_mov_b32_e32 v22, v8
	s_nop 0
	v_cndmask_b32_e32 v13, v10, v13, vcc
	v_lshlrev_b32_e32 v17, 2, v13
	v_xor_b32_e32 v13, 2, v10
	v_cmp_lt_i32_e32 vcc, v13, v11
	s_nop 1
	v_cndmask_b32_e32 v13, v10, v13, vcc
	v_lshlrev_b32_e32 v18, 2, v13
	v_xor_b32_e32 v13, 1, v10
	v_cmp_lt_i32_e32 vcc, v13, v11
	s_nop 1
	v_cndmask_b32_e32 v10, v10, v13, vcc
	v_lshlrev_b32_e32 v19, 2, v10
	v_mov_b32_e32 v13, 0
	s_branch .LBB453_24
.LBB453_22:                             ;   in Loop: Header=BB453_24 Depth=1
	s_or_b64 exec, exec, s[40:41]
.LBB453_23:                             ;   in Loop: Header=BB453_24 Depth=1
	s_cmp_eq_u32 s24, s42
	v_add_u32_e32 v22, s33, v22
	s_cbranch_scc1 .LBB453_52
.LBB453_24:                             ; =>This Inner Loop Header: Depth=1
	v_cmp_gt_f32_e32 vcc, v1, v0
	s_nop 1
	v_cndmask_b32_e32 v11, v0, v1, vcc
	v_cndmask_b32_e64 v10, 0, 1, vcc
	v_cmp_gt_f32_e32 vcc, v2, v11
	s_nop 1
	v_cndmask_b32_e32 v11, v11, v2, vcc
	v_cndmask_b32_e64 v10, v10, 2, vcc
	v_cmp_gt_f32_e32 vcc, v3, v11
	s_nop 1
	v_cndmask_b32_e32 v11, v11, v3, vcc
	v_cndmask_b32_e64 v10, v10, 3, vcc
	v_cmp_gt_f32_e32 vcc, v4, v11
	s_nop 1
	v_cndmask_b32_e32 v11, v11, v4, vcc
	v_cndmask_b32_e64 v10, v10, 4, vcc
	v_cmp_gt_f32_e32 vcc, v5, v11
	s_nop 1
	v_cndmask_b32_e32 v11, v11, v5, vcc
	v_cndmask_b32_e64 v10, v10, 5, vcc
	v_cmp_gt_f32_e32 vcc, v6, v11
	s_nop 1
	v_cndmask_b32_e32 v11, v11, v6, vcc
	v_cndmask_b32_e64 v10, v10, 6, vcc
	v_cmp_gt_f32_e32 vcc, v7, v11
	s_nop 1
	v_cndmask_b32_e64 v10, v10, 7, vcc
	v_cndmask_b32_e32 v23, v11, v7, vcc
	ds_bpermute_b32 v11, v15, v23
	v_or_b32_e32 v10, v12, v10
	s_waitcnt lgkmcnt(0)
	ds_bpermute_b32 v24, v15, v10
	s_waitcnt lgkmcnt(0)
	v_cmp_lt_f32_e64 s[8:9], v23, v11
	v_cmp_nlt_f32_e32 vcc, v23, v11
	s_and_saveexec_b64 s[10:11], vcc
; %bb.25:                               ;   in Loop: Header=BB453_24 Depth=1
	v_cmp_eq_f32_e32 vcc, v23, v11
	v_cmp_lt_i32_e64 s[0:1], v24, v10
	s_and_b64 s[0:1], vcc, s[0:1]
	s_andn2_b64 s[8:9], s[8:9], exec
	s_and_b64 s[0:1], s[0:1], exec
	s_or_b64 s[8:9], s[8:9], s[0:1]
; %bb.26:                               ;   in Loop: Header=BB453_24 Depth=1
	s_or_b64 exec, exec, s[10:11]
	s_and_saveexec_b64 s[0:1], s[8:9]
; %bb.27:                               ;   in Loop: Header=BB453_24 Depth=1
	v_mov_b32_e32 v23, v11
	v_mov_b32_e32 v10, v24
; %bb.28:                               ;   in Loop: Header=BB453_24 Depth=1
	s_or_b64 exec, exec, s[0:1]
	ds_bpermute_b32 v11, v16, v23
	ds_bpermute_b32 v24, v16, v10
	s_waitcnt lgkmcnt(1)
	v_cmp_lt_f32_e64 s[8:9], v23, v11
	v_cmp_nlt_f32_e32 vcc, v23, v11
	s_and_saveexec_b64 s[10:11], vcc
	s_cbranch_execz .LBB453_30
; %bb.29:                               ;   in Loop: Header=BB453_24 Depth=1
	v_cmp_eq_f32_e32 vcc, v23, v11
	s_waitcnt lgkmcnt(0)
	v_cmp_lt_i32_e64 s[0:1], v24, v10
	s_and_b64 s[0:1], vcc, s[0:1]
	s_andn2_b64 s[8:9], s[8:9], exec
	s_and_b64 s[0:1], s[0:1], exec
	s_or_b64 s[8:9], s[8:9], s[0:1]
.LBB453_30:                             ;   in Loop: Header=BB453_24 Depth=1
	s_or_b64 exec, exec, s[10:11]
	s_and_saveexec_b64 s[0:1], s[8:9]
	s_cbranch_execz .LBB453_32
; %bb.31:                               ;   in Loop: Header=BB453_24 Depth=1
	v_mov_b32_e32 v23, v11
	s_waitcnt lgkmcnt(0)
	v_mov_b32_e32 v10, v24
.LBB453_32:                             ;   in Loop: Header=BB453_24 Depth=1
	s_or_b64 exec, exec, s[0:1]
	ds_bpermute_b32 v11, v17, v23
	s_waitcnt lgkmcnt(1)
	ds_bpermute_b32 v24, v17, v10
	s_waitcnt lgkmcnt(1)
	v_cmp_lt_f32_e64 s[8:9], v23, v11
	v_cmp_nlt_f32_e32 vcc, v23, v11
	s_and_saveexec_b64 s[10:11], vcc
	s_cbranch_execz .LBB453_34
; %bb.33:                               ;   in Loop: Header=BB453_24 Depth=1
	v_cmp_eq_f32_e32 vcc, v23, v11
	s_waitcnt lgkmcnt(0)
	v_cmp_lt_i32_e64 s[0:1], v24, v10
	s_and_b64 s[0:1], vcc, s[0:1]
	s_andn2_b64 s[8:9], s[8:9], exec
	s_and_b64 s[0:1], s[0:1], exec
	s_or_b64 s[8:9], s[8:9], s[0:1]
.LBB453_34:                             ;   in Loop: Header=BB453_24 Depth=1
	s_or_b64 exec, exec, s[10:11]
	s_and_saveexec_b64 s[0:1], s[8:9]
	s_cbranch_execz .LBB453_36
; %bb.35:                               ;   in Loop: Header=BB453_24 Depth=1
	v_mov_b32_e32 v23, v11
	s_waitcnt lgkmcnt(0)
	v_mov_b32_e32 v10, v24
.LBB453_36:                             ;   in Loop: Header=BB453_24 Depth=1
	s_or_b64 exec, exec, s[0:1]
	ds_bpermute_b32 v11, v18, v23
	s_waitcnt lgkmcnt(1)
	;; [unrolled: 26-line block ×3, first 2 shown]
	ds_bpermute_b32 v24, v19, v10
	s_waitcnt lgkmcnt(1)
	v_cmp_lt_f32_e64 s[8:9], v23, v11
	v_cmp_nlt_f32_e32 vcc, v23, v11
	s_and_saveexec_b64 s[10:11], vcc
	s_cbranch_execnz .LBB453_44
; %bb.41:                               ;   in Loop: Header=BB453_24 Depth=1
	s_or_b64 exec, exec, s[10:11]
	s_and_saveexec_b64 s[0:1], s[8:9]
	s_cbranch_execnz .LBB453_45
.LBB453_42:                             ;   in Loop: Header=BB453_24 Depth=1
	s_or_b64 exec, exec, s[0:1]
	s_and_saveexec_b64 s[8:9], s[6:7]
	s_cbranch_execnz .LBB453_46
.LBB453_43:                             ;   in Loop: Header=BB453_24 Depth=1
	s_or_b64 exec, exec, s[8:9]
	s_add_i32 s42, s42, 1
	s_cmp_ge_i32 s42, s24
	s_cbranch_scc1 .LBB453_23
	s_branch .LBB453_49
.LBB453_44:                             ;   in Loop: Header=BB453_24 Depth=1
	v_cmp_eq_f32_e32 vcc, v23, v11
	s_waitcnt lgkmcnt(0)
	v_cmp_lt_i32_e64 s[0:1], v24, v10
	s_and_b64 s[0:1], vcc, s[0:1]
	s_andn2_b64 s[8:9], s[8:9], exec
	s_and_b64 s[0:1], s[0:1], exec
	s_or_b64 s[8:9], s[8:9], s[0:1]
	s_or_b64 exec, exec, s[10:11]
	s_and_saveexec_b64 s[0:1], s[8:9]
	s_cbranch_execz .LBB453_42
.LBB453_45:                             ;   in Loop: Header=BB453_24 Depth=1
	s_waitcnt lgkmcnt(0)
	v_mov_b32_e32 v10, v24
	v_mov_b32_e32 v23, v11
	s_or_b64 exec, exec, s[0:1]
	s_and_saveexec_b64 s[8:9], s[6:7]
	s_cbranch_execz .LBB453_43
.LBB453_46:                             ;   in Loop: Header=BB453_24 Depth=1
	s_and_b64 vcc, exec, s[2:3]
	s_cbranch_vccnz .LBB453_48
; %bb.47:                               ;   in Loop: Header=BB453_24 Depth=1
	v_ashrrev_i32_e32 v11, 31, v10
	s_waitcnt lgkmcnt(0)
	v_lshl_add_u64 v[24:25], v[10:11], 2, s[22:23]
	global_load_dword v11, v[24:25], off
	s_waitcnt vmcnt(0)
	v_sub_f32_e32 v23, v23, v11
.LBB453_48:                             ;   in Loop: Header=BB453_24 Depth=1
	s_waitcnt lgkmcnt(0)
	v_add_u32_e32 v24, s42, v14
	v_cmp_le_i32_e32 vcc, s25, v10
	v_cmp_gt_i32_e64 s[0:1], s26, v10
	v_ashrrev_i32_e32 v25, 31, v24
	s_and_b64 s[0:1], vcc, s[0:1]
	v_lshlrev_b64 v[24:25], 2, v[24:25]
	v_lshl_add_u64 v[26:27], s[34:35], 0, v[24:25]
	v_subrev_u32_e32 v11, s25, v10
	s_and_b64 vcc, s[36:37], s[0:1]
	global_store_dword v[26:27], v23, off
	v_cndmask_b32_e32 v11, v20, v11, vcc
	v_lshl_add_u64 v[26:27], s[28:29], 0, v[24:25]
	global_store_dword v[26:27], v11, off
	v_add_f32_e32 v11, v13, v23
	v_lshl_add_u64 v[24:25], s[30:31], 0, v[24:25]
	v_cndmask_b32_e64 v13, v13, v11, s[4:5]
	global_store_dword v[24:25], v22, off
	s_or_b64 exec, exec, s[8:9]
	s_add_i32 s42, s42, 1
	s_cmp_ge_i32 s42, s24
	s_cbranch_scc1 .LBB453_23
.LBB453_49:                             ;   in Loop: Header=BB453_24 Depth=1
	v_ashrrev_i32_e32 v11, 31, v10
	v_lshrrev_b32_e32 v23, 29, v11
	s_waitcnt lgkmcnt(0)
	v_add_u32_e32 v24, v10, v23
	v_ashrrev_i32_e32 v23, 3, v24
	v_ashrrev_i32_e32 v24, 31, v24
	v_lshrrev_b32_e32 v24, 27, v24
	v_add_u32_e32 v24, v23, v24
	v_and_b32_e32 v24, 0xffffffe0, v24
	v_sub_u32_e32 v24, v23, v24
	v_cmp_eq_u32_e32 vcc, v9, v24
	s_and_saveexec_b64 s[40:41], vcc
	s_cbranch_execz .LBB453_22
; %bb.50:                               ;   in Loop: Header=BB453_24 Depth=1
	v_add_u32_sdwa v11, v10, v11 dst_sel:DWORD dst_unused:UNUSED_PAD src0_sel:DWORD src1_sel:BYTE_3
	v_lshlrev_b32_e32 v23, 3, v23
	v_sub_u32_e32 v10, v10, v23
	v_ashrrev_i32_e32 v11, 8, v11
	v_lshl_add_u32 v10, v11, 3, v10
	v_cmp_ne_u32_e32 vcc, 6, v10
	v_cmp_ne_u32_e64 s[0:1], 5, v10
	v_cmp_ne_u32_e64 s[8:9], 4, v10
	v_cmp_ne_u32_e64 s[10:11], 3, v10
	v_cmp_ne_u32_e64 s[12:13], 2, v10
	v_cmp_ne_u32_e64 s[14:15], 1, v10
	v_cmp_ne_u32_e64 s[16:17], 0, v10
	v_cmp_ne_u32_e64 s[18:19], 7, v10
	v_cndmask_b32_e32 v6, v21, v6, vcc
	v_cndmask_b32_e64 v5, v21, v5, s[0:1]
	v_cndmask_b32_e64 v7, v21, v7, s[18:19]
	v_cndmask_b32_e64 v4, v21, v4, s[8:9]
	v_cndmask_b32_e64 v3, v21, v3, s[10:11]
	v_cndmask_b32_e64 v2, v21, v2, s[12:13]
	v_cndmask_b32_e64 v1, v21, v1, s[14:15]
	v_cndmask_b32_e64 v0, v21, v0, s[16:17]
	s_branch .LBB453_22
.LBB453_51:
	v_mov_b32_e32 v13, 0
.LBB453_52:
	v_cmp_eq_u32_e32 vcc, 0, v9
	s_and_b64 exec, exec, vcc
	s_cbranch_execz .LBB453_65
; %bb.53:
	s_andn2_b64 vcc, exec, s[4:5]
	v_cvt_f32_f64_e32 v0, s[20:21]
	s_cbranch_vccnz .LBB453_55
; %bb.54:
	v_cmp_lt_f32_e32 vcc, 0, v13
	s_nop 1
	v_cndmask_b32_e32 v1, 1.0, v13, vcc
	v_div_scale_f32 v2, s[0:1], v1, v1, v0
	v_rcp_f32_e32 v3, v2
	s_nop 0
	v_fma_f32 v4, -v2, v3, 1.0
	v_fmac_f32_e32 v3, v4, v3
	v_div_scale_f32 v4, vcc, v0, v1, v0
	v_mul_f32_e32 v5, v4, v3
	v_fma_f32 v6, -v2, v5, v4
	v_fmac_f32_e32 v5, v6, v3
	v_fma_f32 v2, -v2, v5, v4
	v_div_fmas_f32 v2, v2, v3, v5
	v_div_fixup_f32 v0, v2, v1, v0
.LBB453_55:
	s_andn2_b64 vcc, exec, s[38:39]
	s_cbranch_vccnz .LBB453_65
; %bb.56:
	v_mul_lo_u32 v2, v8, s24
	s_cmp_gt_u32 s24, 3
	v_ashrrev_i32_e32 v3, 31, v2
	s_cbranch_scc0 .LBB453_60
; %bb.57:
	s_and_b32 s0, s24, 0x7ffffffc
	v_lshl_add_u64 v[4:5], v[2:3], 2, s[34:35]
	v_mov_b32_e32 v1, v0
	v_lshl_add_u64 v[4:5], v[4:5], 0, 8
	s_mov_b32 s1, s0
.LBB453_58:                             ; =>This Inner Loop Header: Depth=1
	global_load_dwordx4 v[6:9], v[4:5], off offset:-8
	s_add_i32 s1, s1, -4
	s_cmp_lg_u32 s1, 0
	s_waitcnt vmcnt(0)
	v_pk_mul_f32 v[6:7], v[0:1], v[6:7]
	v_pk_mul_f32 v[8:9], v[0:1], v[8:9]
	global_store_dwordx4 v[4:5], v[6:9], off offset:-8
	v_lshl_add_u64 v[4:5], v[4:5], 0, 16
	s_cbranch_scc1 .LBB453_58
; %bb.59:
	s_cmp_lg_u32 s0, s24
	s_cselect_b64 s[2:3], -1, 0
	s_branch .LBB453_62
.LBB453_60:
	s_mov_b64 s[2:3], 0
                                        ; implicit-def: $sgpr0
	s_cbranch_execz .LBB453_62
; %bb.61:
	s_mov_b64 s[2:3], -1
	s_mov_b32 s0, 0
.LBB453_62:
	s_andn2_b64 vcc, exec, s[2:3]
	s_cbranch_vccnz .LBB453_65
; %bb.63:
	s_mov_b32 s1, 0
	v_lshl_add_u64 v[2:3], v[2:3], 0, s[0:1]
	s_sub_i32 s2, s24, s0
	v_lshl_add_u64 v[2:3], v[2:3], 2, s[34:35]
.LBB453_64:                             ; =>This Inner Loop Header: Depth=1
	global_load_dword v1, v[2:3], off
	s_add_i32 s2, s2, -1
	s_cmp_lg_u32 s2, 0
	s_waitcnt vmcnt(0)
	v_mul_f32_e32 v1, v0, v1
	global_store_dword v[2:3], v1, off
	v_lshl_add_u64 v[2:3], v[2:3], 0, 4
	s_cbranch_scc1 .LBB453_64
.LBB453_65:
	s_endpgm
	.section	.rodata,"a",@progbits
	.p2align	6, 0x0
	.amdhsa_kernel _ZN4vllm3moe22topkGatingSoftplusSqrtILi8ELi256ELi4ELi16ELi64ELb0Ej14__hip_bfloat16EEvPKT6_PKbPfiPT5_PiiiibdPKfPKS9_SF_
		.amdhsa_group_segment_fixed_size 0
		.amdhsa_private_segment_fixed_size 0
		.amdhsa_kernarg_size 96
		.amdhsa_user_sgpr_count 2
		.amdhsa_user_sgpr_dispatch_ptr 0
		.amdhsa_user_sgpr_queue_ptr 0
		.amdhsa_user_sgpr_kernarg_segment_ptr 1
		.amdhsa_user_sgpr_dispatch_id 0
		.amdhsa_user_sgpr_kernarg_preload_length 0
		.amdhsa_user_sgpr_kernarg_preload_offset 0
		.amdhsa_user_sgpr_private_segment_size 0
		.amdhsa_uses_dynamic_stack 0
		.amdhsa_enable_private_segment 0
		.amdhsa_system_sgpr_workgroup_id_x 1
		.amdhsa_system_sgpr_workgroup_id_y 0
		.amdhsa_system_sgpr_workgroup_id_z 0
		.amdhsa_system_sgpr_workgroup_info 0
		.amdhsa_system_vgpr_workitem_id 1
		.amdhsa_next_free_vgpr 28
		.amdhsa_next_free_sgpr 43
		.amdhsa_accum_offset 28
		.amdhsa_reserve_vcc 1
		.amdhsa_float_round_mode_32 0
		.amdhsa_float_round_mode_16_64 0
		.amdhsa_float_denorm_mode_32 3
		.amdhsa_float_denorm_mode_16_64 3
		.amdhsa_dx10_clamp 1
		.amdhsa_ieee_mode 1
		.amdhsa_fp16_overflow 0
		.amdhsa_tg_split 0
		.amdhsa_exception_fp_ieee_invalid_op 0
		.amdhsa_exception_fp_denorm_src 0
		.amdhsa_exception_fp_ieee_div_zero 0
		.amdhsa_exception_fp_ieee_overflow 0
		.amdhsa_exception_fp_ieee_underflow 0
		.amdhsa_exception_fp_ieee_inexact 0
		.amdhsa_exception_int_div_zero 0
	.end_amdhsa_kernel
	.section	.text._ZN4vllm3moe22topkGatingSoftplusSqrtILi8ELi256ELi4ELi16ELi64ELb0Ej14__hip_bfloat16EEvPKT6_PKbPfiPT5_PiiiibdPKfPKS9_SF_,"axG",@progbits,_ZN4vllm3moe22topkGatingSoftplusSqrtILi8ELi256ELi4ELi16ELi64ELb0Ej14__hip_bfloat16EEvPKT6_PKbPfiPT5_PiiiibdPKfPKS9_SF_,comdat
.Lfunc_end453:
	.size	_ZN4vllm3moe22topkGatingSoftplusSqrtILi8ELi256ELi4ELi16ELi64ELb0Ej14__hip_bfloat16EEvPKT6_PKbPfiPT5_PiiiibdPKfPKS9_SF_, .Lfunc_end453-_ZN4vllm3moe22topkGatingSoftplusSqrtILi8ELi256ELi4ELi16ELi64ELb0Ej14__hip_bfloat16EEvPKT6_PKbPfiPT5_PiiiibdPKfPKS9_SF_
                                        ; -- End function
	.section	.AMDGPU.csdata,"",@progbits
; Kernel info:
; codeLenInByte = 4132
; NumSgprs: 49
; NumVgprs: 28
; NumAgprs: 0
; TotalNumVgprs: 28
; ScratchSize: 0
; MemoryBound: 0
; FloatMode: 240
; IeeeMode: 1
; LDSByteSize: 0 bytes/workgroup (compile time only)
; SGPRBlocks: 6
; VGPRBlocks: 3
; NumSGPRsForWavesPerEU: 49
; NumVGPRsForWavesPerEU: 28
; AccumOffset: 28
; Occupancy: 8
; WaveLimiterHint : 0
; COMPUTE_PGM_RSRC2:SCRATCH_EN: 0
; COMPUTE_PGM_RSRC2:USER_SGPR: 2
; COMPUTE_PGM_RSRC2:TRAP_HANDLER: 0
; COMPUTE_PGM_RSRC2:TGID_X_EN: 1
; COMPUTE_PGM_RSRC2:TGID_Y_EN: 0
; COMPUTE_PGM_RSRC2:TGID_Z_EN: 0
; COMPUTE_PGM_RSRC2:TIDIG_COMP_CNT: 1
; COMPUTE_PGM_RSRC3_GFX90A:ACCUM_OFFSET: 6
; COMPUTE_PGM_RSRC3_GFX90A:TG_SPLIT: 0
	.section	.text._ZN4vllm3moe22topkGatingSoftplusSqrtILi8ELi256ELi4ELi16ELi32ELb1Ej14__hip_bfloat16EEvPKT6_PKbPfiPT5_PiiiibdPKfPKS9_SF_,"axG",@progbits,_ZN4vllm3moe22topkGatingSoftplusSqrtILi8ELi256ELi4ELi16ELi32ELb1Ej14__hip_bfloat16EEvPKT6_PKbPfiPT5_PiiiibdPKfPKS9_SF_,comdat
	.protected	_ZN4vllm3moe22topkGatingSoftplusSqrtILi8ELi256ELi4ELi16ELi32ELb1Ej14__hip_bfloat16EEvPKT6_PKbPfiPT5_PiiiibdPKfPKS9_SF_ ; -- Begin function _ZN4vllm3moe22topkGatingSoftplusSqrtILi8ELi256ELi4ELi16ELi32ELb1Ej14__hip_bfloat16EEvPKT6_PKbPfiPT5_PiiiibdPKfPKS9_SF_
	.globl	_ZN4vllm3moe22topkGatingSoftplusSqrtILi8ELi256ELi4ELi16ELi32ELb1Ej14__hip_bfloat16EEvPKT6_PKbPfiPT5_PiiiibdPKfPKS9_SF_
	.p2align	8
	.type	_ZN4vllm3moe22topkGatingSoftplusSqrtILi8ELi256ELi4ELi16ELi32ELb1Ej14__hip_bfloat16EEvPKT6_PKbPfiPT5_PiiiibdPKfPKS9_SF_,@function
_ZN4vllm3moe22topkGatingSoftplusSqrtILi8ELi256ELi4ELi16ELi32ELb1Ej14__hip_bfloat16EEvPKT6_PKbPfiPT5_PiiiibdPKfPKS9_SF_: ; @_ZN4vllm3moe22topkGatingSoftplusSqrtILi8ELi256ELi4ELi16ELi32ELb1Ej14__hip_bfloat16EEvPKT6_PKbPfiPT5_PiiiibdPKfPKS9_SF_
; %bb.0:
	s_load_dword s3, s[0:1], 0x18
	v_and_b32_e32 v8, 0x3ff, v0
	s_lshl_b32 s2, s2, 2
	v_lshrrev_b32_e32 v1, 5, v8
	v_bfe_u32 v0, v0, 10, 10
	v_add3_u32 v6, s2, v0, v1
	s_waitcnt lgkmcnt(0)
	v_cmp_gt_i32_e32 vcc, s3, v6
	s_and_saveexec_b64 s[2:3], vcc
	s_cbranch_execz .LBB454_32
; %bb.1:
	s_load_dwordx2 s[2:3], s[0:1], 0x0
	s_load_dword s33, s[0:1], 0x30
	v_lshlrev_b32_e32 v0, 8, v6
	v_lshlrev_b32_e32 v2, 3, v8
	v_ashrrev_i32_e32 v1, 31, v0
	v_and_b32_e32 v10, 0xf8, v2
	s_waitcnt lgkmcnt(0)
	v_lshl_add_u64 v[0:1], v[0:1], 1, s[2:3]
	v_lshlrev_b32_e32 v4, 1, v10
	v_mov_b32_e32 v5, 0
	v_lshl_add_u64 v[0:1], v[0:1], 0, v[4:5]
	global_load_dwordx4 v[0:3], v[0:1], off
	s_load_dwordx4 s[8:11], s[0:1], 0x50
	v_ashrrev_i32_e32 v7, 31, v6
	s_mov_b32 s15, 0x800000
	s_mov_b32 s13, 0x3f317217
	;; [unrolled: 1-line block ×3, first 2 shown]
	s_waitcnt lgkmcnt(0)
	v_mov_b32_e32 v12, s8
	v_mov_b32_e32 v13, s9
	v_lshl_add_u64 v[12:13], v[6:7], 2, v[12:13]
	global_load_dword v4, v[12:13], off
	v_mov_b32_e32 v7, 0x4f800000
	v_mov_b32_e32 v9, 0x41b17218
	s_mov_b32 s9, 0x41a00000
	s_mov_b32 s12, 0xf800000
	v_mov_b32_e32 v17, 0x260
	s_cmp_gt_i32 s33, 0
	s_mov_b32 s8, 0
	s_waitcnt vmcnt(1)
	v_and_b32_e32 v11, 0xffff0000, v0
	v_lshlrev_b32_e32 v14, 16, v0
	v_and_b32_e32 v15, 0xffff0000, v1
	v_lshlrev_b32_e32 v16, 16, v1
	v_mul_f32_e32 v0, 0x3fb8aa3b, v14
	v_mul_f32_e32 v1, 0x3fb8aa3b, v11
	v_exp_f32_e32 v0, v0
	v_exp_f32_e32 v1, v1
	v_mul_f32_e32 v12, 0x3fb8aa3b, v16
	v_mul_f32_e32 v13, 0x3fb8aa3b, v15
	v_exp_f32_e32 v12, v12
	v_exp_f32_e32 v13, v13
	v_pk_add_f32 v[0:1], v[0:1], 1.0 op_sel_hi:[1,0]
	s_waitcnt vmcnt(0)
	v_mul_lo_u32 v4, v4, s33
	v_cmp_gt_f32_e32 vcc, s15, v1
	v_pk_add_f32 v[12:13], v[12:13], 1.0 op_sel_hi:[1,0]
	v_cmp_gt_f32_e64 s[2:3], s15, v0
	v_cndmask_b32_e32 v18, 1.0, v7, vcc
	v_cmp_gt_f32_e64 s[4:5], s15, v13
	v_cndmask_b32_e64 v19, 1.0, v7, s[2:3]
	v_mul_f32_e32 v1, v1, v18
	v_cndmask_b32_e64 v20, 1.0, v7, s[4:5]
	v_mul_f32_e32 v0, v0, v19
	v_log_f32_e32 v1, v1
	v_cmp_gt_f32_e64 s[6:7], s15, v12
	v_mul_f32_e32 v13, v13, v20
	v_log_f32_e32 v0, v0
	v_cndmask_b32_e64 v21, 1.0, v7, s[6:7]
	v_log_f32_e32 v13, v13
	v_mul_f32_e32 v12, v12, v21
	v_log_f32_e32 v21, v12
	v_mul_f32_e32 v12, 0x3f317217, v1
	v_mul_f32_e32 v22, 0x3f317217, v0
	v_fma_f32 v12, v1, s13, -v12
	v_mul_f32_e32 v23, 0x3f317217, v13
	v_fma_f32 v22, v0, s13, -v22
	v_fmac_f32_e32 v12, 0x3377d1cf, v1
	v_cndmask_b32_e32 v18, 0, v9, vcc
	v_fma_f32 v23, v13, s13, -v23
	v_fmac_f32_e32 v22, 0x3377d1cf, v0
	v_fmac_f32_e32 v12, 0x3f317217, v1
	v_cmp_lt_f32_e64 vcc, |v1|, s14
	v_fmac_f32_e32 v23, 0x3377d1cf, v13
	v_fmac_f32_e32 v22, 0x3f317217, v0
	v_cndmask_b32_e32 v1, v1, v12, vcc
	v_cmp_lt_f32_e64 vcc, |v0|, s14
	v_cndmask_b32_e64 v19, 0, v9, s[2:3]
	v_fmac_f32_e32 v23, 0x3f317217, v13
	v_cndmask_b32_e32 v0, v0, v22, vcc
	v_cmp_lt_f32_e64 vcc, |v13|, s14
	v_sub_f32_e32 v0, v0, v19
	v_sub_f32_e32 v1, v1, v18
	v_cndmask_b32_e32 v12, v13, v23, vcc
	v_cmp_lt_f32_e32 vcc, s9, v14
	v_cndmask_b32_e64 v20, 0, v9, s[4:5]
	v_mul_f32_e32 v24, 0x3f317217, v21
	v_cndmask_b32_e32 v0, v0, v14, vcc
	v_cmp_lt_f32_e32 vcc, s9, v11
	v_mul_f32_e32 v13, 0x4f800000, v0
	v_cmp_gt_f32_e64 s[2:3], s12, v0
	v_cndmask_b32_e32 v1, v1, v11, vcc
	v_mul_f32_e32 v11, 0x4f800000, v1
	v_cmp_gt_f32_e32 vcc, s12, v1
	v_cndmask_b32_e64 v0, v0, v13, s[2:3]
	v_sqrt_f32_e32 v13, v0
	v_cndmask_b32_e32 v1, v1, v11, vcc
	v_sqrt_f32_e32 v11, v1
	v_sub_f32_e32 v14, v12, v20
	v_add_u32_e32 v19, -1, v13
	v_fma_f32 v25, -v19, v13, v0
	v_add_u32_e32 v12, -1, v11
	v_fma_f32 v22, -v12, v11, v1
	v_add_u32_e32 v18, 1, v11
	v_cmp_ge_f32_e64 s[4:5], 0, v22
	v_add_u32_e32 v20, 1, v13
	v_fma_f32 v23, -v18, v11, v1
	v_cndmask_b32_e64 v11, v11, v12, s[4:5]
	v_cmp_ge_f32_e64 s[4:5], 0, v25
	v_fma_f32 v26, -v20, v13, v0
	v_fma_f32 v24, v21, s13, -v24
	v_cndmask_b32_e64 v12, v13, v19, s[4:5]
	v_cmp_lt_f32_e64 s[4:5], 0, v23
	v_fmac_f32_e32 v24, 0x3377d1cf, v21
	v_fmac_f32_e32 v24, 0x3f317217, v21
	v_cndmask_b32_e64 v11, v11, v18, s[4:5]
	v_cmp_lt_f32_e64 s[4:5], 0, v26
	v_mul_f32_e32 v13, 0x37800000, v11
	v_cndmask_b32_e32 v11, v11, v13, vcc
	v_cndmask_b32_e64 v12, v12, v20, s[4:5]
	v_mul_f32_e32 v18, 0x37800000, v12
	v_cmp_class_f32_e32 vcc, v1, v17
	v_cndmask_b32_e64 v12, v12, v18, s[2:3]
	v_cmp_lt_f32_e64 s[2:3], s9, v16
	v_cndmask_b32_e32 v13, v11, v1, vcc
	v_cmp_class_f32_e32 vcc, v0, v17
	v_cndmask_b32_e64 v1, 0, v9, s[6:7]
	v_and_b32_e32 v19, 0xffff0000, v2
	v_cndmask_b32_e32 v12, v12, v0, vcc
	v_cmp_lt_f32_e64 vcc, |v21|, s14
	v_lshlrev_b32_e32 v2, 16, v2
	s_nop 0
	v_cndmask_b32_e32 v0, v21, v24, vcc
	v_cmp_lt_f32_e32 vcc, s9, v15
	v_sub_f32_e32 v0, v0, v1
	v_cndmask_b32_e64 v0, v0, v16, s[2:3]
	v_cndmask_b32_e32 v11, v14, v15, vcc
	v_mul_f32_e32 v14, 0x4f800000, v11
	v_cmp_gt_f32_e32 vcc, s12, v11
	s_nop 1
	v_cndmask_b32_e32 v11, v11, v14, vcc
	v_sqrt_f32_e32 v14, v11
	s_nop 0
	v_add_u32_e32 v1, -1, v14
	v_fma_f32 v15, -v1, v14, v11
	v_cmp_ge_f32_e64 s[2:3], 0, v15
	v_add_u32_e32 v15, 1, v14
	s_nop 0
	v_cndmask_b32_e64 v1, v14, v1, s[2:3]
	v_fma_f32 v14, -v15, v14, v11
	v_cmp_lt_f32_e64 s[2:3], 0, v14
	s_nop 1
	v_cndmask_b32_e64 v1, v1, v15, s[2:3]
	v_mul_f32_e32 v15, 0x4f800000, v0
	v_cmp_gt_f32_e64 s[2:3], s12, v0
	v_mul_f32_e32 v14, 0x37800000, v1
	v_cndmask_b32_e32 v1, v1, v14, vcc
	v_cndmask_b32_e64 v16, v0, v15, s[2:3]
	v_sqrt_f32_e32 v0, v16
	v_cmp_class_f32_e32 vcc, v11, v17
	v_add_u32_e32 v14, 1, v0
	s_nop 0
	v_cndmask_b32_e32 v15, v1, v11, vcc
	v_add_u32_e32 v1, -1, v0
	v_fma_f32 v11, -v1, v0, v16
	v_cmp_ge_f32_e32 vcc, 0, v11
	v_fma_f32 v18, -v14, v0, v16
	s_nop 0
	v_cndmask_b32_e32 v11, v0, v1, vcc
	v_mul_f32_e32 v0, 0x3fb8aa3b, v2
	v_mul_f32_e32 v1, 0x3fb8aa3b, v19
	v_exp_f32_e32 v0, v0
	v_exp_f32_e32 v1, v1
	v_cmp_lt_f32_e32 vcc, 0, v18
	v_pk_add_f32 v[0:1], v[0:1], 1.0 op_sel_hi:[1,0]
	s_nop 0
	v_cndmask_b32_e32 v11, v11, v14, vcc
	v_mul_f32_e32 v14, 0x37800000, v11
	v_cmp_gt_f32_e32 vcc, s15, v1
	v_cndmask_b32_e64 v11, v11, v14, s[2:3]
	v_cmp_class_f32_e64 s[2:3], v16, v17
	v_cndmask_b32_e32 v14, 1.0, v7, vcc
	v_mul_f32_e32 v1, v1, v14
	v_log_f32_e32 v1, v1
	v_cndmask_b32_e64 v14, v11, v16, s[2:3]
	v_cmp_gt_f32_e64 s[2:3], s15, v0
	scratch_store_dwordx4 off, v[12:15], off
	v_mul_f32_e32 v11, 0x3f317217, v1
	v_fma_f32 v11, v1, s13, -v11
	v_cndmask_b32_e64 v12, 1.0, v7, s[2:3]
	v_mul_f32_e32 v0, v0, v12
	v_log_f32_e32 v0, v0
	v_fmac_f32_e32 v11, 0x3377d1cf, v1
	v_fmac_f32_e32 v11, 0x3f317217, v1
	v_cmp_lt_f32_e64 s[4:5], |v1|, s14
	v_and_b32_e32 v14, 0xffff0000, v3
	v_lshlrev_b32_e32 v15, 16, v3
	v_cndmask_b32_e64 v1, v1, v11, s[4:5]
	v_cndmask_b32_e32 v11, 0, v9, vcc
	v_sub_f32_e32 v1, v1, v11
	v_mul_f32_e32 v11, 0x3f317217, v0
	v_fma_f32 v11, v0, s13, -v11
	v_fmac_f32_e32 v11, 0x3377d1cf, v0
	v_fmac_f32_e32 v11, 0x3f317217, v0
	v_cmp_lt_f32_e64 vcc, |v0|, s14
	v_mul_f32_e32 v3, 0x3fb8aa3b, v14
	v_exp_f32_e32 v3, v3
	v_cndmask_b32_e32 v0, v0, v11, vcc
	v_cmp_lt_f32_e32 vcc, s9, v19
	v_cndmask_b32_e64 v11, 0, v9, s[2:3]
	v_sub_f32_e32 v0, v0, v11
	v_cndmask_b32_e32 v1, v1, v19, vcc
	v_mul_f32_e32 v12, 0x4f800000, v1
	v_cmp_gt_f32_e32 vcc, s12, v1
	v_cmp_lt_f32_e64 s[2:3], s9, v2
	s_nop 0
	v_cndmask_b32_e32 v1, v1, v12, vcc
	v_sqrt_f32_e32 v12, v1
	v_cndmask_b32_e64 v0, v0, v2, s[2:3]
	v_add_u32_e32 v2, -1, v12
	v_fma_f32 v11, -v2, v12, v1
	v_cmp_ge_f32_e64 s[2:3], 0, v11
	v_add_u32_e32 v11, 1, v12
	s_nop 0
	v_cndmask_b32_e64 v2, v12, v2, s[2:3]
	v_fma_f32 v12, -v11, v12, v1
	v_cmp_lt_f32_e64 s[2:3], 0, v12
	v_mul_f32_e32 v12, 0x4f800000, v0
	s_nop 0
	v_cndmask_b32_e64 v2, v2, v11, s[2:3]
	v_cmp_gt_f32_e64 s[2:3], s12, v0
	v_mul_f32_e32 v11, 0x37800000, v2
	v_cndmask_b32_e32 v2, v2, v11, vcc
	v_cndmask_b32_e64 v0, v0, v12, s[2:3]
	v_sqrt_f32_e32 v12, v0
	v_cmp_class_f32_e32 vcc, v1, v17
	v_add_u32_e32 v13, 1, v12
	s_nop 0
	v_cndmask_b32_e32 v1, v2, v1, vcc
	v_add_u32_e32 v2, -1, v12
	v_fma_f32 v11, -v2, v12, v0
	v_cmp_ge_f32_e32 vcc, 0, v11
	s_nop 1
	v_cndmask_b32_e32 v11, v12, v2, vcc
	v_mul_f32_e32 v2, 0x3fb8aa3b, v15
	v_exp_f32_e32 v2, v2
	v_fma_f32 v12, -v13, v12, v0
	v_cmp_lt_f32_e32 vcc, 0, v12
	v_pk_add_f32 v[2:3], v[2:3], 1.0 op_sel_hi:[1,0]
	s_nop 0
	v_cndmask_b32_e32 v11, v11, v13, vcc
	v_cmp_gt_f32_e32 vcc, s15, v3
	v_mul_f32_e32 v12, 0x37800000, v11
	v_cndmask_b32_e64 v11, v11, v12, s[2:3]
	v_cndmask_b32_e32 v13, 1.0, v7, vcc
	v_mul_f32_e32 v3, v3, v13
	v_log_f32_e32 v3, v3
	v_cmp_class_f32_e64 s[2:3], v0, v17
	v_cmp_lt_f32_e64 s[4:5], |v3|, s14
	s_nop 0
	v_cndmask_b32_e64 v0, v11, v0, s[2:3]
	v_cmp_gt_f32_e64 s[2:3], s15, v2
	v_mul_f32_e32 v11, 0x3f317217, v3
	v_fma_f32 v11, v3, s13, -v11
	v_cndmask_b32_e64 v7, 1.0, v7, s[2:3]
	v_mul_f32_e32 v2, v2, v7
	v_log_f32_e32 v2, v2
	v_fmac_f32_e32 v11, 0x3377d1cf, v3
	v_fmac_f32_e32 v11, 0x3f317217, v3
	v_cndmask_b32_e64 v3, v3, v11, s[4:5]
	v_cndmask_b32_e32 v7, 0, v9, vcc
	v_sub_f32_e32 v3, v3, v7
	v_mul_f32_e32 v7, 0x3f317217, v2
	v_fma_f32 v7, v2, s13, -v7
	v_fmac_f32_e32 v7, 0x3377d1cf, v2
	v_fmac_f32_e32 v7, 0x3f317217, v2
	v_cmp_lt_f32_e64 vcc, |v2|, s14
	s_cselect_b64 s[4:5], -1, 0
	s_cmp_lt_i32 s33, 1
	v_cndmask_b32_e32 v2, v2, v7, vcc
	v_cmp_lt_f32_e32 vcc, s9, v14
	v_cndmask_b32_e64 v7, 0, v9, s[2:3]
	v_sub_f32_e32 v2, v2, v7
	v_cndmask_b32_e32 v3, v3, v14, vcc
	v_mul_f32_e32 v9, 0x4f800000, v3
	v_cmp_gt_f32_e32 vcc, s12, v3
	v_cmp_lt_f32_e64 s[2:3], s9, v15
	s_nop 0
	v_cndmask_b32_e32 v3, v3, v9, vcc
	v_sqrt_f32_e32 v9, v3
	v_cndmask_b32_e64 v2, v2, v15, s[2:3]
	v_add_u32_e32 v7, -1, v9
	v_fma_f32 v11, -v7, v9, v3
	v_cmp_ge_f32_e64 s[2:3], 0, v11
	v_add_u32_e32 v11, 1, v9
	s_nop 0
	v_cndmask_b32_e64 v7, v9, v7, s[2:3]
	v_fma_f32 v9, -v11, v9, v3
	v_cmp_lt_f32_e64 s[2:3], 0, v9
	s_nop 1
	v_cndmask_b32_e64 v7, v7, v11, s[2:3]
	v_mul_f32_e32 v11, 0x4f800000, v2
	v_cmp_gt_f32_e64 s[2:3], s12, v2
	v_mul_f32_e32 v9, 0x37800000, v7
	v_cndmask_b32_e32 v7, v7, v9, vcc
	v_cndmask_b32_e64 v2, v2, v11, s[2:3]
	v_sqrt_f32_e32 v11, v2
	v_cmp_class_f32_e32 vcc, v3, v17
	s_nop 1
	v_cndmask_b32_e32 v3, v7, v3, vcc
	v_add_u32_e32 v7, -1, v11
	v_fma_f32 v9, -v7, v11, v2
	v_cmp_ge_f32_e32 vcc, 0, v9
	v_add_u32_e32 v9, 1, v11
	s_nop 0
	v_cndmask_b32_e32 v7, v11, v7, vcc
	v_fma_f32 v11, -v9, v11, v2
	v_cmp_lt_f32_e32 vcc, 0, v11
	s_nop 1
	v_cndmask_b32_e32 v7, v7, v9, vcc
	v_mul_f32_e32 v9, 0x37800000, v7
	v_cndmask_b32_e64 v7, v7, v9, s[2:3]
	v_cmp_class_f32_e32 vcc, v2, v17
	s_nop 1
	v_cndmask_b32_e32 v2, v7, v2, vcc
	scratch_store_dwordx4 off, v[0:3], off offset:16
	s_nop 1
	v_lshl_add_u64 v[2:3], v[4:5], 2, s[10:11]
	v_mul_lo_u32 v0, v6, s33
	s_cbranch_scc1 .LBB454_29
; %bb.2:
	s_load_dwordx2 s[6:7], s[0:1], 0x20
	s_cmp_lt_u32 s33, 4
	v_and_b32_e32 v4, 31, v8
	s_cbranch_scc1 .LBB454_21
; %bb.3:
	v_lshlrev_b32_e32 v5, 3, v4
	s_mov_b32 s11, 0
	s_and_b32 s8, s33, 0x7ffffffc
	v_ashrrev_i32_e32 v1, 31, v0
	v_sub_u32_e32 v11, 0, v5
	v_mov_b32_e32 v5, 0
	s_mov_b32 s10, s11
	s_branch .LBB454_5
.LBB454_4:                              ;   in Loop: Header=BB454_5 Depth=1
	s_or_b64 exec, exec, s[12:13]
	s_add_i32 s10, s10, 4
	s_cmp_eq_u32 s10, s8
	s_cbranch_scc1 .LBB454_22
.LBB454_5:                              ; =>This Loop Header: Depth=1
                                        ;     Child Loop BB454_7 Depth 2
                                        ;     Child Loop BB454_11 Depth 2
	;; [unrolled: 1-line block ×4, first 2 shown]
	v_lshl_add_u64 v[6:7], s[10:11], 2, v[2:3]
	global_load_dword v12, v[6:7], off
	v_add_u32_e32 v8, s10, v0
	v_ashrrev_i32_e32 v9, 31, v8
	v_mov_b32_e32 v13, 0
	s_mov_b64 s[12:13], 0
	s_waitcnt lgkmcnt(0)
	v_lshl_add_u64 v[8:9], v[8:9], 2, s[6:7]
	s_mov_b32 s9, 0
	s_waitcnt vmcnt(0)
	v_add_u32_e32 v14, v11, v12
	s_branch .LBB454_7
.LBB454_6:                              ;   in Loop: Header=BB454_7 Depth=2
	s_or_b64 exec, exec, s[14:15]
	s_add_i32 s16, s9, 1
	s_cmp_gt_u32 s9, 6
	s_cselect_b64 s[2:3], -1, 0
	s_xor_b64 s[14:15], vcc, -1
	s_or_b64 s[2:3], s[14:15], s[2:3]
	s_and_b64 s[2:3], exec, s[2:3]
	v_add_u32_e32 v13, 4, v13
	s_or_b64 s[12:13], s[2:3], s[12:13]
	s_mov_b32 s9, s16
	s_andn2_b64 exec, exec, s[12:13]
	s_cbranch_execz .LBB454_9
.LBB454_7:                              ;   Parent Loop BB454_5 Depth=1
                                        ; =>  This Inner Loop Header: Depth=2
	v_cmp_ne_u32_e32 vcc, s9, v14
	v_cmp_eq_u32_e64 s[2:3], s9, v14
	s_and_saveexec_b64 s[14:15], s[2:3]
	s_cbranch_execz .LBB454_6
; %bb.8:                                ;   in Loop: Header=BB454_7 Depth=2
	scratch_load_dword v15, v13, off
	s_waitcnt vmcnt(0)
	v_add_f32_e32 v5, v5, v15
	global_store_dword v[8:9], v12, off
	s_branch .LBB454_6
.LBB454_9:                              ;   in Loop: Header=BB454_5 Depth=1
	s_or_b64 exec, exec, s[12:13]
	global_load_dword v12, v[6:7], off offset:4
	s_ashr_i32 s3, s10, 31
	s_mov_b32 s2, s10
	v_lshl_add_u64 v[8:9], s[2:3], 0, v[0:1]
	v_mov_b32_e32 v13, 0
	s_mov_b32 s9, 0
	v_lshl_add_u64 v[8:9], v[8:9], 2, s[6:7]
	s_mov_b64 s[12:13], 0
	s_waitcnt vmcnt(0)
	v_add_u32_e32 v14, v11, v12
	s_branch .LBB454_11
.LBB454_10:                             ;   in Loop: Header=BB454_11 Depth=2
	s_or_b64 exec, exec, s[14:15]
	s_add_i32 s16, s9, 1
	s_cmp_gt_u32 s9, 6
	s_cselect_b64 s[2:3], -1, 0
	s_xor_b64 s[14:15], vcc, -1
	s_or_b64 s[2:3], s[14:15], s[2:3]
	s_and_b64 s[2:3], exec, s[2:3]
	v_add_u32_e32 v13, 4, v13
	s_or_b64 s[12:13], s[2:3], s[12:13]
	s_mov_b32 s9, s16
	s_andn2_b64 exec, exec, s[12:13]
	s_cbranch_execz .LBB454_13
.LBB454_11:                             ;   Parent Loop BB454_5 Depth=1
                                        ; =>  This Inner Loop Header: Depth=2
	v_cmp_ne_u32_e32 vcc, s9, v14
	v_cmp_eq_u32_e64 s[2:3], s9, v14
	s_and_saveexec_b64 s[14:15], s[2:3]
	s_cbranch_execz .LBB454_10
; %bb.12:                               ;   in Loop: Header=BB454_11 Depth=2
	scratch_load_dword v15, v13, off
	s_waitcnt vmcnt(0)
	v_add_f32_e32 v5, v5, v15
	global_store_dword v[8:9], v12, off offset:4
	s_branch .LBB454_10
.LBB454_13:                             ;   in Loop: Header=BB454_5 Depth=1
	s_or_b64 exec, exec, s[12:13]
	global_load_dword v12, v[6:7], off offset:8
	v_mov_b32_e32 v13, 0
	s_mov_b32 s9, 0
	s_mov_b64 s[12:13], 0
	s_waitcnt vmcnt(0)
	v_add_u32_e32 v14, v11, v12
	s_branch .LBB454_15
.LBB454_14:                             ;   in Loop: Header=BB454_15 Depth=2
	s_or_b64 exec, exec, s[14:15]
	s_add_i32 s16, s9, 1
	s_cmp_gt_u32 s9, 6
	s_cselect_b64 s[2:3], -1, 0
	s_xor_b64 s[14:15], vcc, -1
	s_or_b64 s[2:3], s[14:15], s[2:3]
	s_and_b64 s[2:3], exec, s[2:3]
	v_add_u32_e32 v13, 4, v13
	s_or_b64 s[12:13], s[2:3], s[12:13]
	s_mov_b32 s9, s16
	s_andn2_b64 exec, exec, s[12:13]
	s_cbranch_execz .LBB454_17
.LBB454_15:                             ;   Parent Loop BB454_5 Depth=1
                                        ; =>  This Inner Loop Header: Depth=2
	v_cmp_ne_u32_e32 vcc, s9, v14
	v_cmp_eq_u32_e64 s[2:3], s9, v14
	s_and_saveexec_b64 s[14:15], s[2:3]
	s_cbranch_execz .LBB454_14
; %bb.16:                               ;   in Loop: Header=BB454_15 Depth=2
	scratch_load_dword v15, v13, off
	s_waitcnt vmcnt(0)
	v_add_f32_e32 v5, v5, v15
	global_store_dword v[8:9], v12, off offset:8
	s_branch .LBB454_14
.LBB454_17:                             ;   in Loop: Header=BB454_5 Depth=1
	s_or_b64 exec, exec, s[12:13]
	global_load_dword v6, v[6:7], off offset:12
	v_mov_b32_e32 v7, 0
	s_mov_b32 s9, 0
	s_mov_b64 s[12:13], 0
	s_waitcnt vmcnt(0)
	v_add_u32_e32 v12, v11, v6
	s_branch .LBB454_19
.LBB454_18:                             ;   in Loop: Header=BB454_19 Depth=2
	s_or_b64 exec, exec, s[14:15]
	s_add_i32 s16, s9, 1
	s_cmp_gt_u32 s9, 6
	s_cselect_b64 s[2:3], -1, 0
	s_xor_b64 s[14:15], vcc, -1
	s_or_b64 s[2:3], s[14:15], s[2:3]
	s_and_b64 s[2:3], exec, s[2:3]
	v_add_u32_e32 v7, 4, v7
	s_or_b64 s[12:13], s[2:3], s[12:13]
	s_mov_b32 s9, s16
	s_andn2_b64 exec, exec, s[12:13]
	s_cbranch_execz .LBB454_4
.LBB454_19:                             ;   Parent Loop BB454_5 Depth=1
                                        ; =>  This Inner Loop Header: Depth=2
	v_cmp_ne_u32_e32 vcc, s9, v12
	v_cmp_eq_u32_e64 s[2:3], s9, v12
	s_and_saveexec_b64 s[14:15], s[2:3]
	s_cbranch_execz .LBB454_18
; %bb.20:                               ;   in Loop: Header=BB454_19 Depth=2
	scratch_load_dword v13, v7, off
	s_waitcnt vmcnt(0)
	v_add_f32_e32 v5, v5, v13
	global_store_dword v[8:9], v6, off offset:12
	s_branch .LBB454_18
.LBB454_21:
	v_mov_b32_e32 v5, 0
.LBB454_22:
	s_and_b32 s14, s33, 3
	s_cmp_eq_u32 s14, 0
	s_mov_b32 s9, 0
	s_cbranch_scc1 .LBB454_29
; %bb.23:
	v_lshlrev_b32_e32 v1, 3, v4
	v_sub_u32_e32 v1, 0, v1
	s_mov_b32 s15, s9
	s_branch .LBB454_25
.LBB454_24:                             ;   in Loop: Header=BB454_25 Depth=1
	s_or_b64 exec, exec, s[10:11]
	s_add_i32 s8, s8, 1
	s_add_i32 s15, s15, 1
	s_cmp_lg_u32 s15, s14
	s_cbranch_scc0 .LBB454_29
.LBB454_25:                             ; =>This Loop Header: Depth=1
                                        ;     Child Loop BB454_27 Depth 2
	v_lshl_add_u64 v[6:7], s[8:9], 2, v[2:3]
	global_load_dword v4, v[6:7], off
	v_add_u32_e32 v6, s8, v0
	v_ashrrev_i32_e32 v7, 31, v6
	v_mov_b32_e32 v8, 0
	s_mov_b32 s16, 0
	s_waitcnt lgkmcnt(0)
	v_lshl_add_u64 v[6:7], v[6:7], 2, s[6:7]
	s_mov_b64 s[10:11], 0
	s_waitcnt vmcnt(0)
	v_add_u32_e32 v9, v1, v4
	s_branch .LBB454_27
.LBB454_26:                             ;   in Loop: Header=BB454_27 Depth=2
	s_or_b64 exec, exec, s[12:13]
	s_add_i32 s17, s16, 1
	s_cmp_gt_u32 s16, 6
	s_cselect_b64 s[2:3], -1, 0
	s_xor_b64 s[12:13], vcc, -1
	s_or_b64 s[2:3], s[12:13], s[2:3]
	s_and_b64 s[2:3], exec, s[2:3]
	v_add_u32_e32 v8, 4, v8
	s_or_b64 s[10:11], s[2:3], s[10:11]
	s_mov_b32 s16, s17
	s_andn2_b64 exec, exec, s[10:11]
	s_cbranch_execz .LBB454_24
.LBB454_27:                             ;   Parent Loop BB454_25 Depth=1
                                        ; =>  This Inner Loop Header: Depth=2
	v_cmp_ne_u32_e32 vcc, s16, v9
	v_cmp_eq_u32_e64 s[2:3], s16, v9
	s_and_saveexec_b64 s[12:13], s[2:3]
	s_cbranch_execz .LBB454_26
; %bb.28:                               ;   in Loop: Header=BB454_27 Depth=2
	scratch_load_dword v11, v8, off
	s_waitcnt vmcnt(0)
	v_add_f32_e32 v5, v5, v11
	global_store_dword v[6:7], v4, off
	s_branch .LBB454_26
.LBB454_29:
	s_waitcnt lgkmcnt(0)
	s_load_dword s6, s[0:1], 0x3c
	s_waitcnt lgkmcnt(0)
	s_bitcmp1_b32 s6, 0
	s_cselect_b64 s[2:3], -1, 0
	s_bitcmp0_b32 s6, 0
	s_cbranch_scc0 .LBB454_33
; %bb.30:
	s_load_dwordx2 s[6:7], s[0:1], 0x40
	s_andn2_b64 vcc, exec, s[2:3]
	s_waitcnt lgkmcnt(0)
	v_cvt_f32_f64_e32 v8, s[6:7]
	s_cbranch_vccz .LBB454_34
.LBB454_31:
	s_andn2_b64 vcc, exec, s[4:5]
	s_cbranch_vccz .LBB454_35
.LBB454_32:
	s_endpgm
.LBB454_33:
	v_mbcnt_lo_u32_b32 v1, -1, 0
	v_mbcnt_hi_u32_b32 v1, -1, v1
	v_and_b32_e32 v4, 0x60, v1
	v_add_u32_e32 v4, 32, v4
	v_xor_b32_e32 v6, 16, v1
	v_cmp_lt_i32_e32 vcc, v6, v4
	v_xor_b32_e32 v7, 8, v1
	s_nop 0
	v_cndmask_b32_e32 v6, v1, v6, vcc
	v_lshlrev_b32_e32 v6, 2, v6
	ds_bpermute_b32 v6, v6, v5
	v_cmp_lt_i32_e32 vcc, v7, v4
	s_waitcnt lgkmcnt(0)
	v_add_f32_e32 v5, v5, v6
	v_cndmask_b32_e32 v6, v1, v7, vcc
	v_lshlrev_b32_e32 v6, 2, v6
	ds_bpermute_b32 v6, v6, v5
	v_xor_b32_e32 v7, 4, v1
	v_cmp_lt_i32_e32 vcc, v7, v4
	s_waitcnt lgkmcnt(0)
	v_add_f32_e32 v5, v5, v6
	v_cndmask_b32_e32 v6, v1, v7, vcc
	v_lshlrev_b32_e32 v6, 2, v6
	ds_bpermute_b32 v6, v6, v5
	v_xor_b32_e32 v7, 2, v1
	;; [unrolled: 7-line block ×3, first 2 shown]
	v_cmp_lt_i32_e32 vcc, v7, v4
	s_waitcnt lgkmcnt(0)
	v_add_f32_e32 v5, v5, v6
	v_cndmask_b32_e32 v1, v1, v7, vcc
	v_lshlrev_b32_e32 v1, 2, v1
	ds_bpermute_b32 v1, v1, v5
	s_waitcnt lgkmcnt(0)
	v_add_f32_e32 v5, v5, v1
	s_load_dwordx2 s[6:7], s[0:1], 0x40
	s_andn2_b64 vcc, exec, s[2:3]
	s_waitcnt lgkmcnt(0)
	v_cvt_f32_f64_e32 v8, s[6:7]
	s_cbranch_vccnz .LBB454_31
.LBB454_34:
	v_cmp_lt_f32_e32 vcc, 0, v5
	s_nop 1
	v_cndmask_b32_e32 v1, 1.0, v5, vcc
	v_div_scale_f32 v4, s[2:3], v1, v1, v8
	v_rcp_f32_e32 v5, v4
	s_nop 0
	v_fma_f32 v6, -v4, v5, 1.0
	v_fmac_f32_e32 v5, v6, v5
	v_div_scale_f32 v6, vcc, v8, v1, v8
	v_mul_f32_e32 v7, v6, v5
	v_fma_f32 v9, -v4, v7, v6
	v_fmac_f32_e32 v7, v9, v5
	v_fma_f32 v4, -v4, v7, v6
	v_div_fmas_f32 v4, v4, v5, v7
	v_div_fixup_f32 v8, v4, v1, v8
	s_andn2_b64 vcc, exec, s[4:5]
	s_cbranch_vccnz .LBB454_32
.LBB454_35:
	s_load_dwordx2 s[12:13], s[0:1], 0x10
	v_mov_b32_e32 v1, 0
	v_or_b32_e32 v20, 4, v1
	v_or_b32_e32 v18, 8, v1
	;; [unrolled: 1-line block ×3, first 2 shown]
	v_add_u32_e32 v14, 16, v1
	v_add_u32_e32 v12, 20, v1
	;; [unrolled: 1-line block ×4, first 2 shown]
	v_or_b32_e32 v23, 1, v10
	v_or_b32_e32 v22, 2, v10
	;; [unrolled: 1-line block ×7, first 2 shown]
	s_cmp_eq_u32 s33, 1
	s_mov_b32 s14, 0
	s_cbranch_scc1 .LBB454_70
; %bb.36:
	v_ashrrev_i32_e32 v1, 31, v0
	s_waitcnt lgkmcnt(0)
	v_lshl_add_u64 v[4:5], v[0:1], 2, s[12:13]
	s_and_b32 s14, s33, 0x7ffffffe
	v_lshl_add_u64 v[4:5], v[4:5], 0, 4
	v_lshl_add_u64 v[6:7], v[2:3], 0, 4
	s_mov_b32 s15, 0
	s_branch .LBB454_38
.LBB454_37:                             ;   in Loop: Header=BB454_38 Depth=1
	s_or_b64 exec, exec, s[0:1]
	s_add_i32 s15, s15, 2
	v_lshl_add_u64 v[4:5], v[4:5], 0, 8
	s_cmp_eq_u32 s14, s15
	v_lshl_add_u64 v[6:7], v[6:7], 0, 8
	s_cbranch_scc1 .LBB454_70
.LBB454_38:                             ; =>This Inner Loop Header: Depth=1
	global_load_dword v24, v[6:7], off offset:-4
	v_mov_b32_e32 v1, 0
	s_waitcnt vmcnt(0)
	v_cmp_eq_u32_e32 vcc, v24, v10
	v_cmp_ne_u32_e64 s[0:1], v24, v10
	s_and_saveexec_b64 s[16:17], s[0:1]
	s_cbranch_execz .LBB454_52
; %bb.39:                               ;   in Loop: Header=BB454_38 Depth=1
	v_cmp_eq_u32_e64 s[0:1], v24, v23
	v_cmp_ne_u32_e64 s[2:3], v24, v23
	v_mov_b32_e32 v1, v20
	s_and_saveexec_b64 s[18:19], s[2:3]
	s_cbranch_execz .LBB454_51
; %bb.40:                               ;   in Loop: Header=BB454_38 Depth=1
	v_cmp_eq_u32_e64 s[2:3], v24, v22
	v_cmp_ne_u32_e64 s[4:5], v24, v22
	v_mov_b32_e32 v1, v18
	;; [unrolled: 6-line block ×6, first 2 shown]
	s_and_saveexec_b64 s[30:31], s[10:11]
	s_xor_b64 s[30:31], exec, s[30:31]
; %bb.45:                               ;   in Loop: Header=BB454_38 Depth=1
	v_cmp_eq_u32_e64 s[10:11], v24, v13
	s_andn2_b64 s[28:29], s[28:29], exec
	s_and_b64 s[10:11], s[10:11], exec
	s_or_b64 s[28:29], s[28:29], s[10:11]
	v_mov_b32_e32 v1, v11
; %bb.46:                               ;   in Loop: Header=BB454_38 Depth=1
	s_or_b64 exec, exec, s[30:31]
	s_andn2_b64 s[8:9], s[8:9], exec
	s_and_b64 s[10:11], s[28:29], exec
	s_or_b64 s[8:9], s[8:9], s[10:11]
.LBB454_47:                             ;   in Loop: Header=BB454_38 Depth=1
	s_or_b64 exec, exec, s[26:27]
	s_andn2_b64 s[6:7], s[6:7], exec
	s_and_b64 s[8:9], s[8:9], exec
	s_or_b64 s[6:7], s[6:7], s[8:9]
.LBB454_48:                             ;   in Loop: Header=BB454_38 Depth=1
	s_or_b64 exec, exec, s[24:25]
	s_andn2_b64 s[4:5], s[4:5], exec
	s_and_b64 s[6:7], s[6:7], exec
	s_or_b64 s[4:5], s[4:5], s[6:7]
.LBB454_49:                             ;   in Loop: Header=BB454_38 Depth=1
	s_or_b64 exec, exec, s[22:23]
	s_andn2_b64 s[2:3], s[2:3], exec
	s_and_b64 s[4:5], s[4:5], exec
	s_or_b64 s[2:3], s[2:3], s[4:5]
.LBB454_50:                             ;   in Loop: Header=BB454_38 Depth=1
	s_or_b64 exec, exec, s[20:21]
	s_andn2_b64 s[0:1], s[0:1], exec
	s_and_b64 s[2:3], s[2:3], exec
	s_or_b64 s[0:1], s[0:1], s[2:3]
.LBB454_51:                             ;   in Loop: Header=BB454_38 Depth=1
	s_or_b64 exec, exec, s[18:19]
	s_andn2_b64 s[2:3], vcc, exec
	s_and_b64 s[0:1], s[0:1], exec
	s_or_b64 vcc, s[2:3], s[0:1]
.LBB454_52:                             ;   in Loop: Header=BB454_38 Depth=1
	s_or_b64 exec, exec, s[16:17]
	s_and_saveexec_b64 s[0:1], vcc
	s_cbranch_execz .LBB454_54
; %bb.53:                               ;   in Loop: Header=BB454_38 Depth=1
	scratch_load_dword v1, v1, off
	v_add_u32_e32 v24, s15, v0
	v_ashrrev_i32_e32 v25, 31, v24
	v_lshl_add_u64 v[24:25], v[24:25], 2, s[12:13]
	s_waitcnt vmcnt(0)
	v_mul_f32_e32 v1, v8, v1
	global_store_dword v[24:25], v1, off
.LBB454_54:                             ;   in Loop: Header=BB454_38 Depth=1
	s_or_b64 exec, exec, s[0:1]
	global_load_dword v24, v[6:7], off
	v_mov_b32_e32 v1, 0
	s_waitcnt vmcnt(0)
	v_cmp_eq_u32_e64 s[8:9], v24, v10
	v_cmp_ne_u32_e32 vcc, v24, v10
	s_and_saveexec_b64 s[10:11], vcc
	s_cbranch_execz .LBB454_68
; %bb.55:                               ;   in Loop: Header=BB454_38 Depth=1
	v_cmp_eq_u32_e32 vcc, v24, v23
	v_cmp_ne_u32_e64 s[0:1], v24, v23
	v_mov_b32_e32 v1, v20
	s_and_saveexec_b64 s[16:17], s[0:1]
	s_cbranch_execz .LBB454_67
; %bb.56:                               ;   in Loop: Header=BB454_38 Depth=1
	v_cmp_eq_u32_e64 s[0:1], v24, v22
	v_cmp_ne_u32_e64 s[2:3], v24, v22
	v_mov_b32_e32 v1, v18
	s_and_saveexec_b64 s[18:19], s[2:3]
	s_cbranch_execz .LBB454_66
; %bb.57:                               ;   in Loop: Header=BB454_38 Depth=1
	v_cmp_eq_u32_e64 s[2:3], v24, v21
	;; [unrolled: 6-line block ×5, first 2 shown]
	v_cmp_ne_u32_e64 s[6:7], v24, v15
	v_mov_b32_e32 v1, v9
	s_and_saveexec_b64 s[30:31], s[6:7]
; %bb.61:                               ;   in Loop: Header=BB454_38 Depth=1
	v_cmp_eq_u32_e64 s[6:7], v24, v13
	s_andn2_b64 s[28:29], s[28:29], exec
	s_and_b64 s[6:7], s[6:7], exec
	s_or_b64 s[28:29], s[28:29], s[6:7]
	v_mov_b32_e32 v1, v11
; %bb.62:                               ;   in Loop: Header=BB454_38 Depth=1
	s_or_b64 exec, exec, s[30:31]
	s_andn2_b64 s[6:7], s[24:25], exec
	s_and_b64 s[24:25], s[28:29], exec
	s_or_b64 s[24:25], s[6:7], s[24:25]
.LBB454_63:                             ;   in Loop: Header=BB454_38 Depth=1
	s_or_b64 exec, exec, s[26:27]
	s_andn2_b64 s[4:5], s[4:5], exec
	s_and_b64 s[6:7], s[24:25], exec
	s_or_b64 s[4:5], s[4:5], s[6:7]
.LBB454_64:                             ;   in Loop: Header=BB454_38 Depth=1
	s_or_b64 exec, exec, s[22:23]
	s_andn2_b64 s[2:3], s[2:3], exec
	s_and_b64 s[4:5], s[4:5], exec
	s_or_b64 s[2:3], s[2:3], s[4:5]
.LBB454_65:                             ;   in Loop: Header=BB454_38 Depth=1
	s_or_b64 exec, exec, s[20:21]
	s_andn2_b64 s[0:1], s[0:1], exec
	s_and_b64 s[2:3], s[2:3], exec
	s_or_b64 s[0:1], s[0:1], s[2:3]
.LBB454_66:                             ;   in Loop: Header=BB454_38 Depth=1
	s_or_b64 exec, exec, s[18:19]
	s_andn2_b64 s[2:3], vcc, exec
	s_and_b64 s[0:1], s[0:1], exec
	s_or_b64 vcc, s[2:3], s[0:1]
.LBB454_67:                             ;   in Loop: Header=BB454_38 Depth=1
	s_or_b64 exec, exec, s[16:17]
	s_andn2_b64 s[0:1], s[8:9], exec
	s_and_b64 s[2:3], vcc, exec
	s_or_b64 s[8:9], s[0:1], s[2:3]
.LBB454_68:                             ;   in Loop: Header=BB454_38 Depth=1
	s_or_b64 exec, exec, s[10:11]
	s_and_saveexec_b64 s[0:1], s[8:9]
	s_cbranch_execz .LBB454_37
; %bb.69:                               ;   in Loop: Header=BB454_38 Depth=1
	scratch_load_dword v1, v1, off
	s_waitcnt vmcnt(0)
	v_mul_f32_e32 v1, v8, v1
	global_store_dword v[4:5], v1, off
	s_branch .LBB454_37
.LBB454_70:
	s_bitcmp0_b32 s33, 0
	s_mov_b32 s15, 0
	s_cbranch_scc1 .LBB454_32
; %bb.71:
	v_lshl_add_u64 v[2:3], s[14:15], 2, v[2:3]
	global_load_dword v1, v[2:3], off
	v_mov_b32_e32 v2, 0
	s_waitcnt vmcnt(0)
	v_cmp_eq_u32_e64 s[8:9], v1, v10
	v_cmp_ne_u32_e32 vcc, v1, v10
	s_and_saveexec_b64 s[10:11], vcc
	s_cbranch_execz .LBB454_85
; %bb.72:
	v_cmp_eq_u32_e32 vcc, v1, v23
	v_cmp_ne_u32_e64 s[0:1], v1, v23
	s_and_saveexec_b64 s[16:17], s[0:1]
	s_cbranch_execz .LBB454_84
; %bb.73:
	v_cmp_eq_u32_e64 s[0:1], v1, v22
	v_cmp_ne_u32_e64 s[2:3], v1, v22
	s_and_saveexec_b64 s[18:19], s[2:3]
	s_cbranch_execz .LBB454_83
; %bb.74:
	v_cmp_eq_u32_e64 s[2:3], v1, v21
	;; [unrolled: 5-line block ×5, first 2 shown]
	v_cmp_ne_u32_e64 s[6:7], v1, v15
	s_and_saveexec_b64 s[30:31], s[6:7]
; %bb.78:
	v_cmp_eq_u32_e64 s[6:7], v1, v13
	s_andn2_b64 s[28:29], s[28:29], exec
	s_and_b64 s[6:7], s[6:7], exec
	s_or_b64 s[28:29], s[28:29], s[6:7]
	v_mov_b32_e32 v9, v11
; %bb.79:
	s_or_b64 exec, exec, s[30:31]
	s_andn2_b64 s[6:7], s[24:25], exec
	s_and_b64 s[24:25], s[28:29], exec
	s_or_b64 s[24:25], s[6:7], s[24:25]
	v_mov_b32_e32 v12, v9
.LBB454_80:
	s_or_b64 exec, exec, s[26:27]
	s_andn2_b64 s[4:5], s[4:5], exec
	s_and_b64 s[6:7], s[24:25], exec
	s_or_b64 s[4:5], s[4:5], s[6:7]
	v_mov_b32_e32 v14, v12
.LBB454_81:
	s_or_b64 exec, exec, s[22:23]
	s_andn2_b64 s[2:3], s[2:3], exec
	s_and_b64 s[4:5], s[4:5], exec
	s_or_b64 s[2:3], s[2:3], s[4:5]
	v_mov_b32_e32 v16, v14
.LBB454_82:
	s_or_b64 exec, exec, s[20:21]
	s_andn2_b64 s[0:1], s[0:1], exec
	s_and_b64 s[2:3], s[2:3], exec
	s_or_b64 s[0:1], s[0:1], s[2:3]
	v_mov_b32_e32 v18, v16
.LBB454_83:
	s_or_b64 exec, exec, s[18:19]
	s_andn2_b64 s[2:3], vcc, exec
	s_and_b64 s[0:1], s[0:1], exec
	s_or_b64 vcc, s[2:3], s[0:1]
	v_mov_b32_e32 v20, v18
.LBB454_84:
	s_or_b64 exec, exec, s[16:17]
	s_andn2_b64 s[0:1], s[8:9], exec
	s_and_b64 s[2:3], vcc, exec
	s_or_b64 s[8:9], s[0:1], s[2:3]
	v_mov_b32_e32 v2, v20
.LBB454_85:
	s_or_b64 exec, exec, s[10:11]
	s_and_b64 exec, exec, s[8:9]
	s_cbranch_execz .LBB454_32
; %bb.86:
	scratch_load_dword v2, v2, off
	v_add_u32_e32 v0, s14, v0
	v_ashrrev_i32_e32 v1, 31, v0
	s_waitcnt lgkmcnt(0)
	v_lshl_add_u64 v[0:1], v[0:1], 2, s[12:13]
	s_waitcnt vmcnt(0)
	v_mul_f32_e32 v2, v8, v2
	global_store_dword v[0:1], v2, off
	s_endpgm
	.section	.rodata,"a",@progbits
	.p2align	6, 0x0
	.amdhsa_kernel _ZN4vllm3moe22topkGatingSoftplusSqrtILi8ELi256ELi4ELi16ELi32ELb1Ej14__hip_bfloat16EEvPKT6_PKbPfiPT5_PiiiibdPKfPKS9_SF_
		.amdhsa_group_segment_fixed_size 0
		.amdhsa_private_segment_fixed_size 48
		.amdhsa_kernarg_size 96
		.amdhsa_user_sgpr_count 2
		.amdhsa_user_sgpr_dispatch_ptr 0
		.amdhsa_user_sgpr_queue_ptr 0
		.amdhsa_user_sgpr_kernarg_segment_ptr 1
		.amdhsa_user_sgpr_dispatch_id 0
		.amdhsa_user_sgpr_kernarg_preload_length 0
		.amdhsa_user_sgpr_kernarg_preload_offset 0
		.amdhsa_user_sgpr_private_segment_size 0
		.amdhsa_uses_dynamic_stack 0
		.amdhsa_enable_private_segment 1
		.amdhsa_system_sgpr_workgroup_id_x 1
		.amdhsa_system_sgpr_workgroup_id_y 0
		.amdhsa_system_sgpr_workgroup_id_z 0
		.amdhsa_system_sgpr_workgroup_info 0
		.amdhsa_system_vgpr_workitem_id 1
		.amdhsa_next_free_vgpr 27
		.amdhsa_next_free_sgpr 34
		.amdhsa_accum_offset 28
		.amdhsa_reserve_vcc 1
		.amdhsa_float_round_mode_32 0
		.amdhsa_float_round_mode_16_64 0
		.amdhsa_float_denorm_mode_32 3
		.amdhsa_float_denorm_mode_16_64 3
		.amdhsa_dx10_clamp 1
		.amdhsa_ieee_mode 1
		.amdhsa_fp16_overflow 0
		.amdhsa_tg_split 0
		.amdhsa_exception_fp_ieee_invalid_op 0
		.amdhsa_exception_fp_denorm_src 0
		.amdhsa_exception_fp_ieee_div_zero 0
		.amdhsa_exception_fp_ieee_overflow 0
		.amdhsa_exception_fp_ieee_underflow 0
		.amdhsa_exception_fp_ieee_inexact 0
		.amdhsa_exception_int_div_zero 0
	.end_amdhsa_kernel
	.section	.text._ZN4vllm3moe22topkGatingSoftplusSqrtILi8ELi256ELi4ELi16ELi32ELb1Ej14__hip_bfloat16EEvPKT6_PKbPfiPT5_PiiiibdPKfPKS9_SF_,"axG",@progbits,_ZN4vllm3moe22topkGatingSoftplusSqrtILi8ELi256ELi4ELi16ELi32ELb1Ej14__hip_bfloat16EEvPKT6_PKbPfiPT5_PiiiibdPKfPKS9_SF_,comdat
.Lfunc_end454:
	.size	_ZN4vllm3moe22topkGatingSoftplusSqrtILi8ELi256ELi4ELi16ELi32ELb1Ej14__hip_bfloat16EEvPKT6_PKbPfiPT5_PiiiibdPKfPKS9_SF_, .Lfunc_end454-_ZN4vllm3moe22topkGatingSoftplusSqrtILi8ELi256ELi4ELi16ELi32ELb1Ej14__hip_bfloat16EEvPKT6_PKbPfiPT5_PiiiibdPKfPKS9_SF_
                                        ; -- End function
	.section	.AMDGPU.csdata,"",@progbits
; Kernel info:
; codeLenInByte = 4584
; NumSgprs: 40
; NumVgprs: 27
; NumAgprs: 0
; TotalNumVgprs: 27
; ScratchSize: 48
; MemoryBound: 0
; FloatMode: 240
; IeeeMode: 1
; LDSByteSize: 0 bytes/workgroup (compile time only)
; SGPRBlocks: 4
; VGPRBlocks: 3
; NumSGPRsForWavesPerEU: 40
; NumVGPRsForWavesPerEU: 27
; AccumOffset: 28
; Occupancy: 8
; WaveLimiterHint : 1
; COMPUTE_PGM_RSRC2:SCRATCH_EN: 1
; COMPUTE_PGM_RSRC2:USER_SGPR: 2
; COMPUTE_PGM_RSRC2:TRAP_HANDLER: 0
; COMPUTE_PGM_RSRC2:TGID_X_EN: 1
; COMPUTE_PGM_RSRC2:TGID_Y_EN: 0
; COMPUTE_PGM_RSRC2:TGID_Z_EN: 0
; COMPUTE_PGM_RSRC2:TIDIG_COMP_CNT: 1
; COMPUTE_PGM_RSRC3_GFX90A:ACCUM_OFFSET: 6
; COMPUTE_PGM_RSRC3_GFX90A:TG_SPLIT: 0
	.section	.text._ZN4vllm3moe22topkGatingSoftplusSqrtILi8ELi256ELi4ELi16ELi32ELb0Ej14__hip_bfloat16EEvPKT6_PKbPfiPT5_PiiiibdPKfPKS9_SF_,"axG",@progbits,_ZN4vllm3moe22topkGatingSoftplusSqrtILi8ELi256ELi4ELi16ELi32ELb0Ej14__hip_bfloat16EEvPKT6_PKbPfiPT5_PiiiibdPKfPKS9_SF_,comdat
	.protected	_ZN4vllm3moe22topkGatingSoftplusSqrtILi8ELi256ELi4ELi16ELi32ELb0Ej14__hip_bfloat16EEvPKT6_PKbPfiPT5_PiiiibdPKfPKS9_SF_ ; -- Begin function _ZN4vllm3moe22topkGatingSoftplusSqrtILi8ELi256ELi4ELi16ELi32ELb0Ej14__hip_bfloat16EEvPKT6_PKbPfiPT5_PiiiibdPKfPKS9_SF_
	.globl	_ZN4vllm3moe22topkGatingSoftplusSqrtILi8ELi256ELi4ELi16ELi32ELb0Ej14__hip_bfloat16EEvPKT6_PKbPfiPT5_PiiiibdPKfPKS9_SF_
	.p2align	8
	.type	_ZN4vllm3moe22topkGatingSoftplusSqrtILi8ELi256ELi4ELi16ELi32ELb0Ej14__hip_bfloat16EEvPKT6_PKbPfiPT5_PiiiibdPKfPKS9_SF_,@function
_ZN4vllm3moe22topkGatingSoftplusSqrtILi8ELi256ELi4ELi16ELi32ELb0Ej14__hip_bfloat16EEvPKT6_PKbPfiPT5_PiiiibdPKfPKS9_SF_: ; @_ZN4vllm3moe22topkGatingSoftplusSqrtILi8ELi256ELi4ELi16ELi32ELb0Ej14__hip_bfloat16EEvPKT6_PKbPfiPT5_PiiiibdPKfPKS9_SF_
; %bb.0:
	s_load_dword s33, s[0:1], 0x18
	v_and_b32_e32 v1, 0x3ff, v0
	s_lshl_b32 s2, s2, 2
	v_lshrrev_b32_e32 v2, 5, v1
	v_bfe_u32 v0, v0, 10, 10
	v_add3_u32 v8, s2, v0, v2
	s_waitcnt lgkmcnt(0)
	v_cmp_gt_i32_e32 vcc, s33, v8
	s_and_saveexec_b64 s[2:3], vcc
	s_cbranch_execz .LBB455_65
; %bb.1:
	s_load_dwordx4 s[4:7], s[0:1], 0x0
	s_load_dwordx2 s[34:35], s[0:1], 0x10
	s_waitcnt lgkmcnt(0)
	s_cmp_eq_u64 s[6:7], 0
	s_cbranch_scc1 .LBB455_3
; %bb.2:
	v_ashrrev_i32_e32 v9, 31, v8
	v_lshl_add_u64 v[2:3], s[6:7], 0, v[8:9]
	global_load_ubyte v0, v[2:3], off
	s_waitcnt vmcnt(0)
	v_and_b32_e32 v0, 1, v0
	v_cmp_eq_u32_e32 vcc, 1, v0
	s_xor_b64 s[2:3], vcc, -1
	s_orn2_b64 s[36:37], s[2:3], exec
	s_branch .LBB455_4
.LBB455_3:
	s_mov_b64 s[36:37], -1
.LBB455_4:
	v_lshlrev_b32_e32 v4, 8, v8
	v_mov_b32_e32 v2, s4
	v_mov_b32_e32 v3, s5
	v_ashrrev_i32_e32 v5, 31, v4
	v_and_b32_e32 v9, 31, v1
	v_lshl_add_u64 v[2:3], v[4:5], 1, v[2:3]
	v_mov_b32_e32 v1, 0
	v_lshlrev_b32_e32 v0, 4, v9
	v_lshl_add_u64 v[0:1], v[2:3], 0, v[0:1]
	global_load_dwordx4 v[4:7], v[0:1], off
	s_mov_b32 s12, 0x800000
	v_mov_b32_e32 v2, 0x4f800000
	s_mov_b32 s9, 0x3f317217
	s_mov_b32 s10, 0x7f800000
	v_mov_b32_e32 v3, 0x41b17218
	s_mov_b32 s8, 0x41a00000
	s_mov_b32 s11, 0xf800000
	s_load_dwordx4 s[20:23], s[0:1], 0x40
	v_lshlrev_b32_e32 v12, 3, v9
	s_waitcnt lgkmcnt(0)
	s_cmp_lg_u64 s[22:23], 0
	s_cselect_b64 s[6:7], -1, 0
	s_and_b64 s[2:3], exec, s[6:7]
	s_waitcnt vmcnt(0)
	v_lshlrev_b32_e32 v0, 16, v4
	v_mul_f32_e32 v1, 0x3fb8aa3b, v0
	v_exp_f32_e32 v10, v1
	v_mov_b32_e32 v1, 0x260
	v_add_f32_e32 v10, 1.0, v10
	v_cmp_gt_f32_e32 vcc, s12, v10
	s_nop 1
	v_cndmask_b32_e32 v11, 1.0, v2, vcc
	v_mul_f32_e32 v10, v10, v11
	v_log_f32_e32 v11, v10
	v_cndmask_b32_e32 v13, 0, v3, vcc
	v_lshlrev_b32_e32 v10, 2, v12
	v_mul_f32_e32 v14, 0x3f317217, v11
	v_fma_f32 v14, v11, s9, -v14
	v_fmac_f32_e32 v14, 0x3377d1cf, v11
	v_fmac_f32_e32 v14, 0x3f317217, v11
	v_cmp_lt_f32_e64 vcc, |v11|, s10
	s_nop 1
	v_cndmask_b32_e32 v11, v11, v14, vcc
	v_sub_f32_e32 v11, v11, v13
	v_cmp_lt_f32_e32 vcc, s8, v0
	s_nop 1
	v_cndmask_b32_e32 v0, v11, v0, vcc
	v_mul_f32_e32 v11, 0x4f800000, v0
	v_cmp_gt_f32_e32 vcc, s11, v0
	s_nop 1
	v_cndmask_b32_e32 v0, v0, v11, vcc
	v_sqrt_f32_e32 v11, v0
	s_nop 0
	v_add_u32_e32 v13, -1, v11
	v_add_u32_e32 v14, 1, v11
	v_fma_f32 v15, -v13, v11, v0
	v_fma_f32 v16, -v14, v11, v0
	v_cmp_ge_f32_e64 s[4:5], 0, v15
	s_nop 1
	v_cndmask_b32_e64 v11, v11, v13, s[4:5]
	v_cmp_lt_f32_e64 s[4:5], 0, v16
	s_nop 1
	v_cndmask_b32_e64 v11, v11, v14, s[4:5]
	v_mul_f32_e32 v13, 0x37800000, v11
	v_cndmask_b32_e32 v11, v11, v13, vcc
	v_cmp_class_f32_e32 vcc, v0, v1
	s_nop 1
	v_cndmask_b32_e32 v0, v11, v0, vcc
	s_mov_b64 vcc, s[2:3]
	s_cbranch_vccz .LBB455_6
; %bb.5:
	global_load_dword v11, v10, s[22:23]
	s_waitcnt vmcnt(0)
	v_add_f32_e32 v0, v0, v11
.LBB455_6:
	v_and_b32_e32 v4, 0xffff0000, v4
	v_mul_f32_e32 v11, 0x3fb8aa3b, v4
	v_exp_f32_e32 v11, v11
	s_nop 0
	v_add_f32_e32 v11, 1.0, v11
	v_cmp_gt_f32_e32 vcc, s12, v11
	s_nop 1
	v_cndmask_b32_e32 v2, 1.0, v2, vcc
	v_mul_f32_e32 v2, v11, v2
	v_log_f32_e32 v2, v2
	v_cndmask_b32_e32 v3, 0, v3, vcc
	v_mul_f32_e32 v11, 0x3f317217, v2
	v_fma_f32 v11, v2, s9, -v11
	v_fmac_f32_e32 v11, 0x3377d1cf, v2
	v_fmac_f32_e32 v11, 0x3f317217, v2
	v_cmp_lt_f32_e64 vcc, |v2|, s10
	s_nop 1
	v_cndmask_b32_e32 v2, v2, v11, vcc
	v_sub_f32_e32 v2, v2, v3
	v_cmp_lt_f32_e32 vcc, s8, v4
	s_nop 1
	v_cndmask_b32_e32 v2, v2, v4, vcc
	v_mul_f32_e32 v3, 0x4f800000, v2
	v_cmp_gt_f32_e32 vcc, s11, v2
	s_nop 1
	v_cndmask_b32_e32 v2, v2, v3, vcc
	v_sqrt_f32_e32 v3, v2
	v_cmp_class_f32_e64 s[4:5], v2, v1
	v_add_u32_e32 v4, -1, v3
	v_add_u32_e32 v11, 1, v3
	v_fma_f32 v13, -v4, v3, v2
	v_fma_f32 v14, -v11, v3, v2
	v_cmp_ge_f32_e64 s[2:3], 0, v13
	s_nop 1
	v_cndmask_b32_e64 v3, v3, v4, s[2:3]
	v_cmp_lt_f32_e64 s[2:3], 0, v14
	s_nop 1
	v_cndmask_b32_e64 v3, v3, v11, s[2:3]
	v_mul_f32_e32 v4, 0x37800000, v3
	v_cndmask_b32_e32 v3, v3, v4, vcc
	v_cndmask_b32_e64 v4, 0, 1, s[6:7]
	v_cmp_ne_u32_e64 s[2:3], 1, v4
	s_andn2_b64 vcc, exec, s[6:7]
	v_cndmask_b32_e64 v1, v3, v2, s[4:5]
	s_cbranch_vccnz .LBB455_8
; %bb.7:
	global_load_dword v2, v10, s[22:23] offset:4
	s_waitcnt vmcnt(0)
	v_add_f32_e32 v1, v1, v2
.LBB455_8:
	v_lshlrev_b32_e32 v2, 16, v5
	v_mul_f32_e32 v3, 0x3fb8aa3b, v2
	v_exp_f32_e32 v3, v3
	s_mov_b32 s10, 0x800000
	v_mov_b32_e32 v4, 0x4f800000
	s_mov_b32 s7, 0x3f317217
	v_add_f32_e32 v3, 1.0, v3
	v_cmp_gt_f32_e32 vcc, s10, v3
	s_mov_b32 s8, 0x7f800000
	s_mov_b32 s6, 0x41a00000
	v_cndmask_b32_e32 v11, 1.0, v4, vcc
	v_mul_f32_e32 v3, v3, v11
	v_log_f32_e32 v3, v3
	s_mov_b32 s9, 0xf800000
	v_mul_f32_e32 v11, 0x3f317217, v3
	v_fma_f32 v11, v3, s7, -v11
	v_fmac_f32_e32 v11, 0x3377d1cf, v3
	v_fmac_f32_e32 v11, 0x3f317217, v3
	v_cmp_lt_f32_e64 s[4:5], |v3|, s8
	s_nop 1
	v_cndmask_b32_e64 v3, v3, v11, s[4:5]
	v_mov_b32_e32 v11, 0x41b17218
	v_cndmask_b32_e32 v13, 0, v11, vcc
	v_sub_f32_e32 v3, v3, v13
	v_cmp_lt_f32_e32 vcc, s6, v2
	s_nop 1
	v_cndmask_b32_e32 v2, v3, v2, vcc
	v_mul_f32_e32 v3, 0x4f800000, v2
	v_cmp_gt_f32_e32 vcc, s9, v2
	s_nop 1
	v_cndmask_b32_e32 v2, v2, v3, vcc
	v_sqrt_f32_e32 v3, v2
	s_nop 0
	v_add_u32_e32 v13, -1, v3
	v_fma_f32 v14, -v13, v3, v2
	v_cmp_ge_f32_e64 s[4:5], 0, v14
	v_add_u32_e32 v14, 1, v3
	s_nop 0
	v_cndmask_b32_e64 v13, v3, v13, s[4:5]
	v_fma_f32 v3, -v14, v3, v2
	v_cmp_lt_f32_e64 s[4:5], 0, v3
	s_nop 1
	v_cndmask_b32_e64 v3, v13, v14, s[4:5]
	v_mul_f32_e32 v13, 0x37800000, v3
	v_cndmask_b32_e32 v13, v3, v13, vcc
	v_mov_b32_e32 v3, 0x260
	v_cmp_class_f32_e64 s[4:5], v2, v3
	s_and_b64 vcc, exec, s[2:3]
	s_nop 0
	v_cndmask_b32_e64 v2, v13, v2, s[4:5]
	s_cbranch_vccnz .LBB455_10
; %bb.9:
	global_load_dword v13, v10, s[22:23] offset:8
	s_waitcnt vmcnt(0)
	v_add_f32_e32 v2, v2, v13
.LBB455_10:
	v_and_b32_e32 v5, 0xffff0000, v5
	v_mul_f32_e32 v13, 0x3fb8aa3b, v5
	v_exp_f32_e32 v13, v13
	s_nop 0
	v_add_f32_e32 v13, 1.0, v13
	v_cmp_gt_f32_e32 vcc, s10, v13
	s_nop 1
	v_cndmask_b32_e32 v4, 1.0, v4, vcc
	v_mul_f32_e32 v4, v13, v4
	v_log_f32_e32 v4, v4
	v_cndmask_b32_e32 v11, 0, v11, vcc
	v_mul_f32_e32 v13, 0x3f317217, v4
	v_fma_f32 v13, v4, s7, -v13
	v_fmac_f32_e32 v13, 0x3377d1cf, v4
	v_fmac_f32_e32 v13, 0x3f317217, v4
	v_cmp_lt_f32_e64 vcc, |v4|, s8
	s_nop 1
	v_cndmask_b32_e32 v4, v4, v13, vcc
	v_sub_f32_e32 v4, v4, v11
	v_cmp_lt_f32_e32 vcc, s6, v5
	s_nop 1
	v_cndmask_b32_e32 v4, v4, v5, vcc
	v_mul_f32_e32 v5, 0x4f800000, v4
	v_cmp_gt_f32_e32 vcc, s9, v4
	s_nop 1
	v_cndmask_b32_e32 v4, v4, v5, vcc
	v_sqrt_f32_e32 v5, v4
	s_nop 0
	v_add_u32_e32 v11, -1, v5
	v_add_u32_e32 v13, 1, v5
	v_fma_f32 v14, -v11, v5, v4
	v_fma_f32 v15, -v13, v5, v4
	v_cmp_ge_f32_e64 s[4:5], 0, v14
	s_nop 1
	v_cndmask_b32_e64 v5, v5, v11, s[4:5]
	v_cmp_lt_f32_e64 s[4:5], 0, v15
	s_nop 1
	v_cndmask_b32_e64 v5, v5, v13, s[4:5]
	v_mul_f32_e32 v11, 0x37800000, v5
	v_cndmask_b32_e32 v5, v5, v11, vcc
	v_cmp_class_f32_e64 s[4:5], v4, v3
	s_and_b64 vcc, exec, s[2:3]
	s_nop 0
	v_cndmask_b32_e64 v3, v5, v4, s[4:5]
	s_cbranch_vccnz .LBB455_12
; %bb.11:
	global_load_dword v4, v10, s[22:23] offset:12
	s_waitcnt vmcnt(0)
	v_add_f32_e32 v3, v3, v4
.LBB455_12:
	v_lshlrev_b32_e32 v4, 16, v6
	v_mul_f32_e32 v5, 0x3fb8aa3b, v4
	v_exp_f32_e32 v5, v5
	v_mov_b32_e32 v11, 0x4f800000
	v_add_f32_e32 v5, 1.0, v5
	v_cmp_gt_f32_e32 vcc, s10, v5
	s_nop 1
	v_cndmask_b32_e32 v13, 1.0, v11, vcc
	v_mul_f32_e32 v5, v5, v13
	v_log_f32_e32 v5, v5
	s_nop 0
	v_mul_f32_e32 v13, 0x3f317217, v5
	v_fma_f32 v13, v5, s7, -v13
	v_fmac_f32_e32 v13, 0x3377d1cf, v5
	v_fmac_f32_e32 v13, 0x3f317217, v5
	v_cmp_lt_f32_e64 s[4:5], |v5|, s8
	s_nop 1
	v_cndmask_b32_e64 v5, v5, v13, s[4:5]
	v_mov_b32_e32 v13, 0x41b17218
	v_cndmask_b32_e32 v14, 0, v13, vcc
	v_sub_f32_e32 v5, v5, v14
	v_cmp_lt_f32_e32 vcc, s6, v4
	s_nop 1
	v_cndmask_b32_e32 v4, v5, v4, vcc
	v_mul_f32_e32 v5, 0x4f800000, v4
	v_cmp_gt_f32_e32 vcc, s9, v4
	s_nop 1
	v_cndmask_b32_e32 v4, v4, v5, vcc
	v_sqrt_f32_e32 v5, v4
	s_nop 0
	v_add_u32_e32 v14, -1, v5
	v_fma_f32 v15, -v14, v5, v4
	v_cmp_ge_f32_e64 s[4:5], 0, v15
	v_add_u32_e32 v15, 1, v5
	s_nop 0
	v_cndmask_b32_e64 v14, v5, v14, s[4:5]
	v_fma_f32 v5, -v15, v5, v4
	v_cmp_lt_f32_e64 s[4:5], 0, v5
	s_nop 1
	v_cndmask_b32_e64 v5, v14, v15, s[4:5]
	v_mul_f32_e32 v14, 0x37800000, v5
	v_cndmask_b32_e32 v14, v5, v14, vcc
	v_mov_b32_e32 v5, 0x260
	v_cmp_class_f32_e64 s[4:5], v4, v5
	s_and_b64 vcc, exec, s[2:3]
	s_nop 0
	v_cndmask_b32_e64 v4, v14, v4, s[4:5]
	s_cbranch_vccnz .LBB455_14
; %bb.13:
	global_load_dword v14, v10, s[22:23] offset:16
	s_waitcnt vmcnt(0)
	v_add_f32_e32 v4, v4, v14
.LBB455_14:
	v_and_b32_e32 v6, 0xffff0000, v6
	v_mul_f32_e32 v14, 0x3fb8aa3b, v6
	v_exp_f32_e32 v14, v14
	s_nop 0
	v_add_f32_e32 v14, 1.0, v14
	v_cmp_gt_f32_e32 vcc, s10, v14
	s_nop 1
	v_cndmask_b32_e32 v11, 1.0, v11, vcc
	v_mul_f32_e32 v11, v14, v11
	v_log_f32_e32 v11, v11
	v_cndmask_b32_e32 v13, 0, v13, vcc
	v_mul_f32_e32 v14, 0x3f317217, v11
	v_fma_f32 v14, v11, s7, -v14
	v_fmac_f32_e32 v14, 0x3377d1cf, v11
	v_fmac_f32_e32 v14, 0x3f317217, v11
	v_cmp_lt_f32_e64 vcc, |v11|, s8
	s_nop 1
	v_cndmask_b32_e32 v11, v11, v14, vcc
	v_sub_f32_e32 v11, v11, v13
	v_cmp_lt_f32_e32 vcc, s6, v6
	s_nop 1
	v_cndmask_b32_e32 v6, v11, v6, vcc
	v_mul_f32_e32 v11, 0x4f800000, v6
	v_cmp_gt_f32_e32 vcc, s9, v6
	s_nop 1
	v_cndmask_b32_e32 v6, v6, v11, vcc
	v_sqrt_f32_e32 v11, v6
	s_nop 0
	v_add_u32_e32 v13, -1, v11
	v_add_u32_e32 v14, 1, v11
	v_fma_f32 v15, -v13, v11, v6
	v_fma_f32 v16, -v14, v11, v6
	v_cmp_ge_f32_e64 s[4:5], 0, v15
	s_nop 1
	v_cndmask_b32_e64 v11, v11, v13, s[4:5]
	v_cmp_lt_f32_e64 s[4:5], 0, v16
	s_nop 1
	v_cndmask_b32_e64 v11, v11, v14, s[4:5]
	v_mul_f32_e32 v13, 0x37800000, v11
	v_cndmask_b32_e32 v11, v11, v13, vcc
	v_cmp_class_f32_e64 s[4:5], v6, v5
	s_and_b64 vcc, exec, s[2:3]
	s_nop 0
	v_cndmask_b32_e64 v5, v11, v6, s[4:5]
	s_cbranch_vccnz .LBB455_16
; %bb.15:
	global_load_dword v6, v10, s[22:23] offset:20
	s_waitcnt vmcnt(0)
	v_add_f32_e32 v5, v5, v6
.LBB455_16:
	v_lshlrev_b32_e32 v6, 16, v7
	v_mul_f32_e32 v11, 0x3fb8aa3b, v6
	v_exp_f32_e32 v11, v11
	v_mov_b32_e32 v13, 0x4f800000
	v_add_f32_e32 v11, 1.0, v11
	v_cmp_gt_f32_e32 vcc, s10, v11
	s_nop 1
	v_cndmask_b32_e32 v14, 1.0, v13, vcc
	v_mul_f32_e32 v11, v11, v14
	v_log_f32_e32 v11, v11
	s_nop 0
	v_mul_f32_e32 v14, 0x3f317217, v11
	v_fma_f32 v14, v11, s7, -v14
	v_fmac_f32_e32 v14, 0x3377d1cf, v11
	v_fmac_f32_e32 v14, 0x3f317217, v11
	v_cmp_lt_f32_e64 s[4:5], |v11|, s8
	s_nop 1
	v_cndmask_b32_e64 v11, v11, v14, s[4:5]
	v_mov_b32_e32 v14, 0x41b17218
	v_cndmask_b32_e32 v15, 0, v14, vcc
	v_sub_f32_e32 v11, v11, v15
	v_cmp_lt_f32_e32 vcc, s6, v6
	s_nop 1
	v_cndmask_b32_e32 v6, v11, v6, vcc
	v_mul_f32_e32 v11, 0x4f800000, v6
	v_cmp_gt_f32_e32 vcc, s9, v6
	s_nop 1
	v_cndmask_b32_e32 v6, v6, v11, vcc
	v_sqrt_f32_e32 v11, v6
	s_nop 0
	v_add_u32_e32 v15, -1, v11
	v_fma_f32 v16, -v15, v11, v6
	v_cmp_ge_f32_e64 s[4:5], 0, v16
	v_add_u32_e32 v16, 1, v11
	s_nop 0
	v_cndmask_b32_e64 v15, v11, v15, s[4:5]
	v_fma_f32 v11, -v16, v11, v6
	v_cmp_lt_f32_e64 s[4:5], 0, v11
	s_nop 1
	v_cndmask_b32_e64 v11, v15, v16, s[4:5]
	v_mul_f32_e32 v15, 0x37800000, v11
	v_cndmask_b32_e32 v15, v11, v15, vcc
	v_mov_b32_e32 v11, 0x260
	v_cmp_class_f32_e64 s[4:5], v6, v11
	s_and_b64 vcc, exec, s[2:3]
	s_nop 0
	v_cndmask_b32_e64 v6, v15, v6, s[4:5]
	s_cbranch_vccnz .LBB455_18
; %bb.17:
	global_load_dword v15, v10, s[22:23] offset:24
	s_waitcnt vmcnt(0)
	v_add_f32_e32 v6, v6, v15
.LBB455_18:
	v_and_b32_e32 v7, 0xffff0000, v7
	v_mul_f32_e32 v15, 0x3fb8aa3b, v7
	v_exp_f32_e32 v15, v15
	s_nop 0
	v_add_f32_e32 v15, 1.0, v15
	v_cmp_gt_f32_e32 vcc, s10, v15
	s_nop 1
	v_cndmask_b32_e32 v13, 1.0, v13, vcc
	v_mul_f32_e32 v13, v15, v13
	v_log_f32_e32 v13, v13
	v_cndmask_b32_e32 v14, 0, v14, vcc
	v_mul_f32_e32 v15, 0x3f317217, v13
	v_fma_f32 v15, v13, s7, -v15
	v_fmac_f32_e32 v15, 0x3377d1cf, v13
	v_fmac_f32_e32 v15, 0x3f317217, v13
	v_cmp_lt_f32_e64 vcc, |v13|, s8
	s_nop 1
	v_cndmask_b32_e32 v13, v13, v15, vcc
	v_sub_f32_e32 v13, v13, v14
	v_cmp_lt_f32_e32 vcc, s6, v7
	s_nop 1
	v_cndmask_b32_e32 v7, v13, v7, vcc
	v_mul_f32_e32 v13, 0x4f800000, v7
	v_cmp_gt_f32_e32 vcc, s9, v7
	s_nop 1
	v_cndmask_b32_e32 v7, v7, v13, vcc
	v_sqrt_f32_e32 v13, v7
	s_nop 0
	v_add_u32_e32 v14, -1, v13
	v_add_u32_e32 v15, 1, v13
	v_fma_f32 v16, -v14, v13, v7
	v_fma_f32 v17, -v15, v13, v7
	v_cmp_ge_f32_e64 s[4:5], 0, v16
	s_nop 1
	v_cndmask_b32_e64 v13, v13, v14, s[4:5]
	v_cmp_lt_f32_e64 s[4:5], 0, v17
	s_nop 1
	v_cndmask_b32_e64 v13, v13, v15, s[4:5]
	v_mul_f32_e32 v14, 0x37800000, v13
	v_cndmask_b32_e32 v13, v13, v14, vcc
	v_cmp_class_f32_e64 s[4:5], v7, v11
	s_and_b64 vcc, exec, s[2:3]
	s_nop 0
	v_cndmask_b32_e64 v7, v13, v7, s[4:5]
	s_cbranch_vccnz .LBB455_20
; %bb.19:
	global_load_dword v10, v10, s[22:23] offset:28
	s_waitcnt vmcnt(0)
	v_add_f32_e32 v7, v7, v10
.LBB455_20:
	s_load_dwordx4 s[24:27], s[0:1], 0x30
	s_mov_b32 s42, 0
	v_cmp_eq_u32_e64 s[6:7], 0, v9
	s_waitcnt lgkmcnt(0)
	s_bitcmp1_b32 s27, 0
	s_cselect_b64 s[4:5], -1, 0
	s_cmp_gt_i32 s24, 0
	s_cselect_b64 s[38:39], -1, 0
	s_and_b64 vcc, exec, s[38:39]
	s_cbranch_vccz .LBB455_51
; %bb.21:
	v_mbcnt_lo_u32_b32 v10, -1, 0
	v_mbcnt_hi_u32_b32 v10, -1, v10
	v_and_b32_e32 v11, 0x60, v10
	v_add_u32_e32 v11, 32, v11
	v_xor_b32_e32 v13, 16, v10
	v_cmp_lt_i32_e32 vcc, v13, v11
	s_load_dwordx4 s[28:31], s[0:1], 0x20
	v_mul_lo_u32 v14, v8, s24
	v_cndmask_b32_e32 v13, v10, v13, vcc
	v_lshlrev_b32_e32 v15, 2, v13
	v_xor_b32_e32 v13, 8, v10
	v_cmp_lt_i32_e32 vcc, v13, v11
	v_mov_b32_e32 v20, 0x100
	v_mov_b32_e32 v21, 0xc61c4000
	v_cndmask_b32_e32 v13, v10, v13, vcc
	v_lshlrev_b32_e32 v16, 2, v13
	v_xor_b32_e32 v13, 4, v10
	v_cmp_lt_i32_e32 vcc, v13, v11
	v_mov_b32_e32 v22, v8
	s_nop 0
	v_cndmask_b32_e32 v13, v10, v13, vcc
	v_lshlrev_b32_e32 v17, 2, v13
	v_xor_b32_e32 v13, 2, v10
	v_cmp_lt_i32_e32 vcc, v13, v11
	s_nop 1
	v_cndmask_b32_e32 v13, v10, v13, vcc
	v_lshlrev_b32_e32 v18, 2, v13
	v_xor_b32_e32 v13, 1, v10
	v_cmp_lt_i32_e32 vcc, v13, v11
	s_nop 1
	v_cndmask_b32_e32 v10, v10, v13, vcc
	v_lshlrev_b32_e32 v19, 2, v10
	v_mov_b32_e32 v13, 0
	s_branch .LBB455_24
.LBB455_22:                             ;   in Loop: Header=BB455_24 Depth=1
	s_or_b64 exec, exec, s[40:41]
.LBB455_23:                             ;   in Loop: Header=BB455_24 Depth=1
	s_cmp_eq_u32 s24, s42
	v_add_u32_e32 v22, s33, v22
	s_cbranch_scc1 .LBB455_52
.LBB455_24:                             ; =>This Inner Loop Header: Depth=1
	v_cmp_gt_f32_e32 vcc, v1, v0
	s_nop 1
	v_cndmask_b32_e32 v11, v0, v1, vcc
	v_cndmask_b32_e64 v10, 0, 1, vcc
	v_cmp_gt_f32_e32 vcc, v2, v11
	s_nop 1
	v_cndmask_b32_e32 v11, v11, v2, vcc
	v_cndmask_b32_e64 v10, v10, 2, vcc
	;; [unrolled: 4-line block ×6, first 2 shown]
	v_cmp_gt_f32_e32 vcc, v7, v11
	s_nop 1
	v_cndmask_b32_e64 v10, v10, 7, vcc
	v_cndmask_b32_e32 v23, v11, v7, vcc
	ds_bpermute_b32 v11, v15, v23
	v_or_b32_e32 v10, v12, v10
	s_waitcnt lgkmcnt(0)
	ds_bpermute_b32 v24, v15, v10
	s_waitcnt lgkmcnt(0)
	v_cmp_lt_f32_e64 s[8:9], v23, v11
	v_cmp_nlt_f32_e32 vcc, v23, v11
	s_and_saveexec_b64 s[10:11], vcc
; %bb.25:                               ;   in Loop: Header=BB455_24 Depth=1
	v_cmp_eq_f32_e32 vcc, v23, v11
	v_cmp_lt_i32_e64 s[0:1], v24, v10
	s_and_b64 s[0:1], vcc, s[0:1]
	s_andn2_b64 s[8:9], s[8:9], exec
	s_and_b64 s[0:1], s[0:1], exec
	s_or_b64 s[8:9], s[8:9], s[0:1]
; %bb.26:                               ;   in Loop: Header=BB455_24 Depth=1
	s_or_b64 exec, exec, s[10:11]
	s_and_saveexec_b64 s[0:1], s[8:9]
; %bb.27:                               ;   in Loop: Header=BB455_24 Depth=1
	v_mov_b32_e32 v23, v11
	v_mov_b32_e32 v10, v24
; %bb.28:                               ;   in Loop: Header=BB455_24 Depth=1
	s_or_b64 exec, exec, s[0:1]
	ds_bpermute_b32 v11, v16, v23
	ds_bpermute_b32 v24, v16, v10
	s_waitcnt lgkmcnt(1)
	v_cmp_lt_f32_e64 s[8:9], v23, v11
	v_cmp_nlt_f32_e32 vcc, v23, v11
	s_and_saveexec_b64 s[10:11], vcc
	s_cbranch_execz .LBB455_30
; %bb.29:                               ;   in Loop: Header=BB455_24 Depth=1
	v_cmp_eq_f32_e32 vcc, v23, v11
	s_waitcnt lgkmcnt(0)
	v_cmp_lt_i32_e64 s[0:1], v24, v10
	s_and_b64 s[0:1], vcc, s[0:1]
	s_andn2_b64 s[8:9], s[8:9], exec
	s_and_b64 s[0:1], s[0:1], exec
	s_or_b64 s[8:9], s[8:9], s[0:1]
.LBB455_30:                             ;   in Loop: Header=BB455_24 Depth=1
	s_or_b64 exec, exec, s[10:11]
	s_and_saveexec_b64 s[0:1], s[8:9]
	s_cbranch_execz .LBB455_32
; %bb.31:                               ;   in Loop: Header=BB455_24 Depth=1
	v_mov_b32_e32 v23, v11
	s_waitcnt lgkmcnt(0)
	v_mov_b32_e32 v10, v24
.LBB455_32:                             ;   in Loop: Header=BB455_24 Depth=1
	s_or_b64 exec, exec, s[0:1]
	ds_bpermute_b32 v11, v17, v23
	s_waitcnt lgkmcnt(1)
	ds_bpermute_b32 v24, v17, v10
	s_waitcnt lgkmcnt(1)
	v_cmp_lt_f32_e64 s[8:9], v23, v11
	v_cmp_nlt_f32_e32 vcc, v23, v11
	s_and_saveexec_b64 s[10:11], vcc
	s_cbranch_execz .LBB455_34
; %bb.33:                               ;   in Loop: Header=BB455_24 Depth=1
	v_cmp_eq_f32_e32 vcc, v23, v11
	s_waitcnt lgkmcnt(0)
	v_cmp_lt_i32_e64 s[0:1], v24, v10
	s_and_b64 s[0:1], vcc, s[0:1]
	s_andn2_b64 s[8:9], s[8:9], exec
	s_and_b64 s[0:1], s[0:1], exec
	s_or_b64 s[8:9], s[8:9], s[0:1]
.LBB455_34:                             ;   in Loop: Header=BB455_24 Depth=1
	s_or_b64 exec, exec, s[10:11]
	s_and_saveexec_b64 s[0:1], s[8:9]
	s_cbranch_execz .LBB455_36
; %bb.35:                               ;   in Loop: Header=BB455_24 Depth=1
	v_mov_b32_e32 v23, v11
	s_waitcnt lgkmcnt(0)
	v_mov_b32_e32 v10, v24
.LBB455_36:                             ;   in Loop: Header=BB455_24 Depth=1
	s_or_b64 exec, exec, s[0:1]
	ds_bpermute_b32 v11, v18, v23
	s_waitcnt lgkmcnt(1)
	ds_bpermute_b32 v24, v18, v10
	s_waitcnt lgkmcnt(1)
	v_cmp_lt_f32_e64 s[8:9], v23, v11
	v_cmp_nlt_f32_e32 vcc, v23, v11
	s_and_saveexec_b64 s[10:11], vcc
	s_cbranch_execz .LBB455_38
; %bb.37:                               ;   in Loop: Header=BB455_24 Depth=1
	v_cmp_eq_f32_e32 vcc, v23, v11
	s_waitcnt lgkmcnt(0)
	v_cmp_lt_i32_e64 s[0:1], v24, v10
	s_and_b64 s[0:1], vcc, s[0:1]
	s_andn2_b64 s[8:9], s[8:9], exec
	s_and_b64 s[0:1], s[0:1], exec
	s_or_b64 s[8:9], s[8:9], s[0:1]
.LBB455_38:                             ;   in Loop: Header=BB455_24 Depth=1
	s_or_b64 exec, exec, s[10:11]
	s_and_saveexec_b64 s[0:1], s[8:9]
	s_cbranch_execz .LBB455_40
; %bb.39:                               ;   in Loop: Header=BB455_24 Depth=1
	v_mov_b32_e32 v23, v11
	s_waitcnt lgkmcnt(0)
	v_mov_b32_e32 v10, v24
.LBB455_40:                             ;   in Loop: Header=BB455_24 Depth=1
	s_or_b64 exec, exec, s[0:1]
	ds_bpermute_b32 v11, v19, v23
	s_waitcnt lgkmcnt(1)
	ds_bpermute_b32 v24, v19, v10
	s_waitcnt lgkmcnt(1)
	v_cmp_lt_f32_e64 s[8:9], v23, v11
	v_cmp_nlt_f32_e32 vcc, v23, v11
	s_and_saveexec_b64 s[10:11], vcc
	s_cbranch_execnz .LBB455_44
; %bb.41:                               ;   in Loop: Header=BB455_24 Depth=1
	s_or_b64 exec, exec, s[10:11]
	s_and_saveexec_b64 s[0:1], s[8:9]
	s_cbranch_execnz .LBB455_45
.LBB455_42:                             ;   in Loop: Header=BB455_24 Depth=1
	s_or_b64 exec, exec, s[0:1]
	s_and_saveexec_b64 s[8:9], s[6:7]
	s_cbranch_execnz .LBB455_46
.LBB455_43:                             ;   in Loop: Header=BB455_24 Depth=1
	s_or_b64 exec, exec, s[8:9]
	s_add_i32 s42, s42, 1
	s_cmp_ge_i32 s42, s24
	s_cbranch_scc1 .LBB455_23
	s_branch .LBB455_49
.LBB455_44:                             ;   in Loop: Header=BB455_24 Depth=1
	v_cmp_eq_f32_e32 vcc, v23, v11
	s_waitcnt lgkmcnt(0)
	v_cmp_lt_i32_e64 s[0:1], v24, v10
	s_and_b64 s[0:1], vcc, s[0:1]
	s_andn2_b64 s[8:9], s[8:9], exec
	s_and_b64 s[0:1], s[0:1], exec
	s_or_b64 s[8:9], s[8:9], s[0:1]
	s_or_b64 exec, exec, s[10:11]
	s_and_saveexec_b64 s[0:1], s[8:9]
	s_cbranch_execz .LBB455_42
.LBB455_45:                             ;   in Loop: Header=BB455_24 Depth=1
	s_waitcnt lgkmcnt(0)
	v_mov_b32_e32 v10, v24
	v_mov_b32_e32 v23, v11
	s_or_b64 exec, exec, s[0:1]
	s_and_saveexec_b64 s[8:9], s[6:7]
	s_cbranch_execz .LBB455_43
.LBB455_46:                             ;   in Loop: Header=BB455_24 Depth=1
	s_and_b64 vcc, exec, s[2:3]
	s_cbranch_vccnz .LBB455_48
; %bb.47:                               ;   in Loop: Header=BB455_24 Depth=1
	v_ashrrev_i32_e32 v11, 31, v10
	s_waitcnt lgkmcnt(0)
	v_lshl_add_u64 v[24:25], v[10:11], 2, s[22:23]
	global_load_dword v11, v[24:25], off
	s_waitcnt vmcnt(0)
	v_sub_f32_e32 v23, v23, v11
.LBB455_48:                             ;   in Loop: Header=BB455_24 Depth=1
	s_waitcnt lgkmcnt(0)
	v_add_u32_e32 v24, s42, v14
	v_cmp_le_i32_e32 vcc, s25, v10
	v_cmp_gt_i32_e64 s[0:1], s26, v10
	v_ashrrev_i32_e32 v25, 31, v24
	s_and_b64 s[0:1], vcc, s[0:1]
	v_lshlrev_b64 v[24:25], 2, v[24:25]
	v_lshl_add_u64 v[26:27], s[34:35], 0, v[24:25]
	v_subrev_u32_e32 v11, s25, v10
	s_and_b64 vcc, s[36:37], s[0:1]
	global_store_dword v[26:27], v23, off
	v_cndmask_b32_e32 v11, v20, v11, vcc
	v_lshl_add_u64 v[26:27], s[28:29], 0, v[24:25]
	global_store_dword v[26:27], v11, off
	v_add_f32_e32 v11, v13, v23
	v_lshl_add_u64 v[24:25], s[30:31], 0, v[24:25]
	v_cndmask_b32_e64 v13, v13, v11, s[4:5]
	global_store_dword v[24:25], v22, off
	s_or_b64 exec, exec, s[8:9]
	s_add_i32 s42, s42, 1
	s_cmp_ge_i32 s42, s24
	s_cbranch_scc1 .LBB455_23
.LBB455_49:                             ;   in Loop: Header=BB455_24 Depth=1
	v_ashrrev_i32_e32 v11, 31, v10
	v_lshrrev_b32_e32 v23, 29, v11
	s_waitcnt lgkmcnt(0)
	v_add_u32_e32 v24, v10, v23
	v_ashrrev_i32_e32 v23, 3, v24
	v_ashrrev_i32_e32 v24, 31, v24
	v_lshrrev_b32_e32 v24, 27, v24
	v_add_u32_e32 v24, v23, v24
	v_and_b32_e32 v24, 0xffffffe0, v24
	v_sub_u32_e32 v24, v23, v24
	v_cmp_eq_u32_e32 vcc, v9, v24
	s_and_saveexec_b64 s[40:41], vcc
	s_cbranch_execz .LBB455_22
; %bb.50:                               ;   in Loop: Header=BB455_24 Depth=1
	v_add_u32_sdwa v11, v10, v11 dst_sel:DWORD dst_unused:UNUSED_PAD src0_sel:DWORD src1_sel:BYTE_3
	v_lshlrev_b32_e32 v23, 3, v23
	v_sub_u32_e32 v10, v10, v23
	v_ashrrev_i32_e32 v11, 8, v11
	v_lshl_add_u32 v10, v11, 3, v10
	v_cmp_ne_u32_e32 vcc, 6, v10
	v_cmp_ne_u32_e64 s[0:1], 5, v10
	v_cmp_ne_u32_e64 s[8:9], 4, v10
	v_cmp_ne_u32_e64 s[10:11], 3, v10
	v_cmp_ne_u32_e64 s[12:13], 2, v10
	v_cmp_ne_u32_e64 s[14:15], 1, v10
	v_cmp_ne_u32_e64 s[16:17], 0, v10
	v_cmp_ne_u32_e64 s[18:19], 7, v10
	v_cndmask_b32_e32 v6, v21, v6, vcc
	v_cndmask_b32_e64 v5, v21, v5, s[0:1]
	v_cndmask_b32_e64 v7, v21, v7, s[18:19]
	;; [unrolled: 1-line block ×7, first 2 shown]
	s_branch .LBB455_22
.LBB455_51:
	v_mov_b32_e32 v13, 0
.LBB455_52:
	v_cmp_eq_u32_e32 vcc, 0, v9
	s_and_b64 exec, exec, vcc
	s_cbranch_execz .LBB455_65
; %bb.53:
	s_andn2_b64 vcc, exec, s[4:5]
	v_cvt_f32_f64_e32 v0, s[20:21]
	s_cbranch_vccnz .LBB455_55
; %bb.54:
	v_cmp_lt_f32_e32 vcc, 0, v13
	s_nop 1
	v_cndmask_b32_e32 v1, 1.0, v13, vcc
	v_div_scale_f32 v2, s[0:1], v1, v1, v0
	v_rcp_f32_e32 v3, v2
	s_nop 0
	v_fma_f32 v4, -v2, v3, 1.0
	v_fmac_f32_e32 v3, v4, v3
	v_div_scale_f32 v4, vcc, v0, v1, v0
	v_mul_f32_e32 v5, v4, v3
	v_fma_f32 v6, -v2, v5, v4
	v_fmac_f32_e32 v5, v6, v3
	v_fma_f32 v2, -v2, v5, v4
	v_div_fmas_f32 v2, v2, v3, v5
	v_div_fixup_f32 v0, v2, v1, v0
.LBB455_55:
	s_andn2_b64 vcc, exec, s[38:39]
	s_cbranch_vccnz .LBB455_65
; %bb.56:
	v_mul_lo_u32 v2, v8, s24
	s_cmp_gt_u32 s24, 3
	v_ashrrev_i32_e32 v3, 31, v2
	s_cbranch_scc0 .LBB455_60
; %bb.57:
	s_and_b32 s0, s24, 0x7ffffffc
	v_lshl_add_u64 v[4:5], v[2:3], 2, s[34:35]
	v_mov_b32_e32 v1, v0
	v_lshl_add_u64 v[4:5], v[4:5], 0, 8
	s_mov_b32 s1, s0
.LBB455_58:                             ; =>This Inner Loop Header: Depth=1
	global_load_dwordx4 v[6:9], v[4:5], off offset:-8
	s_add_i32 s1, s1, -4
	s_cmp_lg_u32 s1, 0
	s_waitcnt vmcnt(0)
	v_pk_mul_f32 v[6:7], v[0:1], v[6:7]
	v_pk_mul_f32 v[8:9], v[0:1], v[8:9]
	global_store_dwordx4 v[4:5], v[6:9], off offset:-8
	v_lshl_add_u64 v[4:5], v[4:5], 0, 16
	s_cbranch_scc1 .LBB455_58
; %bb.59:
	s_cmp_lg_u32 s0, s24
	s_cselect_b64 s[2:3], -1, 0
	s_branch .LBB455_62
.LBB455_60:
	s_mov_b64 s[2:3], 0
                                        ; implicit-def: $sgpr0
	s_cbranch_execz .LBB455_62
; %bb.61:
	s_mov_b64 s[2:3], -1
	s_mov_b32 s0, 0
.LBB455_62:
	s_andn2_b64 vcc, exec, s[2:3]
	s_cbranch_vccnz .LBB455_65
; %bb.63:
	s_mov_b32 s1, 0
	v_lshl_add_u64 v[2:3], v[2:3], 0, s[0:1]
	s_sub_i32 s2, s24, s0
	v_lshl_add_u64 v[2:3], v[2:3], 2, s[34:35]
.LBB455_64:                             ; =>This Inner Loop Header: Depth=1
	global_load_dword v1, v[2:3], off
	s_add_i32 s2, s2, -1
	s_cmp_lg_u32 s2, 0
	s_waitcnt vmcnt(0)
	v_mul_f32_e32 v1, v0, v1
	global_store_dword v[2:3], v1, off
	v_lshl_add_u64 v[2:3], v[2:3], 0, 4
	s_cbranch_scc1 .LBB455_64
.LBB455_65:
	s_endpgm
	.section	.rodata,"a",@progbits
	.p2align	6, 0x0
	.amdhsa_kernel _ZN4vllm3moe22topkGatingSoftplusSqrtILi8ELi256ELi4ELi16ELi32ELb0Ej14__hip_bfloat16EEvPKT6_PKbPfiPT5_PiiiibdPKfPKS9_SF_
		.amdhsa_group_segment_fixed_size 0
		.amdhsa_private_segment_fixed_size 0
		.amdhsa_kernarg_size 96
		.amdhsa_user_sgpr_count 2
		.amdhsa_user_sgpr_dispatch_ptr 0
		.amdhsa_user_sgpr_queue_ptr 0
		.amdhsa_user_sgpr_kernarg_segment_ptr 1
		.amdhsa_user_sgpr_dispatch_id 0
		.amdhsa_user_sgpr_kernarg_preload_length 0
		.amdhsa_user_sgpr_kernarg_preload_offset 0
		.amdhsa_user_sgpr_private_segment_size 0
		.amdhsa_uses_dynamic_stack 0
		.amdhsa_enable_private_segment 0
		.amdhsa_system_sgpr_workgroup_id_x 1
		.amdhsa_system_sgpr_workgroup_id_y 0
		.amdhsa_system_sgpr_workgroup_id_z 0
		.amdhsa_system_sgpr_workgroup_info 0
		.amdhsa_system_vgpr_workitem_id 1
		.amdhsa_next_free_vgpr 28
		.amdhsa_next_free_sgpr 43
		.amdhsa_accum_offset 28
		.amdhsa_reserve_vcc 1
		.amdhsa_float_round_mode_32 0
		.amdhsa_float_round_mode_16_64 0
		.amdhsa_float_denorm_mode_32 3
		.amdhsa_float_denorm_mode_16_64 3
		.amdhsa_dx10_clamp 1
		.amdhsa_ieee_mode 1
		.amdhsa_fp16_overflow 0
		.amdhsa_tg_split 0
		.amdhsa_exception_fp_ieee_invalid_op 0
		.amdhsa_exception_fp_denorm_src 0
		.amdhsa_exception_fp_ieee_div_zero 0
		.amdhsa_exception_fp_ieee_overflow 0
		.amdhsa_exception_fp_ieee_underflow 0
		.amdhsa_exception_fp_ieee_inexact 0
		.amdhsa_exception_int_div_zero 0
	.end_amdhsa_kernel
	.section	.text._ZN4vllm3moe22topkGatingSoftplusSqrtILi8ELi256ELi4ELi16ELi32ELb0Ej14__hip_bfloat16EEvPKT6_PKbPfiPT5_PiiiibdPKfPKS9_SF_,"axG",@progbits,_ZN4vllm3moe22topkGatingSoftplusSqrtILi8ELi256ELi4ELi16ELi32ELb0Ej14__hip_bfloat16EEvPKT6_PKbPfiPT5_PiiiibdPKfPKS9_SF_,comdat
.Lfunc_end455:
	.size	_ZN4vllm3moe22topkGatingSoftplusSqrtILi8ELi256ELi4ELi16ELi32ELb0Ej14__hip_bfloat16EEvPKT6_PKbPfiPT5_PiiiibdPKfPKS9_SF_, .Lfunc_end455-_ZN4vllm3moe22topkGatingSoftplusSqrtILi8ELi256ELi4ELi16ELi32ELb0Ej14__hip_bfloat16EEvPKT6_PKbPfiPT5_PiiiibdPKfPKS9_SF_
                                        ; -- End function
	.section	.AMDGPU.csdata,"",@progbits
; Kernel info:
; codeLenInByte = 4128
; NumSgprs: 49
; NumVgprs: 28
; NumAgprs: 0
; TotalNumVgprs: 28
; ScratchSize: 0
; MemoryBound: 0
; FloatMode: 240
; IeeeMode: 1
; LDSByteSize: 0 bytes/workgroup (compile time only)
; SGPRBlocks: 6
; VGPRBlocks: 3
; NumSGPRsForWavesPerEU: 49
; NumVGPRsForWavesPerEU: 28
; AccumOffset: 28
; Occupancy: 8
; WaveLimiterHint : 0
; COMPUTE_PGM_RSRC2:SCRATCH_EN: 0
; COMPUTE_PGM_RSRC2:USER_SGPR: 2
; COMPUTE_PGM_RSRC2:TRAP_HANDLER: 0
; COMPUTE_PGM_RSRC2:TGID_X_EN: 1
; COMPUTE_PGM_RSRC2:TGID_Y_EN: 0
; COMPUTE_PGM_RSRC2:TGID_Z_EN: 0
; COMPUTE_PGM_RSRC2:TIDIG_COMP_CNT: 1
; COMPUTE_PGM_RSRC3_GFX90A:ACCUM_OFFSET: 6
; COMPUTE_PGM_RSRC3_GFX90A:TG_SPLIT: 0
	.section	.text._ZN4vllm3moe22topkGatingSoftplusSqrtILi8ELi512ELi4ELi16ELi64ELb1Ej14__hip_bfloat16EEvPKT6_PKbPfiPT5_PiiiibdPKfPKS9_SF_,"axG",@progbits,_ZN4vllm3moe22topkGatingSoftplusSqrtILi8ELi512ELi4ELi16ELi64ELb1Ej14__hip_bfloat16EEvPKT6_PKbPfiPT5_PiiiibdPKfPKS9_SF_,comdat
	.protected	_ZN4vllm3moe22topkGatingSoftplusSqrtILi8ELi512ELi4ELi16ELi64ELb1Ej14__hip_bfloat16EEvPKT6_PKbPfiPT5_PiiiibdPKfPKS9_SF_ ; -- Begin function _ZN4vllm3moe22topkGatingSoftplusSqrtILi8ELi512ELi4ELi16ELi64ELb1Ej14__hip_bfloat16EEvPKT6_PKbPfiPT5_PiiiibdPKfPKS9_SF_
	.globl	_ZN4vllm3moe22topkGatingSoftplusSqrtILi8ELi512ELi4ELi16ELi64ELb1Ej14__hip_bfloat16EEvPKT6_PKbPfiPT5_PiiiibdPKfPKS9_SF_
	.p2align	8
	.type	_ZN4vllm3moe22topkGatingSoftplusSqrtILi8ELi512ELi4ELi16ELi64ELb1Ej14__hip_bfloat16EEvPKT6_PKbPfiPT5_PiiiibdPKfPKS9_SF_,@function
_ZN4vllm3moe22topkGatingSoftplusSqrtILi8ELi512ELi4ELi16ELi64ELb1Ej14__hip_bfloat16EEvPKT6_PKbPfiPT5_PiiiibdPKfPKS9_SF_: ; @_ZN4vllm3moe22topkGatingSoftplusSqrtILi8ELi512ELi4ELi16ELi64ELb1Ej14__hip_bfloat16EEvPKT6_PKbPfiPT5_PiiiibdPKfPKS9_SF_
; %bb.0:
	s_load_dword s3, s[0:1], 0x18
	v_and_b32_e32 v8, 0x3ff, v0
	s_lshl_b32 s2, s2, 2
	v_lshrrev_b32_e32 v1, 6, v8
	v_bfe_u32 v0, v0, 10, 10
	v_add3_u32 v6, s2, v0, v1
	s_waitcnt lgkmcnt(0)
	v_cmp_gt_i32_e32 vcc, s3, v6
	s_and_saveexec_b64 s[2:3], vcc
	s_cbranch_execz .LBB456_32
; %bb.1:
	s_load_dwordx2 s[2:3], s[0:1], 0x0
	s_load_dword s33, s[0:1], 0x30
	v_lshlrev_b32_e32 v0, 9, v6
	v_lshlrev_b32_e32 v2, 3, v8
	v_ashrrev_i32_e32 v1, 31, v0
	v_and_b32_e32 v10, 0x1f8, v2
	s_waitcnt lgkmcnt(0)
	v_lshl_add_u64 v[0:1], v[0:1], 1, s[2:3]
	v_lshlrev_b32_e32 v4, 1, v10
	v_mov_b32_e32 v5, 0
	v_lshl_add_u64 v[0:1], v[0:1], 0, v[4:5]
	global_load_dwordx4 v[0:3], v[0:1], off
	s_load_dwordx4 s[8:11], s[0:1], 0x50
	v_ashrrev_i32_e32 v7, 31, v6
	s_mov_b32 s15, 0x800000
	s_mov_b32 s13, 0x3f317217
	;; [unrolled: 1-line block ×3, first 2 shown]
	s_waitcnt lgkmcnt(0)
	v_mov_b32_e32 v12, s8
	v_mov_b32_e32 v13, s9
	v_lshl_add_u64 v[12:13], v[6:7], 2, v[12:13]
	global_load_dword v4, v[12:13], off
	v_mov_b32_e32 v7, 0x4f800000
	v_mov_b32_e32 v9, 0x41b17218
	s_mov_b32 s9, 0x41a00000
	s_mov_b32 s12, 0xf800000
	v_mov_b32_e32 v17, 0x260
	s_cmp_gt_i32 s33, 0
	s_mov_b32 s8, 0
	s_waitcnt vmcnt(1)
	v_and_b32_e32 v11, 0xffff0000, v0
	v_lshlrev_b32_e32 v14, 16, v0
	v_and_b32_e32 v15, 0xffff0000, v1
	v_lshlrev_b32_e32 v16, 16, v1
	v_mul_f32_e32 v0, 0x3fb8aa3b, v14
	v_mul_f32_e32 v1, 0x3fb8aa3b, v11
	v_exp_f32_e32 v0, v0
	v_exp_f32_e32 v1, v1
	v_mul_f32_e32 v12, 0x3fb8aa3b, v16
	v_mul_f32_e32 v13, 0x3fb8aa3b, v15
	v_exp_f32_e32 v12, v12
	v_exp_f32_e32 v13, v13
	v_pk_add_f32 v[0:1], v[0:1], 1.0 op_sel_hi:[1,0]
	s_waitcnt vmcnt(0)
	v_mul_lo_u32 v4, v4, s33
	v_cmp_gt_f32_e32 vcc, s15, v1
	v_pk_add_f32 v[12:13], v[12:13], 1.0 op_sel_hi:[1,0]
	v_cmp_gt_f32_e64 s[2:3], s15, v0
	v_cndmask_b32_e32 v18, 1.0, v7, vcc
	v_cmp_gt_f32_e64 s[4:5], s15, v13
	v_cndmask_b32_e64 v19, 1.0, v7, s[2:3]
	v_mul_f32_e32 v1, v1, v18
	v_cndmask_b32_e64 v20, 1.0, v7, s[4:5]
	v_mul_f32_e32 v0, v0, v19
	v_log_f32_e32 v1, v1
	v_cmp_gt_f32_e64 s[6:7], s15, v12
	v_mul_f32_e32 v13, v13, v20
	v_log_f32_e32 v0, v0
	v_cndmask_b32_e64 v21, 1.0, v7, s[6:7]
	v_log_f32_e32 v13, v13
	v_mul_f32_e32 v12, v12, v21
	v_log_f32_e32 v21, v12
	v_mul_f32_e32 v12, 0x3f317217, v1
	v_mul_f32_e32 v22, 0x3f317217, v0
	v_fma_f32 v12, v1, s13, -v12
	v_mul_f32_e32 v23, 0x3f317217, v13
	v_fma_f32 v22, v0, s13, -v22
	v_fmac_f32_e32 v12, 0x3377d1cf, v1
	v_cndmask_b32_e32 v18, 0, v9, vcc
	v_fma_f32 v23, v13, s13, -v23
	v_fmac_f32_e32 v22, 0x3377d1cf, v0
	v_fmac_f32_e32 v12, 0x3f317217, v1
	v_cmp_lt_f32_e64 vcc, |v1|, s14
	v_fmac_f32_e32 v23, 0x3377d1cf, v13
	v_fmac_f32_e32 v22, 0x3f317217, v0
	v_cndmask_b32_e32 v1, v1, v12, vcc
	v_cmp_lt_f32_e64 vcc, |v0|, s14
	v_cndmask_b32_e64 v19, 0, v9, s[2:3]
	v_fmac_f32_e32 v23, 0x3f317217, v13
	v_cndmask_b32_e32 v0, v0, v22, vcc
	v_cmp_lt_f32_e64 vcc, |v13|, s14
	v_sub_f32_e32 v0, v0, v19
	v_sub_f32_e32 v1, v1, v18
	v_cndmask_b32_e32 v12, v13, v23, vcc
	v_cmp_lt_f32_e32 vcc, s9, v14
	v_cndmask_b32_e64 v20, 0, v9, s[4:5]
	v_mul_f32_e32 v24, 0x3f317217, v21
	v_cndmask_b32_e32 v0, v0, v14, vcc
	v_cmp_lt_f32_e32 vcc, s9, v11
	v_mul_f32_e32 v13, 0x4f800000, v0
	v_cmp_gt_f32_e64 s[2:3], s12, v0
	v_cndmask_b32_e32 v1, v1, v11, vcc
	v_mul_f32_e32 v11, 0x4f800000, v1
	v_cmp_gt_f32_e32 vcc, s12, v1
	v_cndmask_b32_e64 v0, v0, v13, s[2:3]
	v_sqrt_f32_e32 v13, v0
	v_cndmask_b32_e32 v1, v1, v11, vcc
	v_sqrt_f32_e32 v11, v1
	v_sub_f32_e32 v14, v12, v20
	v_add_u32_e32 v19, -1, v13
	v_fma_f32 v25, -v19, v13, v0
	v_add_u32_e32 v12, -1, v11
	v_fma_f32 v22, -v12, v11, v1
	v_add_u32_e32 v18, 1, v11
	v_cmp_ge_f32_e64 s[4:5], 0, v22
	v_add_u32_e32 v20, 1, v13
	v_fma_f32 v23, -v18, v11, v1
	v_cndmask_b32_e64 v11, v11, v12, s[4:5]
	v_cmp_ge_f32_e64 s[4:5], 0, v25
	v_fma_f32 v26, -v20, v13, v0
	v_fma_f32 v24, v21, s13, -v24
	v_cndmask_b32_e64 v12, v13, v19, s[4:5]
	v_cmp_lt_f32_e64 s[4:5], 0, v23
	v_fmac_f32_e32 v24, 0x3377d1cf, v21
	v_fmac_f32_e32 v24, 0x3f317217, v21
	v_cndmask_b32_e64 v11, v11, v18, s[4:5]
	v_cmp_lt_f32_e64 s[4:5], 0, v26
	v_mul_f32_e32 v13, 0x37800000, v11
	v_cndmask_b32_e32 v11, v11, v13, vcc
	v_cndmask_b32_e64 v12, v12, v20, s[4:5]
	v_mul_f32_e32 v18, 0x37800000, v12
	v_cmp_class_f32_e32 vcc, v1, v17
	v_cndmask_b32_e64 v12, v12, v18, s[2:3]
	v_cmp_lt_f32_e64 s[2:3], s9, v16
	v_cndmask_b32_e32 v13, v11, v1, vcc
	v_cmp_class_f32_e32 vcc, v0, v17
	v_cndmask_b32_e64 v1, 0, v9, s[6:7]
	v_and_b32_e32 v19, 0xffff0000, v2
	v_cndmask_b32_e32 v12, v12, v0, vcc
	v_cmp_lt_f32_e64 vcc, |v21|, s14
	v_lshlrev_b32_e32 v2, 16, v2
	s_nop 0
	v_cndmask_b32_e32 v0, v21, v24, vcc
	v_cmp_lt_f32_e32 vcc, s9, v15
	v_sub_f32_e32 v0, v0, v1
	v_cndmask_b32_e64 v0, v0, v16, s[2:3]
	v_cndmask_b32_e32 v11, v14, v15, vcc
	v_mul_f32_e32 v14, 0x4f800000, v11
	v_cmp_gt_f32_e32 vcc, s12, v11
	s_nop 1
	v_cndmask_b32_e32 v11, v11, v14, vcc
	v_sqrt_f32_e32 v14, v11
	s_nop 0
	v_add_u32_e32 v1, -1, v14
	v_fma_f32 v15, -v1, v14, v11
	v_cmp_ge_f32_e64 s[2:3], 0, v15
	v_add_u32_e32 v15, 1, v14
	s_nop 0
	v_cndmask_b32_e64 v1, v14, v1, s[2:3]
	v_fma_f32 v14, -v15, v14, v11
	v_cmp_lt_f32_e64 s[2:3], 0, v14
	s_nop 1
	v_cndmask_b32_e64 v1, v1, v15, s[2:3]
	v_mul_f32_e32 v15, 0x4f800000, v0
	v_cmp_gt_f32_e64 s[2:3], s12, v0
	v_mul_f32_e32 v14, 0x37800000, v1
	v_cndmask_b32_e32 v1, v1, v14, vcc
	v_cndmask_b32_e64 v16, v0, v15, s[2:3]
	v_sqrt_f32_e32 v0, v16
	v_cmp_class_f32_e32 vcc, v11, v17
	v_add_u32_e32 v14, 1, v0
	s_nop 0
	v_cndmask_b32_e32 v15, v1, v11, vcc
	v_add_u32_e32 v1, -1, v0
	v_fma_f32 v11, -v1, v0, v16
	v_cmp_ge_f32_e32 vcc, 0, v11
	v_fma_f32 v18, -v14, v0, v16
	s_nop 0
	v_cndmask_b32_e32 v11, v0, v1, vcc
	v_mul_f32_e32 v0, 0x3fb8aa3b, v2
	v_mul_f32_e32 v1, 0x3fb8aa3b, v19
	v_exp_f32_e32 v0, v0
	v_exp_f32_e32 v1, v1
	v_cmp_lt_f32_e32 vcc, 0, v18
	v_pk_add_f32 v[0:1], v[0:1], 1.0 op_sel_hi:[1,0]
	s_nop 0
	v_cndmask_b32_e32 v11, v11, v14, vcc
	v_mul_f32_e32 v14, 0x37800000, v11
	v_cmp_gt_f32_e32 vcc, s15, v1
	v_cndmask_b32_e64 v11, v11, v14, s[2:3]
	v_cmp_class_f32_e64 s[2:3], v16, v17
	v_cndmask_b32_e32 v14, 1.0, v7, vcc
	v_mul_f32_e32 v1, v1, v14
	v_log_f32_e32 v1, v1
	v_cndmask_b32_e64 v14, v11, v16, s[2:3]
	v_cmp_gt_f32_e64 s[2:3], s15, v0
	scratch_store_dwordx4 off, v[12:15], off
	v_mul_f32_e32 v11, 0x3f317217, v1
	v_fma_f32 v11, v1, s13, -v11
	v_cndmask_b32_e64 v12, 1.0, v7, s[2:3]
	v_mul_f32_e32 v0, v0, v12
	v_log_f32_e32 v0, v0
	v_fmac_f32_e32 v11, 0x3377d1cf, v1
	v_fmac_f32_e32 v11, 0x3f317217, v1
	v_cmp_lt_f32_e64 s[4:5], |v1|, s14
	v_and_b32_e32 v14, 0xffff0000, v3
	v_lshlrev_b32_e32 v15, 16, v3
	v_cndmask_b32_e64 v1, v1, v11, s[4:5]
	v_cndmask_b32_e32 v11, 0, v9, vcc
	v_sub_f32_e32 v1, v1, v11
	v_mul_f32_e32 v11, 0x3f317217, v0
	v_fma_f32 v11, v0, s13, -v11
	v_fmac_f32_e32 v11, 0x3377d1cf, v0
	v_fmac_f32_e32 v11, 0x3f317217, v0
	v_cmp_lt_f32_e64 vcc, |v0|, s14
	v_mul_f32_e32 v3, 0x3fb8aa3b, v14
	v_exp_f32_e32 v3, v3
	v_cndmask_b32_e32 v0, v0, v11, vcc
	v_cmp_lt_f32_e32 vcc, s9, v19
	v_cndmask_b32_e64 v11, 0, v9, s[2:3]
	v_sub_f32_e32 v0, v0, v11
	v_cndmask_b32_e32 v1, v1, v19, vcc
	v_mul_f32_e32 v12, 0x4f800000, v1
	v_cmp_gt_f32_e32 vcc, s12, v1
	v_cmp_lt_f32_e64 s[2:3], s9, v2
	s_nop 0
	v_cndmask_b32_e32 v1, v1, v12, vcc
	v_sqrt_f32_e32 v12, v1
	v_cndmask_b32_e64 v0, v0, v2, s[2:3]
	v_add_u32_e32 v2, -1, v12
	v_fma_f32 v11, -v2, v12, v1
	v_cmp_ge_f32_e64 s[2:3], 0, v11
	v_add_u32_e32 v11, 1, v12
	s_nop 0
	v_cndmask_b32_e64 v2, v12, v2, s[2:3]
	v_fma_f32 v12, -v11, v12, v1
	v_cmp_lt_f32_e64 s[2:3], 0, v12
	v_mul_f32_e32 v12, 0x4f800000, v0
	s_nop 0
	v_cndmask_b32_e64 v2, v2, v11, s[2:3]
	v_cmp_gt_f32_e64 s[2:3], s12, v0
	v_mul_f32_e32 v11, 0x37800000, v2
	v_cndmask_b32_e32 v2, v2, v11, vcc
	v_cndmask_b32_e64 v0, v0, v12, s[2:3]
	v_sqrt_f32_e32 v12, v0
	v_cmp_class_f32_e32 vcc, v1, v17
	v_add_u32_e32 v13, 1, v12
	s_nop 0
	v_cndmask_b32_e32 v1, v2, v1, vcc
	v_add_u32_e32 v2, -1, v12
	v_fma_f32 v11, -v2, v12, v0
	v_cmp_ge_f32_e32 vcc, 0, v11
	s_nop 1
	v_cndmask_b32_e32 v11, v12, v2, vcc
	v_mul_f32_e32 v2, 0x3fb8aa3b, v15
	v_exp_f32_e32 v2, v2
	v_fma_f32 v12, -v13, v12, v0
	v_cmp_lt_f32_e32 vcc, 0, v12
	v_pk_add_f32 v[2:3], v[2:3], 1.0 op_sel_hi:[1,0]
	s_nop 0
	v_cndmask_b32_e32 v11, v11, v13, vcc
	v_cmp_gt_f32_e32 vcc, s15, v3
	v_mul_f32_e32 v12, 0x37800000, v11
	v_cndmask_b32_e64 v11, v11, v12, s[2:3]
	v_cndmask_b32_e32 v13, 1.0, v7, vcc
	v_mul_f32_e32 v3, v3, v13
	v_log_f32_e32 v3, v3
	v_cmp_class_f32_e64 s[2:3], v0, v17
	v_cmp_lt_f32_e64 s[4:5], |v3|, s14
	s_nop 0
	v_cndmask_b32_e64 v0, v11, v0, s[2:3]
	v_cmp_gt_f32_e64 s[2:3], s15, v2
	v_mul_f32_e32 v11, 0x3f317217, v3
	v_fma_f32 v11, v3, s13, -v11
	v_cndmask_b32_e64 v7, 1.0, v7, s[2:3]
	v_mul_f32_e32 v2, v2, v7
	v_log_f32_e32 v2, v2
	v_fmac_f32_e32 v11, 0x3377d1cf, v3
	v_fmac_f32_e32 v11, 0x3f317217, v3
	v_cndmask_b32_e64 v3, v3, v11, s[4:5]
	v_cndmask_b32_e32 v7, 0, v9, vcc
	v_sub_f32_e32 v3, v3, v7
	v_mul_f32_e32 v7, 0x3f317217, v2
	v_fma_f32 v7, v2, s13, -v7
	v_fmac_f32_e32 v7, 0x3377d1cf, v2
	v_fmac_f32_e32 v7, 0x3f317217, v2
	v_cmp_lt_f32_e64 vcc, |v2|, s14
	s_cselect_b64 s[4:5], -1, 0
	s_cmp_lt_i32 s33, 1
	v_cndmask_b32_e32 v2, v2, v7, vcc
	v_cmp_lt_f32_e32 vcc, s9, v14
	v_cndmask_b32_e64 v7, 0, v9, s[2:3]
	v_sub_f32_e32 v2, v2, v7
	v_cndmask_b32_e32 v3, v3, v14, vcc
	v_mul_f32_e32 v9, 0x4f800000, v3
	v_cmp_gt_f32_e32 vcc, s12, v3
	v_cmp_lt_f32_e64 s[2:3], s9, v15
	s_nop 0
	v_cndmask_b32_e32 v3, v3, v9, vcc
	v_sqrt_f32_e32 v9, v3
	v_cndmask_b32_e64 v2, v2, v15, s[2:3]
	v_add_u32_e32 v7, -1, v9
	v_fma_f32 v11, -v7, v9, v3
	v_cmp_ge_f32_e64 s[2:3], 0, v11
	v_add_u32_e32 v11, 1, v9
	s_nop 0
	v_cndmask_b32_e64 v7, v9, v7, s[2:3]
	v_fma_f32 v9, -v11, v9, v3
	v_cmp_lt_f32_e64 s[2:3], 0, v9
	s_nop 1
	v_cndmask_b32_e64 v7, v7, v11, s[2:3]
	v_mul_f32_e32 v11, 0x4f800000, v2
	v_cmp_gt_f32_e64 s[2:3], s12, v2
	v_mul_f32_e32 v9, 0x37800000, v7
	v_cndmask_b32_e32 v7, v7, v9, vcc
	v_cndmask_b32_e64 v2, v2, v11, s[2:3]
	v_sqrt_f32_e32 v11, v2
	v_cmp_class_f32_e32 vcc, v3, v17
	s_nop 1
	v_cndmask_b32_e32 v3, v7, v3, vcc
	v_add_u32_e32 v7, -1, v11
	v_fma_f32 v9, -v7, v11, v2
	v_cmp_ge_f32_e32 vcc, 0, v9
	v_add_u32_e32 v9, 1, v11
	s_nop 0
	v_cndmask_b32_e32 v7, v11, v7, vcc
	v_fma_f32 v11, -v9, v11, v2
	v_cmp_lt_f32_e32 vcc, 0, v11
	s_nop 1
	v_cndmask_b32_e32 v7, v7, v9, vcc
	v_mul_f32_e32 v9, 0x37800000, v7
	v_cndmask_b32_e64 v7, v7, v9, s[2:3]
	v_cmp_class_f32_e32 vcc, v2, v17
	s_nop 1
	v_cndmask_b32_e32 v2, v7, v2, vcc
	scratch_store_dwordx4 off, v[0:3], off offset:16
	s_nop 1
	v_lshl_add_u64 v[2:3], v[4:5], 2, s[10:11]
	v_mul_lo_u32 v0, v6, s33
	s_cbranch_scc1 .LBB456_29
; %bb.2:
	s_load_dwordx2 s[6:7], s[0:1], 0x20
	s_cmp_lt_u32 s33, 4
	v_and_b32_e32 v4, 63, v8
	s_cbranch_scc1 .LBB456_21
; %bb.3:
	v_lshlrev_b32_e32 v5, 3, v4
	s_mov_b32 s11, 0
	s_and_b32 s8, s33, 0x7ffffffc
	v_ashrrev_i32_e32 v1, 31, v0
	v_sub_u32_e32 v11, 0, v5
	v_mov_b32_e32 v5, 0
	s_mov_b32 s10, s11
	s_branch .LBB456_5
.LBB456_4:                              ;   in Loop: Header=BB456_5 Depth=1
	s_or_b64 exec, exec, s[12:13]
	s_add_i32 s10, s10, 4
	s_cmp_eq_u32 s10, s8
	s_cbranch_scc1 .LBB456_22
.LBB456_5:                              ; =>This Loop Header: Depth=1
                                        ;     Child Loop BB456_7 Depth 2
                                        ;     Child Loop BB456_11 Depth 2
	;; [unrolled: 1-line block ×4, first 2 shown]
	v_lshl_add_u64 v[6:7], s[10:11], 2, v[2:3]
	global_load_dword v12, v[6:7], off
	v_add_u32_e32 v8, s10, v0
	v_ashrrev_i32_e32 v9, 31, v8
	v_mov_b32_e32 v13, 0
	s_mov_b64 s[12:13], 0
	s_waitcnt lgkmcnt(0)
	v_lshl_add_u64 v[8:9], v[8:9], 2, s[6:7]
	s_mov_b32 s9, 0
	s_waitcnt vmcnt(0)
	v_add_u32_e32 v14, v11, v12
	s_branch .LBB456_7
.LBB456_6:                              ;   in Loop: Header=BB456_7 Depth=2
	s_or_b64 exec, exec, s[14:15]
	s_add_i32 s16, s9, 1
	s_cmp_gt_u32 s9, 6
	s_cselect_b64 s[2:3], -1, 0
	s_xor_b64 s[14:15], vcc, -1
	s_or_b64 s[2:3], s[14:15], s[2:3]
	s_and_b64 s[2:3], exec, s[2:3]
	v_add_u32_e32 v13, 4, v13
	s_or_b64 s[12:13], s[2:3], s[12:13]
	s_mov_b32 s9, s16
	s_andn2_b64 exec, exec, s[12:13]
	s_cbranch_execz .LBB456_9
.LBB456_7:                              ;   Parent Loop BB456_5 Depth=1
                                        ; =>  This Inner Loop Header: Depth=2
	v_cmp_ne_u32_e32 vcc, s9, v14
	v_cmp_eq_u32_e64 s[2:3], s9, v14
	s_and_saveexec_b64 s[14:15], s[2:3]
	s_cbranch_execz .LBB456_6
; %bb.8:                                ;   in Loop: Header=BB456_7 Depth=2
	scratch_load_dword v15, v13, off
	s_waitcnt vmcnt(0)
	v_add_f32_e32 v5, v5, v15
	global_store_dword v[8:9], v12, off
	s_branch .LBB456_6
.LBB456_9:                              ;   in Loop: Header=BB456_5 Depth=1
	s_or_b64 exec, exec, s[12:13]
	global_load_dword v12, v[6:7], off offset:4
	s_ashr_i32 s3, s10, 31
	s_mov_b32 s2, s10
	v_lshl_add_u64 v[8:9], s[2:3], 0, v[0:1]
	v_mov_b32_e32 v13, 0
	s_mov_b32 s9, 0
	v_lshl_add_u64 v[8:9], v[8:9], 2, s[6:7]
	s_mov_b64 s[12:13], 0
	s_waitcnt vmcnt(0)
	v_add_u32_e32 v14, v11, v12
	s_branch .LBB456_11
.LBB456_10:                             ;   in Loop: Header=BB456_11 Depth=2
	s_or_b64 exec, exec, s[14:15]
	s_add_i32 s16, s9, 1
	s_cmp_gt_u32 s9, 6
	s_cselect_b64 s[2:3], -1, 0
	s_xor_b64 s[14:15], vcc, -1
	s_or_b64 s[2:3], s[14:15], s[2:3]
	s_and_b64 s[2:3], exec, s[2:3]
	v_add_u32_e32 v13, 4, v13
	s_or_b64 s[12:13], s[2:3], s[12:13]
	s_mov_b32 s9, s16
	s_andn2_b64 exec, exec, s[12:13]
	s_cbranch_execz .LBB456_13
.LBB456_11:                             ;   Parent Loop BB456_5 Depth=1
                                        ; =>  This Inner Loop Header: Depth=2
	v_cmp_ne_u32_e32 vcc, s9, v14
	v_cmp_eq_u32_e64 s[2:3], s9, v14
	s_and_saveexec_b64 s[14:15], s[2:3]
	s_cbranch_execz .LBB456_10
; %bb.12:                               ;   in Loop: Header=BB456_11 Depth=2
	scratch_load_dword v15, v13, off
	s_waitcnt vmcnt(0)
	v_add_f32_e32 v5, v5, v15
	global_store_dword v[8:9], v12, off offset:4
	s_branch .LBB456_10
.LBB456_13:                             ;   in Loop: Header=BB456_5 Depth=1
	s_or_b64 exec, exec, s[12:13]
	global_load_dword v12, v[6:7], off offset:8
	v_mov_b32_e32 v13, 0
	s_mov_b32 s9, 0
	s_mov_b64 s[12:13], 0
	s_waitcnt vmcnt(0)
	v_add_u32_e32 v14, v11, v12
	s_branch .LBB456_15
.LBB456_14:                             ;   in Loop: Header=BB456_15 Depth=2
	s_or_b64 exec, exec, s[14:15]
	s_add_i32 s16, s9, 1
	s_cmp_gt_u32 s9, 6
	s_cselect_b64 s[2:3], -1, 0
	s_xor_b64 s[14:15], vcc, -1
	s_or_b64 s[2:3], s[14:15], s[2:3]
	s_and_b64 s[2:3], exec, s[2:3]
	v_add_u32_e32 v13, 4, v13
	s_or_b64 s[12:13], s[2:3], s[12:13]
	s_mov_b32 s9, s16
	s_andn2_b64 exec, exec, s[12:13]
	s_cbranch_execz .LBB456_17
.LBB456_15:                             ;   Parent Loop BB456_5 Depth=1
                                        ; =>  This Inner Loop Header: Depth=2
	v_cmp_ne_u32_e32 vcc, s9, v14
	v_cmp_eq_u32_e64 s[2:3], s9, v14
	s_and_saveexec_b64 s[14:15], s[2:3]
	s_cbranch_execz .LBB456_14
; %bb.16:                               ;   in Loop: Header=BB456_15 Depth=2
	scratch_load_dword v15, v13, off
	s_waitcnt vmcnt(0)
	v_add_f32_e32 v5, v5, v15
	global_store_dword v[8:9], v12, off offset:8
	s_branch .LBB456_14
.LBB456_17:                             ;   in Loop: Header=BB456_5 Depth=1
	s_or_b64 exec, exec, s[12:13]
	global_load_dword v6, v[6:7], off offset:12
	v_mov_b32_e32 v7, 0
	s_mov_b32 s9, 0
	s_mov_b64 s[12:13], 0
	s_waitcnt vmcnt(0)
	v_add_u32_e32 v12, v11, v6
	s_branch .LBB456_19
.LBB456_18:                             ;   in Loop: Header=BB456_19 Depth=2
	s_or_b64 exec, exec, s[14:15]
	s_add_i32 s16, s9, 1
	s_cmp_gt_u32 s9, 6
	s_cselect_b64 s[2:3], -1, 0
	s_xor_b64 s[14:15], vcc, -1
	s_or_b64 s[2:3], s[14:15], s[2:3]
	s_and_b64 s[2:3], exec, s[2:3]
	v_add_u32_e32 v7, 4, v7
	s_or_b64 s[12:13], s[2:3], s[12:13]
	s_mov_b32 s9, s16
	s_andn2_b64 exec, exec, s[12:13]
	s_cbranch_execz .LBB456_4
.LBB456_19:                             ;   Parent Loop BB456_5 Depth=1
                                        ; =>  This Inner Loop Header: Depth=2
	v_cmp_ne_u32_e32 vcc, s9, v12
	v_cmp_eq_u32_e64 s[2:3], s9, v12
	s_and_saveexec_b64 s[14:15], s[2:3]
	s_cbranch_execz .LBB456_18
; %bb.20:                               ;   in Loop: Header=BB456_19 Depth=2
	scratch_load_dword v13, v7, off
	s_waitcnt vmcnt(0)
	v_add_f32_e32 v5, v5, v13
	global_store_dword v[8:9], v6, off offset:12
	s_branch .LBB456_18
.LBB456_21:
	v_mov_b32_e32 v5, 0
.LBB456_22:
	s_and_b32 s14, s33, 3
	s_cmp_eq_u32 s14, 0
	s_mov_b32 s9, 0
	s_cbranch_scc1 .LBB456_29
; %bb.23:
	v_lshlrev_b32_e32 v1, 3, v4
	v_sub_u32_e32 v1, 0, v1
	s_mov_b32 s15, s9
	s_branch .LBB456_25
.LBB456_24:                             ;   in Loop: Header=BB456_25 Depth=1
	s_or_b64 exec, exec, s[10:11]
	s_add_i32 s8, s8, 1
	s_add_i32 s15, s15, 1
	s_cmp_lg_u32 s15, s14
	s_cbranch_scc0 .LBB456_29
.LBB456_25:                             ; =>This Loop Header: Depth=1
                                        ;     Child Loop BB456_27 Depth 2
	v_lshl_add_u64 v[6:7], s[8:9], 2, v[2:3]
	global_load_dword v4, v[6:7], off
	v_add_u32_e32 v6, s8, v0
	v_ashrrev_i32_e32 v7, 31, v6
	v_mov_b32_e32 v8, 0
	s_mov_b32 s16, 0
	s_waitcnt lgkmcnt(0)
	v_lshl_add_u64 v[6:7], v[6:7], 2, s[6:7]
	s_mov_b64 s[10:11], 0
	s_waitcnt vmcnt(0)
	v_add_u32_e32 v9, v1, v4
	s_branch .LBB456_27
.LBB456_26:                             ;   in Loop: Header=BB456_27 Depth=2
	s_or_b64 exec, exec, s[12:13]
	s_add_i32 s17, s16, 1
	s_cmp_gt_u32 s16, 6
	s_cselect_b64 s[2:3], -1, 0
	s_xor_b64 s[12:13], vcc, -1
	s_or_b64 s[2:3], s[12:13], s[2:3]
	s_and_b64 s[2:3], exec, s[2:3]
	v_add_u32_e32 v8, 4, v8
	s_or_b64 s[10:11], s[2:3], s[10:11]
	s_mov_b32 s16, s17
	s_andn2_b64 exec, exec, s[10:11]
	s_cbranch_execz .LBB456_24
.LBB456_27:                             ;   Parent Loop BB456_25 Depth=1
                                        ; =>  This Inner Loop Header: Depth=2
	v_cmp_ne_u32_e32 vcc, s16, v9
	v_cmp_eq_u32_e64 s[2:3], s16, v9
	s_and_saveexec_b64 s[12:13], s[2:3]
	s_cbranch_execz .LBB456_26
; %bb.28:                               ;   in Loop: Header=BB456_27 Depth=2
	scratch_load_dword v11, v8, off
	s_waitcnt vmcnt(0)
	v_add_f32_e32 v5, v5, v11
	global_store_dword v[6:7], v4, off
	s_branch .LBB456_26
.LBB456_29:
	s_waitcnt lgkmcnt(0)
	s_load_dword s6, s[0:1], 0x3c
	s_waitcnt lgkmcnt(0)
	s_bitcmp1_b32 s6, 0
	s_cselect_b64 s[2:3], -1, 0
	s_bitcmp0_b32 s6, 0
	s_cbranch_scc0 .LBB456_33
; %bb.30:
	s_load_dwordx2 s[6:7], s[0:1], 0x40
	s_andn2_b64 vcc, exec, s[2:3]
	s_waitcnt lgkmcnt(0)
	v_cvt_f32_f64_e32 v8, s[6:7]
	s_cbranch_vccz .LBB456_34
.LBB456_31:
	s_andn2_b64 vcc, exec, s[4:5]
	s_cbranch_vccz .LBB456_35
.LBB456_32:
	s_endpgm
.LBB456_33:
	v_mbcnt_lo_u32_b32 v1, -1, 0
	v_mbcnt_hi_u32_b32 v1, -1, v1
	v_and_b32_e32 v4, 64, v1
	v_add_u32_e32 v4, 64, v4
	v_xor_b32_e32 v6, 32, v1
	v_cmp_lt_i32_e32 vcc, v6, v4
	v_xor_b32_e32 v7, 16, v1
	s_nop 0
	v_cndmask_b32_e32 v6, v1, v6, vcc
	v_lshlrev_b32_e32 v6, 2, v6
	ds_bpermute_b32 v6, v6, v5
	v_cmp_lt_i32_e32 vcc, v7, v4
	s_waitcnt lgkmcnt(0)
	v_add_f32_e32 v5, v5, v6
	v_cndmask_b32_e32 v6, v1, v7, vcc
	v_lshlrev_b32_e32 v6, 2, v6
	ds_bpermute_b32 v6, v6, v5
	v_xor_b32_e32 v7, 8, v1
	v_cmp_lt_i32_e32 vcc, v7, v4
	s_waitcnt lgkmcnt(0)
	v_add_f32_e32 v5, v5, v6
	v_cndmask_b32_e32 v6, v1, v7, vcc
	v_lshlrev_b32_e32 v6, 2, v6
	ds_bpermute_b32 v6, v6, v5
	v_xor_b32_e32 v7, 4, v1
	v_cmp_lt_i32_e32 vcc, v7, v4
	s_waitcnt lgkmcnt(0)
	v_add_f32_e32 v5, v5, v6
	v_cndmask_b32_e32 v6, v1, v7, vcc
	v_lshlrev_b32_e32 v6, 2, v6
	ds_bpermute_b32 v6, v6, v5
	v_xor_b32_e32 v7, 2, v1
	v_cmp_lt_i32_e32 vcc, v7, v4
	s_waitcnt lgkmcnt(0)
	v_add_f32_e32 v5, v5, v6
	v_cndmask_b32_e32 v6, v1, v7, vcc
	v_lshlrev_b32_e32 v6, 2, v6
	ds_bpermute_b32 v6, v6, v5
	v_xor_b32_e32 v7, 1, v1
	v_cmp_lt_i32_e32 vcc, v7, v4
	s_waitcnt lgkmcnt(0)
	v_add_f32_e32 v5, v5, v6
	v_cndmask_b32_e32 v1, v1, v7, vcc
	v_lshlrev_b32_e32 v1, 2, v1
	ds_bpermute_b32 v1, v1, v5
	s_waitcnt lgkmcnt(0)
	v_add_f32_e32 v5, v5, v1
	s_load_dwordx2 s[6:7], s[0:1], 0x40
	s_andn2_b64 vcc, exec, s[2:3]
	s_waitcnt lgkmcnt(0)
	v_cvt_f32_f64_e32 v8, s[6:7]
	s_cbranch_vccnz .LBB456_31
.LBB456_34:
	v_cmp_lt_f32_e32 vcc, 0, v5
	s_nop 1
	v_cndmask_b32_e32 v1, 1.0, v5, vcc
	v_div_scale_f32 v4, s[2:3], v1, v1, v8
	v_rcp_f32_e32 v5, v4
	s_nop 0
	v_fma_f32 v6, -v4, v5, 1.0
	v_fmac_f32_e32 v5, v6, v5
	v_div_scale_f32 v6, vcc, v8, v1, v8
	v_mul_f32_e32 v7, v6, v5
	v_fma_f32 v9, -v4, v7, v6
	v_fmac_f32_e32 v7, v9, v5
	v_fma_f32 v4, -v4, v7, v6
	v_div_fmas_f32 v4, v4, v5, v7
	v_div_fixup_f32 v8, v4, v1, v8
	s_andn2_b64 vcc, exec, s[4:5]
	s_cbranch_vccnz .LBB456_32
.LBB456_35:
	s_load_dwordx2 s[12:13], s[0:1], 0x10
	v_mov_b32_e32 v1, 0
	v_or_b32_e32 v20, 4, v1
	v_or_b32_e32 v18, 8, v1
	;; [unrolled: 1-line block ×3, first 2 shown]
	v_add_u32_e32 v14, 16, v1
	v_add_u32_e32 v12, 20, v1
	;; [unrolled: 1-line block ×4, first 2 shown]
	v_or_b32_e32 v23, 1, v10
	v_or_b32_e32 v22, 2, v10
	;; [unrolled: 1-line block ×7, first 2 shown]
	s_cmp_eq_u32 s33, 1
	s_mov_b32 s14, 0
	s_cbranch_scc1 .LBB456_70
; %bb.36:
	v_ashrrev_i32_e32 v1, 31, v0
	s_waitcnt lgkmcnt(0)
	v_lshl_add_u64 v[4:5], v[0:1], 2, s[12:13]
	s_and_b32 s14, s33, 0x7ffffffe
	v_lshl_add_u64 v[4:5], v[4:5], 0, 4
	v_lshl_add_u64 v[6:7], v[2:3], 0, 4
	s_mov_b32 s15, 0
	s_branch .LBB456_38
.LBB456_37:                             ;   in Loop: Header=BB456_38 Depth=1
	s_or_b64 exec, exec, s[0:1]
	s_add_i32 s15, s15, 2
	v_lshl_add_u64 v[4:5], v[4:5], 0, 8
	s_cmp_eq_u32 s14, s15
	v_lshl_add_u64 v[6:7], v[6:7], 0, 8
	s_cbranch_scc1 .LBB456_70
.LBB456_38:                             ; =>This Inner Loop Header: Depth=1
	global_load_dword v24, v[6:7], off offset:-4
	v_mov_b32_e32 v1, 0
	s_waitcnt vmcnt(0)
	v_cmp_eq_u32_e32 vcc, v24, v10
	v_cmp_ne_u32_e64 s[0:1], v24, v10
	s_and_saveexec_b64 s[16:17], s[0:1]
	s_cbranch_execz .LBB456_52
; %bb.39:                               ;   in Loop: Header=BB456_38 Depth=1
	v_cmp_eq_u32_e64 s[0:1], v24, v23
	v_cmp_ne_u32_e64 s[2:3], v24, v23
	v_mov_b32_e32 v1, v20
	s_and_saveexec_b64 s[18:19], s[2:3]
	s_cbranch_execz .LBB456_51
; %bb.40:                               ;   in Loop: Header=BB456_38 Depth=1
	v_cmp_eq_u32_e64 s[2:3], v24, v22
	v_cmp_ne_u32_e64 s[4:5], v24, v22
	v_mov_b32_e32 v1, v18
	;; [unrolled: 6-line block ×6, first 2 shown]
	s_and_saveexec_b64 s[30:31], s[10:11]
	s_xor_b64 s[30:31], exec, s[30:31]
; %bb.45:                               ;   in Loop: Header=BB456_38 Depth=1
	v_cmp_eq_u32_e64 s[10:11], v24, v13
	s_andn2_b64 s[28:29], s[28:29], exec
	s_and_b64 s[10:11], s[10:11], exec
	s_or_b64 s[28:29], s[28:29], s[10:11]
	v_mov_b32_e32 v1, v11
; %bb.46:                               ;   in Loop: Header=BB456_38 Depth=1
	s_or_b64 exec, exec, s[30:31]
	s_andn2_b64 s[8:9], s[8:9], exec
	s_and_b64 s[10:11], s[28:29], exec
	s_or_b64 s[8:9], s[8:9], s[10:11]
.LBB456_47:                             ;   in Loop: Header=BB456_38 Depth=1
	s_or_b64 exec, exec, s[26:27]
	s_andn2_b64 s[6:7], s[6:7], exec
	s_and_b64 s[8:9], s[8:9], exec
	s_or_b64 s[6:7], s[6:7], s[8:9]
.LBB456_48:                             ;   in Loop: Header=BB456_38 Depth=1
	s_or_b64 exec, exec, s[24:25]
	s_andn2_b64 s[4:5], s[4:5], exec
	s_and_b64 s[6:7], s[6:7], exec
	s_or_b64 s[4:5], s[4:5], s[6:7]
.LBB456_49:                             ;   in Loop: Header=BB456_38 Depth=1
	s_or_b64 exec, exec, s[22:23]
	s_andn2_b64 s[2:3], s[2:3], exec
	s_and_b64 s[4:5], s[4:5], exec
	s_or_b64 s[2:3], s[2:3], s[4:5]
.LBB456_50:                             ;   in Loop: Header=BB456_38 Depth=1
	s_or_b64 exec, exec, s[20:21]
	s_andn2_b64 s[0:1], s[0:1], exec
	s_and_b64 s[2:3], s[2:3], exec
	s_or_b64 s[0:1], s[0:1], s[2:3]
.LBB456_51:                             ;   in Loop: Header=BB456_38 Depth=1
	s_or_b64 exec, exec, s[18:19]
	s_andn2_b64 s[2:3], vcc, exec
	s_and_b64 s[0:1], s[0:1], exec
	s_or_b64 vcc, s[2:3], s[0:1]
.LBB456_52:                             ;   in Loop: Header=BB456_38 Depth=1
	s_or_b64 exec, exec, s[16:17]
	s_and_saveexec_b64 s[0:1], vcc
	s_cbranch_execz .LBB456_54
; %bb.53:                               ;   in Loop: Header=BB456_38 Depth=1
	scratch_load_dword v1, v1, off
	v_add_u32_e32 v24, s15, v0
	v_ashrrev_i32_e32 v25, 31, v24
	v_lshl_add_u64 v[24:25], v[24:25], 2, s[12:13]
	s_waitcnt vmcnt(0)
	v_mul_f32_e32 v1, v8, v1
	global_store_dword v[24:25], v1, off
.LBB456_54:                             ;   in Loop: Header=BB456_38 Depth=1
	s_or_b64 exec, exec, s[0:1]
	global_load_dword v24, v[6:7], off
	v_mov_b32_e32 v1, 0
	s_waitcnt vmcnt(0)
	v_cmp_eq_u32_e64 s[8:9], v24, v10
	v_cmp_ne_u32_e32 vcc, v24, v10
	s_and_saveexec_b64 s[10:11], vcc
	s_cbranch_execz .LBB456_68
; %bb.55:                               ;   in Loop: Header=BB456_38 Depth=1
	v_cmp_eq_u32_e32 vcc, v24, v23
	v_cmp_ne_u32_e64 s[0:1], v24, v23
	v_mov_b32_e32 v1, v20
	s_and_saveexec_b64 s[16:17], s[0:1]
	s_cbranch_execz .LBB456_67
; %bb.56:                               ;   in Loop: Header=BB456_38 Depth=1
	v_cmp_eq_u32_e64 s[0:1], v24, v22
	v_cmp_ne_u32_e64 s[2:3], v24, v22
	v_mov_b32_e32 v1, v18
	s_and_saveexec_b64 s[18:19], s[2:3]
	s_cbranch_execz .LBB456_66
; %bb.57:                               ;   in Loop: Header=BB456_38 Depth=1
	v_cmp_eq_u32_e64 s[2:3], v24, v21
	;; [unrolled: 6-line block ×5, first 2 shown]
	v_cmp_ne_u32_e64 s[6:7], v24, v15
	v_mov_b32_e32 v1, v9
	s_and_saveexec_b64 s[30:31], s[6:7]
; %bb.61:                               ;   in Loop: Header=BB456_38 Depth=1
	v_cmp_eq_u32_e64 s[6:7], v24, v13
	s_andn2_b64 s[28:29], s[28:29], exec
	s_and_b64 s[6:7], s[6:7], exec
	s_or_b64 s[28:29], s[28:29], s[6:7]
	v_mov_b32_e32 v1, v11
; %bb.62:                               ;   in Loop: Header=BB456_38 Depth=1
	s_or_b64 exec, exec, s[30:31]
	s_andn2_b64 s[6:7], s[24:25], exec
	s_and_b64 s[24:25], s[28:29], exec
	s_or_b64 s[24:25], s[6:7], s[24:25]
.LBB456_63:                             ;   in Loop: Header=BB456_38 Depth=1
	s_or_b64 exec, exec, s[26:27]
	s_andn2_b64 s[4:5], s[4:5], exec
	s_and_b64 s[6:7], s[24:25], exec
	s_or_b64 s[4:5], s[4:5], s[6:7]
.LBB456_64:                             ;   in Loop: Header=BB456_38 Depth=1
	s_or_b64 exec, exec, s[22:23]
	s_andn2_b64 s[2:3], s[2:3], exec
	s_and_b64 s[4:5], s[4:5], exec
	s_or_b64 s[2:3], s[2:3], s[4:5]
.LBB456_65:                             ;   in Loop: Header=BB456_38 Depth=1
	s_or_b64 exec, exec, s[20:21]
	s_andn2_b64 s[0:1], s[0:1], exec
	s_and_b64 s[2:3], s[2:3], exec
	s_or_b64 s[0:1], s[0:1], s[2:3]
.LBB456_66:                             ;   in Loop: Header=BB456_38 Depth=1
	s_or_b64 exec, exec, s[18:19]
	s_andn2_b64 s[2:3], vcc, exec
	s_and_b64 s[0:1], s[0:1], exec
	s_or_b64 vcc, s[2:3], s[0:1]
.LBB456_67:                             ;   in Loop: Header=BB456_38 Depth=1
	s_or_b64 exec, exec, s[16:17]
	s_andn2_b64 s[0:1], s[8:9], exec
	s_and_b64 s[2:3], vcc, exec
	s_or_b64 s[8:9], s[0:1], s[2:3]
.LBB456_68:                             ;   in Loop: Header=BB456_38 Depth=1
	s_or_b64 exec, exec, s[10:11]
	s_and_saveexec_b64 s[0:1], s[8:9]
	s_cbranch_execz .LBB456_37
; %bb.69:                               ;   in Loop: Header=BB456_38 Depth=1
	scratch_load_dword v1, v1, off
	s_waitcnt vmcnt(0)
	v_mul_f32_e32 v1, v8, v1
	global_store_dword v[4:5], v1, off
	s_branch .LBB456_37
.LBB456_70:
	s_bitcmp0_b32 s33, 0
	s_mov_b32 s15, 0
	s_cbranch_scc1 .LBB456_32
; %bb.71:
	v_lshl_add_u64 v[2:3], s[14:15], 2, v[2:3]
	global_load_dword v1, v[2:3], off
	v_mov_b32_e32 v2, 0
	s_waitcnt vmcnt(0)
	v_cmp_eq_u32_e64 s[8:9], v1, v10
	v_cmp_ne_u32_e32 vcc, v1, v10
	s_and_saveexec_b64 s[10:11], vcc
	s_cbranch_execz .LBB456_85
; %bb.72:
	v_cmp_eq_u32_e32 vcc, v1, v23
	v_cmp_ne_u32_e64 s[0:1], v1, v23
	s_and_saveexec_b64 s[16:17], s[0:1]
	s_cbranch_execz .LBB456_84
; %bb.73:
	v_cmp_eq_u32_e64 s[0:1], v1, v22
	v_cmp_ne_u32_e64 s[2:3], v1, v22
	s_and_saveexec_b64 s[18:19], s[2:3]
	s_cbranch_execz .LBB456_83
; %bb.74:
	v_cmp_eq_u32_e64 s[2:3], v1, v21
	;; [unrolled: 5-line block ×5, first 2 shown]
	v_cmp_ne_u32_e64 s[6:7], v1, v15
	s_and_saveexec_b64 s[30:31], s[6:7]
; %bb.78:
	v_cmp_eq_u32_e64 s[6:7], v1, v13
	s_andn2_b64 s[28:29], s[28:29], exec
	s_and_b64 s[6:7], s[6:7], exec
	s_or_b64 s[28:29], s[28:29], s[6:7]
	v_mov_b32_e32 v9, v11
; %bb.79:
	s_or_b64 exec, exec, s[30:31]
	s_andn2_b64 s[6:7], s[24:25], exec
	s_and_b64 s[24:25], s[28:29], exec
	s_or_b64 s[24:25], s[6:7], s[24:25]
	v_mov_b32_e32 v12, v9
.LBB456_80:
	s_or_b64 exec, exec, s[26:27]
	s_andn2_b64 s[4:5], s[4:5], exec
	s_and_b64 s[6:7], s[24:25], exec
	s_or_b64 s[4:5], s[4:5], s[6:7]
	v_mov_b32_e32 v14, v12
.LBB456_81:
	s_or_b64 exec, exec, s[22:23]
	s_andn2_b64 s[2:3], s[2:3], exec
	s_and_b64 s[4:5], s[4:5], exec
	s_or_b64 s[2:3], s[2:3], s[4:5]
	v_mov_b32_e32 v16, v14
.LBB456_82:
	s_or_b64 exec, exec, s[20:21]
	s_andn2_b64 s[0:1], s[0:1], exec
	s_and_b64 s[2:3], s[2:3], exec
	s_or_b64 s[0:1], s[0:1], s[2:3]
	v_mov_b32_e32 v18, v16
.LBB456_83:
	s_or_b64 exec, exec, s[18:19]
	s_andn2_b64 s[2:3], vcc, exec
	s_and_b64 s[0:1], s[0:1], exec
	s_or_b64 vcc, s[2:3], s[0:1]
	v_mov_b32_e32 v20, v18
.LBB456_84:
	s_or_b64 exec, exec, s[16:17]
	s_andn2_b64 s[0:1], s[8:9], exec
	s_and_b64 s[2:3], vcc, exec
	s_or_b64 s[8:9], s[0:1], s[2:3]
	v_mov_b32_e32 v2, v20
.LBB456_85:
	s_or_b64 exec, exec, s[10:11]
	s_and_b64 exec, exec, s[8:9]
	s_cbranch_execz .LBB456_32
; %bb.86:
	scratch_load_dword v2, v2, off
	v_add_u32_e32 v0, s14, v0
	v_ashrrev_i32_e32 v1, 31, v0
	s_waitcnt lgkmcnt(0)
	v_lshl_add_u64 v[0:1], v[0:1], 2, s[12:13]
	s_waitcnt vmcnt(0)
	v_mul_f32_e32 v2, v8, v2
	global_store_dword v[0:1], v2, off
	s_endpgm
	.section	.rodata,"a",@progbits
	.p2align	6, 0x0
	.amdhsa_kernel _ZN4vllm3moe22topkGatingSoftplusSqrtILi8ELi512ELi4ELi16ELi64ELb1Ej14__hip_bfloat16EEvPKT6_PKbPfiPT5_PiiiibdPKfPKS9_SF_
		.amdhsa_group_segment_fixed_size 0
		.amdhsa_private_segment_fixed_size 48
		.amdhsa_kernarg_size 96
		.amdhsa_user_sgpr_count 2
		.amdhsa_user_sgpr_dispatch_ptr 0
		.amdhsa_user_sgpr_queue_ptr 0
		.amdhsa_user_sgpr_kernarg_segment_ptr 1
		.amdhsa_user_sgpr_dispatch_id 0
		.amdhsa_user_sgpr_kernarg_preload_length 0
		.amdhsa_user_sgpr_kernarg_preload_offset 0
		.amdhsa_user_sgpr_private_segment_size 0
		.amdhsa_uses_dynamic_stack 0
		.amdhsa_enable_private_segment 1
		.amdhsa_system_sgpr_workgroup_id_x 1
		.amdhsa_system_sgpr_workgroup_id_y 0
		.amdhsa_system_sgpr_workgroup_id_z 0
		.amdhsa_system_sgpr_workgroup_info 0
		.amdhsa_system_vgpr_workitem_id 1
		.amdhsa_next_free_vgpr 27
		.amdhsa_next_free_sgpr 34
		.amdhsa_accum_offset 28
		.amdhsa_reserve_vcc 1
		.amdhsa_float_round_mode_32 0
		.amdhsa_float_round_mode_16_64 0
		.amdhsa_float_denorm_mode_32 3
		.amdhsa_float_denorm_mode_16_64 3
		.amdhsa_dx10_clamp 1
		.amdhsa_ieee_mode 1
		.amdhsa_fp16_overflow 0
		.amdhsa_tg_split 0
		.amdhsa_exception_fp_ieee_invalid_op 0
		.amdhsa_exception_fp_denorm_src 0
		.amdhsa_exception_fp_ieee_div_zero 0
		.amdhsa_exception_fp_ieee_overflow 0
		.amdhsa_exception_fp_ieee_underflow 0
		.amdhsa_exception_fp_ieee_inexact 0
		.amdhsa_exception_int_div_zero 0
	.end_amdhsa_kernel
	.section	.text._ZN4vllm3moe22topkGatingSoftplusSqrtILi8ELi512ELi4ELi16ELi64ELb1Ej14__hip_bfloat16EEvPKT6_PKbPfiPT5_PiiiibdPKfPKS9_SF_,"axG",@progbits,_ZN4vllm3moe22topkGatingSoftplusSqrtILi8ELi512ELi4ELi16ELi64ELb1Ej14__hip_bfloat16EEvPKT6_PKbPfiPT5_PiiiibdPKfPKS9_SF_,comdat
.Lfunc_end456:
	.size	_ZN4vllm3moe22topkGatingSoftplusSqrtILi8ELi512ELi4ELi16ELi64ELb1Ej14__hip_bfloat16EEvPKT6_PKbPfiPT5_PiiiibdPKfPKS9_SF_, .Lfunc_end456-_ZN4vllm3moe22topkGatingSoftplusSqrtILi8ELi512ELi4ELi16ELi64ELb1Ej14__hip_bfloat16EEvPKT6_PKbPfiPT5_PiiiibdPKfPKS9_SF_
                                        ; -- End function
	.section	.AMDGPU.csdata,"",@progbits
; Kernel info:
; codeLenInByte = 4612
; NumSgprs: 40
; NumVgprs: 27
; NumAgprs: 0
; TotalNumVgprs: 27
; ScratchSize: 48
; MemoryBound: 0
; FloatMode: 240
; IeeeMode: 1
; LDSByteSize: 0 bytes/workgroup (compile time only)
; SGPRBlocks: 4
; VGPRBlocks: 3
; NumSGPRsForWavesPerEU: 40
; NumVGPRsForWavesPerEU: 27
; AccumOffset: 28
; Occupancy: 8
; WaveLimiterHint : 1
; COMPUTE_PGM_RSRC2:SCRATCH_EN: 1
; COMPUTE_PGM_RSRC2:USER_SGPR: 2
; COMPUTE_PGM_RSRC2:TRAP_HANDLER: 0
; COMPUTE_PGM_RSRC2:TGID_X_EN: 1
; COMPUTE_PGM_RSRC2:TGID_Y_EN: 0
; COMPUTE_PGM_RSRC2:TGID_Z_EN: 0
; COMPUTE_PGM_RSRC2:TIDIG_COMP_CNT: 1
; COMPUTE_PGM_RSRC3_GFX90A:ACCUM_OFFSET: 6
; COMPUTE_PGM_RSRC3_GFX90A:TG_SPLIT: 0
	.section	.text._ZN4vllm3moe22topkGatingSoftplusSqrtILi8ELi512ELi4ELi16ELi64ELb0Ej14__hip_bfloat16EEvPKT6_PKbPfiPT5_PiiiibdPKfPKS9_SF_,"axG",@progbits,_ZN4vllm3moe22topkGatingSoftplusSqrtILi8ELi512ELi4ELi16ELi64ELb0Ej14__hip_bfloat16EEvPKT6_PKbPfiPT5_PiiiibdPKfPKS9_SF_,comdat
	.protected	_ZN4vllm3moe22topkGatingSoftplusSqrtILi8ELi512ELi4ELi16ELi64ELb0Ej14__hip_bfloat16EEvPKT6_PKbPfiPT5_PiiiibdPKfPKS9_SF_ ; -- Begin function _ZN4vllm3moe22topkGatingSoftplusSqrtILi8ELi512ELi4ELi16ELi64ELb0Ej14__hip_bfloat16EEvPKT6_PKbPfiPT5_PiiiibdPKfPKS9_SF_
	.globl	_ZN4vllm3moe22topkGatingSoftplusSqrtILi8ELi512ELi4ELi16ELi64ELb0Ej14__hip_bfloat16EEvPKT6_PKbPfiPT5_PiiiibdPKfPKS9_SF_
	.p2align	8
	.type	_ZN4vllm3moe22topkGatingSoftplusSqrtILi8ELi512ELi4ELi16ELi64ELb0Ej14__hip_bfloat16EEvPKT6_PKbPfiPT5_PiiiibdPKfPKS9_SF_,@function
_ZN4vllm3moe22topkGatingSoftplusSqrtILi8ELi512ELi4ELi16ELi64ELb0Ej14__hip_bfloat16EEvPKT6_PKbPfiPT5_PiiiibdPKfPKS9_SF_: ; @_ZN4vllm3moe22topkGatingSoftplusSqrtILi8ELi512ELi4ELi16ELi64ELb0Ej14__hip_bfloat16EEvPKT6_PKbPfiPT5_PiiiibdPKfPKS9_SF_
; %bb.0:
	s_load_dword s33, s[0:1], 0x18
	v_and_b32_e32 v1, 0x3ff, v0
	s_lshl_b32 s2, s2, 2
	v_lshrrev_b32_e32 v2, 6, v1
	v_bfe_u32 v0, v0, 10, 10
	v_add3_u32 v8, s2, v0, v2
	s_waitcnt lgkmcnt(0)
	v_cmp_gt_i32_e32 vcc, s33, v8
	s_and_saveexec_b64 s[2:3], vcc
	s_cbranch_execz .LBB457_69
; %bb.1:
	s_load_dwordx4 s[4:7], s[0:1], 0x0
	s_load_dwordx2 s[34:35], s[0:1], 0x10
	s_waitcnt lgkmcnt(0)
	s_cmp_eq_u64 s[6:7], 0
	s_cbranch_scc1 .LBB457_3
; %bb.2:
	v_ashrrev_i32_e32 v9, 31, v8
	v_lshl_add_u64 v[2:3], s[6:7], 0, v[8:9]
	global_load_ubyte v0, v[2:3], off
	s_waitcnt vmcnt(0)
	v_and_b32_e32 v0, 1, v0
	v_cmp_eq_u32_e32 vcc, 1, v0
	s_xor_b64 s[2:3], vcc, -1
	s_orn2_b64 s[36:37], s[2:3], exec
	s_branch .LBB457_4
.LBB457_3:
	s_mov_b64 s[36:37], -1
.LBB457_4:
	v_lshlrev_b32_e32 v4, 9, v8
	v_mov_b32_e32 v2, s4
	v_mov_b32_e32 v3, s5
	v_ashrrev_i32_e32 v5, 31, v4
	v_and_b32_e32 v9, 63, v1
	v_lshl_add_u64 v[2:3], v[4:5], 1, v[2:3]
	v_mov_b32_e32 v1, 0
	v_lshlrev_b32_e32 v0, 4, v9
	v_lshl_add_u64 v[0:1], v[2:3], 0, v[0:1]
	global_load_dwordx4 v[4:7], v[0:1], off
	s_mov_b32 s12, 0x800000
	v_mov_b32_e32 v2, 0x4f800000
	s_mov_b32 s9, 0x3f317217
	s_mov_b32 s10, 0x7f800000
	v_mov_b32_e32 v3, 0x41b17218
	s_mov_b32 s8, 0x41a00000
	s_mov_b32 s11, 0xf800000
	s_load_dwordx4 s[20:23], s[0:1], 0x40
	v_lshlrev_b32_e32 v12, 3, v9
	s_waitcnt lgkmcnt(0)
	s_cmp_lg_u64 s[22:23], 0
	s_cselect_b64 s[6:7], -1, 0
	s_and_b64 s[2:3], exec, s[6:7]
	s_waitcnt vmcnt(0)
	v_lshlrev_b32_e32 v0, 16, v4
	v_mul_f32_e32 v1, 0x3fb8aa3b, v0
	v_exp_f32_e32 v10, v1
	v_mov_b32_e32 v1, 0x260
	v_add_f32_e32 v10, 1.0, v10
	v_cmp_gt_f32_e32 vcc, s12, v10
	s_nop 1
	v_cndmask_b32_e32 v11, 1.0, v2, vcc
	v_mul_f32_e32 v10, v10, v11
	v_log_f32_e32 v11, v10
	v_cndmask_b32_e32 v13, 0, v3, vcc
	v_lshlrev_b32_e32 v10, 2, v12
	v_mul_f32_e32 v14, 0x3f317217, v11
	v_fma_f32 v14, v11, s9, -v14
	v_fmac_f32_e32 v14, 0x3377d1cf, v11
	v_fmac_f32_e32 v14, 0x3f317217, v11
	v_cmp_lt_f32_e64 vcc, |v11|, s10
	s_nop 1
	v_cndmask_b32_e32 v11, v11, v14, vcc
	v_sub_f32_e32 v11, v11, v13
	v_cmp_lt_f32_e32 vcc, s8, v0
	s_nop 1
	v_cndmask_b32_e32 v0, v11, v0, vcc
	v_mul_f32_e32 v11, 0x4f800000, v0
	v_cmp_gt_f32_e32 vcc, s11, v0
	s_nop 1
	v_cndmask_b32_e32 v0, v0, v11, vcc
	v_sqrt_f32_e32 v11, v0
	s_nop 0
	v_add_u32_e32 v13, -1, v11
	v_add_u32_e32 v14, 1, v11
	v_fma_f32 v15, -v13, v11, v0
	v_fma_f32 v16, -v14, v11, v0
	v_cmp_ge_f32_e64 s[4:5], 0, v15
	s_nop 1
	v_cndmask_b32_e64 v11, v11, v13, s[4:5]
	v_cmp_lt_f32_e64 s[4:5], 0, v16
	s_nop 1
	v_cndmask_b32_e64 v11, v11, v14, s[4:5]
	v_mul_f32_e32 v13, 0x37800000, v11
	v_cndmask_b32_e32 v11, v11, v13, vcc
	v_cmp_class_f32_e32 vcc, v0, v1
	s_nop 1
	v_cndmask_b32_e32 v0, v11, v0, vcc
	s_mov_b64 vcc, s[2:3]
	s_cbranch_vccz .LBB457_6
; %bb.5:
	global_load_dword v11, v10, s[22:23]
	s_waitcnt vmcnt(0)
	v_add_f32_e32 v0, v0, v11
.LBB457_6:
	v_and_b32_e32 v4, 0xffff0000, v4
	v_mul_f32_e32 v11, 0x3fb8aa3b, v4
	v_exp_f32_e32 v11, v11
	s_nop 0
	v_add_f32_e32 v11, 1.0, v11
	v_cmp_gt_f32_e32 vcc, s12, v11
	s_nop 1
	v_cndmask_b32_e32 v2, 1.0, v2, vcc
	v_mul_f32_e32 v2, v11, v2
	v_log_f32_e32 v2, v2
	v_cndmask_b32_e32 v3, 0, v3, vcc
	v_mul_f32_e32 v11, 0x3f317217, v2
	v_fma_f32 v11, v2, s9, -v11
	v_fmac_f32_e32 v11, 0x3377d1cf, v2
	v_fmac_f32_e32 v11, 0x3f317217, v2
	v_cmp_lt_f32_e64 vcc, |v2|, s10
	s_nop 1
	v_cndmask_b32_e32 v2, v2, v11, vcc
	v_sub_f32_e32 v2, v2, v3
	v_cmp_lt_f32_e32 vcc, s8, v4
	s_nop 1
	v_cndmask_b32_e32 v2, v2, v4, vcc
	v_mul_f32_e32 v3, 0x4f800000, v2
	v_cmp_gt_f32_e32 vcc, s11, v2
	s_nop 1
	v_cndmask_b32_e32 v2, v2, v3, vcc
	v_sqrt_f32_e32 v3, v2
	v_cmp_class_f32_e64 s[4:5], v2, v1
	v_add_u32_e32 v4, -1, v3
	v_add_u32_e32 v11, 1, v3
	v_fma_f32 v13, -v4, v3, v2
	v_fma_f32 v14, -v11, v3, v2
	v_cmp_ge_f32_e64 s[2:3], 0, v13
	s_nop 1
	v_cndmask_b32_e64 v3, v3, v4, s[2:3]
	v_cmp_lt_f32_e64 s[2:3], 0, v14
	s_nop 1
	v_cndmask_b32_e64 v3, v3, v11, s[2:3]
	v_mul_f32_e32 v4, 0x37800000, v3
	v_cndmask_b32_e32 v3, v3, v4, vcc
	v_cndmask_b32_e64 v4, 0, 1, s[6:7]
	v_cmp_ne_u32_e64 s[2:3], 1, v4
	s_andn2_b64 vcc, exec, s[6:7]
	v_cndmask_b32_e64 v1, v3, v2, s[4:5]
	s_cbranch_vccnz .LBB457_8
; %bb.7:
	global_load_dword v2, v10, s[22:23] offset:4
	s_waitcnt vmcnt(0)
	v_add_f32_e32 v1, v1, v2
.LBB457_8:
	v_lshlrev_b32_e32 v2, 16, v5
	v_mul_f32_e32 v3, 0x3fb8aa3b, v2
	v_exp_f32_e32 v3, v3
	s_mov_b32 s10, 0x800000
	v_mov_b32_e32 v4, 0x4f800000
	s_mov_b32 s7, 0x3f317217
	v_add_f32_e32 v3, 1.0, v3
	v_cmp_gt_f32_e32 vcc, s10, v3
	s_mov_b32 s8, 0x7f800000
	s_mov_b32 s6, 0x41a00000
	v_cndmask_b32_e32 v11, 1.0, v4, vcc
	v_mul_f32_e32 v3, v3, v11
	v_log_f32_e32 v3, v3
	s_mov_b32 s9, 0xf800000
	v_mul_f32_e32 v11, 0x3f317217, v3
	v_fma_f32 v11, v3, s7, -v11
	v_fmac_f32_e32 v11, 0x3377d1cf, v3
	v_fmac_f32_e32 v11, 0x3f317217, v3
	v_cmp_lt_f32_e64 s[4:5], |v3|, s8
	s_nop 1
	v_cndmask_b32_e64 v3, v3, v11, s[4:5]
	v_mov_b32_e32 v11, 0x41b17218
	v_cndmask_b32_e32 v13, 0, v11, vcc
	v_sub_f32_e32 v3, v3, v13
	v_cmp_lt_f32_e32 vcc, s6, v2
	s_nop 1
	v_cndmask_b32_e32 v2, v3, v2, vcc
	v_mul_f32_e32 v3, 0x4f800000, v2
	v_cmp_gt_f32_e32 vcc, s9, v2
	s_nop 1
	v_cndmask_b32_e32 v2, v2, v3, vcc
	v_sqrt_f32_e32 v3, v2
	s_nop 0
	v_add_u32_e32 v13, -1, v3
	v_fma_f32 v14, -v13, v3, v2
	v_cmp_ge_f32_e64 s[4:5], 0, v14
	v_add_u32_e32 v14, 1, v3
	s_nop 0
	v_cndmask_b32_e64 v13, v3, v13, s[4:5]
	v_fma_f32 v3, -v14, v3, v2
	v_cmp_lt_f32_e64 s[4:5], 0, v3
	s_nop 1
	v_cndmask_b32_e64 v3, v13, v14, s[4:5]
	v_mul_f32_e32 v13, 0x37800000, v3
	v_cndmask_b32_e32 v13, v3, v13, vcc
	v_mov_b32_e32 v3, 0x260
	v_cmp_class_f32_e64 s[4:5], v2, v3
	s_and_b64 vcc, exec, s[2:3]
	s_nop 0
	v_cndmask_b32_e64 v2, v13, v2, s[4:5]
	s_cbranch_vccnz .LBB457_10
; %bb.9:
	global_load_dword v13, v10, s[22:23] offset:8
	s_waitcnt vmcnt(0)
	v_add_f32_e32 v2, v2, v13
.LBB457_10:
	v_and_b32_e32 v5, 0xffff0000, v5
	v_mul_f32_e32 v13, 0x3fb8aa3b, v5
	v_exp_f32_e32 v13, v13
	s_nop 0
	v_add_f32_e32 v13, 1.0, v13
	v_cmp_gt_f32_e32 vcc, s10, v13
	s_nop 1
	v_cndmask_b32_e32 v4, 1.0, v4, vcc
	v_mul_f32_e32 v4, v13, v4
	v_log_f32_e32 v4, v4
	v_cndmask_b32_e32 v11, 0, v11, vcc
	v_mul_f32_e32 v13, 0x3f317217, v4
	v_fma_f32 v13, v4, s7, -v13
	v_fmac_f32_e32 v13, 0x3377d1cf, v4
	v_fmac_f32_e32 v13, 0x3f317217, v4
	v_cmp_lt_f32_e64 vcc, |v4|, s8
	s_nop 1
	v_cndmask_b32_e32 v4, v4, v13, vcc
	v_sub_f32_e32 v4, v4, v11
	v_cmp_lt_f32_e32 vcc, s6, v5
	s_nop 1
	v_cndmask_b32_e32 v4, v4, v5, vcc
	v_mul_f32_e32 v5, 0x4f800000, v4
	v_cmp_gt_f32_e32 vcc, s9, v4
	s_nop 1
	v_cndmask_b32_e32 v4, v4, v5, vcc
	v_sqrt_f32_e32 v5, v4
	s_nop 0
	v_add_u32_e32 v11, -1, v5
	v_add_u32_e32 v13, 1, v5
	v_fma_f32 v14, -v11, v5, v4
	v_fma_f32 v15, -v13, v5, v4
	v_cmp_ge_f32_e64 s[4:5], 0, v14
	s_nop 1
	v_cndmask_b32_e64 v5, v5, v11, s[4:5]
	v_cmp_lt_f32_e64 s[4:5], 0, v15
	s_nop 1
	v_cndmask_b32_e64 v5, v5, v13, s[4:5]
	v_mul_f32_e32 v11, 0x37800000, v5
	v_cndmask_b32_e32 v5, v5, v11, vcc
	v_cmp_class_f32_e64 s[4:5], v4, v3
	s_and_b64 vcc, exec, s[2:3]
	s_nop 0
	v_cndmask_b32_e64 v3, v5, v4, s[4:5]
	s_cbranch_vccnz .LBB457_12
; %bb.11:
	global_load_dword v4, v10, s[22:23] offset:12
	s_waitcnt vmcnt(0)
	v_add_f32_e32 v3, v3, v4
.LBB457_12:
	v_lshlrev_b32_e32 v4, 16, v6
	v_mul_f32_e32 v5, 0x3fb8aa3b, v4
	v_exp_f32_e32 v5, v5
	v_mov_b32_e32 v11, 0x4f800000
	v_add_f32_e32 v5, 1.0, v5
	v_cmp_gt_f32_e32 vcc, s10, v5
	s_nop 1
	v_cndmask_b32_e32 v13, 1.0, v11, vcc
	v_mul_f32_e32 v5, v5, v13
	v_log_f32_e32 v5, v5
	s_nop 0
	v_mul_f32_e32 v13, 0x3f317217, v5
	v_fma_f32 v13, v5, s7, -v13
	v_fmac_f32_e32 v13, 0x3377d1cf, v5
	v_fmac_f32_e32 v13, 0x3f317217, v5
	v_cmp_lt_f32_e64 s[4:5], |v5|, s8
	s_nop 1
	v_cndmask_b32_e64 v5, v5, v13, s[4:5]
	v_mov_b32_e32 v13, 0x41b17218
	v_cndmask_b32_e32 v14, 0, v13, vcc
	v_sub_f32_e32 v5, v5, v14
	v_cmp_lt_f32_e32 vcc, s6, v4
	s_nop 1
	v_cndmask_b32_e32 v4, v5, v4, vcc
	v_mul_f32_e32 v5, 0x4f800000, v4
	v_cmp_gt_f32_e32 vcc, s9, v4
	s_nop 1
	v_cndmask_b32_e32 v4, v4, v5, vcc
	v_sqrt_f32_e32 v5, v4
	s_nop 0
	v_add_u32_e32 v14, -1, v5
	v_fma_f32 v15, -v14, v5, v4
	v_cmp_ge_f32_e64 s[4:5], 0, v15
	v_add_u32_e32 v15, 1, v5
	s_nop 0
	v_cndmask_b32_e64 v14, v5, v14, s[4:5]
	v_fma_f32 v5, -v15, v5, v4
	v_cmp_lt_f32_e64 s[4:5], 0, v5
	s_nop 1
	v_cndmask_b32_e64 v5, v14, v15, s[4:5]
	v_mul_f32_e32 v14, 0x37800000, v5
	v_cndmask_b32_e32 v14, v5, v14, vcc
	v_mov_b32_e32 v5, 0x260
	v_cmp_class_f32_e64 s[4:5], v4, v5
	s_and_b64 vcc, exec, s[2:3]
	s_nop 0
	v_cndmask_b32_e64 v4, v14, v4, s[4:5]
	s_cbranch_vccnz .LBB457_14
; %bb.13:
	global_load_dword v14, v10, s[22:23] offset:16
	s_waitcnt vmcnt(0)
	v_add_f32_e32 v4, v4, v14
.LBB457_14:
	v_and_b32_e32 v6, 0xffff0000, v6
	v_mul_f32_e32 v14, 0x3fb8aa3b, v6
	v_exp_f32_e32 v14, v14
	s_nop 0
	v_add_f32_e32 v14, 1.0, v14
	v_cmp_gt_f32_e32 vcc, s10, v14
	s_nop 1
	v_cndmask_b32_e32 v11, 1.0, v11, vcc
	v_mul_f32_e32 v11, v14, v11
	v_log_f32_e32 v11, v11
	v_cndmask_b32_e32 v13, 0, v13, vcc
	v_mul_f32_e32 v14, 0x3f317217, v11
	v_fma_f32 v14, v11, s7, -v14
	v_fmac_f32_e32 v14, 0x3377d1cf, v11
	v_fmac_f32_e32 v14, 0x3f317217, v11
	v_cmp_lt_f32_e64 vcc, |v11|, s8
	s_nop 1
	v_cndmask_b32_e32 v11, v11, v14, vcc
	v_sub_f32_e32 v11, v11, v13
	v_cmp_lt_f32_e32 vcc, s6, v6
	s_nop 1
	v_cndmask_b32_e32 v6, v11, v6, vcc
	v_mul_f32_e32 v11, 0x4f800000, v6
	v_cmp_gt_f32_e32 vcc, s9, v6
	s_nop 1
	v_cndmask_b32_e32 v6, v6, v11, vcc
	v_sqrt_f32_e32 v11, v6
	s_nop 0
	v_add_u32_e32 v13, -1, v11
	v_add_u32_e32 v14, 1, v11
	v_fma_f32 v15, -v13, v11, v6
	v_fma_f32 v16, -v14, v11, v6
	v_cmp_ge_f32_e64 s[4:5], 0, v15
	s_nop 1
	v_cndmask_b32_e64 v11, v11, v13, s[4:5]
	v_cmp_lt_f32_e64 s[4:5], 0, v16
	s_nop 1
	v_cndmask_b32_e64 v11, v11, v14, s[4:5]
	v_mul_f32_e32 v13, 0x37800000, v11
	v_cndmask_b32_e32 v11, v11, v13, vcc
	v_cmp_class_f32_e64 s[4:5], v6, v5
	s_and_b64 vcc, exec, s[2:3]
	s_nop 0
	v_cndmask_b32_e64 v5, v11, v6, s[4:5]
	s_cbranch_vccnz .LBB457_16
; %bb.15:
	global_load_dword v6, v10, s[22:23] offset:20
	s_waitcnt vmcnt(0)
	v_add_f32_e32 v5, v5, v6
.LBB457_16:
	v_lshlrev_b32_e32 v6, 16, v7
	v_mul_f32_e32 v11, 0x3fb8aa3b, v6
	v_exp_f32_e32 v11, v11
	v_mov_b32_e32 v13, 0x4f800000
	v_add_f32_e32 v11, 1.0, v11
	v_cmp_gt_f32_e32 vcc, s10, v11
	s_nop 1
	v_cndmask_b32_e32 v14, 1.0, v13, vcc
	v_mul_f32_e32 v11, v11, v14
	v_log_f32_e32 v11, v11
	s_nop 0
	v_mul_f32_e32 v14, 0x3f317217, v11
	v_fma_f32 v14, v11, s7, -v14
	v_fmac_f32_e32 v14, 0x3377d1cf, v11
	v_fmac_f32_e32 v14, 0x3f317217, v11
	v_cmp_lt_f32_e64 s[4:5], |v11|, s8
	s_nop 1
	v_cndmask_b32_e64 v11, v11, v14, s[4:5]
	v_mov_b32_e32 v14, 0x41b17218
	v_cndmask_b32_e32 v15, 0, v14, vcc
	v_sub_f32_e32 v11, v11, v15
	v_cmp_lt_f32_e32 vcc, s6, v6
	s_nop 1
	v_cndmask_b32_e32 v6, v11, v6, vcc
	v_mul_f32_e32 v11, 0x4f800000, v6
	v_cmp_gt_f32_e32 vcc, s9, v6
	s_nop 1
	v_cndmask_b32_e32 v6, v6, v11, vcc
	v_sqrt_f32_e32 v11, v6
	s_nop 0
	v_add_u32_e32 v15, -1, v11
	v_fma_f32 v16, -v15, v11, v6
	v_cmp_ge_f32_e64 s[4:5], 0, v16
	v_add_u32_e32 v16, 1, v11
	s_nop 0
	v_cndmask_b32_e64 v15, v11, v15, s[4:5]
	v_fma_f32 v11, -v16, v11, v6
	v_cmp_lt_f32_e64 s[4:5], 0, v11
	s_nop 1
	v_cndmask_b32_e64 v11, v15, v16, s[4:5]
	v_mul_f32_e32 v15, 0x37800000, v11
	v_cndmask_b32_e32 v15, v11, v15, vcc
	v_mov_b32_e32 v11, 0x260
	v_cmp_class_f32_e64 s[4:5], v6, v11
	s_and_b64 vcc, exec, s[2:3]
	s_nop 0
	v_cndmask_b32_e64 v6, v15, v6, s[4:5]
	s_cbranch_vccnz .LBB457_18
; %bb.17:
	global_load_dword v15, v10, s[22:23] offset:24
	s_waitcnt vmcnt(0)
	v_add_f32_e32 v6, v6, v15
.LBB457_18:
	v_and_b32_e32 v7, 0xffff0000, v7
	v_mul_f32_e32 v15, 0x3fb8aa3b, v7
	v_exp_f32_e32 v15, v15
	s_nop 0
	v_add_f32_e32 v15, 1.0, v15
	v_cmp_gt_f32_e32 vcc, s10, v15
	s_nop 1
	v_cndmask_b32_e32 v13, 1.0, v13, vcc
	v_mul_f32_e32 v13, v15, v13
	v_log_f32_e32 v13, v13
	v_cndmask_b32_e32 v14, 0, v14, vcc
	v_mul_f32_e32 v15, 0x3f317217, v13
	v_fma_f32 v15, v13, s7, -v15
	v_fmac_f32_e32 v15, 0x3377d1cf, v13
	v_fmac_f32_e32 v15, 0x3f317217, v13
	v_cmp_lt_f32_e64 vcc, |v13|, s8
	s_nop 1
	v_cndmask_b32_e32 v13, v13, v15, vcc
	v_sub_f32_e32 v13, v13, v14
	v_cmp_lt_f32_e32 vcc, s6, v7
	s_nop 1
	v_cndmask_b32_e32 v7, v13, v7, vcc
	v_mul_f32_e32 v13, 0x4f800000, v7
	v_cmp_gt_f32_e32 vcc, s9, v7
	s_nop 1
	v_cndmask_b32_e32 v7, v7, v13, vcc
	v_sqrt_f32_e32 v13, v7
	s_nop 0
	v_add_u32_e32 v14, -1, v13
	v_add_u32_e32 v15, 1, v13
	v_fma_f32 v16, -v14, v13, v7
	v_fma_f32 v17, -v15, v13, v7
	v_cmp_ge_f32_e64 s[4:5], 0, v16
	s_nop 1
	v_cndmask_b32_e64 v13, v13, v14, s[4:5]
	v_cmp_lt_f32_e64 s[4:5], 0, v17
	s_nop 1
	v_cndmask_b32_e64 v13, v13, v15, s[4:5]
	v_mul_f32_e32 v14, 0x37800000, v13
	v_cndmask_b32_e32 v13, v13, v14, vcc
	v_cmp_class_f32_e64 s[4:5], v7, v11
	s_and_b64 vcc, exec, s[2:3]
	s_nop 0
	v_cndmask_b32_e64 v7, v13, v7, s[4:5]
	s_cbranch_vccnz .LBB457_20
; %bb.19:
	global_load_dword v10, v10, s[22:23] offset:28
	s_waitcnt vmcnt(0)
	v_add_f32_e32 v7, v7, v10
.LBB457_20:
	s_load_dwordx4 s[24:27], s[0:1], 0x30
	s_mov_b32 s42, 0
	v_cmp_eq_u32_e64 s[6:7], 0, v9
	s_waitcnt lgkmcnt(0)
	s_bitcmp1_b32 s27, 0
	s_cselect_b64 s[4:5], -1, 0
	s_cmp_gt_i32 s24, 0
	s_cselect_b64 s[38:39], -1, 0
	s_and_b64 vcc, exec, s[38:39]
	s_cbranch_vccz .LBB457_55
; %bb.21:
	v_mbcnt_lo_u32_b32 v10, -1, 0
	v_mbcnt_hi_u32_b32 v10, -1, v10
	v_and_b32_e32 v11, 64, v10
	v_add_u32_e32 v11, 64, v11
	v_xor_b32_e32 v13, 32, v10
	v_cmp_lt_i32_e32 vcc, v13, v11
	s_load_dwordx4 s[28:31], s[0:1], 0x20
	v_mul_lo_u32 v14, v8, s24
	v_cndmask_b32_e32 v13, v10, v13, vcc
	v_lshlrev_b32_e32 v15, 2, v13
	v_xor_b32_e32 v13, 16, v10
	v_cmp_lt_i32_e32 vcc, v13, v11
	v_mov_b32_e32 v21, 0x200
	v_mov_b32_e32 v22, 0xc61c4000
	v_cndmask_b32_e32 v13, v10, v13, vcc
	v_lshlrev_b32_e32 v16, 2, v13
	v_xor_b32_e32 v13, 8, v10
	v_cmp_lt_i32_e32 vcc, v13, v11
	v_mov_b32_e32 v23, v8
	s_nop 0
	v_cndmask_b32_e32 v13, v10, v13, vcc
	v_lshlrev_b32_e32 v17, 2, v13
	v_xor_b32_e32 v13, 4, v10
	v_cmp_lt_i32_e32 vcc, v13, v11
	s_nop 1
	v_cndmask_b32_e32 v13, v10, v13, vcc
	v_lshlrev_b32_e32 v18, 2, v13
	v_xor_b32_e32 v13, 2, v10
	v_cmp_lt_i32_e32 vcc, v13, v11
	;; [unrolled: 5-line block ×3, first 2 shown]
	s_nop 1
	v_cndmask_b32_e32 v10, v10, v13, vcc
	v_lshlrev_b32_e32 v20, 2, v10
	v_mov_b32_e32 v13, 0
	s_branch .LBB457_24
.LBB457_22:                             ;   in Loop: Header=BB457_24 Depth=1
	s_or_b64 exec, exec, s[40:41]
.LBB457_23:                             ;   in Loop: Header=BB457_24 Depth=1
	s_cmp_eq_u32 s24, s42
	v_add_u32_e32 v23, s33, v23
	s_cbranch_scc1 .LBB457_56
.LBB457_24:                             ; =>This Inner Loop Header: Depth=1
	v_cmp_gt_f32_e32 vcc, v1, v0
	s_nop 1
	v_cndmask_b32_e32 v11, v0, v1, vcc
	v_cndmask_b32_e64 v10, 0, 1, vcc
	v_cmp_gt_f32_e32 vcc, v2, v11
	s_nop 1
	v_cndmask_b32_e32 v11, v11, v2, vcc
	v_cndmask_b32_e64 v10, v10, 2, vcc
	;; [unrolled: 4-line block ×6, first 2 shown]
	v_cmp_gt_f32_e32 vcc, v7, v11
	s_nop 1
	v_cndmask_b32_e64 v10, v10, 7, vcc
	v_cndmask_b32_e32 v24, v11, v7, vcc
	ds_bpermute_b32 v11, v15, v24
	v_or_b32_e32 v10, v12, v10
	s_waitcnt lgkmcnt(0)
	ds_bpermute_b32 v25, v15, v10
	s_waitcnt lgkmcnt(0)
	v_cmp_lt_f32_e64 s[8:9], v24, v11
	v_cmp_nlt_f32_e32 vcc, v24, v11
	s_and_saveexec_b64 s[10:11], vcc
; %bb.25:                               ;   in Loop: Header=BB457_24 Depth=1
	v_cmp_eq_f32_e32 vcc, v24, v11
	v_cmp_lt_i32_e64 s[0:1], v25, v10
	s_and_b64 s[0:1], vcc, s[0:1]
	s_andn2_b64 s[8:9], s[8:9], exec
	s_and_b64 s[0:1], s[0:1], exec
	s_or_b64 s[8:9], s[8:9], s[0:1]
; %bb.26:                               ;   in Loop: Header=BB457_24 Depth=1
	s_or_b64 exec, exec, s[10:11]
	s_and_saveexec_b64 s[0:1], s[8:9]
; %bb.27:                               ;   in Loop: Header=BB457_24 Depth=1
	v_mov_b32_e32 v24, v11
	v_mov_b32_e32 v10, v25
; %bb.28:                               ;   in Loop: Header=BB457_24 Depth=1
	s_or_b64 exec, exec, s[0:1]
	ds_bpermute_b32 v11, v16, v24
	ds_bpermute_b32 v25, v16, v10
	s_waitcnt lgkmcnt(1)
	v_cmp_lt_f32_e64 s[8:9], v24, v11
	v_cmp_nlt_f32_e32 vcc, v24, v11
	s_and_saveexec_b64 s[10:11], vcc
	s_cbranch_execz .LBB457_30
; %bb.29:                               ;   in Loop: Header=BB457_24 Depth=1
	v_cmp_eq_f32_e32 vcc, v24, v11
	s_waitcnt lgkmcnt(0)
	v_cmp_lt_i32_e64 s[0:1], v25, v10
	s_and_b64 s[0:1], vcc, s[0:1]
	s_andn2_b64 s[8:9], s[8:9], exec
	s_and_b64 s[0:1], s[0:1], exec
	s_or_b64 s[8:9], s[8:9], s[0:1]
.LBB457_30:                             ;   in Loop: Header=BB457_24 Depth=1
	s_or_b64 exec, exec, s[10:11]
	s_and_saveexec_b64 s[0:1], s[8:9]
	s_cbranch_execz .LBB457_32
; %bb.31:                               ;   in Loop: Header=BB457_24 Depth=1
	v_mov_b32_e32 v24, v11
	s_waitcnt lgkmcnt(0)
	v_mov_b32_e32 v10, v25
.LBB457_32:                             ;   in Loop: Header=BB457_24 Depth=1
	s_or_b64 exec, exec, s[0:1]
	ds_bpermute_b32 v11, v17, v24
	s_waitcnt lgkmcnt(1)
	ds_bpermute_b32 v25, v17, v10
	s_waitcnt lgkmcnt(1)
	v_cmp_lt_f32_e64 s[8:9], v24, v11
	v_cmp_nlt_f32_e32 vcc, v24, v11
	s_and_saveexec_b64 s[10:11], vcc
	s_cbranch_execz .LBB457_34
; %bb.33:                               ;   in Loop: Header=BB457_24 Depth=1
	v_cmp_eq_f32_e32 vcc, v24, v11
	s_waitcnt lgkmcnt(0)
	v_cmp_lt_i32_e64 s[0:1], v25, v10
	s_and_b64 s[0:1], vcc, s[0:1]
	s_andn2_b64 s[8:9], s[8:9], exec
	s_and_b64 s[0:1], s[0:1], exec
	s_or_b64 s[8:9], s[8:9], s[0:1]
.LBB457_34:                             ;   in Loop: Header=BB457_24 Depth=1
	s_or_b64 exec, exec, s[10:11]
	s_and_saveexec_b64 s[0:1], s[8:9]
	s_cbranch_execz .LBB457_36
; %bb.35:                               ;   in Loop: Header=BB457_24 Depth=1
	v_mov_b32_e32 v24, v11
	s_waitcnt lgkmcnt(0)
	v_mov_b32_e32 v10, v25
.LBB457_36:                             ;   in Loop: Header=BB457_24 Depth=1
	s_or_b64 exec, exec, s[0:1]
	ds_bpermute_b32 v11, v18, v24
	s_waitcnt lgkmcnt(1)
	;; [unrolled: 26-line block ×4, first 2 shown]
	ds_bpermute_b32 v25, v20, v10
	s_waitcnt lgkmcnt(1)
	v_cmp_lt_f32_e64 s[8:9], v24, v11
	v_cmp_nlt_f32_e32 vcc, v24, v11
	s_and_saveexec_b64 s[10:11], vcc
	s_cbranch_execnz .LBB457_48
; %bb.45:                               ;   in Loop: Header=BB457_24 Depth=1
	s_or_b64 exec, exec, s[10:11]
	s_and_saveexec_b64 s[0:1], s[8:9]
	s_cbranch_execnz .LBB457_49
.LBB457_46:                             ;   in Loop: Header=BB457_24 Depth=1
	s_or_b64 exec, exec, s[0:1]
	s_and_saveexec_b64 s[8:9], s[6:7]
	s_cbranch_execnz .LBB457_50
.LBB457_47:                             ;   in Loop: Header=BB457_24 Depth=1
	s_or_b64 exec, exec, s[8:9]
	s_add_i32 s42, s42, 1
	s_cmp_ge_i32 s42, s24
	s_cbranch_scc1 .LBB457_23
	s_branch .LBB457_53
.LBB457_48:                             ;   in Loop: Header=BB457_24 Depth=1
	v_cmp_eq_f32_e32 vcc, v24, v11
	s_waitcnt lgkmcnt(0)
	v_cmp_lt_i32_e64 s[0:1], v25, v10
	s_and_b64 s[0:1], vcc, s[0:1]
	s_andn2_b64 s[8:9], s[8:9], exec
	s_and_b64 s[0:1], s[0:1], exec
	s_or_b64 s[8:9], s[8:9], s[0:1]
	s_or_b64 exec, exec, s[10:11]
	s_and_saveexec_b64 s[0:1], s[8:9]
	s_cbranch_execz .LBB457_46
.LBB457_49:                             ;   in Loop: Header=BB457_24 Depth=1
	s_waitcnt lgkmcnt(0)
	v_mov_b32_e32 v10, v25
	v_mov_b32_e32 v24, v11
	s_or_b64 exec, exec, s[0:1]
	s_and_saveexec_b64 s[8:9], s[6:7]
	s_cbranch_execz .LBB457_47
.LBB457_50:                             ;   in Loop: Header=BB457_24 Depth=1
	s_and_b64 vcc, exec, s[2:3]
	s_cbranch_vccnz .LBB457_52
; %bb.51:                               ;   in Loop: Header=BB457_24 Depth=1
	v_ashrrev_i32_e32 v11, 31, v10
	v_lshl_add_u64 v[26:27], v[10:11], 2, s[22:23]
	global_load_dword v11, v[26:27], off
	s_waitcnt vmcnt(0)
	v_sub_f32_e32 v24, v24, v11
.LBB457_52:                             ;   in Loop: Header=BB457_24 Depth=1
	v_add_u32_e32 v26, s42, v14
	v_cmp_le_i32_e32 vcc, s25, v10
	v_cmp_gt_i32_e64 s[0:1], s26, v10
	v_ashrrev_i32_e32 v27, 31, v26
	s_and_b64 s[0:1], vcc, s[0:1]
	v_lshlrev_b64 v[26:27], 2, v[26:27]
	v_lshl_add_u64 v[28:29], s[34:35], 0, v[26:27]
	v_subrev_u32_e32 v11, s25, v10
	s_and_b64 vcc, s[36:37], s[0:1]
	global_store_dword v[28:29], v24, off
	v_cndmask_b32_e32 v11, v21, v11, vcc
	v_lshl_add_u64 v[28:29], s[28:29], 0, v[26:27]
	global_store_dword v[28:29], v11, off
	v_add_f32_e32 v11, v13, v24
	v_lshl_add_u64 v[26:27], s[30:31], 0, v[26:27]
	v_cndmask_b32_e64 v13, v13, v11, s[4:5]
	global_store_dword v[26:27], v23, off
	s_or_b64 exec, exec, s[8:9]
	s_add_i32 s42, s42, 1
	s_cmp_ge_i32 s42, s24
	s_cbranch_scc1 .LBB457_23
.LBB457_53:                             ;   in Loop: Header=BB457_24 Depth=1
	v_ashrrev_i32_e32 v24, 31, v10
	v_lshrrev_b32_e32 v11, 29, v24
	s_waitcnt lgkmcnt(0)
	v_add_u32_e32 v25, v10, v11
	v_ashrrev_i32_e32 v11, 3, v25
	v_ashrrev_i32_e32 v25, 31, v25
	v_lshrrev_b32_e32 v25, 26, v25
	v_add_u32_e32 v25, v11, v25
	v_and_b32_e32 v25, 0xffffffc0, v25
	v_sub_u32_e32 v25, v11, v25
	v_cmp_eq_u32_e32 vcc, v9, v25
	s_and_saveexec_b64 s[40:41], vcc
	s_cbranch_execz .LBB457_22
; %bb.54:                               ;   in Loop: Header=BB457_24 Depth=1
	v_lshrrev_b32_e32 v24, 23, v24
	v_add_u32_e32 v24, v10, v24
	v_lshlrev_b32_e32 v11, 3, v11
	v_sub_u32_e32 v10, v10, v11
	v_ashrrev_i32_e32 v11, 9, v24
	v_lshl_add_u32 v10, v11, 3, v10
	v_cmp_ne_u32_e32 vcc, 6, v10
	v_cmp_ne_u32_e64 s[0:1], 5, v10
	v_cmp_ne_u32_e64 s[8:9], 4, v10
	;; [unrolled: 1-line block ×7, first 2 shown]
	v_cndmask_b32_e32 v6, v22, v6, vcc
	v_cndmask_b32_e64 v5, v22, v5, s[0:1]
	v_cndmask_b32_e64 v7, v22, v7, s[18:19]
	;; [unrolled: 1-line block ×7, first 2 shown]
	s_branch .LBB457_22
.LBB457_55:
	v_mov_b32_e32 v13, 0
.LBB457_56:
	v_cmp_eq_u32_e32 vcc, 0, v9
	s_and_b64 exec, exec, vcc
	s_cbranch_execz .LBB457_69
; %bb.57:
	s_andn2_b64 vcc, exec, s[4:5]
	v_cvt_f32_f64_e32 v0, s[20:21]
	s_cbranch_vccnz .LBB457_59
; %bb.58:
	v_cmp_lt_f32_e32 vcc, 0, v13
	s_nop 1
	v_cndmask_b32_e32 v1, 1.0, v13, vcc
	v_div_scale_f32 v2, s[0:1], v1, v1, v0
	v_rcp_f32_e32 v3, v2
	s_nop 0
	v_fma_f32 v4, -v2, v3, 1.0
	v_fmac_f32_e32 v3, v4, v3
	v_div_scale_f32 v4, vcc, v0, v1, v0
	v_mul_f32_e32 v5, v4, v3
	v_fma_f32 v6, -v2, v5, v4
	v_fmac_f32_e32 v5, v6, v3
	v_fma_f32 v2, -v2, v5, v4
	v_div_fmas_f32 v2, v2, v3, v5
	v_div_fixup_f32 v0, v2, v1, v0
.LBB457_59:
	s_andn2_b64 vcc, exec, s[38:39]
	s_cbranch_vccnz .LBB457_69
; %bb.60:
	v_mul_lo_u32 v2, v8, s24
	s_cmp_gt_u32 s24, 3
	v_ashrrev_i32_e32 v3, 31, v2
	s_cbranch_scc0 .LBB457_64
; %bb.61:
	s_and_b32 s0, s24, 0x7ffffffc
	v_lshl_add_u64 v[4:5], v[2:3], 2, s[34:35]
	v_mov_b32_e32 v1, v0
	v_lshl_add_u64 v[4:5], v[4:5], 0, 8
	s_mov_b32 s1, s0
.LBB457_62:                             ; =>This Inner Loop Header: Depth=1
	global_load_dwordx4 v[6:9], v[4:5], off offset:-8
	s_add_i32 s1, s1, -4
	s_cmp_lg_u32 s1, 0
	s_waitcnt vmcnt(0)
	v_pk_mul_f32 v[6:7], v[0:1], v[6:7]
	v_pk_mul_f32 v[8:9], v[0:1], v[8:9]
	global_store_dwordx4 v[4:5], v[6:9], off offset:-8
	v_lshl_add_u64 v[4:5], v[4:5], 0, 16
	s_cbranch_scc1 .LBB457_62
; %bb.63:
	s_cmp_lg_u32 s0, s24
	s_cselect_b64 s[2:3], -1, 0
	s_branch .LBB457_66
.LBB457_64:
	s_mov_b64 s[2:3], 0
                                        ; implicit-def: $sgpr0
	s_cbranch_execz .LBB457_66
; %bb.65:
	s_mov_b64 s[2:3], -1
	s_mov_b32 s0, 0
.LBB457_66:
	s_andn2_b64 vcc, exec, s[2:3]
	s_cbranch_vccnz .LBB457_69
; %bb.67:
	s_mov_b32 s1, 0
	v_lshl_add_u64 v[2:3], v[2:3], 0, s[0:1]
	s_sub_i32 s2, s24, s0
	v_lshl_add_u64 v[2:3], v[2:3], 2, s[34:35]
.LBB457_68:                             ; =>This Inner Loop Header: Depth=1
	global_load_dword v1, v[2:3], off
	s_add_i32 s2, s2, -1
	s_cmp_lg_u32 s2, 0
	s_waitcnt vmcnt(0)
	v_mul_f32_e32 v1, v0, v1
	global_store_dword v[2:3], v1, off
	v_lshl_add_u64 v[2:3], v[2:3], 0, 4
	s_cbranch_scc1 .LBB457_68
.LBB457_69:
	s_endpgm
	.section	.rodata,"a",@progbits
	.p2align	6, 0x0
	.amdhsa_kernel _ZN4vllm3moe22topkGatingSoftplusSqrtILi8ELi512ELi4ELi16ELi64ELb0Ej14__hip_bfloat16EEvPKT6_PKbPfiPT5_PiiiibdPKfPKS9_SF_
		.amdhsa_group_segment_fixed_size 0
		.amdhsa_private_segment_fixed_size 0
		.amdhsa_kernarg_size 96
		.amdhsa_user_sgpr_count 2
		.amdhsa_user_sgpr_dispatch_ptr 0
		.amdhsa_user_sgpr_queue_ptr 0
		.amdhsa_user_sgpr_kernarg_segment_ptr 1
		.amdhsa_user_sgpr_dispatch_id 0
		.amdhsa_user_sgpr_kernarg_preload_length 0
		.amdhsa_user_sgpr_kernarg_preload_offset 0
		.amdhsa_user_sgpr_private_segment_size 0
		.amdhsa_uses_dynamic_stack 0
		.amdhsa_enable_private_segment 0
		.amdhsa_system_sgpr_workgroup_id_x 1
		.amdhsa_system_sgpr_workgroup_id_y 0
		.amdhsa_system_sgpr_workgroup_id_z 0
		.amdhsa_system_sgpr_workgroup_info 0
		.amdhsa_system_vgpr_workitem_id 1
		.amdhsa_next_free_vgpr 30
		.amdhsa_next_free_sgpr 43
		.amdhsa_accum_offset 32
		.amdhsa_reserve_vcc 1
		.amdhsa_float_round_mode_32 0
		.amdhsa_float_round_mode_16_64 0
		.amdhsa_float_denorm_mode_32 3
		.amdhsa_float_denorm_mode_16_64 3
		.amdhsa_dx10_clamp 1
		.amdhsa_ieee_mode 1
		.amdhsa_fp16_overflow 0
		.amdhsa_tg_split 0
		.amdhsa_exception_fp_ieee_invalid_op 0
		.amdhsa_exception_fp_denorm_src 0
		.amdhsa_exception_fp_ieee_div_zero 0
		.amdhsa_exception_fp_ieee_overflow 0
		.amdhsa_exception_fp_ieee_underflow 0
		.amdhsa_exception_fp_ieee_inexact 0
		.amdhsa_exception_int_div_zero 0
	.end_amdhsa_kernel
	.section	.text._ZN4vllm3moe22topkGatingSoftplusSqrtILi8ELi512ELi4ELi16ELi64ELb0Ej14__hip_bfloat16EEvPKT6_PKbPfiPT5_PiiiibdPKfPKS9_SF_,"axG",@progbits,_ZN4vllm3moe22topkGatingSoftplusSqrtILi8ELi512ELi4ELi16ELi64ELb0Ej14__hip_bfloat16EEvPKT6_PKbPfiPT5_PiiiibdPKfPKS9_SF_,comdat
.Lfunc_end457:
	.size	_ZN4vllm3moe22topkGatingSoftplusSqrtILi8ELi512ELi4ELi16ELi64ELb0Ej14__hip_bfloat16EEvPKT6_PKbPfiPT5_PiiiibdPKfPKS9_SF_, .Lfunc_end457-_ZN4vllm3moe22topkGatingSoftplusSqrtILi8ELi512ELi4ELi16ELi64ELb0Ej14__hip_bfloat16EEvPKT6_PKbPfiPT5_PiiiibdPKfPKS9_SF_
                                        ; -- End function
	.section	.AMDGPU.csdata,"",@progbits
; Kernel info:
; codeLenInByte = 4240
; NumSgprs: 49
; NumVgprs: 30
; NumAgprs: 0
; TotalNumVgprs: 30
; ScratchSize: 0
; MemoryBound: 0
; FloatMode: 240
; IeeeMode: 1
; LDSByteSize: 0 bytes/workgroup (compile time only)
; SGPRBlocks: 6
; VGPRBlocks: 3
; NumSGPRsForWavesPerEU: 49
; NumVGPRsForWavesPerEU: 30
; AccumOffset: 32
; Occupancy: 8
; WaveLimiterHint : 0
; COMPUTE_PGM_RSRC2:SCRATCH_EN: 0
; COMPUTE_PGM_RSRC2:USER_SGPR: 2
; COMPUTE_PGM_RSRC2:TRAP_HANDLER: 0
; COMPUTE_PGM_RSRC2:TGID_X_EN: 1
; COMPUTE_PGM_RSRC2:TGID_Y_EN: 0
; COMPUTE_PGM_RSRC2:TGID_Z_EN: 0
; COMPUTE_PGM_RSRC2:TIDIG_COMP_CNT: 1
; COMPUTE_PGM_RSRC3_GFX90A:ACCUM_OFFSET: 7
; COMPUTE_PGM_RSRC3_GFX90A:TG_SPLIT: 0
	.section	.text._ZN4vllm3moe22topkGatingSoftplusSqrtILi16ELi512ELi4ELi16ELi32ELb1Ej14__hip_bfloat16EEvPKT6_PKbPfiPT5_PiiiibdPKfPKS9_SF_,"axG",@progbits,_ZN4vllm3moe22topkGatingSoftplusSqrtILi16ELi512ELi4ELi16ELi32ELb1Ej14__hip_bfloat16EEvPKT6_PKbPfiPT5_PiiiibdPKfPKS9_SF_,comdat
	.protected	_ZN4vllm3moe22topkGatingSoftplusSqrtILi16ELi512ELi4ELi16ELi32ELb1Ej14__hip_bfloat16EEvPKT6_PKbPfiPT5_PiiiibdPKfPKS9_SF_ ; -- Begin function _ZN4vllm3moe22topkGatingSoftplusSqrtILi16ELi512ELi4ELi16ELi32ELb1Ej14__hip_bfloat16EEvPKT6_PKbPfiPT5_PiiiibdPKfPKS9_SF_
	.globl	_ZN4vllm3moe22topkGatingSoftplusSqrtILi16ELi512ELi4ELi16ELi32ELb1Ej14__hip_bfloat16EEvPKT6_PKbPfiPT5_PiiiibdPKfPKS9_SF_
	.p2align	8
	.type	_ZN4vllm3moe22topkGatingSoftplusSqrtILi16ELi512ELi4ELi16ELi32ELb1Ej14__hip_bfloat16EEvPKT6_PKbPfiPT5_PiiiibdPKfPKS9_SF_,@function
_ZN4vllm3moe22topkGatingSoftplusSqrtILi16ELi512ELi4ELi16ELi32ELb1Ej14__hip_bfloat16EEvPKT6_PKbPfiPT5_PiiiibdPKfPKS9_SF_: ; @_ZN4vllm3moe22topkGatingSoftplusSqrtILi16ELi512ELi4ELi16ELi32ELb1Ej14__hip_bfloat16EEvPKT6_PKbPfiPT5_PiiiibdPKfPKS9_SF_
; %bb.0:
	s_load_dword s3, s[0:1], 0x18
	v_and_b32_e32 v1, 0x3ff, v0
	s_lshl_b32 s2, s2, 2
	v_lshrrev_b32_e32 v2, 5, v1
	v_bfe_u32 v0, v0, 10, 10
	v_add3_u32 v6, s2, v0, v2
	s_waitcnt lgkmcnt(0)
	v_cmp_gt_i32_e32 vcc, s3, v6
	s_and_saveexec_b64 s[2:3], vcc
	s_cbranch_execz .LBB458_68
; %bb.1:
	s_load_dwordx2 s[2:3], s[0:1], 0x0
	s_load_dword s33, s[0:1], 0x30
	v_lshlrev_b32_e32 v0, 9, v6
	v_lshlrev_b32_e32 v2, 3, v1
	v_ashrrev_i32_e32 v1, 31, v0
	v_and_b32_e32 v12, 0xf8, v2
	s_waitcnt lgkmcnt(0)
	v_lshl_add_u64 v[0:1], v[0:1], 1, s[2:3]
	v_lshlrev_b32_e32 v4, 1, v12
	v_mov_b32_e32 v5, 0
	v_lshl_add_u64 v[0:1], v[0:1], 0, v[4:5]
	global_load_dwordx4 v[18:21], v[0:1], off
	global_load_dwordx4 v[22:25], v[0:1], off offset:512
	s_load_dwordx4 s[4:7], s[0:1], 0x50
	v_ashrrev_i32_e32 v7, 31, v6
	s_mov_b32 s13, 0x800000
	v_mov_b32_e32 v10, 0x4f800000
	s_mov_b32 s11, 0x3f317217
	s_waitcnt lgkmcnt(0)
	v_mov_b32_e32 v0, s4
	v_mov_b32_e32 v1, s5
	v_lshl_add_u64 v[0:1], v[6:7], 2, v[0:1]
	global_load_dword v4, v[0:1], off
	s_mov_b32 s12, 0x7f800000
	v_mov_b32_e32 v7, 0x41b17218
	s_mov_b32 s9, 0x41a00000
	s_mov_b32 s10, 0xf800000
	v_mov_b32_e32 v8, s6
	v_mov_b32_e32 v9, s7
	v_mov_b32_e32 v3, 0x260
	s_cmp_gt_i32 s33, 0
	s_mov_b32 s8, 0
	s_waitcnt vmcnt(2)
	v_lshlrev_b32_e32 v26, 16, v20
	s_waitcnt vmcnt(1)
	v_and_b32_e32 v27, 0xffff0000, v22
	v_lshlrev_b32_e32 v28, 16, v22
	v_and_b32_e32 v17, 0xffff0000, v23
	v_lshlrev_b32_e32 v16, 16, v23
	v_and_b32_e32 v22, 0xffff0000, v18
	v_lshlrev_b32_e32 v23, 16, v18
	v_and_b32_e32 v15, 0xffff0000, v24
	v_lshlrev_b32_e32 v14, 16, v24
	v_and_b32_e32 v13, 0xffff0000, v25
	v_lshlrev_b32_e32 v11, 16, v25
	v_and_b32_e32 v24, 0xffff0000, v19
	v_lshlrev_b32_e32 v25, 16, v19
	v_mul_f32_e32 v18, 0x3fb8aa3b, v23
	v_mul_f32_e32 v19, 0x3fb8aa3b, v22
	v_exp_f32_e32 v18, v18
	v_exp_f32_e32 v19, v19
	v_and_b32_e32 v2, 0xffff0000, v21
	v_lshlrev_b32_e32 v1, 16, v21
	v_and_b32_e32 v0, 0xffff0000, v20
	v_mul_f32_e32 v20, 0x3fb8aa3b, v25
	v_mul_f32_e32 v21, 0x3fb8aa3b, v24
	v_pk_add_f32 v[18:19], v[18:19], 1.0 op_sel_hi:[1,0]
	v_exp_f32_e32 v20, v20
	v_exp_f32_e32 v21, v21
	v_cmp_gt_f32_e32 vcc, s13, v19
	scratch_store_dwordx3 off, v[0:2], off offset:20
	v_cmp_gt_f32_e64 s[2:3], s13, v18
	v_pk_add_f32 v[20:21], v[20:21], 1.0 op_sel_hi:[1,0]
	v_cndmask_b32_e32 v1, 1.0, v10, vcc
	v_cndmask_b32_e64 v2, 1.0, v10, s[2:3]
	v_mul_f32_e32 v1, v19, v1
	v_mul_f32_e32 v2, v18, v2
	v_log_f32_e32 v1, v1
	v_log_f32_e32 v2, v2
	v_cmp_gt_f32_e64 s[4:5], s13, v21
	v_cndmask_b32_e32 v19, 0, v7, vcc
	v_cmp_lt_f32_e64 vcc, |v1|, s12
	v_cndmask_b32_e64 v29, 1.0, v10, s[4:5]
	v_mul_f32_e32 v21, v21, v29
	v_mul_f32_e32 v29, 0x3f317217, v1
	;; [unrolled: 1-line block ×3, first 2 shown]
	v_fma_f32 v29, v1, s11, -v29
	v_fma_f32 v30, v2, s11, -v30
	v_fmac_f32_e32 v29, 0x3377d1cf, v1
	v_fmac_f32_e32 v30, 0x3377d1cf, v2
	;; [unrolled: 1-line block ×4, first 2 shown]
	v_cndmask_b32_e32 v1, v1, v29, vcc
	v_cmp_lt_f32_e64 vcc, |v2|, s12
	v_cndmask_b32_e64 v18, 0, v7, s[2:3]
	v_sub_f32_e32 v1, v1, v19
	v_cndmask_b32_e32 v2, v2, v30, vcc
	v_sub_f32_e32 v2, v2, v18
	v_cmp_lt_f32_e32 vcc, s9, v23
	v_log_f32_e32 v21, v21
	s_waitcnt vmcnt(1)
	v_mul_lo_u32 v4, v4, s33
	v_cndmask_b32_e32 v2, v2, v23, vcc
	v_cmp_lt_f32_e32 vcc, s9, v22
	v_mul_f32_e32 v19, 0x4f800000, v2
	v_cmp_gt_f32_e64 s[2:3], s10, v2
	v_cndmask_b32_e32 v1, v1, v22, vcc
	v_mul_f32_e32 v18, 0x4f800000, v1
	v_cmp_gt_f32_e32 vcc, s10, v1
	v_cndmask_b32_e64 v2, v2, v19, s[2:3]
	v_sqrt_f32_e32 v19, v2
	v_cndmask_b32_e32 v1, v1, v18, vcc
	v_sqrt_f32_e32 v18, v1
	v_add_u32_e32 v29, -1, v19
	v_fma_f32 v33, -v29, v19, v2
	v_add_u32_e32 v22, -1, v18
	v_fma_f32 v31, -v22, v18, v1
	v_add_u32_e32 v23, 1, v18
	v_cmp_ge_f32_e64 s[6:7], 0, v31
	v_add_u32_e32 v30, 1, v19
	v_fma_f32 v32, -v23, v18, v1
	v_cndmask_b32_e64 v18, v18, v22, s[6:7]
	v_cmp_ge_f32_e64 s[6:7], 0, v33
	v_fma_f32 v34, -v30, v19, v2
	s_nop 0
	v_cndmask_b32_e64 v19, v19, v29, s[6:7]
	v_cmp_lt_f32_e64 s[6:7], 0, v32
	s_nop 1
	v_cndmask_b32_e64 v18, v18, v23, s[6:7]
	v_cmp_lt_f32_e64 s[6:7], 0, v34
	v_mul_f32_e32 v22, 0x37800000, v18
	v_cndmask_b32_e32 v18, v18, v22, vcc
	v_cndmask_b32_e64 v19, v19, v30, s[6:7]
	v_mul_f32_e32 v23, 0x37800000, v19
	v_cmp_class_f32_e32 vcc, v1, v3
	v_cndmask_b32_e64 v22, v19, v23, s[2:3]
	v_cmp_lt_f32_e64 s[2:3], |v21|, s12
	v_cndmask_b32_e32 v19, v18, v1, vcc
	v_cmp_class_f32_e32 vcc, v2, v3
	v_mul_f32_e32 v1, 0x3f317217, v21
	v_fma_f32 v1, v21, s11, -v1
	v_cndmask_b32_e32 v18, v22, v2, vcc
	v_cmp_gt_f32_e32 vcc, s13, v20
	v_fmac_f32_e32 v1, 0x3377d1cf, v21
	v_fmac_f32_e32 v1, 0x3f317217, v21
	v_cndmask_b32_e32 v2, 1.0, v10, vcc
	v_mul_f32_e32 v2, v20, v2
	v_log_f32_e32 v2, v2
	v_cndmask_b32_e64 v1, v21, v1, s[2:3]
	v_cndmask_b32_e64 v20, 0, v7, s[4:5]
	v_sub_f32_e32 v1, v1, v20
	v_mul_f32_e32 v20, 0x3f317217, v2
	v_fma_f32 v20, v2, s11, -v20
	v_fmac_f32_e32 v20, 0x3377d1cf, v2
	v_fmac_f32_e32 v20, 0x3f317217, v2
	v_cmp_lt_f32_e64 s[2:3], |v2|, s12
	s_nop 1
	v_cndmask_b32_e64 v2, v2, v20, s[2:3]
	v_cndmask_b32_e32 v20, 0, v7, vcc
	v_cmp_lt_f32_e32 vcc, s9, v24
	v_sub_f32_e32 v2, v2, v20
	v_cmp_lt_f32_e64 s[2:3], s9, v25
	v_cndmask_b32_e32 v1, v1, v24, vcc
	v_mul_f32_e32 v21, 0x4f800000, v1
	v_cmp_gt_f32_e32 vcc, s10, v1
	v_cndmask_b32_e64 v2, v2, v25, s[2:3]
	v_mul_f32_e32 v24, 0x4f800000, v2
	v_cndmask_b32_e32 v1, v1, v21, vcc
	v_sqrt_f32_e32 v21, v1
	v_mul_f32_e32 v25, 0x3fb8aa3b, v0
	v_exp_f32_e32 v25, v25
	v_add_u32_e32 v20, -1, v21
	v_fma_f32 v22, -v20, v21, v1
	v_cmp_ge_f32_e64 s[2:3], 0, v22
	v_add_u32_e32 v22, 1, v21
	s_nop 0
	v_cndmask_b32_e64 v20, v21, v20, s[2:3]
	v_fma_f32 v21, -v22, v21, v1
	v_cmp_lt_f32_e64 s[2:3], 0, v21
	s_nop 1
	v_cndmask_b32_e64 v20, v20, v22, s[2:3]
	scratch_load_dwordx2 v[22:23], off, off offset:24
	v_cmp_gt_f32_e64 s[2:3], s10, v2
	v_mul_f32_e32 v21, 0x37800000, v20
	v_cndmask_b32_e32 v20, v20, v21, vcc
	v_cndmask_b32_e64 v2, v2, v24, s[2:3]
	v_sqrt_f32_e32 v24, v2
	v_cmp_class_f32_e32 vcc, v1, v3
	s_nop 1
	v_cndmask_b32_e32 v21, v20, v1, vcc
	v_add_u32_e32 v1, -1, v24
	v_fma_f32 v20, -v1, v24, v2
	v_cmp_ge_f32_e32 vcc, 0, v20
	v_add_u32_e32 v20, 1, v24
	v_fma_f32 v29, -v20, v24, v2
	v_cndmask_b32_e32 v1, v24, v1, vcc
	v_mul_f32_e32 v24, 0x3fb8aa3b, v26
	v_exp_f32_e32 v24, v24
	v_cmp_lt_f32_e32 vcc, 0, v29
	v_pk_add_f32 v[24:25], v[24:25], 1.0 op_sel_hi:[1,0]
	s_nop 0
	v_cndmask_b32_e32 v1, v1, v20, vcc
	v_mul_f32_e32 v20, 0x37800000, v1
	v_cmp_gt_f32_e32 vcc, s13, v25
	v_cndmask_b32_e64 v1, v1, v20, s[2:3]
	v_cmp_class_f32_e64 s[2:3], v2, v3
	v_cndmask_b32_e32 v20, 1.0, v10, vcc
	v_mul_f32_e32 v20, v25, v20
	v_log_f32_e32 v25, v20
	v_cndmask_b32_e64 v20, v1, v2, s[2:3]
	v_cmp_gt_f32_e64 s[2:3], s13, v24
	scratch_store_dwordx4 off, v[18:21], off
	v_mul_f32_e32 v1, 0x3f317217, v25
	v_cndmask_b32_e64 v2, 1.0, v10, s[2:3]
	v_mul_f32_e32 v2, v24, v2
	v_fma_f32 v1, v25, s11, -v1
	v_log_f32_e32 v2, v2
	v_fmac_f32_e32 v1, 0x3377d1cf, v25
	v_fmac_f32_e32 v1, 0x3f317217, v25
	v_cmp_lt_f32_e64 s[4:5], |v25|, s12
	v_cndmask_b32_e32 v18, 0, v7, vcc
	v_cmp_lt_f32_e64 vcc, |v2|, s12
	v_cndmask_b32_e64 v1, v25, v1, s[4:5]
	v_sub_f32_e32 v1, v1, v18
	v_mul_f32_e32 v18, 0x3f317217, v2
	v_fma_f32 v18, v2, s11, -v18
	v_fmac_f32_e32 v18, 0x3377d1cf, v2
	v_fmac_f32_e32 v18, 0x3f317217, v2
	v_cndmask_b32_e32 v2, v2, v18, vcc
	v_cmp_lt_f32_e32 vcc, s9, v0
	v_cndmask_b32_e64 v18, 0, v7, s[2:3]
	v_sub_f32_e32 v2, v2, v18
	v_cndmask_b32_e32 v0, v1, v0, vcc
	v_mul_f32_e32 v1, 0x4f800000, v0
	v_cmp_gt_f32_e32 vcc, s10, v0
	v_cmp_lt_f32_e64 s[2:3], s9, v26
	s_nop 0
	v_cndmask_b32_e32 v0, v0, v1, vcc
	v_sqrt_f32_e32 v1, v0
	v_cndmask_b32_e64 v2, v2, v26, s[2:3]
	v_add_u32_e32 v18, -1, v1
	v_fma_f32 v19, -v18, v1, v0
	v_cmp_ge_f32_e64 s[2:3], 0, v19
	v_add_u32_e32 v19, 1, v1
	s_nop 0
	v_cndmask_b32_e64 v18, v1, v18, s[2:3]
	v_fma_f32 v1, -v19, v1, v0
	v_cmp_lt_f32_e64 s[2:3], 0, v1
	s_nop 1
	v_cndmask_b32_e64 v1, v18, v19, s[2:3]
	v_mul_f32_e32 v19, 0x4f800000, v2
	v_cmp_gt_f32_e64 s[2:3], s10, v2
	v_mul_f32_e32 v18, 0x37800000, v1
	v_cndmask_b32_e32 v1, v1, v18, vcc
	v_cndmask_b32_e64 v2, v2, v19, s[2:3]
	v_sqrt_f32_e32 v20, v2
	v_cmp_class_f32_e32 vcc, v0, v3
	v_add_u32_e32 v21, 1, v20
	s_nop 0
	v_cndmask_b32_e32 v19, v1, v0, vcc
	v_add_u32_e32 v0, -1, v20
	v_fma_f32 v1, -v0, v20, v2
	v_cmp_ge_f32_e32 vcc, 0, v1
	s_waitcnt vmcnt(1)
	v_mul_f32_e32 v1, 0x3fb8aa3b, v23
	v_exp_f32_e32 v1, v1
	v_cndmask_b32_e32 v18, v20, v0, vcc
	v_mul_f32_e32 v0, 0x3fb8aa3b, v22
	v_exp_f32_e32 v0, v0
	v_fma_f32 v20, -v21, v20, v2
	v_cmp_lt_f32_e32 vcc, 0, v20
	v_pk_add_f32 v[0:1], v[0:1], 1.0 op_sel_hi:[1,0]
	s_nop 0
	v_cndmask_b32_e32 v18, v18, v21, vcc
	v_cmp_gt_f32_e32 vcc, s13, v1
	v_mul_f32_e32 v20, 0x37800000, v18
	v_cndmask_b32_e64 v18, v18, v20, s[2:3]
	v_cndmask_b32_e32 v21, 1.0, v10, vcc
	v_mul_f32_e32 v1, v1, v21
	v_log_f32_e32 v1, v1
	v_cmp_class_f32_e64 s[2:3], v2, v3
	v_cmp_lt_f32_e64 s[4:5], |v1|, s12
	s_nop 0
	v_cndmask_b32_e64 v18, v18, v2, s[2:3]
	v_cmp_gt_f32_e64 s[2:3], s13, v0
	v_mul_f32_e32 v2, 0x3f317217, v1
	v_fma_f32 v2, v1, s11, -v2
	v_cndmask_b32_e64 v20, 1.0, v10, s[2:3]
	v_mul_f32_e32 v0, v0, v20
	v_log_f32_e32 v0, v0
	v_fmac_f32_e32 v2, 0x3377d1cf, v1
	v_fmac_f32_e32 v2, 0x3f317217, v1
	v_cndmask_b32_e64 v1, v1, v2, s[4:5]
	v_cndmask_b32_e32 v2, 0, v7, vcc
	v_sub_f32_e32 v1, v1, v2
	v_mul_f32_e32 v2, 0x3f317217, v0
	v_fma_f32 v2, v0, s11, -v2
	v_fmac_f32_e32 v2, 0x3377d1cf, v0
	v_fmac_f32_e32 v2, 0x3f317217, v0
	v_cmp_lt_f32_e64 vcc, |v0|, s12
	s_nop 1
	v_cndmask_b32_e32 v0, v0, v2, vcc
	v_cmp_lt_f32_e32 vcc, s9, v23
	v_cndmask_b32_e64 v2, 0, v7, s[2:3]
	v_sub_f32_e32 v0, v0, v2
	v_cndmask_b32_e32 v1, v1, v23, vcc
	v_mul_f32_e32 v20, 0x4f800000, v1
	v_cmp_gt_f32_e32 vcc, s10, v1
	v_cmp_lt_f32_e64 s[2:3], s9, v22
	s_nop 0
	v_cndmask_b32_e32 v1, v1, v20, vcc
	v_sqrt_f32_e32 v20, v1
	v_cndmask_b32_e64 v0, v0, v22, s[2:3]
	v_add_u32_e32 v2, -1, v20
	v_fma_f32 v21, -v2, v20, v1
	v_cmp_ge_f32_e64 s[2:3], 0, v21
	v_add_u32_e32 v21, 1, v20
	s_nop 0
	v_cndmask_b32_e64 v2, v20, v2, s[2:3]
	v_fma_f32 v20, -v21, v20, v1
	v_cmp_lt_f32_e64 s[2:3], 0, v20
	s_nop 1
	v_cndmask_b32_e64 v2, v2, v21, s[2:3]
	v_mul_f32_e32 v21, 0x4f800000, v0
	v_cmp_gt_f32_e64 s[2:3], s10, v0
	v_mul_f32_e32 v20, 0x37800000, v2
	v_cndmask_b32_e32 v2, v2, v20, vcc
	v_cndmask_b32_e64 v22, v0, v21, s[2:3]
	v_sqrt_f32_e32 v0, v22
	v_cmp_class_f32_e32 vcc, v1, v3
	v_add_u32_e32 v20, 1, v0
	s_nop 0
	v_cndmask_b32_e32 v21, v2, v1, vcc
	v_add_u32_e32 v1, -1, v0
	v_fma_f32 v2, -v1, v0, v22
	v_cmp_ge_f32_e32 vcc, 0, v2
	v_fma_f32 v23, -v20, v0, v22
	s_nop 0
	v_cndmask_b32_e32 v2, v0, v1, vcc
	v_mul_f32_e32 v0, 0x3fb8aa3b, v28
	v_mul_f32_e32 v1, 0x3fb8aa3b, v27
	v_exp_f32_e32 v0, v0
	v_exp_f32_e32 v1, v1
	v_cmp_lt_f32_e32 vcc, 0, v23
	v_pk_add_f32 v[0:1], v[0:1], 1.0 op_sel_hi:[1,0]
	s_nop 0
	v_cndmask_b32_e32 v2, v2, v20, vcc
	v_mul_f32_e32 v20, 0x37800000, v2
	v_cmp_gt_f32_e32 vcc, s13, v1
	v_cndmask_b32_e64 v2, v2, v20, s[2:3]
	v_cmp_class_f32_e64 s[2:3], v22, v3
	v_cndmask_b32_e32 v20, 1.0, v10, vcc
	v_mul_f32_e32 v1, v1, v20
	v_log_f32_e32 v1, v1
	v_cndmask_b32_e64 v20, v2, v22, s[2:3]
	v_cmp_gt_f32_e64 s[2:3], s13, v0
	scratch_store_dwordx4 off, v[18:21], off offset:16
	v_mul_f32_e32 v2, 0x3f317217, v1
	v_fma_f32 v2, v1, s11, -v2
	v_cndmask_b32_e64 v18, 1.0, v10, s[2:3]
	v_mul_f32_e32 v0, v0, v18
	v_log_f32_e32 v0, v0
	v_fmac_f32_e32 v2, 0x3377d1cf, v1
	v_fmac_f32_e32 v2, 0x3f317217, v1
	v_cmp_lt_f32_e64 s[4:5], |v1|, s12
	s_nop 1
	v_cndmask_b32_e64 v1, v1, v2, s[4:5]
	v_cndmask_b32_e32 v2, 0, v7, vcc
	v_sub_f32_e32 v1, v1, v2
	v_mul_f32_e32 v2, 0x3f317217, v0
	v_fma_f32 v2, v0, s11, -v2
	v_fmac_f32_e32 v2, 0x3377d1cf, v0
	v_fmac_f32_e32 v2, 0x3f317217, v0
	v_cmp_lt_f32_e64 vcc, |v0|, s12
	s_nop 1
	v_cndmask_b32_e32 v0, v0, v2, vcc
	v_cmp_lt_f32_e32 vcc, s9, v27
	v_cndmask_b32_e64 v2, 0, v7, s[2:3]
	v_sub_f32_e32 v0, v0, v2
	v_cndmask_b32_e32 v1, v1, v27, vcc
	v_mul_f32_e32 v18, 0x4f800000, v1
	v_cmp_gt_f32_e32 vcc, s10, v1
	v_cmp_lt_f32_e64 s[2:3], s9, v28
	s_nop 0
	v_cndmask_b32_e32 v1, v1, v18, vcc
	v_sqrt_f32_e32 v18, v1
	v_cndmask_b32_e64 v0, v0, v28, s[2:3]
	v_add_u32_e32 v2, -1, v18
	v_fma_f32 v19, -v2, v18, v1
	v_cmp_ge_f32_e64 s[2:3], 0, v19
	v_add_u32_e32 v19, 1, v18
	s_nop 0
	v_cndmask_b32_e64 v2, v18, v2, s[2:3]
	v_fma_f32 v18, -v19, v18, v1
	v_cmp_lt_f32_e64 s[2:3], 0, v18
	s_nop 1
	v_cndmask_b32_e64 v2, v2, v19, s[2:3]
	v_mul_f32_e32 v19, 0x4f800000, v0
	v_cmp_gt_f32_e64 s[2:3], s10, v0
	v_mul_f32_e32 v18, 0x37800000, v2
	v_cndmask_b32_e32 v2, v2, v18, vcc
	v_cndmask_b32_e64 v20, v0, v19, s[2:3]
	v_sqrt_f32_e32 v0, v20
	v_cmp_class_f32_e32 vcc, v1, v3
	v_add_u32_e32 v18, 1, v0
	s_nop 0
	v_cndmask_b32_e32 v19, v2, v1, vcc
	v_add_u32_e32 v1, -1, v0
	v_fma_f32 v2, -v1, v0, v20
	v_cmp_ge_f32_e32 vcc, 0, v2
	v_fma_f32 v21, -v18, v0, v20
	s_nop 0
	v_cndmask_b32_e32 v2, v0, v1, vcc
	v_mul_f32_e32 v0, 0x3fb8aa3b, v16
	v_mul_f32_e32 v1, 0x3fb8aa3b, v17
	v_exp_f32_e32 v0, v0
	v_exp_f32_e32 v1, v1
	v_cmp_lt_f32_e32 vcc, 0, v21
	v_pk_add_f32 v[0:1], v[0:1], 1.0 op_sel_hi:[1,0]
	s_nop 0
	v_cndmask_b32_e32 v2, v2, v18, vcc
	v_cmp_gt_f32_e32 vcc, s13, v1
	v_mul_f32_e32 v18, 0x37800000, v2
	v_cndmask_b32_e64 v2, v2, v18, s[2:3]
	v_cndmask_b32_e32 v21, 1.0, v10, vcc
	v_mul_f32_e32 v1, v1, v21
	v_log_f32_e32 v1, v1
	v_cmp_class_f32_e64 s[2:3], v20, v3
	v_cmp_lt_f32_e64 s[4:5], |v1|, s12
	s_nop 0
	v_cndmask_b32_e64 v18, v2, v20, s[2:3]
	v_cmp_gt_f32_e64 s[2:3], s13, v0
	v_mul_f32_e32 v2, 0x3f317217, v1
	v_fma_f32 v2, v1, s11, -v2
	v_cndmask_b32_e64 v20, 1.0, v10, s[2:3]
	v_mul_f32_e32 v0, v0, v20
	v_log_f32_e32 v0, v0
	v_fmac_f32_e32 v2, 0x3377d1cf, v1
	v_fmac_f32_e32 v2, 0x3f317217, v1
	v_cndmask_b32_e64 v1, v1, v2, s[4:5]
	v_cndmask_b32_e32 v2, 0, v7, vcc
	v_sub_f32_e32 v1, v1, v2
	v_mul_f32_e32 v2, 0x3f317217, v0
	v_fma_f32 v2, v0, s11, -v2
	v_fmac_f32_e32 v2, 0x3377d1cf, v0
	v_fmac_f32_e32 v2, 0x3f317217, v0
	v_cmp_lt_f32_e64 vcc, |v0|, s12
	s_nop 1
	v_cndmask_b32_e32 v0, v0, v2, vcc
	v_cmp_lt_f32_e32 vcc, s9, v17
	v_cndmask_b32_e64 v2, 0, v7, s[2:3]
	v_sub_f32_e32 v0, v0, v2
	v_cndmask_b32_e32 v1, v1, v17, vcc
	v_mul_f32_e32 v17, 0x4f800000, v1
	v_cmp_gt_f32_e32 vcc, s10, v1
	v_cmp_lt_f32_e64 s[2:3], s9, v16
	s_nop 0
	v_cndmask_b32_e32 v1, v1, v17, vcc
	v_sqrt_f32_e32 v17, v1
	v_cndmask_b32_e64 v0, v0, v16, s[2:3]
	v_add_u32_e32 v2, -1, v17
	v_fma_f32 v16, -v2, v17, v1
	v_cmp_ge_f32_e64 s[2:3], 0, v16
	v_add_u32_e32 v16, 1, v17
	s_nop 0
	v_cndmask_b32_e64 v2, v17, v2, s[2:3]
	v_fma_f32 v17, -v16, v17, v1
	v_cmp_lt_f32_e64 s[2:3], 0, v17
	v_mul_f32_e32 v17, 0x4f800000, v0
	s_nop 0
	v_cndmask_b32_e64 v2, v2, v16, s[2:3]
	v_cmp_gt_f32_e64 s[2:3], s10, v0
	v_mul_f32_e32 v16, 0x37800000, v2
	v_cndmask_b32_e32 v2, v2, v16, vcc
	v_cndmask_b32_e64 v17, v0, v17, s[2:3]
	v_sqrt_f32_e32 v0, v17
	v_cmp_class_f32_e32 vcc, v1, v3
	v_add_u32_e32 v16, 1, v0
	s_nop 0
	v_cndmask_b32_e32 v21, v2, v1, vcc
	v_add_u32_e32 v1, -1, v0
	v_fma_f32 v2, -v1, v0, v17
	v_cmp_ge_f32_e32 vcc, 0, v2
	v_fma_f32 v20, -v16, v0, v17
	s_nop 0
	v_cndmask_b32_e32 v2, v0, v1, vcc
	v_mul_f32_e32 v0, 0x3fb8aa3b, v14
	v_mul_f32_e32 v1, 0x3fb8aa3b, v15
	v_exp_f32_e32 v0, v0
	v_exp_f32_e32 v1, v1
	v_cmp_lt_f32_e32 vcc, 0, v20
	v_pk_add_f32 v[0:1], v[0:1], 1.0 op_sel_hi:[1,0]
	s_nop 0
	v_cndmask_b32_e32 v2, v2, v16, vcc
	v_mul_f32_e32 v16, 0x37800000, v2
	v_cmp_gt_f32_e32 vcc, s13, v1
	v_cndmask_b32_e64 v2, v2, v16, s[2:3]
	v_cmp_class_f32_e64 s[2:3], v17, v3
	v_cndmask_b32_e32 v16, 1.0, v10, vcc
	v_mul_f32_e32 v1, v1, v16
	v_log_f32_e32 v1, v1
	v_cndmask_b32_e64 v20, v2, v17, s[2:3]
	v_cmp_gt_f32_e64 s[2:3], s13, v0
	scratch_store_dwordx4 off, v[18:21], off offset:32
	v_mul_f32_e32 v2, 0x3f317217, v1
	v_cndmask_b32_e64 v16, 1.0, v10, s[2:3]
	v_mul_f32_e32 v0, v0, v16
	v_fma_f32 v2, v1, s11, -v2
	v_log_f32_e32 v0, v0
	v_fmac_f32_e32 v2, 0x3377d1cf, v1
	v_fmac_f32_e32 v2, 0x3f317217, v1
	v_cmp_lt_f32_e64 s[4:5], |v1|, s12
	s_nop 1
	v_cndmask_b32_e64 v1, v1, v2, s[4:5]
	v_cndmask_b32_e32 v2, 0, v7, vcc
	v_sub_f32_e32 v1, v1, v2
	v_mul_f32_e32 v2, 0x3f317217, v0
	v_fma_f32 v2, v0, s11, -v2
	v_fmac_f32_e32 v2, 0x3377d1cf, v0
	v_fmac_f32_e32 v2, 0x3f317217, v0
	v_cmp_lt_f32_e64 vcc, |v0|, s12
	s_nop 1
	v_cndmask_b32_e32 v0, v0, v2, vcc
	v_cmp_lt_f32_e32 vcc, s9, v15
	v_cndmask_b32_e64 v2, 0, v7, s[2:3]
	v_sub_f32_e32 v0, v0, v2
	v_cndmask_b32_e32 v1, v1, v15, vcc
	v_mul_f32_e32 v15, 0x4f800000, v1
	v_cmp_gt_f32_e32 vcc, s10, v1
	v_cmp_lt_f32_e64 s[2:3], s9, v14
	s_nop 0
	v_cndmask_b32_e32 v1, v1, v15, vcc
	v_sqrt_f32_e32 v15, v1
	v_cndmask_b32_e64 v0, v0, v14, s[2:3]
	v_add_u32_e32 v2, -1, v15
	v_fma_f32 v14, -v2, v15, v1
	v_cmp_ge_f32_e64 s[2:3], 0, v14
	v_add_u32_e32 v14, 1, v15
	s_nop 0
	v_cndmask_b32_e64 v2, v15, v2, s[2:3]
	v_fma_f32 v15, -v14, v15, v1
	v_cmp_lt_f32_e64 s[2:3], 0, v15
	v_mul_f32_e32 v15, 0x4f800000, v0
	s_nop 0
	v_cndmask_b32_e64 v2, v2, v14, s[2:3]
	v_cmp_gt_f32_e64 s[2:3], s10, v0
	v_mul_f32_e32 v14, 0x37800000, v2
	v_cndmask_b32_e32 v2, v2, v14, vcc
	v_cndmask_b32_e64 v16, v0, v15, s[2:3]
	v_sqrt_f32_e32 v0, v16
	v_cmp_class_f32_e32 vcc, v1, v3
	v_add_u32_e32 v14, 1, v0
	s_nop 0
	v_cndmask_b32_e32 v15, v2, v1, vcc
	v_add_u32_e32 v1, -1, v0
	v_fma_f32 v2, -v1, v0, v16
	v_cmp_ge_f32_e32 vcc, 0, v2
	v_fma_f32 v17, -v14, v0, v16
	s_nop 0
	v_cndmask_b32_e32 v2, v0, v1, vcc
	v_mul_f32_e32 v0, 0x3fb8aa3b, v11
	v_mul_f32_e32 v1, 0x3fb8aa3b, v13
	v_exp_f32_e32 v0, v0
	v_exp_f32_e32 v1, v1
	v_cmp_lt_f32_e32 vcc, 0, v17
	v_pk_add_f32 v[0:1], v[0:1], 1.0 op_sel_hi:[1,0]
	s_nop 0
	v_cndmask_b32_e32 v2, v2, v14, vcc
	v_cmp_gt_f32_e32 vcc, s13, v1
	v_mul_f32_e32 v14, 0x37800000, v2
	v_cndmask_b32_e64 v2, v2, v14, s[2:3]
	v_cndmask_b32_e32 v17, 1.0, v10, vcc
	v_mul_f32_e32 v1, v1, v17
	v_log_f32_e32 v1, v1
	v_cmp_class_f32_e64 s[2:3], v16, v3
	v_cmp_lt_f32_e64 s[4:5], |v1|, s12
	s_nop 0
	v_cndmask_b32_e64 v14, v2, v16, s[2:3]
	v_cmp_gt_f32_e64 s[2:3], s13, v0
	v_mul_f32_e32 v2, 0x3f317217, v1
	v_fma_f32 v2, v1, s11, -v2
	v_cndmask_b32_e64 v10, 1.0, v10, s[2:3]
	v_mul_f32_e32 v0, v0, v10
	v_log_f32_e32 v0, v0
	v_fmac_f32_e32 v2, 0x3377d1cf, v1
	v_fmac_f32_e32 v2, 0x3f317217, v1
	v_cndmask_b32_e64 v1, v1, v2, s[4:5]
	v_cndmask_b32_e32 v2, 0, v7, vcc
	v_sub_f32_e32 v1, v1, v2
	v_mul_f32_e32 v2, 0x3f317217, v0
	v_fma_f32 v2, v0, s11, -v2
	v_fmac_f32_e32 v2, 0x3377d1cf, v0
	v_fmac_f32_e32 v2, 0x3f317217, v0
	v_cmp_lt_f32_e64 vcc, |v0|, s12
	s_cselect_b64 s[4:5], -1, 0
	s_cmp_lt_i32 s33, 1
	v_cndmask_b32_e32 v0, v0, v2, vcc
	v_cmp_lt_f32_e32 vcc, s9, v13
	v_cndmask_b32_e64 v2, 0, v7, s[2:3]
	v_sub_f32_e32 v0, v0, v2
	v_cndmask_b32_e32 v1, v1, v13, vcc
	v_mul_f32_e32 v7, 0x4f800000, v1
	v_cmp_gt_f32_e32 vcc, s10, v1
	v_cmp_lt_f32_e64 s[2:3], s9, v11
	s_nop 0
	v_cndmask_b32_e32 v1, v1, v7, vcc
	v_sqrt_f32_e32 v7, v1
	v_cndmask_b32_e64 v0, v0, v11, s[2:3]
	v_add_u32_e32 v2, -1, v7
	v_fma_f32 v10, -v2, v7, v1
	v_cmp_ge_f32_e64 s[2:3], 0, v10
	v_add_u32_e32 v10, 1, v7
	s_nop 0
	v_cndmask_b32_e64 v2, v7, v2, s[2:3]
	v_fma_f32 v7, -v10, v7, v1
	v_cmp_lt_f32_e64 s[2:3], 0, v7
	s_nop 1
	v_cndmask_b32_e64 v2, v2, v10, s[2:3]
	v_mul_f32_e32 v10, 0x4f800000, v0
	v_cmp_gt_f32_e64 s[2:3], s10, v0
	v_mul_f32_e32 v7, 0x37800000, v2
	v_cndmask_b32_e32 v2, v2, v7, vcc
	v_cndmask_b32_e64 v0, v0, v10, s[2:3]
	v_sqrt_f32_e32 v10, v0
	v_cmp_class_f32_e32 vcc, v1, v3
	s_nop 1
	v_cndmask_b32_e32 v17, v2, v1, vcc
	v_add_u32_e32 v1, -1, v10
	v_fma_f32 v2, -v1, v10, v0
	v_cmp_ge_f32_e32 vcc, 0, v2
	v_add_u32_e32 v2, 1, v10
	v_fma_f32 v7, -v2, v10, v0
	v_cndmask_b32_e32 v1, v10, v1, vcc
	v_cmp_lt_f32_e32 vcc, 0, v7
	s_nop 1
	v_cndmask_b32_e32 v1, v1, v2, vcc
	v_mul_f32_e32 v2, 0x37800000, v1
	v_cndmask_b32_e64 v1, v1, v2, s[2:3]
	v_cmp_class_f32_e32 vcc, v0, v3
	v_mul_lo_u32 v2, v6, s33
	s_nop 0
	v_cndmask_b32_e32 v16, v1, v0, vcc
	v_lshl_add_u64 v[0:1], v[4:5], 2, v[8:9]
	scratch_store_dwordx4 off, v[14:17], off offset:48
	s_cbranch_scc1 .LBB458_29
; %bb.2:
	s_load_dwordx2 s[6:7], s[0:1], 0x20
	s_cmp_lt_u32 s33, 4
	v_mul_lo_u32 v6, v6, s33
	s_cbranch_scc1 .LBB458_21
; %bb.3:
	s_mov_b32 s11, 0
	s_and_b32 s8, s33, 0x7ffffffc
	v_ashrrev_i32_e32 v7, 31, v6
	v_mov_b32_e32 v5, 0
	s_mov_b32 s10, s11
	s_branch .LBB458_5
.LBB458_4:                              ;   in Loop: Header=BB458_5 Depth=1
	s_or_b64 exec, exec, s[12:13]
	s_add_i32 s10, s10, 4
	s_cmp_eq_u32 s10, s8
	s_cbranch_scc1 .LBB458_22
.LBB458_5:                              ; =>This Loop Header: Depth=1
                                        ;     Child Loop BB458_7 Depth 2
                                        ;     Child Loop BB458_11 Depth 2
	;; [unrolled: 1-line block ×4, first 2 shown]
	v_lshl_add_u64 v[8:9], s[10:11], 2, v[0:1]
	global_load_dword v3, v[8:9], off
	v_add_u32_e32 v10, s10, v6
	v_ashrrev_i32_e32 v11, 31, v10
	s_waitcnt lgkmcnt(0)
	v_lshl_add_u64 v[10:11], v[10:11], 2, s[6:7]
	v_mov_b32_e32 v4, 0
	s_mov_b64 s[12:13], 0
	s_mov_b32 s9, 0
	s_mov_b32 s16, 0
	s_branch .LBB458_7
.LBB458_6:                              ;   in Loop: Header=BB458_7 Depth=2
	s_or_b64 exec, exec, s[14:15]
	s_add_i32 s17, s16, 1
	s_cmp_gt_u32 s16, 14
	s_cselect_b64 s[2:3], -1, 0
	s_xor_b64 s[14:15], vcc, -1
	s_or_b64 s[2:3], s[14:15], s[2:3]
	s_add_i32 s9, s9, 32
	s_and_b64 s[2:3], exec, s[2:3]
	v_add_u32_e32 v4, 4, v4
	s_or_b64 s[12:13], s[2:3], s[12:13]
	s_mov_b32 s16, s17
	s_andn2_b64 exec, exec, s[12:13]
	s_cbranch_execz .LBB458_9
.LBB458_7:                              ;   Parent Loop BB458_5 Depth=1
                                        ; =>  This Inner Loop Header: Depth=2
	s_and_b32 s2, s16, 7
	s_and_b32 s3, s9, 0x100
	s_or_b32 s2, s2, s3
	v_or_b32_e32 v13, s2, v12
	s_waitcnt vmcnt(0)
	v_cmp_ne_u32_e32 vcc, v3, v13
	v_cmp_eq_u32_e64 s[2:3], v3, v13
	s_and_saveexec_b64 s[14:15], s[2:3]
	s_cbranch_execz .LBB458_6
; %bb.8:                                ;   in Loop: Header=BB458_7 Depth=2
	scratch_load_dword v13, v4, off
	s_waitcnt vmcnt(0)
	v_add_f32_e32 v5, v5, v13
	global_store_dword v[10:11], v3, off
	s_branch .LBB458_6
.LBB458_9:                              ;   in Loop: Header=BB458_5 Depth=1
	s_or_b64 exec, exec, s[12:13]
	global_load_dword v3, v[8:9], off offset:4
	s_ashr_i32 s3, s10, 31
	s_mov_b32 s2, s10
	v_lshl_add_u64 v[10:11], s[2:3], 0, v[6:7]
	v_lshl_add_u64 v[10:11], v[10:11], 2, s[6:7]
	v_mov_b32_e32 v4, 0
	s_mov_b32 s9, 0
	s_mov_b64 s[12:13], 0
	s_mov_b32 s16, 0
	s_branch .LBB458_11
.LBB458_10:                             ;   in Loop: Header=BB458_11 Depth=2
	s_or_b64 exec, exec, s[14:15]
	s_add_i32 s17, s16, 1
	s_cmp_gt_u32 s16, 14
	s_cselect_b64 s[2:3], -1, 0
	s_xor_b64 s[14:15], vcc, -1
	s_or_b64 s[2:3], s[14:15], s[2:3]
	s_add_i32 s9, s9, 32
	s_and_b64 s[2:3], exec, s[2:3]
	v_add_u32_e32 v4, 4, v4
	s_or_b64 s[12:13], s[2:3], s[12:13]
	s_mov_b32 s16, s17
	s_andn2_b64 exec, exec, s[12:13]
	s_cbranch_execz .LBB458_13
.LBB458_11:                             ;   Parent Loop BB458_5 Depth=1
                                        ; =>  This Inner Loop Header: Depth=2
	s_and_b32 s2, s16, 7
	s_and_b32 s3, s9, 0x100
	s_or_b32 s2, s2, s3
	v_or_b32_e32 v13, s2, v12
	s_waitcnt vmcnt(0)
	v_cmp_ne_u32_e32 vcc, v3, v13
	v_cmp_eq_u32_e64 s[2:3], v3, v13
	s_and_saveexec_b64 s[14:15], s[2:3]
	s_cbranch_execz .LBB458_10
; %bb.12:                               ;   in Loop: Header=BB458_11 Depth=2
	scratch_load_dword v13, v4, off
	s_waitcnt vmcnt(0)
	v_add_f32_e32 v5, v5, v13
	global_store_dword v[10:11], v3, off offset:4
	s_branch .LBB458_10
.LBB458_13:                             ;   in Loop: Header=BB458_5 Depth=1
	s_or_b64 exec, exec, s[12:13]
	global_load_dword v3, v[8:9], off offset:8
	v_mov_b32_e32 v4, 0
	s_mov_b32 s9, 0
	s_mov_b64 s[12:13], 0
	s_mov_b32 s16, 0
	s_branch .LBB458_15
.LBB458_14:                             ;   in Loop: Header=BB458_15 Depth=2
	s_or_b64 exec, exec, s[14:15]
	s_add_i32 s17, s16, 1
	s_cmp_gt_u32 s16, 14
	s_cselect_b64 s[2:3], -1, 0
	s_xor_b64 s[14:15], vcc, -1
	s_or_b64 s[2:3], s[14:15], s[2:3]
	s_add_i32 s9, s9, 32
	s_and_b64 s[2:3], exec, s[2:3]
	v_add_u32_e32 v4, 4, v4
	s_or_b64 s[12:13], s[2:3], s[12:13]
	s_mov_b32 s16, s17
	s_andn2_b64 exec, exec, s[12:13]
	s_cbranch_execz .LBB458_17
.LBB458_15:                             ;   Parent Loop BB458_5 Depth=1
                                        ; =>  This Inner Loop Header: Depth=2
	s_and_b32 s2, s16, 7
	s_and_b32 s3, s9, 0x100
	s_or_b32 s2, s2, s3
	v_or_b32_e32 v13, s2, v12
	s_waitcnt vmcnt(0)
	v_cmp_ne_u32_e32 vcc, v3, v13
	v_cmp_eq_u32_e64 s[2:3], v3, v13
	s_and_saveexec_b64 s[14:15], s[2:3]
	s_cbranch_execz .LBB458_14
; %bb.16:                               ;   in Loop: Header=BB458_15 Depth=2
	scratch_load_dword v13, v4, off
	s_waitcnt vmcnt(0)
	v_add_f32_e32 v5, v5, v13
	global_store_dword v[10:11], v3, off offset:8
	s_branch .LBB458_14
.LBB458_17:                             ;   in Loop: Header=BB458_5 Depth=1
	s_or_b64 exec, exec, s[12:13]
	global_load_dword v3, v[8:9], off offset:12
	v_mov_b32_e32 v4, 0
	s_mov_b32 s9, 0
	s_mov_b64 s[12:13], 0
	s_mov_b32 s16, 0
	s_branch .LBB458_19
.LBB458_18:                             ;   in Loop: Header=BB458_19 Depth=2
	s_or_b64 exec, exec, s[14:15]
	s_add_i32 s17, s16, 1
	s_cmp_gt_u32 s16, 14
	s_cselect_b64 s[2:3], -1, 0
	s_xor_b64 s[14:15], vcc, -1
	s_or_b64 s[2:3], s[14:15], s[2:3]
	s_add_i32 s9, s9, 32
	s_and_b64 s[2:3], exec, s[2:3]
	v_add_u32_e32 v4, 4, v4
	s_or_b64 s[12:13], s[2:3], s[12:13]
	s_mov_b32 s16, s17
	s_andn2_b64 exec, exec, s[12:13]
	s_cbranch_execz .LBB458_4
.LBB458_19:                             ;   Parent Loop BB458_5 Depth=1
                                        ; =>  This Inner Loop Header: Depth=2
	s_and_b32 s2, s16, 7
	s_and_b32 s3, s9, 0x100
	s_or_b32 s2, s2, s3
	v_or_b32_e32 v8, s2, v12
	s_waitcnt vmcnt(0)
	v_cmp_ne_u32_e32 vcc, v3, v8
	v_cmp_eq_u32_e64 s[2:3], v3, v8
	s_and_saveexec_b64 s[14:15], s[2:3]
	s_cbranch_execz .LBB458_18
; %bb.20:                               ;   in Loop: Header=BB458_19 Depth=2
	scratch_load_dword v8, v4, off
	s_waitcnt vmcnt(0)
	v_add_f32_e32 v5, v5, v8
	global_store_dword v[10:11], v3, off offset:12
	s_branch .LBB458_18
.LBB458_21:
	v_mov_b32_e32 v5, 0
.LBB458_22:
	s_and_b32 s14, s33, 3
	s_cmp_eq_u32 s14, 0
	s_mov_b32 s9, 0
	s_cbranch_scc1 .LBB458_29
; %bb.23:
	s_mov_b32 s15, s9
	s_branch .LBB458_25
.LBB458_24:                             ;   in Loop: Header=BB458_25 Depth=1
	s_or_b64 exec, exec, s[10:11]
	s_add_i32 s8, s8, 1
	s_add_i32 s15, s15, 1
	s_cmp_lg_u32 s15, s14
	s_cbranch_scc0 .LBB458_29
.LBB458_25:                             ; =>This Loop Header: Depth=1
                                        ;     Child Loop BB458_27 Depth 2
	v_lshl_add_u64 v[8:9], s[8:9], 2, v[0:1]
	global_load_dword v3, v[8:9], off
	v_add_u32_e32 v8, s8, v6
	v_ashrrev_i32_e32 v9, 31, v8
	s_waitcnt lgkmcnt(0)
	v_lshl_add_u64 v[8:9], v[8:9], 2, s[6:7]
	v_mov_b32_e32 v4, 0
	s_mov_b32 s16, 0
	s_mov_b64 s[10:11], 0
	s_mov_b32 s17, 0
	s_branch .LBB458_27
.LBB458_26:                             ;   in Loop: Header=BB458_27 Depth=2
	s_or_b64 exec, exec, s[12:13]
	s_add_i32 s18, s17, 1
	s_cmp_gt_u32 s17, 14
	s_cselect_b64 s[2:3], -1, 0
	s_xor_b64 s[12:13], vcc, -1
	s_or_b64 s[2:3], s[12:13], s[2:3]
	s_add_i32 s16, s16, 32
	s_and_b64 s[2:3], exec, s[2:3]
	v_add_u32_e32 v4, 4, v4
	s_or_b64 s[10:11], s[2:3], s[10:11]
	s_mov_b32 s17, s18
	s_andn2_b64 exec, exec, s[10:11]
	s_cbranch_execz .LBB458_24
.LBB458_27:                             ;   Parent Loop BB458_25 Depth=1
                                        ; =>  This Inner Loop Header: Depth=2
	s_and_b32 s2, s17, 7
	s_and_b32 s3, s16, 0x100
	s_or_b32 s2, s2, s3
	v_or_b32_e32 v7, s2, v12
	s_waitcnt vmcnt(0)
	v_cmp_ne_u32_e32 vcc, v3, v7
	v_cmp_eq_u32_e64 s[2:3], v3, v7
	s_and_saveexec_b64 s[12:13], s[2:3]
	s_cbranch_execz .LBB458_26
; %bb.28:                               ;   in Loop: Header=BB458_27 Depth=2
	scratch_load_dword v7, v4, off
	s_waitcnt vmcnt(0)
	v_add_f32_e32 v5, v5, v7
	global_store_dword v[8:9], v3, off
	s_branch .LBB458_26
.LBB458_29:
	s_waitcnt lgkmcnt(0)
	s_load_dword s6, s[0:1], 0x3c
	s_waitcnt lgkmcnt(0)
	s_bitcmp1_b32 s6, 0
	s_cselect_b64 s[2:3], -1, 0
	s_bitcmp0_b32 s6, 0
	s_cbranch_scc0 .LBB458_32
; %bb.30:
	s_load_dwordx2 s[6:7], s[0:1], 0x40
	s_andn2_b64 vcc, exec, s[2:3]
	s_waitcnt lgkmcnt(0)
	v_cvt_f32_f64_e32 v4, s[6:7]
	s_cbranch_vccz .LBB458_33
.LBB458_31:
	s_andn2_b64 vcc, exec, s[4:5]
	s_cbranch_vccz .LBB458_34
	s_branch .LBB458_68
.LBB458_32:
	v_mbcnt_lo_u32_b32 v3, -1, 0
	v_mbcnt_hi_u32_b32 v3, -1, v3
	v_and_b32_e32 v4, 0x60, v3
	v_add_u32_e32 v4, 32, v4
	v_xor_b32_e32 v6, 16, v3
	v_cmp_lt_i32_e32 vcc, v6, v4
	v_xor_b32_e32 v7, 8, v3
	s_nop 0
	v_cndmask_b32_e32 v6, v3, v6, vcc
	v_lshlrev_b32_e32 v6, 2, v6
	ds_bpermute_b32 v6, v6, v5
	v_cmp_lt_i32_e32 vcc, v7, v4
	s_waitcnt lgkmcnt(0)
	v_add_f32_e32 v5, v5, v6
	v_cndmask_b32_e32 v6, v3, v7, vcc
	v_lshlrev_b32_e32 v6, 2, v6
	ds_bpermute_b32 v6, v6, v5
	v_xor_b32_e32 v7, 4, v3
	v_cmp_lt_i32_e32 vcc, v7, v4
	s_waitcnt lgkmcnt(0)
	v_add_f32_e32 v5, v5, v6
	v_cndmask_b32_e32 v6, v3, v7, vcc
	v_lshlrev_b32_e32 v6, 2, v6
	ds_bpermute_b32 v6, v6, v5
	v_xor_b32_e32 v7, 2, v3
	;; [unrolled: 7-line block ×3, first 2 shown]
	v_cmp_lt_i32_e32 vcc, v7, v4
	s_waitcnt lgkmcnt(0)
	v_add_f32_e32 v5, v5, v6
	v_cndmask_b32_e32 v3, v3, v7, vcc
	v_lshlrev_b32_e32 v3, 2, v3
	ds_bpermute_b32 v3, v3, v5
	s_waitcnt lgkmcnt(0)
	v_add_f32_e32 v5, v5, v3
	s_load_dwordx2 s[6:7], s[0:1], 0x40
	s_andn2_b64 vcc, exec, s[2:3]
	s_waitcnt lgkmcnt(0)
	v_cvt_f32_f64_e32 v4, s[6:7]
	s_cbranch_vccnz .LBB458_31
.LBB458_33:
	v_cmp_lt_f32_e32 vcc, 0, v5
	s_nop 1
	v_cndmask_b32_e32 v3, 1.0, v5, vcc
	v_div_scale_f32 v5, s[2:3], v3, v3, v4
	v_rcp_f32_e32 v6, v5
	s_nop 0
	v_fma_f32 v7, -v5, v6, 1.0
	v_fmac_f32_e32 v6, v7, v6
	v_div_scale_f32 v7, vcc, v4, v3, v4
	v_mul_f32_e32 v8, v7, v6
	v_fma_f32 v9, -v5, v8, v7
	v_fmac_f32_e32 v8, v9, v6
	v_fma_f32 v5, -v5, v8, v7
	v_div_fmas_f32 v5, v5, v6, v8
	v_div_fixup_f32 v4, v5, v3, v4
	s_andn2_b64 vcc, exec, s[4:5]
	s_cbranch_vccnz .LBB458_68
.LBB458_34:
	s_load_dwordx2 s[28:29], s[0:1], 0x10
	v_mov_b32_e32 v3, 0
	v_or_b32_e32 v5, 4, v3
	v_or_b32_e32 v6, 8, v3
	v_or_b32_e32 v7, 12, v3
	v_add_u32_e32 v8, 16, v3
	v_add_u32_e32 v9, 20, v3
	;; [unrolled: 1-line block ×12, first 2 shown]
	v_or_b32_e32 v21, 1, v12
	v_or_b32_e32 v22, 2, v12
	;; [unrolled: 1-line block ×15, first 2 shown]
	s_branch .LBB458_36
.LBB458_35:                             ;   in Loop: Header=BB458_36 Depth=1
	s_or_b64 exec, exec, s[0:1]
	s_add_i32 s33, s33, -1
	v_add_u32_e32 v2, 1, v2
	s_cmp_eq_u32 s33, 0
	v_lshl_add_u64 v[0:1], v[0:1], 0, 4
	s_cbranch_scc1 .LBB458_68
.LBB458_36:                             ; =>This Inner Loop Header: Depth=1
	global_load_dword v36, v[0:1], off
	v_mov_b32_e32 v3, 0
	s_waitcnt vmcnt(0)
	v_cmp_eq_u32_e32 vcc, v36, v12
	v_cmp_ne_u32_e64 s[0:1], v36, v12
	s_and_saveexec_b64 s[30:31], s[0:1]
	s_cbranch_execz .LBB458_66
; %bb.37:                               ;   in Loop: Header=BB458_36 Depth=1
	v_cmp_eq_u32_e64 s[0:1], v36, v21
	v_cmp_ne_u32_e64 s[2:3], v36, v21
	v_mov_b32_e32 v3, v5
	s_and_saveexec_b64 s[34:35], s[2:3]
	s_cbranch_execz .LBB458_65
; %bb.38:                               ;   in Loop: Header=BB458_36 Depth=1
	v_cmp_eq_u32_e64 s[2:3], v36, v22
	v_cmp_ne_u32_e64 s[4:5], v36, v22
	v_mov_b32_e32 v3, v6
	;; [unrolled: 6-line block ×14, first 2 shown]
	s_and_saveexec_b64 s[62:63], s[26:27]
	s_xor_b64 s[62:63], exec, s[62:63]
; %bb.51:                               ;   in Loop: Header=BB458_36 Depth=1
	v_cmp_eq_u32_e64 s[26:27], v36, v35
	s_andn2_b64 s[60:61], s[60:61], exec
	s_and_b64 s[26:27], s[26:27], exec
	s_or_b64 s[60:61], s[60:61], s[26:27]
	v_mov_b32_e32 v3, v20
; %bb.52:                               ;   in Loop: Header=BB458_36 Depth=1
	s_or_b64 exec, exec, s[62:63]
	s_andn2_b64 s[24:25], s[24:25], exec
	s_and_b64 s[26:27], s[60:61], exec
	s_or_b64 s[24:25], s[24:25], s[26:27]
.LBB458_53:                             ;   in Loop: Header=BB458_36 Depth=1
	s_or_b64 exec, exec, s[58:59]
	s_andn2_b64 s[22:23], s[22:23], exec
	s_and_b64 s[24:25], s[24:25], exec
	s_or_b64 s[22:23], s[22:23], s[24:25]
.LBB458_54:                             ;   in Loop: Header=BB458_36 Depth=1
	s_or_b64 exec, exec, s[56:57]
	s_andn2_b64 s[20:21], s[20:21], exec
	s_and_b64 s[22:23], s[22:23], exec
	s_or_b64 s[20:21], s[20:21], s[22:23]
.LBB458_55:                             ;   in Loop: Header=BB458_36 Depth=1
	s_or_b64 exec, exec, s[54:55]
	s_andn2_b64 s[18:19], s[18:19], exec
	s_and_b64 s[20:21], s[20:21], exec
	s_or_b64 s[18:19], s[18:19], s[20:21]
.LBB458_56:                             ;   in Loop: Header=BB458_36 Depth=1
	s_or_b64 exec, exec, s[52:53]
	s_andn2_b64 s[16:17], s[16:17], exec
	s_and_b64 s[18:19], s[18:19], exec
	s_or_b64 s[16:17], s[16:17], s[18:19]
.LBB458_57:                             ;   in Loop: Header=BB458_36 Depth=1
	s_or_b64 exec, exec, s[50:51]
	s_andn2_b64 s[14:15], s[14:15], exec
	s_and_b64 s[16:17], s[16:17], exec
	s_or_b64 s[14:15], s[14:15], s[16:17]
.LBB458_58:                             ;   in Loop: Header=BB458_36 Depth=1
	s_or_b64 exec, exec, s[48:49]
	s_andn2_b64 s[12:13], s[12:13], exec
	s_and_b64 s[14:15], s[14:15], exec
	s_or_b64 s[12:13], s[12:13], s[14:15]
.LBB458_59:                             ;   in Loop: Header=BB458_36 Depth=1
	s_or_b64 exec, exec, s[46:47]
	s_andn2_b64 s[10:11], s[10:11], exec
	s_and_b64 s[12:13], s[12:13], exec
	s_or_b64 s[10:11], s[10:11], s[12:13]
.LBB458_60:                             ;   in Loop: Header=BB458_36 Depth=1
	s_or_b64 exec, exec, s[44:45]
	s_andn2_b64 s[8:9], s[8:9], exec
	s_and_b64 s[10:11], s[10:11], exec
	s_or_b64 s[8:9], s[8:9], s[10:11]
.LBB458_61:                             ;   in Loop: Header=BB458_36 Depth=1
	s_or_b64 exec, exec, s[42:43]
	s_andn2_b64 s[6:7], s[6:7], exec
	s_and_b64 s[8:9], s[8:9], exec
	s_or_b64 s[6:7], s[6:7], s[8:9]
.LBB458_62:                             ;   in Loop: Header=BB458_36 Depth=1
	s_or_b64 exec, exec, s[40:41]
	s_andn2_b64 s[4:5], s[4:5], exec
	s_and_b64 s[6:7], s[6:7], exec
	s_or_b64 s[4:5], s[4:5], s[6:7]
.LBB458_63:                             ;   in Loop: Header=BB458_36 Depth=1
	s_or_b64 exec, exec, s[38:39]
	s_andn2_b64 s[2:3], s[2:3], exec
	s_and_b64 s[4:5], s[4:5], exec
	s_or_b64 s[2:3], s[2:3], s[4:5]
.LBB458_64:                             ;   in Loop: Header=BB458_36 Depth=1
	s_or_b64 exec, exec, s[36:37]
	s_andn2_b64 s[0:1], s[0:1], exec
	s_and_b64 s[2:3], s[2:3], exec
	s_or_b64 s[0:1], s[0:1], s[2:3]
.LBB458_65:                             ;   in Loop: Header=BB458_36 Depth=1
	s_or_b64 exec, exec, s[34:35]
	s_andn2_b64 s[2:3], vcc, exec
	s_and_b64 s[0:1], s[0:1], exec
	s_or_b64 vcc, s[2:3], s[0:1]
.LBB458_66:                             ;   in Loop: Header=BB458_36 Depth=1
	s_or_b64 exec, exec, s[30:31]
	s_and_saveexec_b64 s[0:1], vcc
	s_cbranch_execz .LBB458_35
; %bb.67:                               ;   in Loop: Header=BB458_36 Depth=1
	scratch_load_dword v36, v3, off
	v_ashrrev_i32_e32 v3, 31, v2
	s_waitcnt vmcnt(0)
	v_mul_f32_e32 v38, v4, v36
	s_waitcnt lgkmcnt(0)
	v_lshl_add_u64 v[36:37], v[2:3], 2, s[28:29]
	global_store_dword v[36:37], v38, off
	s_branch .LBB458_35
.LBB458_68:
	s_endpgm
	.section	.rodata,"a",@progbits
	.p2align	6, 0x0
	.amdhsa_kernel _ZN4vllm3moe22topkGatingSoftplusSqrtILi16ELi512ELi4ELi16ELi32ELb1Ej14__hip_bfloat16EEvPKT6_PKbPfiPT5_PiiiibdPKfPKS9_SF_
		.amdhsa_group_segment_fixed_size 0
		.amdhsa_private_segment_fixed_size 80
		.amdhsa_kernarg_size 96
		.amdhsa_user_sgpr_count 2
		.amdhsa_user_sgpr_dispatch_ptr 0
		.amdhsa_user_sgpr_queue_ptr 0
		.amdhsa_user_sgpr_kernarg_segment_ptr 1
		.amdhsa_user_sgpr_dispatch_id 0
		.amdhsa_user_sgpr_kernarg_preload_length 0
		.amdhsa_user_sgpr_kernarg_preload_offset 0
		.amdhsa_user_sgpr_private_segment_size 0
		.amdhsa_uses_dynamic_stack 0
		.amdhsa_enable_private_segment 1
		.amdhsa_system_sgpr_workgroup_id_x 1
		.amdhsa_system_sgpr_workgroup_id_y 0
		.amdhsa_system_sgpr_workgroup_id_z 0
		.amdhsa_system_sgpr_workgroup_info 0
		.amdhsa_system_vgpr_workitem_id 1
		.amdhsa_next_free_vgpr 39
		.amdhsa_next_free_sgpr 64
		.amdhsa_accum_offset 40
		.amdhsa_reserve_vcc 1
		.amdhsa_float_round_mode_32 0
		.amdhsa_float_round_mode_16_64 0
		.amdhsa_float_denorm_mode_32 3
		.amdhsa_float_denorm_mode_16_64 3
		.amdhsa_dx10_clamp 1
		.amdhsa_ieee_mode 1
		.amdhsa_fp16_overflow 0
		.amdhsa_tg_split 0
		.amdhsa_exception_fp_ieee_invalid_op 0
		.amdhsa_exception_fp_denorm_src 0
		.amdhsa_exception_fp_ieee_div_zero 0
		.amdhsa_exception_fp_ieee_overflow 0
		.amdhsa_exception_fp_ieee_underflow 0
		.amdhsa_exception_fp_ieee_inexact 0
		.amdhsa_exception_int_div_zero 0
	.end_amdhsa_kernel
	.section	.text._ZN4vllm3moe22topkGatingSoftplusSqrtILi16ELi512ELi4ELi16ELi32ELb1Ej14__hip_bfloat16EEvPKT6_PKbPfiPT5_PiiiibdPKfPKS9_SF_,"axG",@progbits,_ZN4vllm3moe22topkGatingSoftplusSqrtILi16ELi512ELi4ELi16ELi32ELb1Ej14__hip_bfloat16EEvPKT6_PKbPfiPT5_PiiiibdPKfPKS9_SF_,comdat
.Lfunc_end458:
	.size	_ZN4vllm3moe22topkGatingSoftplusSqrtILi16ELi512ELi4ELi16ELi32ELb1Ej14__hip_bfloat16EEvPKT6_PKbPfiPT5_PiiiibdPKfPKS9_SF_, .Lfunc_end458-_ZN4vllm3moe22topkGatingSoftplusSqrtILi16ELi512ELi4ELi16ELi32ELb1Ej14__hip_bfloat16EEvPKT6_PKbPfiPT5_PiiiibdPKfPKS9_SF_
                                        ; -- End function
	.section	.AMDGPU.csdata,"",@progbits
; Kernel info:
; codeLenInByte = 6160
; NumSgprs: 70
; NumVgprs: 39
; NumAgprs: 0
; TotalNumVgprs: 39
; ScratchSize: 80
; MemoryBound: 0
; FloatMode: 240
; IeeeMode: 1
; LDSByteSize: 0 bytes/workgroup (compile time only)
; SGPRBlocks: 8
; VGPRBlocks: 4
; NumSGPRsForWavesPerEU: 70
; NumVGPRsForWavesPerEU: 39
; AccumOffset: 40
; Occupancy: 8
; WaveLimiterHint : 1
; COMPUTE_PGM_RSRC2:SCRATCH_EN: 1
; COMPUTE_PGM_RSRC2:USER_SGPR: 2
; COMPUTE_PGM_RSRC2:TRAP_HANDLER: 0
; COMPUTE_PGM_RSRC2:TGID_X_EN: 1
; COMPUTE_PGM_RSRC2:TGID_Y_EN: 0
; COMPUTE_PGM_RSRC2:TGID_Z_EN: 0
; COMPUTE_PGM_RSRC2:TIDIG_COMP_CNT: 1
; COMPUTE_PGM_RSRC3_GFX90A:ACCUM_OFFSET: 9
; COMPUTE_PGM_RSRC3_GFX90A:TG_SPLIT: 0
	.section	.text._ZN4vllm3moe22topkGatingSoftplusSqrtILi16ELi512ELi4ELi16ELi32ELb0Ej14__hip_bfloat16EEvPKT6_PKbPfiPT5_PiiiibdPKfPKS9_SF_,"axG",@progbits,_ZN4vllm3moe22topkGatingSoftplusSqrtILi16ELi512ELi4ELi16ELi32ELb0Ej14__hip_bfloat16EEvPKT6_PKbPfiPT5_PiiiibdPKfPKS9_SF_,comdat
	.protected	_ZN4vllm3moe22topkGatingSoftplusSqrtILi16ELi512ELi4ELi16ELi32ELb0Ej14__hip_bfloat16EEvPKT6_PKbPfiPT5_PiiiibdPKfPKS9_SF_ ; -- Begin function _ZN4vllm3moe22topkGatingSoftplusSqrtILi16ELi512ELi4ELi16ELi32ELb0Ej14__hip_bfloat16EEvPKT6_PKbPfiPT5_PiiiibdPKfPKS9_SF_
	.globl	_ZN4vllm3moe22topkGatingSoftplusSqrtILi16ELi512ELi4ELi16ELi32ELb0Ej14__hip_bfloat16EEvPKT6_PKbPfiPT5_PiiiibdPKfPKS9_SF_
	.p2align	8
	.type	_ZN4vllm3moe22topkGatingSoftplusSqrtILi16ELi512ELi4ELi16ELi32ELb0Ej14__hip_bfloat16EEvPKT6_PKbPfiPT5_PiiiibdPKfPKS9_SF_,@function
_ZN4vllm3moe22topkGatingSoftplusSqrtILi16ELi512ELi4ELi16ELi32ELb0Ej14__hip_bfloat16EEvPKT6_PKbPfiPT5_PiiiibdPKfPKS9_SF_: ; @_ZN4vllm3moe22topkGatingSoftplusSqrtILi16ELi512ELi4ELi16ELi32ELb0Ej14__hip_bfloat16EEvPKT6_PKbPfiPT5_PiiiibdPKfPKS9_SF_
; %bb.0:
	s_load_dword s33, s[0:1], 0x18
	v_and_b32_e32 v1, 0x3ff, v0
	s_lshl_b32 s2, s2, 2
	v_lshrrev_b32_e32 v2, 5, v1
	v_bfe_u32 v0, v0, 10, 10
	v_add3_u32 v16, s2, v0, v2
	s_waitcnt lgkmcnt(0)
	v_cmp_gt_i32_e32 vcc, s33, v16
	s_and_saveexec_b64 s[2:3], vcc
	s_cbranch_execz .LBB459_81
; %bb.1:
	s_load_dwordx4 s[4:7], s[0:1], 0x0
	s_load_dwordx2 s[38:39], s[0:1], 0x10
	s_waitcnt lgkmcnt(0)
	s_cmp_eq_u64 s[6:7], 0
	s_cbranch_scc1 .LBB459_3
; %bb.2:
	v_ashrrev_i32_e32 v17, 31, v16
	v_lshl_add_u64 v[2:3], s[6:7], 0, v[16:17]
	global_load_ubyte v0, v[2:3], off
	s_waitcnt vmcnt(0)
	v_and_b32_e32 v0, 1, v0
	v_cmp_eq_u32_e32 vcc, 1, v0
	s_xor_b64 s[2:3], vcc, -1
	s_orn2_b64 s[52:53], s[2:3], exec
	s_branch .LBB459_4
.LBB459_3:
	s_mov_b64 s[52:53], -1
.LBB459_4:
	v_lshlrev_b32_e32 v4, 9, v16
	v_mov_b32_e32 v2, s4
	v_mov_b32_e32 v3, s5
	v_ashrrev_i32_e32 v5, 31, v4
	v_and_b32_e32 v17, 31, v1
	v_lshl_add_u64 v[2:3], v[4:5], 1, v[2:3]
	v_mov_b32_e32 v1, 0
	v_lshlrev_b32_e32 v0, 4, v17
	v_lshl_add_u64 v[0:1], v[2:3], 0, v[0:1]
	global_load_dwordx4 v[4:7], v[0:1], off
	global_load_dwordx4 v[12:15], v[0:1], off offset:512
	s_mov_b32 s12, 0x800000
	v_mov_b32_e32 v2, 0x4f800000
	s_mov_b32 s9, 0x3f317217
	s_mov_b32 s10, 0x7f800000
	v_mov_b32_e32 v3, 0x41b17218
	s_mov_b32 s8, 0x41a00000
	s_mov_b32 s11, 0xf800000
	s_load_dwordx4 s[40:43], s[0:1], 0x40
	v_lshlrev_b32_e32 v20, 3, v17
	v_lshlrev_b32_e32 v18, 2, v20
	s_waitcnt lgkmcnt(0)
	s_cmp_lg_u64 s[42:43], 0
	s_cselect_b64 s[6:7], -1, 0
	s_and_b64 s[2:3], exec, s[6:7]
	s_waitcnt vmcnt(1)
	v_lshlrev_b32_e32 v0, 16, v4
	v_mul_f32_e32 v1, 0x3fb8aa3b, v0
	v_exp_f32_e32 v8, v1
	v_mov_b32_e32 v1, 0x260
	v_add_f32_e32 v8, 1.0, v8
	v_cmp_gt_f32_e32 vcc, s12, v8
	s_nop 1
	v_cndmask_b32_e32 v9, 1.0, v2, vcc
	v_mul_f32_e32 v8, v8, v9
	v_log_f32_e32 v8, v8
	v_cndmask_b32_e32 v9, 0, v3, vcc
	v_mul_f32_e32 v10, 0x3f317217, v8
	v_fma_f32 v10, v8, s9, -v10
	v_fmac_f32_e32 v10, 0x3377d1cf, v8
	v_fmac_f32_e32 v10, 0x3f317217, v8
	v_cmp_lt_f32_e64 vcc, |v8|, s10
	s_nop 1
	v_cndmask_b32_e32 v8, v8, v10, vcc
	v_sub_f32_e32 v8, v8, v9
	v_cmp_lt_f32_e32 vcc, s8, v0
	s_nop 1
	v_cndmask_b32_e32 v0, v8, v0, vcc
	v_mul_f32_e32 v8, 0x4f800000, v0
	v_cmp_gt_f32_e32 vcc, s11, v0
	s_nop 1
	v_cndmask_b32_e32 v0, v0, v8, vcc
	v_sqrt_f32_e32 v8, v0
	s_nop 0
	v_add_u32_e32 v9, -1, v8
	v_add_u32_e32 v10, 1, v8
	v_fma_f32 v11, -v9, v8, v0
	v_fma_f32 v19, -v10, v8, v0
	v_cmp_ge_f32_e64 s[4:5], 0, v11
	s_nop 1
	v_cndmask_b32_e64 v8, v8, v9, s[4:5]
	v_cmp_lt_f32_e64 s[4:5], 0, v19
	s_nop 1
	v_cndmask_b32_e64 v8, v8, v10, s[4:5]
	v_mul_f32_e32 v9, 0x37800000, v8
	v_cndmask_b32_e32 v8, v8, v9, vcc
	v_cmp_class_f32_e32 vcc, v0, v1
	s_nop 1
	v_cndmask_b32_e32 v0, v8, v0, vcc
	s_mov_b64 vcc, s[2:3]
	s_cbranch_vccz .LBB459_6
; %bb.5:
	global_load_dword v8, v18, s[42:43]
	s_waitcnt vmcnt(0)
	v_add_f32_e32 v0, v0, v8
.LBB459_6:
	v_and_b32_e32 v4, 0xffff0000, v4
	v_mul_f32_e32 v8, 0x3fb8aa3b, v4
	v_exp_f32_e32 v8, v8
	s_nop 0
	v_add_f32_e32 v8, 1.0, v8
	v_cmp_gt_f32_e32 vcc, s12, v8
	s_nop 1
	v_cndmask_b32_e32 v2, 1.0, v2, vcc
	v_mul_f32_e32 v2, v8, v2
	v_log_f32_e32 v2, v2
	v_cndmask_b32_e32 v3, 0, v3, vcc
	v_mul_f32_e32 v8, 0x3f317217, v2
	v_fma_f32 v8, v2, s9, -v8
	v_fmac_f32_e32 v8, 0x3377d1cf, v2
	v_fmac_f32_e32 v8, 0x3f317217, v2
	v_cmp_lt_f32_e64 vcc, |v2|, s10
	s_nop 1
	v_cndmask_b32_e32 v2, v2, v8, vcc
	v_sub_f32_e32 v2, v2, v3
	v_cmp_lt_f32_e32 vcc, s8, v4
	s_nop 1
	v_cndmask_b32_e32 v2, v2, v4, vcc
	v_mul_f32_e32 v3, 0x4f800000, v2
	v_cmp_gt_f32_e32 vcc, s11, v2
	s_nop 1
	v_cndmask_b32_e32 v2, v2, v3, vcc
	v_sqrt_f32_e32 v3, v2
	v_cmp_class_f32_e64 s[4:5], v2, v1
	v_add_u32_e32 v4, -1, v3
	v_add_u32_e32 v8, 1, v3
	v_fma_f32 v9, -v4, v3, v2
	v_fma_f32 v10, -v8, v3, v2
	v_cmp_ge_f32_e64 s[2:3], 0, v9
	s_nop 1
	v_cndmask_b32_e64 v3, v3, v4, s[2:3]
	v_cmp_lt_f32_e64 s[2:3], 0, v10
	s_nop 1
	v_cndmask_b32_e64 v3, v3, v8, s[2:3]
	v_mul_f32_e32 v4, 0x37800000, v3
	v_cndmask_b32_e32 v3, v3, v4, vcc
	v_cndmask_b32_e64 v4, 0, 1, s[6:7]
	v_cmp_ne_u32_e64 s[2:3], 1, v4
	s_andn2_b64 vcc, exec, s[6:7]
	v_cndmask_b32_e64 v1, v3, v2, s[4:5]
	s_cbranch_vccnz .LBB459_8
; %bb.7:
	global_load_dword v2, v18, s[42:43] offset:4
	s_waitcnt vmcnt(0)
	v_add_f32_e32 v1, v1, v2
.LBB459_8:
	v_lshlrev_b32_e32 v2, 16, v5
	v_mul_f32_e32 v3, 0x3fb8aa3b, v2
	v_exp_f32_e32 v3, v3
	s_mov_b32 s10, 0x800000
	v_mov_b32_e32 v4, 0x4f800000
	s_mov_b32 s7, 0x3f317217
	v_add_f32_e32 v3, 1.0, v3
	v_cmp_gt_f32_e32 vcc, s10, v3
	s_mov_b32 s8, 0x7f800000
	s_mov_b32 s6, 0x41a00000
	v_cndmask_b32_e32 v8, 1.0, v4, vcc
	v_mul_f32_e32 v3, v3, v8
	v_log_f32_e32 v3, v3
	s_mov_b32 s9, 0xf800000
	v_mul_f32_e32 v8, 0x3f317217, v3
	v_fma_f32 v8, v3, s7, -v8
	v_fmac_f32_e32 v8, 0x3377d1cf, v3
	v_fmac_f32_e32 v8, 0x3f317217, v3
	v_cmp_lt_f32_e64 s[4:5], |v3|, s8
	s_nop 1
	v_cndmask_b32_e64 v3, v3, v8, s[4:5]
	v_mov_b32_e32 v8, 0x41b17218
	v_cndmask_b32_e32 v9, 0, v8, vcc
	v_sub_f32_e32 v3, v3, v9
	v_cmp_lt_f32_e32 vcc, s6, v2
	s_nop 1
	v_cndmask_b32_e32 v2, v3, v2, vcc
	v_mul_f32_e32 v3, 0x4f800000, v2
	v_cmp_gt_f32_e32 vcc, s9, v2
	s_nop 1
	v_cndmask_b32_e32 v2, v2, v3, vcc
	v_sqrt_f32_e32 v3, v2
	s_nop 0
	v_add_u32_e32 v9, -1, v3
	v_fma_f32 v10, -v9, v3, v2
	v_cmp_ge_f32_e64 s[4:5], 0, v10
	v_add_u32_e32 v10, 1, v3
	s_nop 0
	v_cndmask_b32_e64 v9, v3, v9, s[4:5]
	v_fma_f32 v3, -v10, v3, v2
	v_cmp_lt_f32_e64 s[4:5], 0, v3
	s_nop 1
	v_cndmask_b32_e64 v3, v9, v10, s[4:5]
	v_mul_f32_e32 v9, 0x37800000, v3
	v_cndmask_b32_e32 v9, v3, v9, vcc
	v_mov_b32_e32 v3, 0x260
	v_cmp_class_f32_e64 s[4:5], v2, v3
	s_and_b64 vcc, exec, s[2:3]
	s_nop 0
	v_cndmask_b32_e64 v2, v9, v2, s[4:5]
	s_cbranch_vccnz .LBB459_10
; %bb.9:
	global_load_dword v9, v18, s[42:43] offset:8
	s_waitcnt vmcnt(0)
	v_add_f32_e32 v2, v2, v9
.LBB459_10:
	v_and_b32_e32 v5, 0xffff0000, v5
	v_mul_f32_e32 v9, 0x3fb8aa3b, v5
	v_exp_f32_e32 v9, v9
	s_nop 0
	v_add_f32_e32 v9, 1.0, v9
	v_cmp_gt_f32_e32 vcc, s10, v9
	s_nop 1
	v_cndmask_b32_e32 v4, 1.0, v4, vcc
	v_mul_f32_e32 v4, v9, v4
	v_log_f32_e32 v4, v4
	v_cndmask_b32_e32 v8, 0, v8, vcc
	v_mul_f32_e32 v9, 0x3f317217, v4
	v_fma_f32 v9, v4, s7, -v9
	v_fmac_f32_e32 v9, 0x3377d1cf, v4
	v_fmac_f32_e32 v9, 0x3f317217, v4
	v_cmp_lt_f32_e64 vcc, |v4|, s8
	s_nop 1
	v_cndmask_b32_e32 v4, v4, v9, vcc
	v_sub_f32_e32 v4, v4, v8
	v_cmp_lt_f32_e32 vcc, s6, v5
	s_nop 1
	v_cndmask_b32_e32 v4, v4, v5, vcc
	v_mul_f32_e32 v5, 0x4f800000, v4
	v_cmp_gt_f32_e32 vcc, s9, v4
	s_nop 1
	v_cndmask_b32_e32 v4, v4, v5, vcc
	v_sqrt_f32_e32 v5, v4
	s_nop 0
	v_add_u32_e32 v8, -1, v5
	v_add_u32_e32 v9, 1, v5
	v_fma_f32 v10, -v8, v5, v4
	v_fma_f32 v11, -v9, v5, v4
	v_cmp_ge_f32_e64 s[4:5], 0, v10
	s_nop 1
	v_cndmask_b32_e64 v5, v5, v8, s[4:5]
	v_cmp_lt_f32_e64 s[4:5], 0, v11
	s_nop 1
	v_cndmask_b32_e64 v5, v5, v9, s[4:5]
	v_mul_f32_e32 v8, 0x37800000, v5
	v_cndmask_b32_e32 v5, v5, v8, vcc
	v_cmp_class_f32_e64 s[4:5], v4, v3
	s_and_b64 vcc, exec, s[2:3]
	s_nop 0
	v_cndmask_b32_e64 v3, v5, v4, s[4:5]
	s_cbranch_vccnz .LBB459_12
; %bb.11:
	global_load_dword v4, v18, s[42:43] offset:12
	s_waitcnt vmcnt(0)
	v_add_f32_e32 v3, v3, v4
.LBB459_12:
	v_lshlrev_b32_e32 v4, 16, v6
	v_mul_f32_e32 v5, 0x3fb8aa3b, v4
	v_exp_f32_e32 v5, v5
	v_mov_b32_e32 v8, 0x4f800000
	v_add_f32_e32 v5, 1.0, v5
	v_cmp_gt_f32_e32 vcc, s10, v5
	s_nop 1
	v_cndmask_b32_e32 v9, 1.0, v8, vcc
	v_mul_f32_e32 v5, v5, v9
	v_log_f32_e32 v5, v5
	s_nop 0
	v_mul_f32_e32 v9, 0x3f317217, v5
	v_fma_f32 v9, v5, s7, -v9
	v_fmac_f32_e32 v9, 0x3377d1cf, v5
	v_fmac_f32_e32 v9, 0x3f317217, v5
	v_cmp_lt_f32_e64 s[4:5], |v5|, s8
	s_nop 1
	v_cndmask_b32_e64 v5, v5, v9, s[4:5]
	v_mov_b32_e32 v9, 0x41b17218
	v_cndmask_b32_e32 v10, 0, v9, vcc
	v_sub_f32_e32 v5, v5, v10
	v_cmp_lt_f32_e32 vcc, s6, v4
	s_nop 1
	v_cndmask_b32_e32 v4, v5, v4, vcc
	v_mul_f32_e32 v5, 0x4f800000, v4
	v_cmp_gt_f32_e32 vcc, s9, v4
	s_nop 1
	v_cndmask_b32_e32 v4, v4, v5, vcc
	v_sqrt_f32_e32 v5, v4
	s_nop 0
	v_add_u32_e32 v10, -1, v5
	v_fma_f32 v11, -v10, v5, v4
	v_cmp_ge_f32_e64 s[4:5], 0, v11
	v_add_u32_e32 v11, 1, v5
	s_nop 0
	v_cndmask_b32_e64 v10, v5, v10, s[4:5]
	v_fma_f32 v5, -v11, v5, v4
	v_cmp_lt_f32_e64 s[4:5], 0, v5
	s_nop 1
	v_cndmask_b32_e64 v5, v10, v11, s[4:5]
	v_mul_f32_e32 v10, 0x37800000, v5
	v_cndmask_b32_e32 v10, v5, v10, vcc
	v_mov_b32_e32 v5, 0x260
	v_cmp_class_f32_e64 s[4:5], v4, v5
	s_and_b64 vcc, exec, s[2:3]
	s_nop 0
	v_cndmask_b32_e64 v4, v10, v4, s[4:5]
	s_cbranch_vccnz .LBB459_14
; %bb.13:
	global_load_dword v10, v18, s[42:43] offset:16
	s_waitcnt vmcnt(0)
	v_add_f32_e32 v4, v4, v10
.LBB459_14:
	v_and_b32_e32 v6, 0xffff0000, v6
	v_mul_f32_e32 v10, 0x3fb8aa3b, v6
	v_exp_f32_e32 v10, v10
	s_nop 0
	v_add_f32_e32 v10, 1.0, v10
	v_cmp_gt_f32_e32 vcc, s10, v10
	s_nop 1
	v_cndmask_b32_e32 v8, 1.0, v8, vcc
	v_mul_f32_e32 v8, v10, v8
	v_log_f32_e32 v8, v8
	v_cndmask_b32_e32 v9, 0, v9, vcc
	v_mul_f32_e32 v10, 0x3f317217, v8
	v_fma_f32 v10, v8, s7, -v10
	v_fmac_f32_e32 v10, 0x3377d1cf, v8
	v_fmac_f32_e32 v10, 0x3f317217, v8
	v_cmp_lt_f32_e64 vcc, |v8|, s8
	s_nop 1
	v_cndmask_b32_e32 v8, v8, v10, vcc
	v_sub_f32_e32 v8, v8, v9
	v_cmp_lt_f32_e32 vcc, s6, v6
	s_nop 1
	v_cndmask_b32_e32 v6, v8, v6, vcc
	v_mul_f32_e32 v8, 0x4f800000, v6
	v_cmp_gt_f32_e32 vcc, s9, v6
	s_nop 1
	v_cndmask_b32_e32 v6, v6, v8, vcc
	v_sqrt_f32_e32 v8, v6
	s_nop 0
	v_add_u32_e32 v9, -1, v8
	v_add_u32_e32 v10, 1, v8
	v_fma_f32 v11, -v9, v8, v6
	v_fma_f32 v19, -v10, v8, v6
	v_cmp_ge_f32_e64 s[4:5], 0, v11
	s_nop 1
	v_cndmask_b32_e64 v8, v8, v9, s[4:5]
	v_cmp_lt_f32_e64 s[4:5], 0, v19
	s_nop 1
	v_cndmask_b32_e64 v8, v8, v10, s[4:5]
	v_mul_f32_e32 v9, 0x37800000, v8
	v_cndmask_b32_e32 v8, v8, v9, vcc
	v_cmp_class_f32_e64 s[4:5], v6, v5
	s_and_b64 vcc, exec, s[2:3]
	s_nop 0
	v_cndmask_b32_e64 v5, v8, v6, s[4:5]
	s_cbranch_vccnz .LBB459_16
; %bb.15:
	global_load_dword v6, v18, s[42:43] offset:20
	s_waitcnt vmcnt(0)
	v_add_f32_e32 v5, v5, v6
.LBB459_16:
	v_lshlrev_b32_e32 v6, 16, v7
	v_mul_f32_e32 v8, 0x3fb8aa3b, v6
	v_exp_f32_e32 v8, v8
	v_mov_b32_e32 v9, 0x4f800000
	v_add_f32_e32 v8, 1.0, v8
	v_cmp_gt_f32_e32 vcc, s10, v8
	s_nop 1
	v_cndmask_b32_e32 v10, 1.0, v9, vcc
	v_mul_f32_e32 v8, v8, v10
	v_log_f32_e32 v8, v8
	s_nop 0
	v_mul_f32_e32 v10, 0x3f317217, v8
	v_fma_f32 v10, v8, s7, -v10
	v_fmac_f32_e32 v10, 0x3377d1cf, v8
	v_fmac_f32_e32 v10, 0x3f317217, v8
	v_cmp_lt_f32_e64 s[4:5], |v8|, s8
	s_nop 1
	v_cndmask_b32_e64 v8, v8, v10, s[4:5]
	v_mov_b32_e32 v10, 0x41b17218
	v_cndmask_b32_e32 v11, 0, v10, vcc
	v_sub_f32_e32 v8, v8, v11
	v_cmp_lt_f32_e32 vcc, s6, v6
	s_nop 1
	v_cndmask_b32_e32 v6, v8, v6, vcc
	v_mul_f32_e32 v8, 0x4f800000, v6
	v_cmp_gt_f32_e32 vcc, s9, v6
	s_nop 1
	v_cndmask_b32_e32 v6, v6, v8, vcc
	v_sqrt_f32_e32 v8, v6
	s_nop 0
	v_add_u32_e32 v11, -1, v8
	v_fma_f32 v19, -v11, v8, v6
	v_cmp_ge_f32_e64 s[4:5], 0, v19
	v_add_u32_e32 v19, 1, v8
	s_nop 0
	v_cndmask_b32_e64 v11, v8, v11, s[4:5]
	v_fma_f32 v8, -v19, v8, v6
	v_cmp_lt_f32_e64 s[4:5], 0, v8
	s_nop 1
	v_cndmask_b32_e64 v8, v11, v19, s[4:5]
	v_mul_f32_e32 v11, 0x37800000, v8
	v_cndmask_b32_e32 v11, v8, v11, vcc
	v_mov_b32_e32 v8, 0x260
	v_cmp_class_f32_e64 s[4:5], v6, v8
	s_and_b64 vcc, exec, s[2:3]
	s_nop 0
	v_cndmask_b32_e64 v6, v11, v6, s[4:5]
	s_cbranch_vccnz .LBB459_18
; %bb.17:
	global_load_dword v11, v18, s[42:43] offset:24
	s_waitcnt vmcnt(0)
	v_add_f32_e32 v6, v6, v11
.LBB459_18:
	v_and_b32_e32 v7, 0xffff0000, v7
	v_mul_f32_e32 v11, 0x3fb8aa3b, v7
	v_exp_f32_e32 v11, v11
	s_nop 0
	v_add_f32_e32 v11, 1.0, v11
	v_cmp_gt_f32_e32 vcc, s10, v11
	s_nop 1
	v_cndmask_b32_e32 v9, 1.0, v9, vcc
	v_mul_f32_e32 v9, v11, v9
	v_log_f32_e32 v9, v9
	v_cndmask_b32_e32 v10, 0, v10, vcc
	v_mul_f32_e32 v11, 0x3f317217, v9
	v_fma_f32 v11, v9, s7, -v11
	v_fmac_f32_e32 v11, 0x3377d1cf, v9
	v_fmac_f32_e32 v11, 0x3f317217, v9
	v_cmp_lt_f32_e64 vcc, |v9|, s8
	s_nop 1
	v_cndmask_b32_e32 v9, v9, v11, vcc
	v_sub_f32_e32 v9, v9, v10
	v_cmp_lt_f32_e32 vcc, s6, v7
	s_nop 1
	v_cndmask_b32_e32 v7, v9, v7, vcc
	v_mul_f32_e32 v9, 0x4f800000, v7
	v_cmp_gt_f32_e32 vcc, s9, v7
	s_nop 1
	v_cndmask_b32_e32 v7, v7, v9, vcc
	v_sqrt_f32_e32 v9, v7
	s_nop 0
	v_add_u32_e32 v10, -1, v9
	v_add_u32_e32 v11, 1, v9
	v_fma_f32 v19, -v10, v9, v7
	v_fma_f32 v21, -v11, v9, v7
	v_cmp_ge_f32_e64 s[4:5], 0, v19
	s_nop 1
	v_cndmask_b32_e64 v9, v9, v10, s[4:5]
	v_cmp_lt_f32_e64 s[4:5], 0, v21
	s_nop 1
	v_cndmask_b32_e64 v9, v9, v11, s[4:5]
	v_mul_f32_e32 v10, 0x37800000, v9
	v_cndmask_b32_e32 v9, v9, v10, vcc
	v_cmp_class_f32_e64 s[4:5], v7, v8
	s_and_b64 vcc, exec, s[2:3]
	s_nop 0
	v_cndmask_b32_e64 v7, v9, v7, s[4:5]
	s_cbranch_vccnz .LBB459_20
; %bb.19:
	global_load_dword v8, v18, s[42:43] offset:28
	s_waitcnt vmcnt(0)
	v_add_f32_e32 v7, v7, v8
.LBB459_20:
	s_waitcnt vmcnt(0)
	v_lshlrev_b32_e32 v8, 16, v12
	v_mul_f32_e32 v9, 0x3fb8aa3b, v8
	v_exp_f32_e32 v9, v9
	v_mov_b32_e32 v10, 0x4f800000
	v_add_f32_e32 v9, 1.0, v9
	v_cmp_gt_f32_e32 vcc, s10, v9
	s_nop 1
	v_cndmask_b32_e32 v11, 1.0, v10, vcc
	v_mul_f32_e32 v9, v9, v11
	v_log_f32_e32 v9, v9
	s_nop 0
	v_mul_f32_e32 v11, 0x3f317217, v9
	v_fma_f32 v11, v9, s7, -v11
	v_fmac_f32_e32 v11, 0x3377d1cf, v9
	v_fmac_f32_e32 v11, 0x3f317217, v9
	v_cmp_lt_f32_e64 s[4:5], |v9|, s8
	s_nop 1
	v_cndmask_b32_e64 v9, v9, v11, s[4:5]
	v_mov_b32_e32 v11, 0x41b17218
	v_cndmask_b32_e32 v19, 0, v11, vcc
	v_sub_f32_e32 v9, v9, v19
	v_cmp_lt_f32_e32 vcc, s6, v8
	s_nop 1
	v_cndmask_b32_e32 v8, v9, v8, vcc
	v_mul_f32_e32 v9, 0x4f800000, v8
	v_cmp_gt_f32_e32 vcc, s9, v8
	s_nop 1
	v_cndmask_b32_e32 v8, v8, v9, vcc
	v_sqrt_f32_e32 v9, v8
	s_nop 0
	v_add_u32_e32 v19, -1, v9
	v_fma_f32 v21, -v19, v9, v8
	v_cmp_ge_f32_e64 s[4:5], 0, v21
	v_add_u32_e32 v21, 1, v9
	s_nop 0
	v_cndmask_b32_e64 v19, v9, v19, s[4:5]
	v_fma_f32 v9, -v21, v9, v8
	v_cmp_lt_f32_e64 s[4:5], 0, v9
	s_nop 1
	v_cndmask_b32_e64 v9, v19, v21, s[4:5]
	v_mul_f32_e32 v19, 0x37800000, v9
	v_cndmask_b32_e32 v19, v9, v19, vcc
	v_mov_b32_e32 v9, 0x260
	v_cmp_class_f32_e64 s[4:5], v8, v9
	s_and_b64 vcc, exec, s[2:3]
	s_nop 0
	v_cndmask_b32_e64 v8, v19, v8, s[4:5]
	s_cbranch_vccnz .LBB459_22
; %bb.21:
	global_load_dword v19, v18, s[42:43] offset:1024
	s_waitcnt vmcnt(0)
	v_add_f32_e32 v8, v8, v19
.LBB459_22:
	v_and_b32_e32 v12, 0xffff0000, v12
	v_mul_f32_e32 v19, 0x3fb8aa3b, v12
	v_exp_f32_e32 v19, v19
	s_nop 0
	v_add_f32_e32 v19, 1.0, v19
	v_cmp_gt_f32_e32 vcc, s10, v19
	s_nop 1
	v_cndmask_b32_e32 v10, 1.0, v10, vcc
	v_mul_f32_e32 v10, v19, v10
	v_log_f32_e32 v10, v10
	v_cndmask_b32_e32 v11, 0, v11, vcc
	v_mul_f32_e32 v19, 0x3f317217, v10
	v_fma_f32 v19, v10, s7, -v19
	v_fmac_f32_e32 v19, 0x3377d1cf, v10
	v_fmac_f32_e32 v19, 0x3f317217, v10
	v_cmp_lt_f32_e64 vcc, |v10|, s8
	s_nop 1
	v_cndmask_b32_e32 v10, v10, v19, vcc
	v_sub_f32_e32 v10, v10, v11
	v_cmp_lt_f32_e32 vcc, s6, v12
	s_nop 1
	v_cndmask_b32_e32 v10, v10, v12, vcc
	v_mul_f32_e32 v11, 0x4f800000, v10
	v_cmp_gt_f32_e32 vcc, s9, v10
	s_nop 1
	v_cndmask_b32_e32 v10, v10, v11, vcc
	v_sqrt_f32_e32 v11, v10
	s_nop 0
	v_add_u32_e32 v12, -1, v11
	v_add_u32_e32 v19, 1, v11
	v_fma_f32 v21, -v12, v11, v10
	v_fma_f32 v22, -v19, v11, v10
	v_cmp_ge_f32_e64 s[4:5], 0, v21
	s_nop 1
	v_cndmask_b32_e64 v11, v11, v12, s[4:5]
	v_cmp_lt_f32_e64 s[4:5], 0, v22
	s_nop 1
	v_cndmask_b32_e64 v11, v11, v19, s[4:5]
	v_mul_f32_e32 v12, 0x37800000, v11
	v_cndmask_b32_e32 v11, v11, v12, vcc
	v_cmp_class_f32_e64 s[4:5], v10, v9
	s_and_b64 vcc, exec, s[2:3]
	s_nop 0
	v_cndmask_b32_e64 v9, v11, v10, s[4:5]
	s_cbranch_vccnz .LBB459_24
; %bb.23:
	global_load_dword v10, v18, s[42:43] offset:1028
	s_waitcnt vmcnt(0)
	v_add_f32_e32 v9, v9, v10
.LBB459_24:
	v_lshlrev_b32_e32 v10, 16, v13
	v_mul_f32_e32 v11, 0x3fb8aa3b, v10
	v_exp_f32_e32 v11, v11
	v_mov_b32_e32 v12, 0x4f800000
	v_add_f32_e32 v11, 1.0, v11
	v_cmp_gt_f32_e32 vcc, s10, v11
	s_nop 1
	v_cndmask_b32_e32 v19, 1.0, v12, vcc
	v_mul_f32_e32 v11, v11, v19
	v_log_f32_e32 v11, v11
	s_nop 0
	v_mul_f32_e32 v19, 0x3f317217, v11
	v_fma_f32 v19, v11, s7, -v19
	v_fmac_f32_e32 v19, 0x3377d1cf, v11
	v_fmac_f32_e32 v19, 0x3f317217, v11
	v_cmp_lt_f32_e64 s[4:5], |v11|, s8
	s_nop 1
	v_cndmask_b32_e64 v11, v11, v19, s[4:5]
	v_mov_b32_e32 v19, 0x41b17218
	v_cndmask_b32_e32 v21, 0, v19, vcc
	v_sub_f32_e32 v11, v11, v21
	v_cmp_lt_f32_e32 vcc, s6, v10
	s_nop 1
	v_cndmask_b32_e32 v10, v11, v10, vcc
	v_mul_f32_e32 v11, 0x4f800000, v10
	v_cmp_gt_f32_e32 vcc, s9, v10
	s_nop 1
	v_cndmask_b32_e32 v10, v10, v11, vcc
	v_sqrt_f32_e32 v11, v10
	s_nop 0
	v_add_u32_e32 v21, -1, v11
	v_fma_f32 v22, -v21, v11, v10
	v_cmp_ge_f32_e64 s[4:5], 0, v22
	v_add_u32_e32 v22, 1, v11
	s_nop 0
	v_cndmask_b32_e64 v21, v11, v21, s[4:5]
	v_fma_f32 v11, -v22, v11, v10
	v_cmp_lt_f32_e64 s[4:5], 0, v11
	s_nop 1
	v_cndmask_b32_e64 v11, v21, v22, s[4:5]
	v_mul_f32_e32 v21, 0x37800000, v11
	v_cndmask_b32_e32 v21, v11, v21, vcc
	v_mov_b32_e32 v11, 0x260
	v_cmp_class_f32_e64 s[4:5], v10, v11
	s_and_b64 vcc, exec, s[2:3]
	s_nop 0
	v_cndmask_b32_e64 v10, v21, v10, s[4:5]
	s_cbranch_vccnz .LBB459_26
; %bb.25:
	global_load_dword v21, v18, s[42:43] offset:1032
	s_waitcnt vmcnt(0)
	v_add_f32_e32 v10, v10, v21
.LBB459_26:
	v_and_b32_e32 v13, 0xffff0000, v13
	v_mul_f32_e32 v21, 0x3fb8aa3b, v13
	v_exp_f32_e32 v21, v21
	s_nop 0
	v_add_f32_e32 v21, 1.0, v21
	v_cmp_gt_f32_e32 vcc, s10, v21
	s_nop 1
	v_cndmask_b32_e32 v12, 1.0, v12, vcc
	v_mul_f32_e32 v12, v21, v12
	v_log_f32_e32 v12, v12
	v_cndmask_b32_e32 v19, 0, v19, vcc
	v_mul_f32_e32 v21, 0x3f317217, v12
	v_fma_f32 v21, v12, s7, -v21
	v_fmac_f32_e32 v21, 0x3377d1cf, v12
	v_fmac_f32_e32 v21, 0x3f317217, v12
	v_cmp_lt_f32_e64 vcc, |v12|, s8
	s_nop 1
	v_cndmask_b32_e32 v12, v12, v21, vcc
	v_sub_f32_e32 v12, v12, v19
	v_cmp_lt_f32_e32 vcc, s6, v13
	s_nop 1
	v_cndmask_b32_e32 v12, v12, v13, vcc
	v_mul_f32_e32 v13, 0x4f800000, v12
	v_cmp_gt_f32_e32 vcc, s9, v12
	s_nop 1
	v_cndmask_b32_e32 v12, v12, v13, vcc
	v_sqrt_f32_e32 v13, v12
	s_nop 0
	v_add_u32_e32 v19, -1, v13
	v_add_u32_e32 v21, 1, v13
	v_fma_f32 v22, -v19, v13, v12
	v_fma_f32 v23, -v21, v13, v12
	v_cmp_ge_f32_e64 s[4:5], 0, v22
	s_nop 1
	v_cndmask_b32_e64 v13, v13, v19, s[4:5]
	v_cmp_lt_f32_e64 s[4:5], 0, v23
	s_nop 1
	v_cndmask_b32_e64 v13, v13, v21, s[4:5]
	v_mul_f32_e32 v19, 0x37800000, v13
	v_cndmask_b32_e32 v13, v13, v19, vcc
	v_cmp_class_f32_e64 s[4:5], v12, v11
	s_and_b64 vcc, exec, s[2:3]
	s_nop 0
	v_cndmask_b32_e64 v11, v13, v12, s[4:5]
	s_cbranch_vccnz .LBB459_28
; %bb.27:
	global_load_dword v12, v18, s[42:43] offset:1036
	s_waitcnt vmcnt(0)
	v_add_f32_e32 v11, v11, v12
.LBB459_28:
	v_lshlrev_b32_e32 v12, 16, v14
	v_mul_f32_e32 v13, 0x3fb8aa3b, v12
	v_exp_f32_e32 v13, v13
	v_mov_b32_e32 v19, 0x4f800000
	v_add_f32_e32 v13, 1.0, v13
	v_cmp_gt_f32_e32 vcc, s10, v13
	s_nop 1
	v_cndmask_b32_e32 v21, 1.0, v19, vcc
	v_mul_f32_e32 v13, v13, v21
	v_log_f32_e32 v13, v13
	s_nop 0
	v_mul_f32_e32 v21, 0x3f317217, v13
	v_fma_f32 v21, v13, s7, -v21
	v_fmac_f32_e32 v21, 0x3377d1cf, v13
	v_fmac_f32_e32 v21, 0x3f317217, v13
	v_cmp_lt_f32_e64 s[4:5], |v13|, s8
	s_nop 1
	v_cndmask_b32_e64 v13, v13, v21, s[4:5]
	v_mov_b32_e32 v21, 0x41b17218
	v_cndmask_b32_e32 v22, 0, v21, vcc
	v_sub_f32_e32 v13, v13, v22
	v_cmp_lt_f32_e32 vcc, s6, v12
	s_nop 1
	v_cndmask_b32_e32 v12, v13, v12, vcc
	v_mul_f32_e32 v13, 0x4f800000, v12
	v_cmp_gt_f32_e32 vcc, s9, v12
	s_nop 1
	v_cndmask_b32_e32 v12, v12, v13, vcc
	v_sqrt_f32_e32 v13, v12
	s_nop 0
	v_add_u32_e32 v22, -1, v13
	v_fma_f32 v23, -v22, v13, v12
	v_cmp_ge_f32_e64 s[4:5], 0, v23
	v_add_u32_e32 v23, 1, v13
	s_nop 0
	v_cndmask_b32_e64 v22, v13, v22, s[4:5]
	v_fma_f32 v13, -v23, v13, v12
	v_cmp_lt_f32_e64 s[4:5], 0, v13
	s_nop 1
	v_cndmask_b32_e64 v13, v22, v23, s[4:5]
	v_mul_f32_e32 v22, 0x37800000, v13
	v_cndmask_b32_e32 v22, v13, v22, vcc
	v_mov_b32_e32 v13, 0x260
	v_cmp_class_f32_e64 s[4:5], v12, v13
	s_and_b64 vcc, exec, s[2:3]
	s_nop 0
	v_cndmask_b32_e64 v12, v22, v12, s[4:5]
	s_cbranch_vccnz .LBB459_30
; %bb.29:
	global_load_dword v22, v18, s[42:43] offset:1040
	s_waitcnt vmcnt(0)
	v_add_f32_e32 v12, v12, v22
.LBB459_30:
	v_and_b32_e32 v14, 0xffff0000, v14
	v_mul_f32_e32 v22, 0x3fb8aa3b, v14
	v_exp_f32_e32 v22, v22
	s_nop 0
	v_add_f32_e32 v22, 1.0, v22
	v_cmp_gt_f32_e32 vcc, s10, v22
	s_nop 1
	v_cndmask_b32_e32 v19, 1.0, v19, vcc
	v_mul_f32_e32 v19, v22, v19
	v_log_f32_e32 v19, v19
	v_cndmask_b32_e32 v21, 0, v21, vcc
	v_mul_f32_e32 v22, 0x3f317217, v19
	v_fma_f32 v22, v19, s7, -v22
	v_fmac_f32_e32 v22, 0x3377d1cf, v19
	v_fmac_f32_e32 v22, 0x3f317217, v19
	v_cmp_lt_f32_e64 vcc, |v19|, s8
	s_nop 1
	v_cndmask_b32_e32 v19, v19, v22, vcc
	v_sub_f32_e32 v19, v19, v21
	v_cmp_lt_f32_e32 vcc, s6, v14
	s_nop 1
	v_cndmask_b32_e32 v14, v19, v14, vcc
	v_mul_f32_e32 v19, 0x4f800000, v14
	v_cmp_gt_f32_e32 vcc, s9, v14
	s_nop 1
	v_cndmask_b32_e32 v14, v14, v19, vcc
	v_sqrt_f32_e32 v19, v14
	s_nop 0
	v_add_u32_e32 v21, -1, v19
	v_add_u32_e32 v22, 1, v19
	v_fma_f32 v23, -v21, v19, v14
	v_fma_f32 v24, -v22, v19, v14
	v_cmp_ge_f32_e64 s[4:5], 0, v23
	s_nop 1
	v_cndmask_b32_e64 v19, v19, v21, s[4:5]
	v_cmp_lt_f32_e64 s[4:5], 0, v24
	s_nop 1
	v_cndmask_b32_e64 v19, v19, v22, s[4:5]
	v_mul_f32_e32 v21, 0x37800000, v19
	v_cndmask_b32_e32 v19, v19, v21, vcc
	v_cmp_class_f32_e64 s[4:5], v14, v13
	s_and_b64 vcc, exec, s[2:3]
	s_nop 0
	v_cndmask_b32_e64 v13, v19, v14, s[4:5]
	s_cbranch_vccnz .LBB459_32
; %bb.31:
	global_load_dword v14, v18, s[42:43] offset:1044
	s_waitcnt vmcnt(0)
	v_add_f32_e32 v13, v13, v14
.LBB459_32:
	v_lshlrev_b32_e32 v14, 16, v15
	v_mul_f32_e32 v19, 0x3fb8aa3b, v14
	v_exp_f32_e32 v19, v19
	v_mov_b32_e32 v21, 0x4f800000
	v_add_f32_e32 v19, 1.0, v19
	v_cmp_gt_f32_e32 vcc, s10, v19
	s_nop 1
	v_cndmask_b32_e32 v22, 1.0, v21, vcc
	v_mul_f32_e32 v19, v19, v22
	v_log_f32_e32 v19, v19
	s_nop 0
	v_mul_f32_e32 v22, 0x3f317217, v19
	v_fma_f32 v22, v19, s7, -v22
	v_fmac_f32_e32 v22, 0x3377d1cf, v19
	v_fmac_f32_e32 v22, 0x3f317217, v19
	v_cmp_lt_f32_e64 s[4:5], |v19|, s8
	s_nop 1
	v_cndmask_b32_e64 v19, v19, v22, s[4:5]
	v_mov_b32_e32 v22, 0x41b17218
	v_cndmask_b32_e32 v23, 0, v22, vcc
	v_sub_f32_e32 v19, v19, v23
	v_cmp_lt_f32_e32 vcc, s6, v14
	s_nop 1
	v_cndmask_b32_e32 v14, v19, v14, vcc
	v_mul_f32_e32 v19, 0x4f800000, v14
	v_cmp_gt_f32_e32 vcc, s9, v14
	s_nop 1
	v_cndmask_b32_e32 v14, v14, v19, vcc
	v_sqrt_f32_e32 v19, v14
	s_nop 0
	v_add_u32_e32 v23, -1, v19
	v_fma_f32 v24, -v23, v19, v14
	v_cmp_ge_f32_e64 s[4:5], 0, v24
	v_add_u32_e32 v24, 1, v19
	s_nop 0
	v_cndmask_b32_e64 v23, v19, v23, s[4:5]
	v_fma_f32 v19, -v24, v19, v14
	v_cmp_lt_f32_e64 s[4:5], 0, v19
	s_nop 1
	v_cndmask_b32_e64 v19, v23, v24, s[4:5]
	v_mul_f32_e32 v23, 0x37800000, v19
	v_cndmask_b32_e32 v23, v19, v23, vcc
	v_mov_b32_e32 v19, 0x260
	v_cmp_class_f32_e64 s[4:5], v14, v19
	s_and_b64 vcc, exec, s[2:3]
	s_nop 0
	v_cndmask_b32_e64 v14, v23, v14, s[4:5]
	s_cbranch_vccnz .LBB459_34
; %bb.33:
	global_load_dword v23, v18, s[42:43] offset:1048
	s_waitcnt vmcnt(0)
	v_add_f32_e32 v14, v14, v23
.LBB459_34:
	v_and_b32_e32 v15, 0xffff0000, v15
	v_mul_f32_e32 v23, 0x3fb8aa3b, v15
	v_exp_f32_e32 v23, v23
	s_nop 0
	v_add_f32_e32 v23, 1.0, v23
	v_cmp_gt_f32_e32 vcc, s10, v23
	s_nop 1
	v_cndmask_b32_e32 v21, 1.0, v21, vcc
	v_mul_f32_e32 v21, v23, v21
	v_log_f32_e32 v21, v21
	v_cndmask_b32_e32 v22, 0, v22, vcc
	v_mul_f32_e32 v23, 0x3f317217, v21
	v_fma_f32 v23, v21, s7, -v23
	v_fmac_f32_e32 v23, 0x3377d1cf, v21
	v_fmac_f32_e32 v23, 0x3f317217, v21
	v_cmp_lt_f32_e64 vcc, |v21|, s8
	s_nop 1
	v_cndmask_b32_e32 v21, v21, v23, vcc
	v_sub_f32_e32 v21, v21, v22
	v_cmp_lt_f32_e32 vcc, s6, v15
	s_nop 1
	v_cndmask_b32_e32 v15, v21, v15, vcc
	v_mul_f32_e32 v21, 0x4f800000, v15
	v_cmp_gt_f32_e32 vcc, s9, v15
	s_nop 1
	v_cndmask_b32_e32 v15, v15, v21, vcc
	v_sqrt_f32_e32 v21, v15
	s_nop 0
	v_add_u32_e32 v22, -1, v21
	v_add_u32_e32 v23, 1, v21
	v_fma_f32 v24, -v22, v21, v15
	v_fma_f32 v25, -v23, v21, v15
	v_cmp_ge_f32_e64 s[4:5], 0, v24
	s_nop 1
	v_cndmask_b32_e64 v21, v21, v22, s[4:5]
	v_cmp_lt_f32_e64 s[4:5], 0, v25
	s_nop 1
	v_cndmask_b32_e64 v21, v21, v23, s[4:5]
	v_mul_f32_e32 v22, 0x37800000, v21
	v_cndmask_b32_e32 v21, v21, v22, vcc
	v_cmp_class_f32_e64 s[4:5], v15, v19
	s_and_b64 vcc, exec, s[2:3]
	s_nop 0
	v_cndmask_b32_e64 v15, v21, v15, s[4:5]
	s_cbranch_vccnz .LBB459_36
; %bb.35:
	global_load_dword v18, v18, s[42:43] offset:1052
	s_waitcnt vmcnt(0)
	v_add_f32_e32 v15, v15, v18
.LBB459_36:
	s_load_dwordx4 s[44:47], s[0:1], 0x30
	s_mov_b32 s58, 0
	v_cmp_eq_u32_e64 s[6:7], 0, v17
	s_waitcnt lgkmcnt(0)
	s_bitcmp1_b32 s47, 0
	s_cselect_b64 s[4:5], -1, 0
	s_cmp_gt_i32 s44, 0
	s_cselect_b64 s[54:55], -1, 0
	s_and_b64 vcc, exec, s[54:55]
	s_cbranch_vccz .LBB459_67
; %bb.37:
	v_mbcnt_lo_u32_b32 v18, -1, 0
	v_mbcnt_hi_u32_b32 v18, -1, v18
	v_and_b32_e32 v19, 0x60, v18
	v_add_u32_e32 v19, 32, v19
	v_xor_b32_e32 v21, 16, v18
	v_cmp_lt_i32_e32 vcc, v21, v19
	s_load_dwordx4 s[48:51], s[0:1], 0x20
	v_mul_lo_u32 v22, v16, s44
	v_cndmask_b32_e32 v21, v18, v21, vcc
	v_lshlrev_b32_e32 v23, 2, v21
	v_xor_b32_e32 v21, 8, v18
	v_cmp_lt_i32_e32 vcc, v21, v19
	v_mov_b32_e32 v28, 0x100
	v_mov_b32_e32 v29, 0x101
	v_cndmask_b32_e32 v21, v18, v21, vcc
	v_lshlrev_b32_e32 v24, 2, v21
	v_xor_b32_e32 v21, 4, v18
	v_cmp_lt_i32_e32 vcc, v21, v19
	v_bfrev_b32_e32 v30, 4.0
	v_bfrev_b32_e32 v31, -4.0
	v_cndmask_b32_e32 v21, v18, v21, vcc
	v_lshlrev_b32_e32 v25, 2, v21
	v_xor_b32_e32 v21, 2, v18
	v_cmp_lt_i32_e32 vcc, v21, v19
	v_mov_b32_e32 v32, 0x104
	v_mov_b32_e32 v33, 0x105
	v_cndmask_b32_e32 v21, v18, v21, vcc
	v_lshlrev_b32_e32 v26, 2, v21
	v_xor_b32_e32 v21, 1, v18
	v_cmp_lt_i32_e32 vcc, v21, v19
	v_mov_b32_e32 v34, 0x106
	v_mov_b32_e32 v35, 0x107
	v_cndmask_b32_e32 v18, v18, v21, vcc
	v_lshlrev_b32_e32 v27, 2, v18
	v_mov_b32_e32 v21, 0
	v_mov_b32_e32 v36, 0x200
	;; [unrolled: 1-line block ×4, first 2 shown]
	s_branch .LBB459_40
.LBB459_38:                             ;   in Loop: Header=BB459_40 Depth=1
	s_or_b64 exec, exec, s[56:57]
.LBB459_39:                             ;   in Loop: Header=BB459_40 Depth=1
	s_cmp_eq_u32 s44, s58
	v_add_u32_e32 v38, s33, v38
	s_cbranch_scc1 .LBB459_68
.LBB459_40:                             ; =>This Inner Loop Header: Depth=1
	v_cmp_gt_f32_e32 vcc, v1, v0
	s_nop 1
	v_cndmask_b32_e32 v19, v0, v1, vcc
	v_cndmask_b32_e64 v18, 0, 1, vcc
	v_cmp_gt_f32_e32 vcc, v2, v19
	s_nop 1
	v_cndmask_b32_e32 v19, v19, v2, vcc
	v_cndmask_b32_e64 v18, v18, 2, vcc
	;; [unrolled: 4-line block ×7, first 2 shown]
	v_cmp_gt_f32_e32 vcc, v8, v19
	s_nop 1
	v_cndmask_b32_e32 v19, v19, v8, vcc
	v_cndmask_b32_e32 v18, v18, v28, vcc
	v_cmp_gt_f32_e32 vcc, v9, v19
	s_nop 1
	v_cndmask_b32_e32 v19, v19, v9, vcc
	v_cndmask_b32_e32 v18, v18, v29, vcc
	;; [unrolled: 4-line block ×8, first 2 shown]
	ds_bpermute_b32 v19, v23, v39
	v_or_b32_e32 v18, v20, v18
	s_waitcnt lgkmcnt(0)
	ds_bpermute_b32 v40, v23, v18
	s_waitcnt lgkmcnt(0)
	v_cmp_lt_f32_e64 s[8:9], v39, v19
	v_cmp_nlt_f32_e32 vcc, v39, v19
	s_and_saveexec_b64 s[10:11], vcc
; %bb.41:                               ;   in Loop: Header=BB459_40 Depth=1
	v_cmp_eq_f32_e32 vcc, v39, v19
	v_cmp_lt_i32_e64 s[0:1], v40, v18
	s_and_b64 s[0:1], vcc, s[0:1]
	s_andn2_b64 s[8:9], s[8:9], exec
	s_and_b64 s[0:1], s[0:1], exec
	s_or_b64 s[8:9], s[8:9], s[0:1]
; %bb.42:                               ;   in Loop: Header=BB459_40 Depth=1
	s_or_b64 exec, exec, s[10:11]
	s_and_saveexec_b64 s[0:1], s[8:9]
; %bb.43:                               ;   in Loop: Header=BB459_40 Depth=1
	v_mov_b32_e32 v39, v19
	v_mov_b32_e32 v18, v40
; %bb.44:                               ;   in Loop: Header=BB459_40 Depth=1
	s_or_b64 exec, exec, s[0:1]
	ds_bpermute_b32 v19, v24, v39
	ds_bpermute_b32 v40, v24, v18
	s_waitcnt lgkmcnt(1)
	v_cmp_lt_f32_e64 s[8:9], v39, v19
	v_cmp_nlt_f32_e32 vcc, v39, v19
	s_and_saveexec_b64 s[10:11], vcc
	s_cbranch_execz .LBB459_46
; %bb.45:                               ;   in Loop: Header=BB459_40 Depth=1
	v_cmp_eq_f32_e32 vcc, v39, v19
	s_waitcnt lgkmcnt(0)
	v_cmp_lt_i32_e64 s[0:1], v40, v18
	s_and_b64 s[0:1], vcc, s[0:1]
	s_andn2_b64 s[8:9], s[8:9], exec
	s_and_b64 s[0:1], s[0:1], exec
	s_or_b64 s[8:9], s[8:9], s[0:1]
.LBB459_46:                             ;   in Loop: Header=BB459_40 Depth=1
	s_or_b64 exec, exec, s[10:11]
	s_and_saveexec_b64 s[0:1], s[8:9]
	s_cbranch_execz .LBB459_48
; %bb.47:                               ;   in Loop: Header=BB459_40 Depth=1
	v_mov_b32_e32 v39, v19
	s_waitcnt lgkmcnt(0)
	v_mov_b32_e32 v18, v40
.LBB459_48:                             ;   in Loop: Header=BB459_40 Depth=1
	s_or_b64 exec, exec, s[0:1]
	ds_bpermute_b32 v19, v25, v39
	s_waitcnt lgkmcnt(1)
	ds_bpermute_b32 v40, v25, v18
	s_waitcnt lgkmcnt(1)
	v_cmp_lt_f32_e64 s[8:9], v39, v19
	v_cmp_nlt_f32_e32 vcc, v39, v19
	s_and_saveexec_b64 s[10:11], vcc
	s_cbranch_execz .LBB459_50
; %bb.49:                               ;   in Loop: Header=BB459_40 Depth=1
	v_cmp_eq_f32_e32 vcc, v39, v19
	s_waitcnt lgkmcnt(0)
	v_cmp_lt_i32_e64 s[0:1], v40, v18
	s_and_b64 s[0:1], vcc, s[0:1]
	s_andn2_b64 s[8:9], s[8:9], exec
	s_and_b64 s[0:1], s[0:1], exec
	s_or_b64 s[8:9], s[8:9], s[0:1]
.LBB459_50:                             ;   in Loop: Header=BB459_40 Depth=1
	s_or_b64 exec, exec, s[10:11]
	s_and_saveexec_b64 s[0:1], s[8:9]
	s_cbranch_execz .LBB459_52
; %bb.51:                               ;   in Loop: Header=BB459_40 Depth=1
	v_mov_b32_e32 v39, v19
	s_waitcnt lgkmcnt(0)
	v_mov_b32_e32 v18, v40
.LBB459_52:                             ;   in Loop: Header=BB459_40 Depth=1
	s_or_b64 exec, exec, s[0:1]
	ds_bpermute_b32 v19, v26, v39
	s_waitcnt lgkmcnt(1)
	;; [unrolled: 26-line block ×3, first 2 shown]
	ds_bpermute_b32 v40, v27, v18
	s_waitcnt lgkmcnt(1)
	v_cmp_lt_f32_e64 s[8:9], v39, v19
	v_cmp_nlt_f32_e32 vcc, v39, v19
	s_and_saveexec_b64 s[10:11], vcc
	s_cbranch_execnz .LBB459_60
; %bb.57:                               ;   in Loop: Header=BB459_40 Depth=1
	s_or_b64 exec, exec, s[10:11]
	s_and_saveexec_b64 s[0:1], s[8:9]
	s_cbranch_execnz .LBB459_61
.LBB459_58:                             ;   in Loop: Header=BB459_40 Depth=1
	s_or_b64 exec, exec, s[0:1]
	s_and_saveexec_b64 s[8:9], s[6:7]
	s_cbranch_execnz .LBB459_62
.LBB459_59:                             ;   in Loop: Header=BB459_40 Depth=1
	s_or_b64 exec, exec, s[8:9]
	s_add_i32 s58, s58, 1
	s_cmp_ge_i32 s58, s44
	s_cbranch_scc1 .LBB459_39
	s_branch .LBB459_65
.LBB459_60:                             ;   in Loop: Header=BB459_40 Depth=1
	v_cmp_eq_f32_e32 vcc, v39, v19
	s_waitcnt lgkmcnt(0)
	v_cmp_lt_i32_e64 s[0:1], v40, v18
	s_and_b64 s[0:1], vcc, s[0:1]
	s_andn2_b64 s[8:9], s[8:9], exec
	s_and_b64 s[0:1], s[0:1], exec
	s_or_b64 s[8:9], s[8:9], s[0:1]
	s_or_b64 exec, exec, s[10:11]
	s_and_saveexec_b64 s[0:1], s[8:9]
	s_cbranch_execz .LBB459_58
.LBB459_61:                             ;   in Loop: Header=BB459_40 Depth=1
	s_waitcnt lgkmcnt(0)
	v_mov_b32_e32 v18, v40
	v_mov_b32_e32 v39, v19
	s_or_b64 exec, exec, s[0:1]
	s_and_saveexec_b64 s[8:9], s[6:7]
	s_cbranch_execz .LBB459_59
.LBB459_62:                             ;   in Loop: Header=BB459_40 Depth=1
	s_and_b64 vcc, exec, s[2:3]
	s_cbranch_vccnz .LBB459_64
; %bb.63:                               ;   in Loop: Header=BB459_40 Depth=1
	v_ashrrev_i32_e32 v19, 31, v18
	s_waitcnt lgkmcnt(0)
	v_lshl_add_u64 v[40:41], v[18:19], 2, s[42:43]
	global_load_dword v19, v[40:41], off
	s_waitcnt vmcnt(0)
	v_sub_f32_e32 v39, v39, v19
.LBB459_64:                             ;   in Loop: Header=BB459_40 Depth=1
	s_waitcnt lgkmcnt(0)
	v_add_u32_e32 v40, s58, v22
	v_cmp_le_i32_e32 vcc, s45, v18
	v_cmp_gt_i32_e64 s[0:1], s46, v18
	v_ashrrev_i32_e32 v41, 31, v40
	s_and_b64 s[0:1], vcc, s[0:1]
	v_lshlrev_b64 v[40:41], 2, v[40:41]
	v_lshl_add_u64 v[42:43], s[38:39], 0, v[40:41]
	v_subrev_u32_e32 v19, s45, v18
	s_and_b64 vcc, s[52:53], s[0:1]
	global_store_dword v[42:43], v39, off
	v_cndmask_b32_e32 v19, v36, v19, vcc
	v_lshl_add_u64 v[42:43], s[48:49], 0, v[40:41]
	global_store_dword v[42:43], v19, off
	v_add_f32_e32 v19, v21, v39
	v_lshl_add_u64 v[40:41], s[50:51], 0, v[40:41]
	v_cndmask_b32_e64 v21, v21, v19, s[4:5]
	global_store_dword v[40:41], v38, off
	s_or_b64 exec, exec, s[8:9]
	s_add_i32 s58, s58, 1
	s_cmp_ge_i32 s58, s44
	s_cbranch_scc1 .LBB459_39
.LBB459_65:                             ;   in Loop: Header=BB459_40 Depth=1
	v_ashrrev_i32_e32 v19, 31, v18
	v_lshrrev_b32_e32 v39, 29, v19
	s_waitcnt lgkmcnt(0)
	v_add_u32_e32 v40, v18, v39
	v_ashrrev_i32_e32 v39, 3, v40
	v_ashrrev_i32_e32 v40, 31, v40
	v_lshrrev_b32_e32 v40, 27, v40
	v_add_u32_e32 v40, v39, v40
	v_and_b32_e32 v40, 0xffffffe0, v40
	v_sub_u32_e32 v40, v39, v40
	v_cmp_eq_u32_e32 vcc, v17, v40
	s_and_saveexec_b64 s[56:57], vcc
	s_cbranch_execz .LBB459_38
; %bb.66:                               ;   in Loop: Header=BB459_40 Depth=1
	v_add_u32_sdwa v19, v18, v19 dst_sel:DWORD dst_unused:UNUSED_PAD src0_sel:DWORD src1_sel:BYTE_3
	v_lshlrev_b32_e32 v39, 3, v39
	v_sub_u32_e32 v18, v18, v39
	v_ashrrev_i32_e32 v19, 8, v19
	v_lshl_add_u32 v18, v19, 3, v18
	v_cmp_ne_u32_e32 vcc, 14, v18
	v_cmp_ne_u32_e64 s[0:1], 13, v18
	v_cmp_ne_u32_e64 s[8:9], 12, v18
	;; [unrolled: 1-line block ×15, first 2 shown]
	v_cndmask_b32_e32 v14, v37, v14, vcc
	v_cndmask_b32_e64 v13, v37, v13, s[0:1]
	v_cndmask_b32_e64 v15, v37, v15, s[36:37]
	;; [unrolled: 1-line block ×15, first 2 shown]
	s_branch .LBB459_38
.LBB459_67:
	v_mov_b32_e32 v21, 0
.LBB459_68:
	v_cmp_eq_u32_e32 vcc, 0, v17
	s_and_b64 exec, exec, vcc
	s_cbranch_execz .LBB459_81
; %bb.69:
	s_andn2_b64 vcc, exec, s[4:5]
	v_cvt_f32_f64_e32 v0, s[40:41]
	s_cbranch_vccnz .LBB459_71
; %bb.70:
	v_cmp_lt_f32_e32 vcc, 0, v21
	s_nop 1
	v_cndmask_b32_e32 v1, 1.0, v21, vcc
	v_div_scale_f32 v2, s[0:1], v1, v1, v0
	v_rcp_f32_e32 v3, v2
	s_nop 0
	v_fma_f32 v4, -v2, v3, 1.0
	v_fmac_f32_e32 v3, v4, v3
	v_div_scale_f32 v4, vcc, v0, v1, v0
	v_mul_f32_e32 v5, v4, v3
	v_fma_f32 v6, -v2, v5, v4
	v_fmac_f32_e32 v5, v6, v3
	v_fma_f32 v2, -v2, v5, v4
	v_div_fmas_f32 v2, v2, v3, v5
	v_div_fixup_f32 v0, v2, v1, v0
.LBB459_71:
	s_andn2_b64 vcc, exec, s[54:55]
	s_cbranch_vccnz .LBB459_81
; %bb.72:
	v_mul_lo_u32 v2, v16, s44
	s_cmp_gt_u32 s44, 3
	v_ashrrev_i32_e32 v3, 31, v2
	s_cbranch_scc0 .LBB459_76
; %bb.73:
	s_and_b32 s0, s44, 0x7ffffffc
	v_lshl_add_u64 v[4:5], v[2:3], 2, s[38:39]
	v_mov_b32_e32 v1, v0
	v_lshl_add_u64 v[4:5], v[4:5], 0, 8
	s_mov_b32 s1, s0
.LBB459_74:                             ; =>This Inner Loop Header: Depth=1
	global_load_dwordx4 v[6:9], v[4:5], off offset:-8
	s_add_i32 s1, s1, -4
	s_cmp_lg_u32 s1, 0
	s_waitcnt vmcnt(0)
	v_pk_mul_f32 v[6:7], v[0:1], v[6:7]
	v_pk_mul_f32 v[8:9], v[0:1], v[8:9]
	global_store_dwordx4 v[4:5], v[6:9], off offset:-8
	v_lshl_add_u64 v[4:5], v[4:5], 0, 16
	s_cbranch_scc1 .LBB459_74
; %bb.75:
	s_cmp_lg_u32 s0, s44
	s_cselect_b64 s[2:3], -1, 0
	s_branch .LBB459_78
.LBB459_76:
	s_mov_b64 s[2:3], 0
                                        ; implicit-def: $sgpr0
	s_cbranch_execz .LBB459_78
; %bb.77:
	s_mov_b64 s[2:3], -1
	s_mov_b32 s0, 0
.LBB459_78:
	s_andn2_b64 vcc, exec, s[2:3]
	s_cbranch_vccnz .LBB459_81
; %bb.79:
	s_mov_b32 s1, 0
	v_lshl_add_u64 v[2:3], v[2:3], 0, s[0:1]
	s_sub_i32 s2, s44, s0
	v_lshl_add_u64 v[2:3], v[2:3], 2, s[38:39]
.LBB459_80:                             ; =>This Inner Loop Header: Depth=1
	global_load_dword v1, v[2:3], off
	s_add_i32 s2, s2, -1
	s_cmp_lg_u32 s2, 0
	s_waitcnt vmcnt(0)
	v_mul_f32_e32 v1, v0, v1
	global_store_dword v[2:3], v1, off
	v_lshl_add_u64 v[2:3], v[2:3], 0, 4
	s_cbranch_scc1 .LBB459_80
.LBB459_81:
	s_endpgm
	.section	.rodata,"a",@progbits
	.p2align	6, 0x0
	.amdhsa_kernel _ZN4vllm3moe22topkGatingSoftplusSqrtILi16ELi512ELi4ELi16ELi32ELb0Ej14__hip_bfloat16EEvPKT6_PKbPfiPT5_PiiiibdPKfPKS9_SF_
		.amdhsa_group_segment_fixed_size 0
		.amdhsa_private_segment_fixed_size 0
		.amdhsa_kernarg_size 96
		.amdhsa_user_sgpr_count 2
		.amdhsa_user_sgpr_dispatch_ptr 0
		.amdhsa_user_sgpr_queue_ptr 0
		.amdhsa_user_sgpr_kernarg_segment_ptr 1
		.amdhsa_user_sgpr_dispatch_id 0
		.amdhsa_user_sgpr_kernarg_preload_length 0
		.amdhsa_user_sgpr_kernarg_preload_offset 0
		.amdhsa_user_sgpr_private_segment_size 0
		.amdhsa_uses_dynamic_stack 0
		.amdhsa_enable_private_segment 0
		.amdhsa_system_sgpr_workgroup_id_x 1
		.amdhsa_system_sgpr_workgroup_id_y 0
		.amdhsa_system_sgpr_workgroup_id_z 0
		.amdhsa_system_sgpr_workgroup_info 0
		.amdhsa_system_vgpr_workitem_id 1
		.amdhsa_next_free_vgpr 44
		.amdhsa_next_free_sgpr 59
		.amdhsa_accum_offset 44
		.amdhsa_reserve_vcc 1
		.amdhsa_float_round_mode_32 0
		.amdhsa_float_round_mode_16_64 0
		.amdhsa_float_denorm_mode_32 3
		.amdhsa_float_denorm_mode_16_64 3
		.amdhsa_dx10_clamp 1
		.amdhsa_ieee_mode 1
		.amdhsa_fp16_overflow 0
		.amdhsa_tg_split 0
		.amdhsa_exception_fp_ieee_invalid_op 0
		.amdhsa_exception_fp_denorm_src 0
		.amdhsa_exception_fp_ieee_div_zero 0
		.amdhsa_exception_fp_ieee_overflow 0
		.amdhsa_exception_fp_ieee_underflow 0
		.amdhsa_exception_fp_ieee_inexact 0
		.amdhsa_exception_int_div_zero 0
	.end_amdhsa_kernel
	.section	.text._ZN4vllm3moe22topkGatingSoftplusSqrtILi16ELi512ELi4ELi16ELi32ELb0Ej14__hip_bfloat16EEvPKT6_PKbPfiPT5_PiiiibdPKfPKS9_SF_,"axG",@progbits,_ZN4vllm3moe22topkGatingSoftplusSqrtILi16ELi512ELi4ELi16ELi32ELb0Ej14__hip_bfloat16EEvPKT6_PKbPfiPT5_PiiiibdPKfPKS9_SF_,comdat
.Lfunc_end459:
	.size	_ZN4vllm3moe22topkGatingSoftplusSqrtILi16ELi512ELi4ELi16ELi32ELb0Ej14__hip_bfloat16EEvPKT6_PKbPfiPT5_PiiiibdPKfPKS9_SF_, .Lfunc_end459-_ZN4vllm3moe22topkGatingSoftplusSqrtILi16ELi512ELi4ELi16ELi32ELb0Ej14__hip_bfloat16EEvPKT6_PKbPfiPT5_PiiiibdPKfPKS9_SF_
                                        ; -- End function
	.section	.AMDGPU.csdata,"",@progbits
; Kernel info:
; codeLenInByte = 6648
; NumSgprs: 65
; NumVgprs: 44
; NumAgprs: 0
; TotalNumVgprs: 44
; ScratchSize: 0
; MemoryBound: 0
; FloatMode: 240
; IeeeMode: 1
; LDSByteSize: 0 bytes/workgroup (compile time only)
; SGPRBlocks: 8
; VGPRBlocks: 5
; NumSGPRsForWavesPerEU: 65
; NumVGPRsForWavesPerEU: 44
; AccumOffset: 44
; Occupancy: 8
; WaveLimiterHint : 1
; COMPUTE_PGM_RSRC2:SCRATCH_EN: 0
; COMPUTE_PGM_RSRC2:USER_SGPR: 2
; COMPUTE_PGM_RSRC2:TRAP_HANDLER: 0
; COMPUTE_PGM_RSRC2:TGID_X_EN: 1
; COMPUTE_PGM_RSRC2:TGID_Y_EN: 0
; COMPUTE_PGM_RSRC2:TGID_Z_EN: 0
; COMPUTE_PGM_RSRC2:TIDIG_COMP_CNT: 1
; COMPUTE_PGM_RSRC3_GFX90A:ACCUM_OFFSET: 10
; COMPUTE_PGM_RSRC3_GFX90A:TG_SPLIT: 0
	.section	.text._ZN4vllm3moe22topkGatingSoftplusSqrtILi3ELi192ELi4ELi2ELi64ELb1Ej14__hip_bfloat16EEvPKT6_PKbPfiPT5_PiiiibdPKfPKS9_SF_,"axG",@progbits,_ZN4vllm3moe22topkGatingSoftplusSqrtILi3ELi192ELi4ELi2ELi64ELb1Ej14__hip_bfloat16EEvPKT6_PKbPfiPT5_PiiiibdPKfPKS9_SF_,comdat
	.protected	_ZN4vllm3moe22topkGatingSoftplusSqrtILi3ELi192ELi4ELi2ELi64ELb1Ej14__hip_bfloat16EEvPKT6_PKbPfiPT5_PiiiibdPKfPKS9_SF_ ; -- Begin function _ZN4vllm3moe22topkGatingSoftplusSqrtILi3ELi192ELi4ELi2ELi64ELb1Ej14__hip_bfloat16EEvPKT6_PKbPfiPT5_PiiiibdPKfPKS9_SF_
	.globl	_ZN4vllm3moe22topkGatingSoftplusSqrtILi3ELi192ELi4ELi2ELi64ELb1Ej14__hip_bfloat16EEvPKT6_PKbPfiPT5_PiiiibdPKfPKS9_SF_
	.p2align	8
	.type	_ZN4vllm3moe22topkGatingSoftplusSqrtILi3ELi192ELi4ELi2ELi64ELb1Ej14__hip_bfloat16EEvPKT6_PKbPfiPT5_PiiiibdPKfPKS9_SF_,@function
_ZN4vllm3moe22topkGatingSoftplusSqrtILi3ELi192ELi4ELi2ELi64ELb1Ej14__hip_bfloat16EEvPKT6_PKbPfiPT5_PiiiibdPKfPKS9_SF_: ; @_ZN4vllm3moe22topkGatingSoftplusSqrtILi3ELi192ELi4ELi2ELi64ELb1Ej14__hip_bfloat16EEvPKT6_PKbPfiPT5_PiiiibdPKfPKS9_SF_
; %bb.0:
	s_load_dword s3, s[0:1], 0x18
	v_and_b32_e32 v1, 0x3ff, v0
	s_lshl_b32 s2, s2, 2
	v_lshrrev_b32_e32 v2, 6, v1
	v_bfe_u32 v0, v0, 10, 10
	v_add3_u32 v2, s2, v0, v2
	s_waitcnt lgkmcnt(0)
	v_cmp_gt_i32_e32 vcc, s3, v2
	s_and_saveexec_b64 s[2:3], vcc
	s_cbranch_execz .LBB460_70
; %bb.1:
	s_load_dwordx2 s[2:3], s[0:1], 0x0
	s_load_dword s20, s[0:1], 0x30
	s_load_dwordx4 s[8:11], s[0:1], 0x50
	s_movk_i32 s4, 0xc0
	v_mul_lo_u32 v4, v2, s4
	v_ashrrev_i32_e32 v5, 31, v4
	v_and_b32_e32 v12, 63, v1
	s_waitcnt lgkmcnt(0)
	v_lshl_add_u64 v[4:5], v[4:5], 1, s[2:3]
	v_lshlrev_b32_e32 v0, 1, v12
	v_mov_b32_e32 v1, 0
	v_lshl_add_u64 v[4:5], v[4:5], 0, v[0:1]
	global_load_ushort v0, v[4:5], off offset:256
	global_load_ushort v6, v[4:5], off offset:128
	global_load_ushort v7, v[4:5], off
	v_mov_b32_e32 v4, s8
	v_mov_b32_e32 v5, s9
	v_ashrrev_i32_e32 v3, 31, v2
	v_lshl_add_u64 v[4:5], v[2:3], 2, v[4:5]
	global_load_dword v3, v[4:5], off
	s_mov_b32 s4, 0x800000
	v_mov_b32_e32 v8, 0x4f800000
	v_mov_b32_e32 v9, 0x41b17218
	s_mov_b32 s7, 0x3f317217
	s_mov_b32 s9, 0x7f800000
	;; [unrolled: 1-line block ×4, first 2 shown]
	v_mov_b32_e32 v15, 0x260
	s_cmp_gt_i32 s20, 0
	s_mov_b32 s8, 0
	v_mul_lo_u32 v2, v2, s20
	s_waitcnt vmcnt(3)
	v_lshlrev_b32_e32 v10, 16, v0
	s_waitcnt vmcnt(2)
	v_lshlrev_b32_e32 v6, 16, v6
	;; [unrolled: 2-line block ×3, first 2 shown]
	v_mul_f32_e32 v0, 0x3fb8aa3b, v7
	v_mul_f32_e32 v5, 0x3fb8aa3b, v6
	v_exp_f32_e32 v4, v0
	v_exp_f32_e32 v5, v5
	v_mul_f32_e32 v11, 0x3fb8aa3b, v10
	v_exp_f32_e32 v11, v11
	s_waitcnt vmcnt(0)
	v_mul_lo_u32 v0, v3, s20
	v_pk_add_f32 v[4:5], v[4:5], 1.0 op_sel_hi:[1,0]
	v_add_f32_e32 v3, 1.0, v11
	v_cmp_gt_f32_e32 vcc, s4, v5
	v_cmp_gt_f32_e64 s[2:3], s4, v4
	v_cmp_gt_f32_e64 s[4:5], s4, v3
	v_cndmask_b32_e32 v11, 1.0, v8, vcc
	v_cndmask_b32_e64 v13, 1.0, v8, s[2:3]
	v_mul_f32_e32 v5, v5, v11
	v_cndmask_b32_e64 v8, 1.0, v8, s[4:5]
	v_mul_f32_e32 v4, v4, v13
	v_log_f32_e32 v5, v5
	v_mul_f32_e32 v3, v3, v8
	v_log_f32_e32 v4, v4
	v_log_f32_e32 v3, v3
	v_cndmask_b32_e32 v11, 0, v9, vcc
	v_cndmask_b32_e64 v13, 0, v9, s[2:3]
	v_cndmask_b32_e64 v8, 0, v9, s[4:5]
	v_mul_f32_e32 v9, 0x3f317217, v5
	v_mul_f32_e32 v14, 0x3f317217, v4
	v_fma_f32 v9, v5, s7, -v9
	v_mul_f32_e32 v16, 0x3f317217, v3
	v_fma_f32 v14, v4, s7, -v14
	v_fmac_f32_e32 v9, 0x3377d1cf, v5
	v_fma_f32 v16, v3, s7, -v16
	v_fmac_f32_e32 v14, 0x3377d1cf, v4
	v_fmac_f32_e32 v9, 0x3f317217, v5
	v_cmp_lt_f32_e64 vcc, |v5|, s9
	v_fmac_f32_e32 v16, 0x3377d1cf, v3
	v_fmac_f32_e32 v14, 0x3f317217, v4
	v_cndmask_b32_e32 v5, v5, v9, vcc
	v_cmp_lt_f32_e64 vcc, |v4|, s9
	v_fmac_f32_e32 v16, 0x3f317217, v3
	v_sub_f32_e32 v5, v5, v11
	v_cndmask_b32_e32 v4, v4, v14, vcc
	v_cmp_lt_f32_e64 vcc, |v3|, s9
	v_sub_f32_e32 v4, v4, v13
	s_nop 0
	v_cndmask_b32_e32 v3, v3, v16, vcc
	v_cmp_lt_f32_e32 vcc, s6, v7
	v_sub_f32_e32 v3, v3, v8
	s_nop 0
	v_cndmask_b32_e32 v4, v4, v7, vcc
	v_cmp_lt_f32_e32 vcc, s6, v6
	v_mul_f32_e32 v7, 0x4f800000, v4
	v_cmp_gt_f32_e64 s[2:3], s12, v4
	v_cndmask_b32_e32 v5, v5, v6, vcc
	v_cmp_lt_f32_e32 vcc, s6, v10
	v_mul_f32_e32 v6, 0x4f800000, v5
	v_cndmask_b32_e64 v4, v4, v7, s[2:3]
	v_cndmask_b32_e32 v3, v3, v10, vcc
	v_cmp_gt_f32_e32 vcc, s12, v5
	v_sqrt_f32_e32 v7, v4
	v_mul_f32_e32 v8, 0x4f800000, v3
	v_cndmask_b32_e32 v5, v5, v6, vcc
	v_sqrt_f32_e32 v6, v5
	v_cmp_gt_f32_e64 s[4:5], s12, v3
	v_add_u32_e32 v11, -1, v7
	v_fma_f32 v18, -v11, v7, v4
	v_add_u32_e32 v9, -1, v6
	v_fma_f32 v14, -v9, v6, v5
	v_cndmask_b32_e64 v3, v3, v8, s[4:5]
	v_add_u32_e32 v10, 1, v6
	v_cmp_ge_f32_e64 s[6:7], 0, v14
	v_sqrt_f32_e32 v8, v3
	v_add_u32_e32 v13, 1, v7
	v_fma_f32 v17, -v10, v6, v5
	v_cndmask_b32_e64 v6, v6, v9, s[6:7]
	v_cmp_ge_f32_e64 s[6:7], 0, v18
	v_fma_f32 v19, -v13, v7, v4
	v_add_u32_e32 v16, -1, v8
	v_cndmask_b32_e64 v7, v7, v11, s[6:7]
	v_cmp_lt_f32_e64 s[6:7], 0, v17
	v_fma_f32 v20, -v16, v8, v3
	s_nop 0
	v_cndmask_b32_e64 v6, v6, v10, s[6:7]
	v_cmp_lt_f32_e64 s[6:7], 0, v19
	v_mul_f32_e32 v9, 0x37800000, v6
	v_cndmask_b32_e32 v6, v6, v9, vcc
	v_cndmask_b32_e64 v7, v7, v13, s[6:7]
	v_mul_f32_e32 v10, 0x37800000, v7
	v_cmp_class_f32_e32 vcc, v5, v15
	v_cndmask_b32_e64 v7, v7, v10, s[2:3]
	v_mov_b32_e32 v10, v1
	v_cndmask_b32_e32 v13, v6, v5, vcc
	v_cmp_class_f32_e32 vcc, v4, v15
	v_add_u32_e32 v5, 1, v8
	v_fma_f32 v6, -v5, v8, v3
	v_cndmask_b32_e32 v14, v7, v4, vcc
	v_cmp_ge_f32_e32 vcc, 0, v20
	s_nop 1
	v_cndmask_b32_e32 v4, v8, v16, vcc
	v_cmp_lt_f32_e32 vcc, 0, v6
	s_nop 1
	v_cndmask_b32_e32 v4, v4, v5, vcc
	v_mul_f32_e32 v5, 0x37800000, v4
	v_cndmask_b32_e64 v4, v4, v5, s[4:5]
	v_cmp_class_f32_e32 vcc, v3, v15
	s_cselect_b64 s[4:5], -1, 0
	s_cmp_lt_i32 s20, 1
	v_cndmask_b32_e32 v15, v4, v3, vcc
	v_lshl_add_u64 v[4:5], v[0:1], 2, s[10:11]
	s_cbranch_scc1 .LBB460_29
; %bb.2:
	s_load_dwordx2 s[6:7], s[0:1], 0x20
	s_cmp_lt_u32 s20, 4
	s_cbranch_scc1 .LBB460_21
; %bb.3:
	s_mov_b32 s13, 0
	s_and_b32 s8, s20, 0x7ffffffc
	v_ashrrev_i32_e32 v3, 31, v2
	v_mov_b32_e32 v10, 0
	s_mov_b32 s12, s13
	s_branch .LBB460_5
.LBB460_4:                              ;   in Loop: Header=BB460_5 Depth=1
	s_or_b64 exec, exec, s[14:15]
	s_add_i32 s12, s12, 4
	s_cmp_eq_u32 s12, s8
	s_cbranch_scc1 .LBB460_22
.LBB460_5:                              ; =>This Loop Header: Depth=1
                                        ;     Child Loop BB460_7 Depth 2
                                        ;     Child Loop BB460_11 Depth 2
	;; [unrolled: 1-line block ×4, first 2 shown]
	v_lshl_add_u64 v[6:7], s[12:13], 2, v[4:5]
	global_load_dword v11, v[6:7], off
	v_add_u32_e32 v8, s12, v2
	v_ashrrev_i32_e32 v9, 31, v8
	s_waitcnt lgkmcnt(0)
	v_lshl_add_u64 v[8:9], v[8:9], 2, s[6:7]
	s_mov_b64 s[14:15], 0
	v_mov_b32_e32 v16, v12
	s_mov_b64 s[16:17], 0
	s_waitcnt vmcnt(0)
	s_branch .LBB460_7
.LBB460_6:                              ;   in Loop: Header=BB460_7 Depth=2
	s_or_b64 exec, exec, s[18:19]
	s_cmp_gt_u32 s16, 1
	s_cselect_b64 s[2:3], -1, 0
	s_xor_b64 s[18:19], vcc, -1
	s_or_b64 s[2:3], s[18:19], s[2:3]
	s_add_u32 s16, s16, 1
	s_addc_u32 s17, s17, 0
	s_and_b64 s[2:3], exec, s[2:3]
	s_or_b64 s[14:15], s[2:3], s[14:15]
	v_add_u32_e32 v16, 64, v16
	s_andn2_b64 exec, exec, s[14:15]
	s_cbranch_execz .LBB460_9
.LBB460_7:                              ;   Parent Loop BB460_5 Depth=1
                                        ; =>  This Inner Loop Header: Depth=2
	v_cmp_ne_u32_e32 vcc, v11, v16
	v_cmp_eq_u32_e64 s[2:3], v11, v16
	s_and_saveexec_b64 s[18:19], s[2:3]
	s_cbranch_execz .LBB460_6
; %bb.8:                                ;   in Loop: Header=BB460_7 Depth=2
	s_cmp_eq_u32 s16, 1
	s_cselect_b64 s[2:3], -1, 0
	s_cmp_eq_u32 s16, 2
	v_cndmask_b32_e64 v17, v14, v13, s[2:3]
	s_cselect_b64 s[2:3], -1, 0
	v_cndmask_b32_e64 v17, v17, v15, s[2:3]
	v_add_f32_e32 v10, v10, v17
	global_store_dword v[8:9], v11, off
	s_branch .LBB460_6
.LBB460_9:                              ;   in Loop: Header=BB460_5 Depth=1
	s_or_b64 exec, exec, s[14:15]
	global_load_dword v11, v[6:7], off offset:4
	s_ashr_i32 s3, s12, 31
	s_mov_b32 s2, s12
	v_lshl_add_u64 v[8:9], s[2:3], 0, v[2:3]
	v_lshl_add_u64 v[8:9], v[8:9], 2, s[6:7]
	s_mov_b64 s[14:15], 0
	v_mov_b32_e32 v16, v12
	s_mov_b64 s[16:17], 0
	s_waitcnt vmcnt(0)
	s_branch .LBB460_11
.LBB460_10:                             ;   in Loop: Header=BB460_11 Depth=2
	s_or_b64 exec, exec, s[18:19]
	s_cmp_gt_u32 s16, 1
	s_cselect_b64 s[2:3], -1, 0
	s_xor_b64 s[18:19], vcc, -1
	s_or_b64 s[2:3], s[18:19], s[2:3]
	s_add_u32 s16, s16, 1
	s_addc_u32 s17, s17, 0
	s_and_b64 s[2:3], exec, s[2:3]
	s_or_b64 s[14:15], s[2:3], s[14:15]
	v_add_u32_e32 v16, 64, v16
	s_andn2_b64 exec, exec, s[14:15]
	s_cbranch_execz .LBB460_13
.LBB460_11:                             ;   Parent Loop BB460_5 Depth=1
                                        ; =>  This Inner Loop Header: Depth=2
	v_cmp_ne_u32_e32 vcc, v11, v16
	v_cmp_eq_u32_e64 s[2:3], v11, v16
	s_and_saveexec_b64 s[18:19], s[2:3]
	s_cbranch_execz .LBB460_10
; %bb.12:                               ;   in Loop: Header=BB460_11 Depth=2
	s_cmp_eq_u32 s16, 1
	s_cselect_b64 s[2:3], -1, 0
	s_cmp_eq_u32 s16, 2
	v_cndmask_b32_e64 v17, v14, v13, s[2:3]
	s_cselect_b64 s[2:3], -1, 0
	v_cndmask_b32_e64 v17, v17, v15, s[2:3]
	v_add_f32_e32 v10, v10, v17
	global_store_dword v[8:9], v11, off offset:4
	s_branch .LBB460_10
.LBB460_13:                             ;   in Loop: Header=BB460_5 Depth=1
	s_or_b64 exec, exec, s[14:15]
	global_load_dword v11, v[6:7], off offset:8
	s_mov_b64 s[14:15], 0
	v_mov_b32_e32 v16, v12
	s_mov_b64 s[16:17], 0
	s_waitcnt vmcnt(0)
	s_branch .LBB460_15
.LBB460_14:                             ;   in Loop: Header=BB460_15 Depth=2
	s_or_b64 exec, exec, s[18:19]
	s_cmp_gt_u32 s16, 1
	s_cselect_b64 s[2:3], -1, 0
	s_xor_b64 s[18:19], vcc, -1
	s_or_b64 s[2:3], s[18:19], s[2:3]
	s_add_u32 s16, s16, 1
	s_addc_u32 s17, s17, 0
	s_and_b64 s[2:3], exec, s[2:3]
	s_or_b64 s[14:15], s[2:3], s[14:15]
	v_add_u32_e32 v16, 64, v16
	s_andn2_b64 exec, exec, s[14:15]
	s_cbranch_execz .LBB460_17
.LBB460_15:                             ;   Parent Loop BB460_5 Depth=1
                                        ; =>  This Inner Loop Header: Depth=2
	v_cmp_ne_u32_e32 vcc, v11, v16
	v_cmp_eq_u32_e64 s[2:3], v11, v16
	s_and_saveexec_b64 s[18:19], s[2:3]
	s_cbranch_execz .LBB460_14
; %bb.16:                               ;   in Loop: Header=BB460_15 Depth=2
	s_cmp_eq_u32 s16, 1
	s_cselect_b64 s[2:3], -1, 0
	s_cmp_eq_u32 s16, 2
	v_cndmask_b32_e64 v17, v14, v13, s[2:3]
	s_cselect_b64 s[2:3], -1, 0
	v_cndmask_b32_e64 v17, v17, v15, s[2:3]
	v_add_f32_e32 v10, v10, v17
	global_store_dword v[8:9], v11, off offset:8
	s_branch .LBB460_14
.LBB460_17:                             ;   in Loop: Header=BB460_5 Depth=1
	s_or_b64 exec, exec, s[14:15]
	global_load_dword v6, v[6:7], off offset:12
	s_mov_b64 s[14:15], 0
	v_mov_b32_e32 v7, v12
	s_mov_b64 s[16:17], 0
	s_waitcnt vmcnt(0)
	s_branch .LBB460_19
.LBB460_18:                             ;   in Loop: Header=BB460_19 Depth=2
	s_or_b64 exec, exec, s[18:19]
	s_cmp_gt_u32 s16, 1
	s_cselect_b64 s[2:3], -1, 0
	s_xor_b64 s[18:19], vcc, -1
	s_or_b64 s[2:3], s[18:19], s[2:3]
	s_add_u32 s16, s16, 1
	s_addc_u32 s17, s17, 0
	s_and_b64 s[2:3], exec, s[2:3]
	s_or_b64 s[14:15], s[2:3], s[14:15]
	v_add_u32_e32 v7, 64, v7
	s_andn2_b64 exec, exec, s[14:15]
	s_cbranch_execz .LBB460_4
.LBB460_19:                             ;   Parent Loop BB460_5 Depth=1
                                        ; =>  This Inner Loop Header: Depth=2
	v_cmp_ne_u32_e32 vcc, v6, v7
	v_cmp_eq_u32_e64 s[2:3], v6, v7
	s_and_saveexec_b64 s[18:19], s[2:3]
	s_cbranch_execz .LBB460_18
; %bb.20:                               ;   in Loop: Header=BB460_19 Depth=2
	s_cmp_eq_u32 s16, 1
	s_cselect_b64 s[2:3], -1, 0
	s_cmp_eq_u32 s16, 2
	v_cndmask_b32_e64 v11, v14, v13, s[2:3]
	s_cselect_b64 s[2:3], -1, 0
	v_cndmask_b32_e64 v11, v11, v15, s[2:3]
	v_add_f32_e32 v10, v10, v11
	global_store_dword v[8:9], v6, off offset:12
	s_branch .LBB460_18
.LBB460_21:
	v_mov_b32_e32 v10, 0
.LBB460_22:
	s_and_b32 s18, s20, 3
	s_cmp_eq_u32 s18, 0
	s_mov_b32 s9, 0
	s_cbranch_scc1 .LBB460_29
; %bb.23:
	s_mov_b32 s19, s9
	s_branch .LBB460_25
.LBB460_24:                             ;   in Loop: Header=BB460_25 Depth=1
	s_or_b64 exec, exec, s[12:13]
	s_add_i32 s8, s8, 1
	s_add_i32 s19, s19, 1
	s_cmp_lg_u32 s19, s18
	s_cbranch_scc0 .LBB460_29
.LBB460_25:                             ; =>This Loop Header: Depth=1
                                        ;     Child Loop BB460_27 Depth 2
	v_lshl_add_u64 v[6:7], s[8:9], 2, v[4:5]
	global_load_dword v3, v[6:7], off
	v_add_u32_e32 v6, s8, v2
	v_ashrrev_i32_e32 v7, 31, v6
	s_waitcnt lgkmcnt(0)
	v_lshl_add_u64 v[6:7], v[6:7], 2, s[6:7]
	s_mov_b64 s[12:13], 0
	v_mov_b32_e32 v8, v12
	s_mov_b64 s[14:15], 0
	s_waitcnt vmcnt(0)
	s_branch .LBB460_27
.LBB460_26:                             ;   in Loop: Header=BB460_27 Depth=2
	s_or_b64 exec, exec, s[16:17]
	s_cmp_gt_u32 s14, 1
	s_cselect_b64 s[2:3], -1, 0
	s_xor_b64 s[16:17], vcc, -1
	s_or_b64 s[2:3], s[16:17], s[2:3]
	s_add_u32 s14, s14, 1
	s_addc_u32 s15, s15, 0
	s_and_b64 s[2:3], exec, s[2:3]
	s_or_b64 s[12:13], s[2:3], s[12:13]
	v_add_u32_e32 v8, 64, v8
	s_andn2_b64 exec, exec, s[12:13]
	s_cbranch_execz .LBB460_24
.LBB460_27:                             ;   Parent Loop BB460_25 Depth=1
                                        ; =>  This Inner Loop Header: Depth=2
	v_cmp_ne_u32_e32 vcc, v3, v8
	v_cmp_eq_u32_e64 s[2:3], v3, v8
	s_and_saveexec_b64 s[16:17], s[2:3]
	s_cbranch_execz .LBB460_26
; %bb.28:                               ;   in Loop: Header=BB460_27 Depth=2
	s_cmp_eq_u32 s14, 1
	s_cselect_b64 s[2:3], -1, 0
	s_cmp_eq_u32 s14, 2
	v_cndmask_b32_e64 v9, v14, v13, s[2:3]
	s_cselect_b64 s[2:3], -1, 0
	v_cndmask_b32_e64 v9, v9, v15, s[2:3]
	v_add_f32_e32 v10, v10, v9
	global_store_dword v[6:7], v3, off
	s_branch .LBB460_26
.LBB460_29:
	s_waitcnt lgkmcnt(0)
	s_load_dword s6, s[0:1], 0x3c
	s_waitcnt lgkmcnt(0)
	s_bitcmp1_b32 s6, 0
	s_cselect_b64 s[2:3], -1, 0
	s_bitcmp0_b32 s6, 0
	s_cbranch_scc0 .LBB460_32
; %bb.30:
	s_load_dwordx2 s[6:7], s[0:1], 0x40
	s_andn2_b64 vcc, exec, s[2:3]
	s_waitcnt lgkmcnt(0)
	v_cvt_f32_f64_e32 v16, s[6:7]
	s_cbranch_vccz .LBB460_33
.LBB460_31:
	s_andn2_b64 vcc, exec, s[4:5]
	s_cbranch_vccz .LBB460_34
	s_branch .LBB460_70
.LBB460_32:
	v_mbcnt_lo_u32_b32 v3, -1, 0
	v_mbcnt_hi_u32_b32 v3, -1, v3
	v_and_b32_e32 v6, 64, v3
	v_add_u32_e32 v6, 64, v6
	v_xor_b32_e32 v7, 32, v3
	v_cmp_lt_i32_e32 vcc, v7, v6
	v_xor_b32_e32 v8, 16, v3
	v_xor_b32_e32 v9, 8, v3
	v_cndmask_b32_e32 v7, v3, v7, vcc
	v_lshlrev_b32_e32 v7, 2, v7
	ds_bpermute_b32 v7, v7, v10
	v_cmp_lt_i32_e32 vcc, v8, v6
	s_waitcnt lgkmcnt(0)
	v_add_f32_e32 v7, v10, v7
	v_cndmask_b32_e32 v8, v3, v8, vcc
	v_lshlrev_b32_e32 v8, 2, v8
	ds_bpermute_b32 v8, v8, v7
	v_cmp_lt_i32_e32 vcc, v9, v6
	s_waitcnt lgkmcnt(0)
	v_add_f32_e32 v7, v7, v8
	v_cndmask_b32_e32 v8, v3, v9, vcc
	v_lshlrev_b32_e32 v8, 2, v8
	ds_bpermute_b32 v8, v8, v7
	v_xor_b32_e32 v9, 4, v3
	v_cmp_lt_i32_e32 vcc, v9, v6
	s_waitcnt lgkmcnt(0)
	v_add_f32_e32 v7, v7, v8
	v_cndmask_b32_e32 v8, v3, v9, vcc
	v_lshlrev_b32_e32 v8, 2, v8
	ds_bpermute_b32 v8, v8, v7
	v_xor_b32_e32 v9, 2, v3
	;; [unrolled: 7-line block ×3, first 2 shown]
	v_cmp_lt_i32_e32 vcc, v9, v6
	s_waitcnt lgkmcnt(0)
	v_add_f32_e32 v7, v7, v8
	v_cndmask_b32_e32 v3, v3, v9, vcc
	v_lshlrev_b32_e32 v3, 2, v3
	ds_bpermute_b32 v3, v3, v7
	s_waitcnt lgkmcnt(0)
	v_add_f32_e32 v10, v7, v3
	s_load_dwordx2 s[6:7], s[0:1], 0x40
	s_andn2_b64 vcc, exec, s[2:3]
	s_waitcnt lgkmcnt(0)
	v_cvt_f32_f64_e32 v16, s[6:7]
	s_cbranch_vccnz .LBB460_31
.LBB460_33:
	v_cmp_lt_f32_e32 vcc, 0, v10
	s_nop 1
	v_cndmask_b32_e32 v3, 1.0, v10, vcc
	v_div_scale_f32 v6, s[2:3], v3, v3, v16
	v_rcp_f32_e32 v7, v6
	s_nop 0
	v_fma_f32 v8, -v6, v7, 1.0
	v_fmac_f32_e32 v7, v8, v7
	v_div_scale_f32 v8, vcc, v16, v3, v16
	v_mul_f32_e32 v9, v8, v7
	v_fma_f32 v10, -v6, v9, v8
	v_fmac_f32_e32 v9, v10, v7
	v_fma_f32 v6, -v6, v9, v8
	v_div_fmas_f32 v6, v6, v7, v9
	v_div_fixup_f32 v16, v6, v3, v16
	s_andn2_b64 vcc, exec, s[4:5]
	s_cbranch_vccnz .LBB460_70
.LBB460_34:
	s_load_dwordx2 s[0:1], s[0:1], 0x10
	v_or_b32_e32 v17, 64, v12
	v_or_b32_e32 v18, 0x80, v12
	s_cmp_lt_u32 s20, 4
	s_mov_b32 s2, 0
	s_cbranch_scc1 .LBB460_61
; %bb.35:
	v_ashrrev_i32_e32 v3, 31, v2
	s_and_b32 s2, s20, 0x7ffffffc
	s_waitcnt lgkmcnt(0)
	v_lshl_add_u64 v[6:7], v[2:3], 2, s[0:1]
	s_mov_b32 s3, 0
	s_mov_b64 s[4:5], 0
	s_branch .LBB460_37
.LBB460_36:                             ;   in Loop: Header=BB460_37 Depth=1
	s_or_b64 exec, exec, s[8:9]
	s_add_i32 s3, s3, 4
	s_add_u32 s4, s4, 16
	s_addc_u32 s5, s5, 0
	s_cmp_lg_u32 s2, s3
	s_cbranch_scc0 .LBB460_61
.LBB460_37:                             ; =>This Inner Loop Header: Depth=1
	v_lshl_add_u64 v[8:9], v[4:5], 0, s[4:5]
	global_load_dword v3, v[8:9], off
	v_mov_b64_e32 v[10:11], 0
	s_waitcnt vmcnt(0)
	v_cmp_eq_u32_e64 s[6:7], v3, v12
	v_cmp_ne_u32_e32 vcc, v3, v12
	s_and_saveexec_b64 s[8:9], vcc
	s_cbranch_execz .LBB460_41
; %bb.38:                               ;   in Loop: Header=BB460_37 Depth=1
	v_cmp_eq_u32_e64 s[12:13], v3, v17
	v_cmp_ne_u32_e32 vcc, v3, v17
	v_mov_b64_e32 v[10:11], 1
	s_and_saveexec_b64 s[14:15], vcc
	s_xor_b64 s[14:15], exec, s[14:15]
; %bb.39:                               ;   in Loop: Header=BB460_37 Depth=1
	v_cmp_eq_u32_e32 vcc, v3, v18
	s_andn2_b64 s[12:13], s[12:13], exec
	s_and_b64 s[16:17], vcc, exec
	v_mov_b64_e32 v[10:11], 2
	s_or_b64 s[12:13], s[12:13], s[16:17]
; %bb.40:                               ;   in Loop: Header=BB460_37 Depth=1
	s_or_b64 exec, exec, s[14:15]
	s_andn2_b64 s[6:7], s[6:7], exec
	s_and_b64 s[12:13], s[12:13], exec
	s_or_b64 s[6:7], s[6:7], s[12:13]
.LBB460_41:                             ;   in Loop: Header=BB460_37 Depth=1
	s_or_b64 exec, exec, s[8:9]
	s_and_saveexec_b64 s[8:9], s[6:7]
	s_cbranch_execz .LBB460_43
; %bb.42:                               ;   in Loop: Header=BB460_37 Depth=1
	v_cmp_eq_u32_e32 vcc, 1, v10
	v_add_u32_e32 v20, s3, v2
	v_ashrrev_i32_e32 v21, 31, v20
	v_cndmask_b32_e32 v3, v14, v13, vcc
	v_cmp_eq_u32_e32 vcc, 2, v10
	v_lshl_add_u64 v[10:11], v[20:21], 2, s[0:1]
	s_nop 0
	v_cndmask_b32_e32 v3, v3, v15, vcc
	v_mul_f32_e32 v3, v16, v3
	global_store_dword v[10:11], v3, off
.LBB460_43:                             ;   in Loop: Header=BB460_37 Depth=1
	s_or_b64 exec, exec, s[8:9]
	global_load_dword v3, v[8:9], off offset:4
	v_mov_b64_e32 v[10:11], 0
	s_waitcnt vmcnt(0)
	v_cmp_eq_u32_e64 s[6:7], v3, v12
	v_cmp_ne_u32_e32 vcc, v3, v12
	s_and_saveexec_b64 s[8:9], vcc
	s_cbranch_execz .LBB460_47
; %bb.44:                               ;   in Loop: Header=BB460_37 Depth=1
	v_cmp_eq_u32_e64 s[12:13], v3, v17
	v_cmp_ne_u32_e32 vcc, v3, v17
	v_mov_b64_e32 v[10:11], 1
	s_and_saveexec_b64 s[14:15], vcc
; %bb.45:                               ;   in Loop: Header=BB460_37 Depth=1
	v_cmp_eq_u32_e32 vcc, v3, v18
	s_andn2_b64 s[12:13], s[12:13], exec
	s_and_b64 s[16:17], vcc, exec
	v_mov_b64_e32 v[10:11], 2
	s_or_b64 s[12:13], s[12:13], s[16:17]
; %bb.46:                               ;   in Loop: Header=BB460_37 Depth=1
	s_or_b64 exec, exec, s[14:15]
	s_andn2_b64 s[6:7], s[6:7], exec
	s_and_b64 s[12:13], s[12:13], exec
	s_or_b64 s[6:7], s[6:7], s[12:13]
.LBB460_47:                             ;   in Loop: Header=BB460_37 Depth=1
	s_or_b64 exec, exec, s[8:9]
	s_and_saveexec_b64 s[8:9], s[6:7]
	s_cbranch_execz .LBB460_49
; %bb.48:                               ;   in Loop: Header=BB460_37 Depth=1
	v_cmp_eq_u32_e32 vcc, 1, v10
	s_nop 1
	v_cndmask_b32_e32 v3, v14, v13, vcc
	v_cmp_eq_u32_e32 vcc, 2, v10
	v_lshl_add_u64 v[10:11], v[6:7], 0, s[4:5]
	s_nop 0
	v_cndmask_b32_e32 v3, v3, v15, vcc
	v_mul_f32_e32 v3, v16, v3
	global_store_dword v[10:11], v3, off offset:4
.LBB460_49:                             ;   in Loop: Header=BB460_37 Depth=1
	s_or_b64 exec, exec, s[8:9]
	global_load_dword v3, v[8:9], off offset:8
	v_mov_b64_e32 v[10:11], 0
	s_waitcnt vmcnt(0)
	v_cmp_eq_u32_e64 s[6:7], v3, v12
	v_cmp_ne_u32_e32 vcc, v3, v12
	s_and_saveexec_b64 s[8:9], vcc
	s_cbranch_execz .LBB460_53
; %bb.50:                               ;   in Loop: Header=BB460_37 Depth=1
	v_cmp_eq_u32_e64 s[12:13], v3, v17
	v_cmp_ne_u32_e32 vcc, v3, v17
	v_mov_b64_e32 v[10:11], 1
	s_and_saveexec_b64 s[14:15], vcc
; %bb.51:                               ;   in Loop: Header=BB460_37 Depth=1
	v_cmp_eq_u32_e32 vcc, v3, v18
	s_andn2_b64 s[12:13], s[12:13], exec
	s_and_b64 s[16:17], vcc, exec
	v_mov_b64_e32 v[10:11], 2
	s_or_b64 s[12:13], s[12:13], s[16:17]
; %bb.52:                               ;   in Loop: Header=BB460_37 Depth=1
	s_or_b64 exec, exec, s[14:15]
	s_andn2_b64 s[6:7], s[6:7], exec
	s_and_b64 s[12:13], s[12:13], exec
	s_or_b64 s[6:7], s[6:7], s[12:13]
.LBB460_53:                             ;   in Loop: Header=BB460_37 Depth=1
	s_or_b64 exec, exec, s[8:9]
	s_and_saveexec_b64 s[8:9], s[6:7]
	s_cbranch_execz .LBB460_55
; %bb.54:                               ;   in Loop: Header=BB460_37 Depth=1
	v_cmp_eq_u32_e32 vcc, 1, v10
	s_nop 1
	v_cndmask_b32_e32 v3, v14, v13, vcc
	v_cmp_eq_u32_e32 vcc, 2, v10
	v_lshl_add_u64 v[10:11], v[6:7], 0, s[4:5]
	s_nop 0
	v_cndmask_b32_e32 v3, v3, v15, vcc
	v_mul_f32_e32 v3, v16, v3
	global_store_dword v[10:11], v3, off offset:8
.LBB460_55:                             ;   in Loop: Header=BB460_37 Depth=1
	s_or_b64 exec, exec, s[8:9]
	global_load_dword v3, v[8:9], off offset:12
	v_mov_b64_e32 v[8:9], 0
	s_waitcnt vmcnt(0)
	v_cmp_eq_u32_e64 s[6:7], v3, v12
	v_cmp_ne_u32_e32 vcc, v3, v12
	s_and_saveexec_b64 s[8:9], vcc
	s_cbranch_execz .LBB460_59
; %bb.56:                               ;   in Loop: Header=BB460_37 Depth=1
	v_cmp_eq_u32_e64 s[12:13], v3, v17
	v_cmp_ne_u32_e32 vcc, v3, v17
	v_mov_b64_e32 v[8:9], 1
	s_and_saveexec_b64 s[14:15], vcc
; %bb.57:                               ;   in Loop: Header=BB460_37 Depth=1
	v_cmp_eq_u32_e32 vcc, v3, v18
	s_andn2_b64 s[12:13], s[12:13], exec
	s_and_b64 s[16:17], vcc, exec
	v_mov_b64_e32 v[8:9], 2
	s_or_b64 s[12:13], s[12:13], s[16:17]
; %bb.58:                               ;   in Loop: Header=BB460_37 Depth=1
	s_or_b64 exec, exec, s[14:15]
	s_andn2_b64 s[6:7], s[6:7], exec
	s_and_b64 s[12:13], s[12:13], exec
	s_or_b64 s[6:7], s[6:7], s[12:13]
.LBB460_59:                             ;   in Loop: Header=BB460_37 Depth=1
	s_or_b64 exec, exec, s[8:9]
	s_and_saveexec_b64 s[8:9], s[6:7]
	s_cbranch_execz .LBB460_36
; %bb.60:                               ;   in Loop: Header=BB460_37 Depth=1
	v_cmp_eq_u32_e32 vcc, 1, v8
	s_nop 1
	v_cndmask_b32_e32 v3, v14, v13, vcc
	v_cmp_eq_u32_e32 vcc, 2, v8
	v_lshl_add_u64 v[8:9], v[6:7], 0, s[4:5]
	s_nop 0
	v_cndmask_b32_e32 v3, v3, v15, vcc
	v_mul_f32_e32 v3, v16, v3
	global_store_dword v[8:9], v3, off offset:12
	s_branch .LBB460_36
.LBB460_61:
	s_and_b32 s12, s20, 3
	s_cmp_eq_u32 s12, 0
	s_mov_b32 s3, 0
	s_cbranch_scc1 .LBB460_70
; %bb.62:
	v_add_u32_e32 v2, s2, v2
	s_lshl_b64 s[2:3], s[2:3], 2
	s_add_u32 s2, s10, s2
	s_addc_u32 s3, s11, s3
	v_lshl_add_u64 v[0:1], v[0:1], 2, s[2:3]
	s_branch .LBB460_64
.LBB460_63:                             ;   in Loop: Header=BB460_64 Depth=1
	s_or_b64 exec, exec, s[4:5]
	s_add_i32 s12, s12, -1
	v_add_u32_e32 v2, 1, v2
	s_cmp_lg_u32 s12, 0
	v_lshl_add_u64 v[0:1], v[0:1], 0, 4
	s_cbranch_scc0 .LBB460_70
.LBB460_64:                             ; =>This Inner Loop Header: Depth=1
	global_load_dword v3, v[0:1], off
	v_mov_b64_e32 v[4:5], 0
	s_waitcnt vmcnt(0)
	v_cmp_eq_u32_e64 s[2:3], v3, v12
	v_cmp_ne_u32_e32 vcc, v3, v12
	s_and_saveexec_b64 s[4:5], vcc
	s_cbranch_execz .LBB460_68
; %bb.65:                               ;   in Loop: Header=BB460_64 Depth=1
	v_cmp_eq_u32_e64 s[6:7], v3, v17
	v_cmp_ne_u32_e32 vcc, v3, v17
	v_mov_b64_e32 v[4:5], 1
	s_and_saveexec_b64 s[8:9], vcc
; %bb.66:                               ;   in Loop: Header=BB460_64 Depth=1
	v_cmp_eq_u32_e32 vcc, v3, v18
	s_andn2_b64 s[6:7], s[6:7], exec
	s_and_b64 s[10:11], vcc, exec
	v_mov_b64_e32 v[4:5], 2
	s_or_b64 s[6:7], s[6:7], s[10:11]
; %bb.67:                               ;   in Loop: Header=BB460_64 Depth=1
	s_or_b64 exec, exec, s[8:9]
	s_andn2_b64 s[2:3], s[2:3], exec
	s_and_b64 s[6:7], s[6:7], exec
	s_or_b64 s[2:3], s[2:3], s[6:7]
.LBB460_68:                             ;   in Loop: Header=BB460_64 Depth=1
	s_or_b64 exec, exec, s[4:5]
	s_and_saveexec_b64 s[4:5], s[2:3]
	s_cbranch_execz .LBB460_63
; %bb.69:                               ;   in Loop: Header=BB460_64 Depth=1
	v_cmp_eq_u32_e32 vcc, 1, v4
	s_nop 1
	v_cndmask_b32_e32 v3, v14, v13, vcc
	v_cmp_eq_u32_e32 vcc, 2, v4
	s_nop 1
	v_cndmask_b32_e32 v3, v3, v15, vcc
	v_mul_f32_e32 v6, v16, v3
	v_ashrrev_i32_e32 v3, 31, v2
	s_waitcnt lgkmcnt(0)
	v_lshl_add_u64 v[4:5], v[2:3], 2, s[0:1]
	global_store_dword v[4:5], v6, off
	s_branch .LBB460_63
.LBB460_70:
	s_endpgm
	.section	.rodata,"a",@progbits
	.p2align	6, 0x0
	.amdhsa_kernel _ZN4vllm3moe22topkGatingSoftplusSqrtILi3ELi192ELi4ELi2ELi64ELb1Ej14__hip_bfloat16EEvPKT6_PKbPfiPT5_PiiiibdPKfPKS9_SF_
		.amdhsa_group_segment_fixed_size 0
		.amdhsa_private_segment_fixed_size 0
		.amdhsa_kernarg_size 96
		.amdhsa_user_sgpr_count 2
		.amdhsa_user_sgpr_dispatch_ptr 0
		.amdhsa_user_sgpr_queue_ptr 0
		.amdhsa_user_sgpr_kernarg_segment_ptr 1
		.amdhsa_user_sgpr_dispatch_id 0
		.amdhsa_user_sgpr_kernarg_preload_length 0
		.amdhsa_user_sgpr_kernarg_preload_offset 0
		.amdhsa_user_sgpr_private_segment_size 0
		.amdhsa_uses_dynamic_stack 0
		.amdhsa_enable_private_segment 0
		.amdhsa_system_sgpr_workgroup_id_x 1
		.amdhsa_system_sgpr_workgroup_id_y 0
		.amdhsa_system_sgpr_workgroup_id_z 0
		.amdhsa_system_sgpr_workgroup_info 0
		.amdhsa_system_vgpr_workitem_id 1
		.amdhsa_next_free_vgpr 22
		.amdhsa_next_free_sgpr 21
		.amdhsa_accum_offset 24
		.amdhsa_reserve_vcc 1
		.amdhsa_float_round_mode_32 0
		.amdhsa_float_round_mode_16_64 0
		.amdhsa_float_denorm_mode_32 3
		.amdhsa_float_denorm_mode_16_64 3
		.amdhsa_dx10_clamp 1
		.amdhsa_ieee_mode 1
		.amdhsa_fp16_overflow 0
		.amdhsa_tg_split 0
		.amdhsa_exception_fp_ieee_invalid_op 0
		.amdhsa_exception_fp_denorm_src 0
		.amdhsa_exception_fp_ieee_div_zero 0
		.amdhsa_exception_fp_ieee_overflow 0
		.amdhsa_exception_fp_ieee_underflow 0
		.amdhsa_exception_fp_ieee_inexact 0
		.amdhsa_exception_int_div_zero 0
	.end_amdhsa_kernel
	.section	.text._ZN4vllm3moe22topkGatingSoftplusSqrtILi3ELi192ELi4ELi2ELi64ELb1Ej14__hip_bfloat16EEvPKT6_PKbPfiPT5_PiiiibdPKfPKS9_SF_,"axG",@progbits,_ZN4vllm3moe22topkGatingSoftplusSqrtILi3ELi192ELi4ELi2ELi64ELb1Ej14__hip_bfloat16EEvPKT6_PKbPfiPT5_PiiiibdPKfPKS9_SF_,comdat
.Lfunc_end460:
	.size	_ZN4vllm3moe22topkGatingSoftplusSqrtILi3ELi192ELi4ELi2ELi64ELb1Ej14__hip_bfloat16EEvPKT6_PKbPfiPT5_PiiiibdPKfPKS9_SF_, .Lfunc_end460-_ZN4vllm3moe22topkGatingSoftplusSqrtILi3ELi192ELi4ELi2ELi64ELb1Ej14__hip_bfloat16EEvPKT6_PKbPfiPT5_PiiiibdPKfPKS9_SF_
                                        ; -- End function
	.section	.AMDGPU.csdata,"",@progbits
; Kernel info:
; codeLenInByte = 3212
; NumSgprs: 27
; NumVgprs: 22
; NumAgprs: 0
; TotalNumVgprs: 22
; ScratchSize: 0
; MemoryBound: 0
; FloatMode: 240
; IeeeMode: 1
; LDSByteSize: 0 bytes/workgroup (compile time only)
; SGPRBlocks: 3
; VGPRBlocks: 2
; NumSGPRsForWavesPerEU: 27
; NumVGPRsForWavesPerEU: 22
; AccumOffset: 24
; Occupancy: 8
; WaveLimiterHint : 1
; COMPUTE_PGM_RSRC2:SCRATCH_EN: 0
; COMPUTE_PGM_RSRC2:USER_SGPR: 2
; COMPUTE_PGM_RSRC2:TRAP_HANDLER: 0
; COMPUTE_PGM_RSRC2:TGID_X_EN: 1
; COMPUTE_PGM_RSRC2:TGID_Y_EN: 0
; COMPUTE_PGM_RSRC2:TGID_Z_EN: 0
; COMPUTE_PGM_RSRC2:TIDIG_COMP_CNT: 1
; COMPUTE_PGM_RSRC3_GFX90A:ACCUM_OFFSET: 5
; COMPUTE_PGM_RSRC3_GFX90A:TG_SPLIT: 0
	.section	.text._ZN4vllm3moe22topkGatingSoftplusSqrtILi3ELi192ELi4ELi2ELi64ELb0Ej14__hip_bfloat16EEvPKT6_PKbPfiPT5_PiiiibdPKfPKS9_SF_,"axG",@progbits,_ZN4vllm3moe22topkGatingSoftplusSqrtILi3ELi192ELi4ELi2ELi64ELb0Ej14__hip_bfloat16EEvPKT6_PKbPfiPT5_PiiiibdPKfPKS9_SF_,comdat
	.protected	_ZN4vllm3moe22topkGatingSoftplusSqrtILi3ELi192ELi4ELi2ELi64ELb0Ej14__hip_bfloat16EEvPKT6_PKbPfiPT5_PiiiibdPKfPKS9_SF_ ; -- Begin function _ZN4vllm3moe22topkGatingSoftplusSqrtILi3ELi192ELi4ELi2ELi64ELb0Ej14__hip_bfloat16EEvPKT6_PKbPfiPT5_PiiiibdPKfPKS9_SF_
	.globl	_ZN4vllm3moe22topkGatingSoftplusSqrtILi3ELi192ELi4ELi2ELi64ELb0Ej14__hip_bfloat16EEvPKT6_PKbPfiPT5_PiiiibdPKfPKS9_SF_
	.p2align	8
	.type	_ZN4vllm3moe22topkGatingSoftplusSqrtILi3ELi192ELi4ELi2ELi64ELb0Ej14__hip_bfloat16EEvPKT6_PKbPfiPT5_PiiiibdPKfPKS9_SF_,@function
_ZN4vllm3moe22topkGatingSoftplusSqrtILi3ELi192ELi4ELi2ELi64ELb0Ej14__hip_bfloat16EEvPKT6_PKbPfiPT5_PiiiibdPKfPKS9_SF_: ; @_ZN4vllm3moe22topkGatingSoftplusSqrtILi3ELi192ELi4ELi2ELi64ELb0Ej14__hip_bfloat16EEvPKT6_PKbPfiPT5_PiiiibdPKfPKS9_SF_
; %bb.0:
	s_load_dword s30, s[0:1], 0x18
	v_and_b32_e32 v1, 0x3ff, v0
	s_lshl_b32 s2, s2, 2
	v_lshrrev_b32_e32 v2, 6, v1
	v_bfe_u32 v0, v0, 10, 10
	v_add3_u32 v4, s2, v0, v2
	s_waitcnt lgkmcnt(0)
	v_cmp_gt_i32_e32 vcc, s30, v4
	s_and_saveexec_b64 s[2:3], vcc
	s_cbranch_execz .LBB461_55
; %bb.1:
	s_load_dwordx4 s[4:7], s[0:1], 0x0
	s_load_dwordx2 s[20:21], s[0:1], 0x10
	s_waitcnt lgkmcnt(0)
	s_cmp_eq_u64 s[6:7], 0
	s_cbranch_scc1 .LBB461_3
; %bb.2:
	v_ashrrev_i32_e32 v5, 31, v4
	v_lshl_add_u64 v[2:3], s[6:7], 0, v[4:5]
	global_load_ubyte v0, v[2:3], off
	s_waitcnt vmcnt(0)
	v_and_b32_e32 v0, 1, v0
	v_cmp_eq_u32_e32 vcc, 1, v0
	s_xor_b64 s[2:3], vcc, -1
	s_orn2_b64 s[22:23], s[2:3], exec
	s_branch .LBB461_4
.LBB461_3:
	s_mov_b64 s[22:23], -1
.LBB461_4:
	s_movk_i32 s2, 0xc0
	v_mul_lo_u32 v6, v4, s2
	v_mov_b32_e32 v2, s4
	v_mov_b32_e32 v3, s5
	v_ashrrev_i32_e32 v7, 31, v6
	v_lshl_add_u64 v[2:3], v[6:7], 1, v[2:3]
	v_and_b32_e32 v6, 63, v1
	v_mov_b32_e32 v1, 0
	v_lshlrev_b32_e32 v0, 1, v6
	v_lshl_add_u64 v[0:1], v[2:3], 0, v[0:1]
	global_load_ushort v3, v[0:1], off
	global_load_ushort v5, v[0:1], off offset:128
	global_load_ushort v2, v[0:1], off offset:256
	s_mov_b32 s16, 0x800000
	v_mov_b32_e32 v7, 0x4f800000
	s_mov_b32 s7, 0x3f317217
	s_mov_b32 s14, 0x7f800000
	v_mov_b32_e32 v8, 0x41b17218
	s_mov_b32 s6, 0x41a00000
	s_mov_b32 s15, 0xf800000
	s_load_dwordx4 s[8:11], s[0:1], 0x40
	s_waitcnt lgkmcnt(0)
	s_cmp_lg_u64 s[10:11], 0
	s_cselect_b64 s[12:13], -1, 0
	s_and_b64 s[2:3], exec, s[12:13]
	s_waitcnt vmcnt(2)
	v_lshlrev_b32_e32 v0, 16, v3
	v_mul_f32_e32 v1, 0x3fb8aa3b, v0
	v_exp_f32_e32 v1, v1
	s_nop 0
	v_add_f32_e32 v1, 1.0, v1
	v_cmp_gt_f32_e32 vcc, s16, v1
	s_nop 1
	v_cndmask_b32_e32 v3, 1.0, v7, vcc
	v_mul_f32_e32 v1, v1, v3
	v_log_f32_e32 v9, v1
	v_cndmask_b32_e32 v10, 0, v8, vcc
	v_mov_b32_e32 v1, 0x260
	v_lshlrev_b32_e32 v3, 2, v6
	v_mul_f32_e32 v11, 0x3f317217, v9
	v_fma_f32 v11, v9, s7, -v11
	v_fmac_f32_e32 v11, 0x3377d1cf, v9
	v_fmac_f32_e32 v11, 0x3f317217, v9
	v_cmp_lt_f32_e64 vcc, |v9|, s14
	s_nop 1
	v_cndmask_b32_e32 v9, v9, v11, vcc
	v_sub_f32_e32 v9, v9, v10
	v_cmp_lt_f32_e32 vcc, s6, v0
	s_nop 1
	v_cndmask_b32_e32 v0, v9, v0, vcc
	v_mul_f32_e32 v9, 0x4f800000, v0
	v_cmp_gt_f32_e32 vcc, s15, v0
	s_nop 1
	v_cndmask_b32_e32 v0, v0, v9, vcc
	v_sqrt_f32_e32 v9, v0
	s_nop 0
	v_add_u32_e32 v10, -1, v9
	v_add_u32_e32 v11, 1, v9
	v_fma_f32 v12, -v10, v9, v0
	v_fma_f32 v13, -v11, v9, v0
	v_cmp_ge_f32_e64 s[4:5], 0, v12
	s_nop 1
	v_cndmask_b32_e64 v9, v9, v10, s[4:5]
	v_cmp_lt_f32_e64 s[4:5], 0, v13
	s_nop 1
	v_cndmask_b32_e64 v9, v9, v11, s[4:5]
	v_mul_f32_e32 v10, 0x37800000, v9
	v_cndmask_b32_e32 v9, v9, v10, vcc
	v_cmp_class_f32_e32 vcc, v0, v1
	s_nop 1
	v_cndmask_b32_e32 v0, v9, v0, vcc
	s_mov_b64 vcc, s[2:3]
	s_cbranch_vccz .LBB461_6
; %bb.5:
	global_load_dword v9, v3, s[10:11]
	s_waitcnt vmcnt(0)
	v_add_f32_e32 v0, v0, v9
.LBB461_6:
	s_waitcnt vmcnt(1)
	v_lshlrev_b32_e32 v5, 16, v5
	v_mul_f32_e32 v9, 0x3fb8aa3b, v5
	v_exp_f32_e32 v9, v9
	s_nop 0
	v_add_f32_e32 v9, 1.0, v9
	v_cmp_gt_f32_e32 vcc, s16, v9
	s_nop 1
	v_cndmask_b32_e32 v7, 1.0, v7, vcc
	v_mul_f32_e32 v7, v9, v7
	v_log_f32_e32 v7, v7
	v_cndmask_b32_e32 v8, 0, v8, vcc
	v_mul_f32_e32 v9, 0x3f317217, v7
	v_fma_f32 v9, v7, s7, -v9
	v_fmac_f32_e32 v9, 0x3377d1cf, v7
	v_fmac_f32_e32 v9, 0x3f317217, v7
	v_cmp_lt_f32_e64 vcc, |v7|, s14
	s_nop 1
	v_cndmask_b32_e32 v7, v7, v9, vcc
	v_sub_f32_e32 v7, v7, v8
	v_cmp_lt_f32_e32 vcc, s6, v5
	s_nop 1
	v_cndmask_b32_e32 v5, v7, v5, vcc
	v_mul_f32_e32 v7, 0x4f800000, v5
	v_cmp_gt_f32_e32 vcc, s15, v5
	s_nop 1
	v_cndmask_b32_e32 v5, v5, v7, vcc
	v_sqrt_f32_e32 v7, v5
	s_nop 0
	v_add_u32_e32 v8, -1, v7
	v_add_u32_e32 v9, 1, v7
	v_fma_f32 v10, -v8, v7, v5
	v_fma_f32 v11, -v9, v7, v5
	v_cmp_ge_f32_e64 s[2:3], 0, v10
	s_nop 1
	v_cndmask_b32_e64 v7, v7, v8, s[2:3]
	v_cmp_lt_f32_e64 s[2:3], 0, v11
	s_nop 1
	v_cndmask_b32_e64 v7, v7, v9, s[2:3]
	v_mul_f32_e32 v8, 0x37800000, v7
	v_cndmask_b32_e32 v7, v7, v8, vcc
	v_cndmask_b32_e64 v8, 0, 1, s[12:13]
	v_cmp_class_f32_e64 s[2:3], v5, v1
	v_cmp_ne_u32_e64 s[6:7], 1, v8
	s_andn2_b64 vcc, exec, s[12:13]
	v_cndmask_b32_e64 v1, v7, v5, s[2:3]
	s_cbranch_vccnz .LBB461_8
; %bb.7:
	global_load_dword v5, v3, s[10:11] offset:256
	s_waitcnt vmcnt(0)
	v_add_f32_e32 v1, v1, v5
.LBB461_8:
	s_waitcnt vmcnt(0)
	v_lshlrev_b32_e32 v2, 16, v2
	v_mul_f32_e32 v5, 0x3fb8aa3b, v2
	v_exp_f32_e32 v5, v5
	s_mov_b32 s2, 0x800000
	v_mov_b32_e32 v7, 0x4f800000
	s_mov_b32 s3, 0x7f800000
	v_add_f32_e32 v5, 1.0, v5
	v_cmp_gt_f32_e32 vcc, s2, v5
	s_mov_b32 s2, 0x3f317217
	s_mov_b32 s4, 0x41a00000
	v_cndmask_b32_e32 v7, 1.0, v7, vcc
	v_mul_f32_e32 v5, v5, v7
	v_log_f32_e32 v5, v5
	s_nop 0
	v_mul_f32_e32 v7, 0x3f317217, v5
	v_fma_f32 v7, v5, s2, -v7
	v_fmamk_f32 v7, v5, 0x3377d1cf, v7
	v_fmac_f32_e32 v7, 0x3f317217, v5
	v_cmp_lt_f32_e64 s[2:3], |v5|, s3
	s_nop 1
	v_cndmask_b32_e64 v5, v5, v7, s[2:3]
	v_mov_b32_e32 v7, 0x41b17218
	v_cndmask_b32_e32 v7, 0, v7, vcc
	v_sub_f32_e32 v5, v5, v7
	v_cmp_lt_f32_e32 vcc, s4, v2
	s_mov_b32 s2, 0xf800000
	s_nop 0
	v_cndmask_b32_e32 v2, v5, v2, vcc
	v_mul_f32_e32 v5, 0x4f800000, v2
	v_cmp_gt_f32_e32 vcc, s2, v2
	s_nop 1
	v_cndmask_b32_e32 v2, v2, v5, vcc
	v_sqrt_f32_e32 v5, v2
	s_nop 0
	v_add_u32_e32 v7, -1, v5
	v_fma_f32 v8, -v7, v5, v2
	v_cmp_ge_f32_e64 s[2:3], 0, v8
	v_add_u32_e32 v8, 1, v5
	s_nop 0
	v_cndmask_b32_e64 v7, v5, v7, s[2:3]
	v_fma_f32 v5, -v8, v5, v2
	v_cmp_lt_f32_e64 s[2:3], 0, v5
	s_nop 1
	v_cndmask_b32_e64 v5, v7, v8, s[2:3]
	v_mul_f32_e32 v7, 0x37800000, v5
	v_cndmask_b32_e32 v5, v5, v7, vcc
	v_mov_b32_e32 v7, 0x260
	v_cmp_class_f32_e64 s[2:3], v2, v7
	s_and_b64 vcc, exec, s[6:7]
	s_nop 0
	v_cndmask_b32_e64 v2, v5, v2, s[2:3]
	s_cbranch_vccnz .LBB461_10
; %bb.9:
	global_load_dword v3, v3, s[10:11] offset:512
	s_waitcnt vmcnt(0)
	v_add_f32_e32 v2, v2, v3
.LBB461_10:
	s_load_dwordx4 s[12:15], s[0:1], 0x30
	v_cmp_eq_u32_e64 s[4:5], 0, v6
	s_waitcnt lgkmcnt(0)
	s_bitcmp1_b32 s15, 0
	s_cselect_b64 s[2:3], -1, 0
	s_cmp_gt_i32 s12, 0
	s_cselect_b64 s[24:25], -1, 0
	s_and_b64 vcc, exec, s[24:25]
	s_cbranch_vccz .LBB461_41
; %bb.11:
	v_mbcnt_lo_u32_b32 v3, -1, 0
	v_mbcnt_hi_u32_b32 v3, -1, v3
	v_and_b32_e32 v5, 64, v3
	v_add_u32_e32 v8, 64, v5
	v_xor_b32_e32 v9, 32, v3
	v_cmp_lt_i32_e32 vcc, v9, v8
	s_load_dwordx4 s[16:19], s[0:1], 0x20
	s_mov_b32 s15, 0
	v_cndmask_b32_e32 v9, v3, v9, vcc
	v_lshlrev_b32_e32 v11, 2, v9
	v_xor_b32_e32 v9, 16, v3
	v_cmp_lt_i32_e32 vcc, v9, v8
	v_mul_lo_u32 v5, v4, s12
	v_or_b32_e32 v7, 64, v6
	v_cndmask_b32_e32 v9, v3, v9, vcc
	v_lshlrev_b32_e32 v12, 2, v9
	v_xor_b32_e32 v9, 8, v3
	v_cmp_lt_i32_e32 vcc, v9, v8
	v_or_b32_e32 v10, 0x80, v6
	v_mov_b32_e32 v17, 0xc0
	v_cndmask_b32_e32 v9, v3, v9, vcc
	v_lshlrev_b32_e32 v13, 2, v9
	v_xor_b32_e32 v9, 4, v3
	v_cmp_lt_i32_e32 vcc, v9, v8
	v_mov_b32_e32 v18, 0xc61c4000
	v_mov_b32_e32 v19, v4
	v_cndmask_b32_e32 v9, v3, v9, vcc
	v_lshlrev_b32_e32 v14, 2, v9
	v_xor_b32_e32 v9, 2, v3
	v_cmp_lt_i32_e32 vcc, v9, v8
	s_nop 1
	v_cndmask_b32_e32 v9, v3, v9, vcc
	v_lshlrev_b32_e32 v15, 2, v9
	v_xor_b32_e32 v9, 1, v3
	v_cmp_lt_i32_e32 vcc, v9, v8
	s_nop 1
	v_cndmask_b32_e32 v3, v3, v9, vcc
	v_lshlrev_b32_e32 v16, 2, v3
	v_mov_b32_e32 v3, 0
	s_branch .LBB461_14
.LBB461_12:                             ;   in Loop: Header=BB461_14 Depth=1
	v_add_u32_e32 v22, s15, v5
	v_cmp_le_i32_e32 vcc, s13, v8
	v_cmp_gt_i32_e64 s[0:1], s14, v8
	v_ashrrev_i32_e32 v23, 31, v22
	s_and_b64 s[0:1], vcc, s[0:1]
	v_lshlrev_b64 v[22:23], 2, v[22:23]
	v_lshl_add_u64 v[24:25], s[20:21], 0, v[22:23]
	v_subrev_u32_e32 v9, s13, v8
	s_and_b64 vcc, s[22:23], s[0:1]
	global_store_dword v[24:25], v20, off
	v_cndmask_b32_e32 v9, v17, v9, vcc
	v_lshl_add_u64 v[24:25], s[16:17], 0, v[22:23]
	global_store_dword v[24:25], v9, off
	v_add_f32_e32 v9, v3, v20
	v_lshl_add_u64 v[22:23], s[18:19], 0, v[22:23]
	v_cndmask_b32_e64 v3, v3, v9, s[2:3]
	global_store_dword v[22:23], v19, off
.LBB461_13:                             ;   in Loop: Header=BB461_14 Depth=1
	s_or_b64 exec, exec, s[26:27]
	v_ashrrev_i32_e32 v9, 31, v8
	v_lshrrev_b32_e32 v9, 26, v9
	v_add_u32_e32 v9, v8, v9
	v_ashrrev_i32_e32 v20, 6, v9
	v_and_b32_e32 v9, 0xffffffc0, v9
	s_add_i32 s15, s15, 1
	v_sub_u32_e32 v8, v8, v9
	v_cmp_ne_u32_e64 s[0:1], 0, v20
	s_cmp_lt_i32 s15, s12
	v_cmp_eq_u32_e32 vcc, v6, v8
	v_cndmask_b32_e64 v8, v18, v0, s[0:1]
	v_cmp_ne_u32_e64 s[0:1], 1, v20
	s_cselect_b64 s[26:27], -1, 0
	s_and_b64 vcc, s[26:27], vcc
	v_cndmask_b32_e64 v9, v18, v1, s[0:1]
	v_cmp_ne_u32_e64 s[0:1], 2, v20
	v_cndmask_b32_e32 v1, v1, v9, vcc
	v_cndmask_b32_e32 v0, v0, v8, vcc
	v_cndmask_b32_e64 v20, v18, v2, s[0:1]
	v_cndmask_b32_e32 v2, v2, v20, vcc
	s_cmp_eq_u32 s12, s15
	v_add_u32_e32 v19, s30, v19
	s_cbranch_scc1 .LBB461_42
.LBB461_14:                             ; =>This Inner Loop Header: Depth=1
	v_cmp_gt_f32_e32 vcc, v1, v0
	s_nop 1
	v_cndmask_b32_e32 v9, v0, v1, vcc
	v_cndmask_b32_e32 v8, v6, v7, vcc
	v_cmp_gt_f32_e32 vcc, v2, v9
	s_nop 1
	v_cndmask_b32_e32 v20, v9, v2, vcc
	v_cndmask_b32_e32 v8, v8, v10, vcc
	ds_bpermute_b32 v9, v11, v20
	s_waitcnt lgkmcnt(0)
	ds_bpermute_b32 v21, v11, v8
	s_waitcnt lgkmcnt(0)
	v_cmp_lt_f32_e64 s[26:27], v20, v9
	v_cmp_nlt_f32_e32 vcc, v20, v9
	s_and_saveexec_b64 s[28:29], vcc
; %bb.15:                               ;   in Loop: Header=BB461_14 Depth=1
	v_cmp_eq_f32_e32 vcc, v20, v9
	v_cmp_lt_i32_e64 s[0:1], v21, v8
	s_and_b64 s[0:1], vcc, s[0:1]
	s_andn2_b64 s[26:27], s[26:27], exec
	s_and_b64 s[0:1], s[0:1], exec
	s_or_b64 s[26:27], s[26:27], s[0:1]
; %bb.16:                               ;   in Loop: Header=BB461_14 Depth=1
	s_or_b64 exec, exec, s[28:29]
	s_and_saveexec_b64 s[0:1], s[26:27]
; %bb.17:                               ;   in Loop: Header=BB461_14 Depth=1
	v_mov_b32_e32 v20, v9
	v_mov_b32_e32 v8, v21
; %bb.18:                               ;   in Loop: Header=BB461_14 Depth=1
	s_or_b64 exec, exec, s[0:1]
	ds_bpermute_b32 v9, v12, v20
	ds_bpermute_b32 v21, v12, v8
	s_waitcnt lgkmcnt(1)
	v_cmp_lt_f32_e64 s[26:27], v20, v9
	v_cmp_nlt_f32_e32 vcc, v20, v9
	s_and_saveexec_b64 s[28:29], vcc
	s_cbranch_execz .LBB461_20
; %bb.19:                               ;   in Loop: Header=BB461_14 Depth=1
	v_cmp_eq_f32_e32 vcc, v20, v9
	s_waitcnt lgkmcnt(0)
	v_cmp_lt_i32_e64 s[0:1], v21, v8
	s_and_b64 s[0:1], vcc, s[0:1]
	s_andn2_b64 s[26:27], s[26:27], exec
	s_and_b64 s[0:1], s[0:1], exec
	s_or_b64 s[26:27], s[26:27], s[0:1]
.LBB461_20:                             ;   in Loop: Header=BB461_14 Depth=1
	s_or_b64 exec, exec, s[28:29]
	s_and_saveexec_b64 s[0:1], s[26:27]
	s_cbranch_execz .LBB461_22
; %bb.21:                               ;   in Loop: Header=BB461_14 Depth=1
	v_mov_b32_e32 v20, v9
	s_waitcnt lgkmcnt(0)
	v_mov_b32_e32 v8, v21
.LBB461_22:                             ;   in Loop: Header=BB461_14 Depth=1
	s_or_b64 exec, exec, s[0:1]
	ds_bpermute_b32 v9, v13, v20
	s_waitcnt lgkmcnt(1)
	ds_bpermute_b32 v21, v13, v8
	s_waitcnt lgkmcnt(1)
	v_cmp_lt_f32_e64 s[26:27], v20, v9
	v_cmp_nlt_f32_e32 vcc, v20, v9
	s_and_saveexec_b64 s[28:29], vcc
	s_cbranch_execz .LBB461_24
; %bb.23:                               ;   in Loop: Header=BB461_14 Depth=1
	v_cmp_eq_f32_e32 vcc, v20, v9
	s_waitcnt lgkmcnt(0)
	v_cmp_lt_i32_e64 s[0:1], v21, v8
	s_and_b64 s[0:1], vcc, s[0:1]
	s_andn2_b64 s[26:27], s[26:27], exec
	s_and_b64 s[0:1], s[0:1], exec
	s_or_b64 s[26:27], s[26:27], s[0:1]
.LBB461_24:                             ;   in Loop: Header=BB461_14 Depth=1
	s_or_b64 exec, exec, s[28:29]
	s_and_saveexec_b64 s[0:1], s[26:27]
	s_cbranch_execz .LBB461_26
; %bb.25:                               ;   in Loop: Header=BB461_14 Depth=1
	v_mov_b32_e32 v20, v9
	s_waitcnt lgkmcnt(0)
	v_mov_b32_e32 v8, v21
.LBB461_26:                             ;   in Loop: Header=BB461_14 Depth=1
	s_or_b64 exec, exec, s[0:1]
	ds_bpermute_b32 v9, v14, v20
	s_waitcnt lgkmcnt(1)
	;; [unrolled: 26-line block ×4, first 2 shown]
	ds_bpermute_b32 v21, v16, v8
	s_waitcnt lgkmcnt(1)
	v_cmp_lt_f32_e64 s[26:27], v20, v9
	v_cmp_nlt_f32_e32 vcc, v20, v9
	s_and_saveexec_b64 s[28:29], vcc
	s_cbranch_execnz .LBB461_37
; %bb.35:                               ;   in Loop: Header=BB461_14 Depth=1
	s_or_b64 exec, exec, s[28:29]
	s_and_saveexec_b64 s[0:1], s[26:27]
	s_cbranch_execnz .LBB461_38
.LBB461_36:                             ;   in Loop: Header=BB461_14 Depth=1
	s_or_b64 exec, exec, s[0:1]
	s_and_saveexec_b64 s[26:27], s[4:5]
	s_cbranch_execz .LBB461_13
	s_branch .LBB461_39
.LBB461_37:                             ;   in Loop: Header=BB461_14 Depth=1
	v_cmp_eq_f32_e32 vcc, v20, v9
	s_waitcnt lgkmcnt(0)
	v_cmp_lt_i32_e64 s[0:1], v21, v8
	s_and_b64 s[0:1], vcc, s[0:1]
	s_andn2_b64 s[26:27], s[26:27], exec
	s_and_b64 s[0:1], s[0:1], exec
	s_or_b64 s[26:27], s[26:27], s[0:1]
	s_or_b64 exec, exec, s[28:29]
	s_and_saveexec_b64 s[0:1], s[26:27]
	s_cbranch_execz .LBB461_36
.LBB461_38:                             ;   in Loop: Header=BB461_14 Depth=1
	s_waitcnt lgkmcnt(0)
	v_mov_b32_e32 v8, v21
	v_mov_b32_e32 v20, v9
	s_or_b64 exec, exec, s[0:1]
	s_and_saveexec_b64 s[26:27], s[4:5]
	s_cbranch_execz .LBB461_13
.LBB461_39:                             ;   in Loop: Header=BB461_14 Depth=1
	s_and_b64 vcc, exec, s[6:7]
	s_cbranch_vccnz .LBB461_12
; %bb.40:                               ;   in Loop: Header=BB461_14 Depth=1
	v_ashrrev_i32_e32 v9, 31, v8
	v_lshl_add_u64 v[22:23], v[8:9], 2, s[10:11]
	global_load_dword v9, v[22:23], off
	s_waitcnt vmcnt(0)
	v_sub_f32_e32 v20, v20, v9
	s_branch .LBB461_12
.LBB461_41:
	v_mov_b32_e32 v3, 0
.LBB461_42:
	v_cmp_eq_u32_e32 vcc, 0, v6
	s_and_b64 exec, exec, vcc
	s_cbranch_execz .LBB461_55
; %bb.43:
	s_andn2_b64 vcc, exec, s[2:3]
	v_cvt_f32_f64_e32 v0, s[8:9]
	s_cbranch_vccnz .LBB461_45
; %bb.44:
	v_cmp_lt_f32_e32 vcc, 0, v3
	s_nop 1
	v_cndmask_b32_e32 v1, 1.0, v3, vcc
	v_div_scale_f32 v2, s[0:1], v1, v1, v0
	v_rcp_f32_e32 v3, v2
	s_nop 0
	v_fma_f32 v5, -v2, v3, 1.0
	v_fmac_f32_e32 v3, v5, v3
	v_div_scale_f32 v5, vcc, v0, v1, v0
	v_mul_f32_e32 v6, v5, v3
	v_fma_f32 v7, -v2, v6, v5
	v_fmac_f32_e32 v6, v7, v3
	v_fma_f32 v2, -v2, v6, v5
	v_div_fmas_f32 v2, v2, v3, v6
	v_div_fixup_f32 v0, v2, v1, v0
.LBB461_45:
	s_andn2_b64 vcc, exec, s[24:25]
	s_cbranch_vccnz .LBB461_55
; %bb.46:
	v_mul_lo_u32 v2, v4, s12
	s_cmp_gt_u32 s12, 3
	v_ashrrev_i32_e32 v3, 31, v2
	s_cbranch_scc0 .LBB461_50
; %bb.47:
	s_and_b32 s0, s12, 0x7ffffffc
	v_lshl_add_u64 v[4:5], v[2:3], 2, s[20:21]
	v_mov_b32_e32 v1, v0
	v_lshl_add_u64 v[4:5], v[4:5], 0, 8
	s_mov_b32 s1, s0
.LBB461_48:                             ; =>This Inner Loop Header: Depth=1
	global_load_dwordx4 v[6:9], v[4:5], off offset:-8
	s_add_i32 s1, s1, -4
	s_cmp_lg_u32 s1, 0
	s_waitcnt vmcnt(0)
	v_pk_mul_f32 v[6:7], v[0:1], v[6:7]
	v_pk_mul_f32 v[8:9], v[0:1], v[8:9]
	global_store_dwordx4 v[4:5], v[6:9], off offset:-8
	v_lshl_add_u64 v[4:5], v[4:5], 0, 16
	s_cbranch_scc1 .LBB461_48
; %bb.49:
	s_cmp_lg_u32 s0, s12
	s_cselect_b64 s[2:3], -1, 0
	s_branch .LBB461_52
.LBB461_50:
	s_mov_b64 s[2:3], 0
                                        ; implicit-def: $sgpr0
	s_cbranch_execz .LBB461_52
; %bb.51:
	s_mov_b64 s[2:3], -1
	s_mov_b32 s0, 0
.LBB461_52:
	s_andn2_b64 vcc, exec, s[2:3]
	s_cbranch_vccnz .LBB461_55
; %bb.53:
	s_mov_b32 s1, 0
	v_lshl_add_u64 v[2:3], v[2:3], 0, s[0:1]
	s_sub_i32 s2, s12, s0
	v_lshl_add_u64 v[2:3], v[2:3], 2, s[20:21]
.LBB461_54:                             ; =>This Inner Loop Header: Depth=1
	global_load_dword v1, v[2:3], off
	s_add_i32 s2, s2, -1
	s_cmp_lg_u32 s2, 0
	s_waitcnt vmcnt(0)
	v_mul_f32_e32 v1, v0, v1
	global_store_dword v[2:3], v1, off
	v_lshl_add_u64 v[2:3], v[2:3], 0, 4
	s_cbranch_scc1 .LBB461_54
.LBB461_55:
	s_endpgm
	.section	.rodata,"a",@progbits
	.p2align	6, 0x0
	.amdhsa_kernel _ZN4vllm3moe22topkGatingSoftplusSqrtILi3ELi192ELi4ELi2ELi64ELb0Ej14__hip_bfloat16EEvPKT6_PKbPfiPT5_PiiiibdPKfPKS9_SF_
		.amdhsa_group_segment_fixed_size 0
		.amdhsa_private_segment_fixed_size 0
		.amdhsa_kernarg_size 96
		.amdhsa_user_sgpr_count 2
		.amdhsa_user_sgpr_dispatch_ptr 0
		.amdhsa_user_sgpr_queue_ptr 0
		.amdhsa_user_sgpr_kernarg_segment_ptr 1
		.amdhsa_user_sgpr_dispatch_id 0
		.amdhsa_user_sgpr_kernarg_preload_length 0
		.amdhsa_user_sgpr_kernarg_preload_offset 0
		.amdhsa_user_sgpr_private_segment_size 0
		.amdhsa_uses_dynamic_stack 0
		.amdhsa_enable_private_segment 0
		.amdhsa_system_sgpr_workgroup_id_x 1
		.amdhsa_system_sgpr_workgroup_id_y 0
		.amdhsa_system_sgpr_workgroup_id_z 0
		.amdhsa_system_sgpr_workgroup_info 0
		.amdhsa_system_vgpr_workitem_id 1
		.amdhsa_next_free_vgpr 26
		.amdhsa_next_free_sgpr 31
		.amdhsa_accum_offset 28
		.amdhsa_reserve_vcc 1
		.amdhsa_float_round_mode_32 0
		.amdhsa_float_round_mode_16_64 0
		.amdhsa_float_denorm_mode_32 3
		.amdhsa_float_denorm_mode_16_64 3
		.amdhsa_dx10_clamp 1
		.amdhsa_ieee_mode 1
		.amdhsa_fp16_overflow 0
		.amdhsa_tg_split 0
		.amdhsa_exception_fp_ieee_invalid_op 0
		.amdhsa_exception_fp_denorm_src 0
		.amdhsa_exception_fp_ieee_div_zero 0
		.amdhsa_exception_fp_ieee_overflow 0
		.amdhsa_exception_fp_ieee_underflow 0
		.amdhsa_exception_fp_ieee_inexact 0
		.amdhsa_exception_int_div_zero 0
	.end_amdhsa_kernel
	.section	.text._ZN4vllm3moe22topkGatingSoftplusSqrtILi3ELi192ELi4ELi2ELi64ELb0Ej14__hip_bfloat16EEvPKT6_PKbPfiPT5_PiiiibdPKfPKS9_SF_,"axG",@progbits,_ZN4vllm3moe22topkGatingSoftplusSqrtILi3ELi192ELi4ELi2ELi64ELb0Ej14__hip_bfloat16EEvPKT6_PKbPfiPT5_PiiiibdPKfPKS9_SF_,comdat
.Lfunc_end461:
	.size	_ZN4vllm3moe22topkGatingSoftplusSqrtILi3ELi192ELi4ELi2ELi64ELb0Ej14__hip_bfloat16EEvPKT6_PKbPfiPT5_PiiiibdPKfPKS9_SF_, .Lfunc_end461-_ZN4vllm3moe22topkGatingSoftplusSqrtILi3ELi192ELi4ELi2ELi64ELb0Ej14__hip_bfloat16EEvPKT6_PKbPfiPT5_PiiiibdPKfPKS9_SF_
                                        ; -- End function
	.section	.AMDGPU.csdata,"",@progbits
; Kernel info:
; codeLenInByte = 2672
; NumSgprs: 37
; NumVgprs: 26
; NumAgprs: 0
; TotalNumVgprs: 26
; ScratchSize: 0
; MemoryBound: 0
; FloatMode: 240
; IeeeMode: 1
; LDSByteSize: 0 bytes/workgroup (compile time only)
; SGPRBlocks: 4
; VGPRBlocks: 3
; NumSGPRsForWavesPerEU: 37
; NumVGPRsForWavesPerEU: 26
; AccumOffset: 28
; Occupancy: 8
; WaveLimiterHint : 1
; COMPUTE_PGM_RSRC2:SCRATCH_EN: 0
; COMPUTE_PGM_RSRC2:USER_SGPR: 2
; COMPUTE_PGM_RSRC2:TRAP_HANDLER: 0
; COMPUTE_PGM_RSRC2:TGID_X_EN: 1
; COMPUTE_PGM_RSRC2:TGID_Y_EN: 0
; COMPUTE_PGM_RSRC2:TGID_Z_EN: 0
; COMPUTE_PGM_RSRC2:TIDIG_COMP_CNT: 1
; COMPUTE_PGM_RSRC3_GFX90A:ACCUM_OFFSET: 6
; COMPUTE_PGM_RSRC3_GFX90A:TG_SPLIT: 0
	.section	.text._ZN4vllm3moe22topkGatingSoftplusSqrtILi6ELi192ELi4ELi2ELi32ELb1Ej14__hip_bfloat16EEvPKT6_PKbPfiPT5_PiiiibdPKfPKS9_SF_,"axG",@progbits,_ZN4vllm3moe22topkGatingSoftplusSqrtILi6ELi192ELi4ELi2ELi32ELb1Ej14__hip_bfloat16EEvPKT6_PKbPfiPT5_PiiiibdPKfPKS9_SF_,comdat
	.protected	_ZN4vllm3moe22topkGatingSoftplusSqrtILi6ELi192ELi4ELi2ELi32ELb1Ej14__hip_bfloat16EEvPKT6_PKbPfiPT5_PiiiibdPKfPKS9_SF_ ; -- Begin function _ZN4vllm3moe22topkGatingSoftplusSqrtILi6ELi192ELi4ELi2ELi32ELb1Ej14__hip_bfloat16EEvPKT6_PKbPfiPT5_PiiiibdPKfPKS9_SF_
	.globl	_ZN4vllm3moe22topkGatingSoftplusSqrtILi6ELi192ELi4ELi2ELi32ELb1Ej14__hip_bfloat16EEvPKT6_PKbPfiPT5_PiiiibdPKfPKS9_SF_
	.p2align	8
	.type	_ZN4vllm3moe22topkGatingSoftplusSqrtILi6ELi192ELi4ELi2ELi32ELb1Ej14__hip_bfloat16EEvPKT6_PKbPfiPT5_PiiiibdPKfPKS9_SF_,@function
_ZN4vllm3moe22topkGatingSoftplusSqrtILi6ELi192ELi4ELi2ELi32ELb1Ej14__hip_bfloat16EEvPKT6_PKbPfiPT5_PiiiibdPKfPKS9_SF_: ; @_ZN4vllm3moe22topkGatingSoftplusSqrtILi6ELi192ELi4ELi2ELi32ELb1Ej14__hip_bfloat16EEvPKT6_PKbPfiPT5_PiiiibdPKfPKS9_SF_
; %bb.0:
	s_load_dword s3, s[0:1], 0x18
	v_and_b32_e32 v1, 0x3ff, v0
	s_lshl_b32 s2, s2, 2
	v_lshrrev_b32_e32 v2, 5, v1
	v_bfe_u32 v0, v0, 10, 10
	v_add3_u32 v0, s2, v0, v2
	s_waitcnt lgkmcnt(0)
	v_cmp_gt_i32_e32 vcc, s3, v0
	s_and_saveexec_b64 s[2:3], vcc
	s_cbranch_execz .LBB462_32
; %bb.1:
	s_load_dwordx2 s[2:3], s[0:1], 0x0
	s_load_dword s24, s[0:1], 0x30
	s_movk_i32 s4, 0xc0
	v_mul_lo_u32 v2, v0, s4
	v_ashrrev_i32_e32 v3, 31, v2
	v_and_b32_e32 v10, 31, v1
	s_waitcnt lgkmcnt(0)
	v_lshl_add_u64 v[4:5], v[2:3], 1, s[2:3]
	v_lshlrev_b32_e32 v2, 1, v10
	v_mov_b32_e32 v3, 0
	v_lshl_add_u64 v[4:5], v[4:5], 0, v[2:3]
	s_load_dwordx4 s[8:11], s[0:1], 0x50
	global_load_ushort v2, v[4:5], off offset:64
	global_load_ushort v8, v[4:5], off
	global_load_ushort v9, v[4:5], off offset:192
	global_load_ushort v11, v[4:5], off offset:128
	v_ashrrev_i32_e32 v1, 31, v0
	s_mov_b32 s17, 0x800000
	v_mov_b32_e32 v15, 0x4f800000
	s_waitcnt lgkmcnt(0)
	v_mov_b32_e32 v6, s8
	v_mov_b32_e32 v7, s9
	v_lshl_add_u64 v[6:7], v[0:1], 2, v[6:7]
	global_load_dword v1, v[6:7], off
	global_load_ushort v14, v[4:5], off offset:256
	global_load_ushort v17, v[4:5], off offset:320
	s_mov_b32 s16, 0x3f317217
	s_mov_b32 s15, 0x7f800000
	v_mov_b32_e32 v16, 0x41b17218
	s_mov_b32 s14, 0x41a00000
	s_mov_b32 s13, 0xf800000
	v_mov_b32_e32 v18, 0x260
	s_cmp_gt_i32 s24, 0
	s_mov_b32 s12, 0
	v_mul_lo_u32 v0, v0, s24
	s_waitcnt vmcnt(6)
	v_lshlrev_b32_e32 v12, 16, v2
	s_waitcnt vmcnt(5)
	v_lshlrev_b32_e32 v8, 16, v8
	v_mul_f32_e32 v2, 0x3fb8aa3b, v8
	v_mul_f32_e32 v5, 0x3fb8aa3b, v12
	v_exp_f32_e32 v4, v2
	v_exp_f32_e32 v5, v5
	s_waitcnt vmcnt(4)
	v_lshlrev_b32_e32 v9, 16, v9
	s_waitcnt vmcnt(3)
	v_lshlrev_b32_e32 v13, 16, v11
	v_mul_f32_e32 v6, 0x3fb8aa3b, v13
	v_mul_f32_e32 v7, 0x3fb8aa3b, v9
	v_pk_add_f32 v[4:5], v[4:5], 1.0 op_sel_hi:[1,0]
	v_exp_f32_e32 v6, v6
	v_exp_f32_e32 v7, v7
	v_cmp_gt_f32_e32 vcc, s17, v5
	s_waitcnt vmcnt(2)
	v_mul_lo_u32 v2, v1, s24
	v_cmp_gt_f32_e64 s[2:3], s17, v4
	v_cndmask_b32_e32 v1, 1.0, v15, vcc
	v_mul_f32_e32 v1, v5, v1
	v_cndmask_b32_e64 v11, 1.0, v15, s[2:3]
	v_mul_f32_e32 v4, v4, v11
	v_log_f32_e32 v1, v1
	v_pk_add_f32 v[6:7], v[6:7], 1.0 op_sel_hi:[1,0]
	v_log_f32_e32 v4, v4
	v_cmp_gt_f32_e64 s[4:5], s17, v7
	v_cmp_gt_f32_e64 s[6:7], s17, v6
	v_cndmask_b32_e32 v5, 0, v16, vcc
	v_cndmask_b32_e64 v19, 1.0, v15, s[4:5]
	v_cndmask_b32_e64 v20, 1.0, v15, s[6:7]
	v_mul_f32_e32 v7, v7, v19
	v_mul_f32_e32 v19, 0x3f317217, v1
	;; [unrolled: 1-line block ×4, first 2 shown]
	v_fma_f32 v19, v1, s16, -v19
	v_fma_f32 v20, v4, s16, -v20
	v_fmac_f32_e32 v19, 0x3377d1cf, v1
	v_fmac_f32_e32 v20, 0x3377d1cf, v4
	v_fmac_f32_e32 v19, 0x3f317217, v1
	v_cmp_lt_f32_e64 vcc, |v1|, s15
	v_fmac_f32_e32 v20, 0x3f317217, v4
	v_cndmask_b32_e64 v11, 0, v16, s[2:3]
	v_cndmask_b32_e32 v1, v1, v19, vcc
	v_cmp_lt_f32_e64 vcc, |v4|, s15
	v_sub_f32_e32 v1, v1, v5
	v_log_f32_e32 v7, v7
	v_cndmask_b32_e32 v4, v4, v20, vcc
	v_sub_f32_e32 v4, v4, v11
	v_cmp_lt_f32_e32 vcc, s14, v8
	v_mul_f32_e32 v21, 0x3f317217, v7
	v_fma_f32 v21, v7, s16, -v21
	v_cndmask_b32_e32 v4, v4, v8, vcc
	v_cmp_lt_f32_e32 vcc, s14, v12
	v_mul_f32_e32 v8, 0x4f800000, v4
	v_cmp_gt_f32_e64 s[2:3], s13, v4
	v_cndmask_b32_e32 v1, v1, v12, vcc
	v_mul_f32_e32 v5, 0x4f800000, v1
	v_cmp_gt_f32_e32 vcc, s13, v1
	v_cndmask_b32_e64 v4, v4, v8, s[2:3]
	v_sqrt_f32_e32 v8, v4
	v_cndmask_b32_e32 v1, v1, v5, vcc
	v_sqrt_f32_e32 v5, v1
	v_fmac_f32_e32 v21, 0x3377d1cf, v7
	v_fmac_f32_e32 v21, 0x3f317217, v7
	v_cmp_lt_f32_e64 s[8:9], |v7|, s15
	v_add_u32_e32 v11, -1, v5
	v_add_u32_e32 v19, -1, v8
	v_cndmask_b32_e64 v7, v7, v21, s[8:9]
	v_fma_f32 v21, -v11, v5, v1
	v_add_u32_e32 v12, 1, v5
	v_fma_f32 v23, -v19, v8, v4
	v_cmp_ge_f32_e64 s[8:9], 0, v21
	v_add_u32_e32 v20, 1, v8
	v_fma_f32 v22, -v12, v5, v1
	v_cndmask_b32_e64 v5, v5, v11, s[8:9]
	v_cmp_ge_f32_e64 s[8:9], 0, v23
	v_fma_f32 v24, -v20, v8, v4
	v_log_f32_e32 v6, v6
	v_cndmask_b32_e64 v8, v8, v19, s[8:9]
	v_cmp_lt_f32_e64 s[8:9], 0, v22
	s_nop 1
	v_cndmask_b32_e64 v5, v5, v12, s[8:9]
	v_cmp_lt_f32_e64 s[8:9], 0, v24
	v_mul_f32_e32 v11, 0x37800000, v5
	v_cndmask_b32_e32 v5, v5, v11, vcc
	v_cndmask_b32_e64 v8, v8, v20, s[8:9]
	v_mul_f32_e32 v12, 0x37800000, v8
	v_cmp_class_f32_e32 vcc, v1, v18
	v_cndmask_b32_e64 v8, v8, v12, s[2:3]
	v_cmp_lt_f32_e64 s[2:3], s14, v13
	v_cndmask_b32_e32 v11, v5, v1, vcc
	v_cmp_class_f32_e32 vcc, v4, v18
	v_cndmask_b32_e64 v1, 0, v16, s[4:5]
	v_sub_f32_e32 v1, v7, v1
	v_cndmask_b32_e32 v12, v8, v4, vcc
	v_mul_f32_e32 v4, 0x3f317217, v6
	v_fma_f32 v4, v6, s16, -v4
	v_fmac_f32_e32 v4, 0x3377d1cf, v6
	v_fmac_f32_e32 v4, 0x3f317217, v6
	v_cmp_lt_f32_e64 vcc, |v6|, s15
	v_cndmask_b32_e64 v5, 0, v16, s[6:7]
	s_nop 0
	v_cndmask_b32_e32 v4, v6, v4, vcc
	v_cmp_lt_f32_e32 vcc, s14, v9
	v_sub_f32_e32 v4, v4, v5
	v_cndmask_b32_e64 v4, v4, v13, s[2:3]
	v_cndmask_b32_e32 v1, v1, v9, vcc
	v_mul_f32_e32 v6, 0x4f800000, v1
	v_cmp_gt_f32_e32 vcc, s13, v1
	s_waitcnt vmcnt(0)
	v_lshlrev_b32_e32 v9, 16, v17
	v_lshlrev_b32_e32 v17, 16, v14
	v_cndmask_b32_e32 v1, v1, v6, vcc
	v_sqrt_f32_e32 v6, v1
	s_nop 0
	v_add_u32_e32 v5, -1, v6
	v_fma_f32 v7, -v5, v6, v1
	v_cmp_ge_f32_e64 s[2:3], 0, v7
	v_add_u32_e32 v7, 1, v6
	s_nop 0
	v_cndmask_b32_e64 v5, v6, v5, s[2:3]
	v_fma_f32 v6, -v7, v6, v1
	v_cmp_lt_f32_e64 s[2:3], 0, v6
	s_nop 1
	v_cndmask_b32_e64 v5, v5, v7, s[2:3]
	v_mul_f32_e32 v7, 0x4f800000, v4
	v_cmp_gt_f32_e64 s[2:3], s13, v4
	v_mul_f32_e32 v6, 0x37800000, v5
	v_cndmask_b32_e32 v5, v5, v6, vcc
	v_cndmask_b32_e64 v7, v4, v7, s[2:3]
	v_sqrt_f32_e32 v4, v7
	v_cmp_class_f32_e32 vcc, v1, v18
	v_add_u32_e32 v6, 1, v4
	s_nop 0
	v_cndmask_b32_e32 v13, v5, v1, vcc
	v_add_u32_e32 v1, -1, v4
	v_fma_f32 v5, -v1, v4, v7
	v_cmp_ge_f32_e32 vcc, 0, v5
	v_fma_f32 v8, -v6, v4, v7
	v_mul_f32_e32 v5, 0x3fb8aa3b, v9
	v_cndmask_b32_e32 v1, v4, v1, vcc
	v_mul_f32_e32 v4, 0x3fb8aa3b, v17
	v_exp_f32_e32 v4, v4
	v_exp_f32_e32 v5, v5
	v_cmp_lt_f32_e32 vcc, 0, v8
	v_pk_add_f32 v[4:5], v[4:5], 1.0 op_sel_hi:[1,0]
	s_nop 0
	v_cndmask_b32_e32 v1, v1, v6, vcc
	v_cmp_gt_f32_e32 vcc, s17, v5
	v_mul_f32_e32 v6, 0x37800000, v1
	v_cndmask_b32_e64 v1, v1, v6, s[2:3]
	v_cndmask_b32_e32 v8, 1.0, v15, vcc
	v_mul_f32_e32 v5, v5, v8
	v_log_f32_e32 v5, v5
	v_cmp_class_f32_e64 s[2:3], v7, v18
	v_cmp_lt_f32_e64 s[4:5], |v5|, s15
	s_nop 0
	v_cndmask_b32_e64 v14, v1, v7, s[2:3]
	v_cmp_gt_f32_e64 s[2:3], s17, v4
	v_mul_f32_e32 v1, 0x3f317217, v5
	v_fma_f32 v1, v5, s16, -v1
	v_cndmask_b32_e64 v6, 1.0, v15, s[2:3]
	v_mul_f32_e32 v4, v4, v6
	v_log_f32_e32 v4, v4
	v_fmac_f32_e32 v1, 0x3377d1cf, v5
	v_fmac_f32_e32 v1, 0x3f317217, v5
	v_cndmask_b32_e64 v1, v5, v1, s[4:5]
	v_cndmask_b32_e32 v5, 0, v16, vcc
	v_sub_f32_e32 v1, v1, v5
	v_mul_f32_e32 v5, 0x3f317217, v4
	v_fma_f32 v5, v4, s16, -v5
	v_fmac_f32_e32 v5, 0x3377d1cf, v4
	v_fmac_f32_e32 v5, 0x3f317217, v4
	v_cmp_lt_f32_e64 vcc, |v4|, s15
	s_cselect_b64 s[4:5], -1, 0
	s_cmp_lt_i32 s24, 1
	v_cndmask_b32_e32 v4, v4, v5, vcc
	v_cmp_lt_f32_e32 vcc, s14, v9
	v_cndmask_b32_e64 v5, 0, v16, s[2:3]
	v_sub_f32_e32 v4, v4, v5
	v_cndmask_b32_e32 v1, v1, v9, vcc
	v_mul_f32_e32 v6, 0x4f800000, v1
	v_cmp_gt_f32_e32 vcc, s13, v1
	v_cmp_lt_f32_e64 s[2:3], s14, v17
	s_nop 0
	v_cndmask_b32_e32 v1, v1, v6, vcc
	v_sqrt_f32_e32 v6, v1
	v_cndmask_b32_e64 v4, v4, v17, s[2:3]
	v_add_u32_e32 v5, -1, v6
	v_fma_f32 v7, -v5, v6, v1
	v_cmp_ge_f32_e64 s[2:3], 0, v7
	v_add_u32_e32 v7, 1, v6
	s_nop 0
	v_cndmask_b32_e64 v5, v6, v5, s[2:3]
	v_fma_f32 v6, -v7, v6, v1
	v_cmp_lt_f32_e64 s[2:3], 0, v6
	s_nop 1
	v_cndmask_b32_e64 v5, v5, v7, s[2:3]
	v_mul_f32_e32 v7, 0x4f800000, v4
	v_cmp_gt_f32_e64 s[2:3], s13, v4
	v_mul_f32_e32 v6, 0x37800000, v5
	v_cndmask_b32_e32 v5, v5, v6, vcc
	v_cndmask_b32_e64 v4, v4, v7, s[2:3]
	v_sqrt_f32_e32 v7, v4
	v_cmp_class_f32_e32 vcc, v1, v18
	s_nop 1
	v_cndmask_b32_e32 v15, v5, v1, vcc
	v_add_u32_e32 v1, -1, v7
	v_fma_f32 v5, -v1, v7, v4
	v_cmp_ge_f32_e32 vcc, 0, v5
	v_add_u32_e32 v5, 1, v7
	v_fma_f32 v6, -v5, v7, v4
	v_cndmask_b32_e32 v1, v7, v1, vcc
	v_cmp_lt_f32_e32 vcc, 0, v6
	s_nop 1
	v_cndmask_b32_e32 v1, v1, v5, vcc
	v_mul_f32_e32 v5, 0x37800000, v1
	v_cndmask_b32_e64 v1, v1, v5, s[2:3]
	v_cmp_class_f32_e32 vcc, v4, v18
	s_nop 1
	v_cndmask_b32_e32 v16, v1, v4, vcc
	v_lshl_add_u64 v[4:5], v[2:3], 2, s[10:11]
	s_cbranch_scc1 .LBB462_29
; %bb.2:
	s_load_dwordx2 s[6:7], s[0:1], 0x20
	s_cmp_lt_u32 s24, 4
	s_cbranch_scc1 .LBB462_21
; %bb.3:
	s_mov_b32 s9, 0
	s_and_b32 s12, s24, 0x7ffffffc
	v_ashrrev_i32_e32 v1, 31, v0
	v_mov_b32_e32 v3, 0
	s_mov_b32 s8, s9
	s_branch .LBB462_5
.LBB462_4:                              ;   in Loop: Header=BB462_5 Depth=1
	s_or_b64 exec, exec, s[10:11]
	s_add_i32 s8, s8, 4
	s_cmp_eq_u32 s8, s12
	s_cbranch_scc1 .LBB462_22
.LBB462_5:                              ; =>This Loop Header: Depth=1
                                        ;     Child Loop BB462_7 Depth 2
                                        ;     Child Loop BB462_11 Depth 2
	;; [unrolled: 1-line block ×4, first 2 shown]
	v_lshl_add_u64 v[6:7], s[8:9], 2, v[4:5]
	global_load_dword v2, v[6:7], off
	v_add_u32_e32 v8, s8, v0
	v_ashrrev_i32_e32 v9, 31, v8
	s_waitcnt lgkmcnt(0)
	v_lshl_add_u64 v[8:9], v[8:9], 2, s[6:7]
	s_mov_b64 s[10:11], 0
	v_mov_b32_e32 v17, v10
	s_mov_b64 s[14:15], 0
	s_waitcnt vmcnt(0)
	s_branch .LBB462_7
.LBB462_6:                              ;   in Loop: Header=BB462_7 Depth=2
	s_or_b64 exec, exec, s[16:17]
	s_cmp_gt_u32 s14, 4
	s_cselect_b64 s[2:3], -1, 0
	s_xor_b64 s[16:17], vcc, -1
	s_or_b64 s[2:3], s[16:17], s[2:3]
	s_add_u32 s14, s14, 1
	s_addc_u32 s15, s15, 0
	s_and_b64 s[2:3], exec, s[2:3]
	s_or_b64 s[10:11], s[2:3], s[10:11]
	v_add_u32_e32 v17, 32, v17
	s_andn2_b64 exec, exec, s[10:11]
	s_cbranch_execz .LBB462_9
.LBB462_7:                              ;   Parent Loop BB462_5 Depth=1
                                        ; =>  This Inner Loop Header: Depth=2
	v_cmp_ne_u32_e32 vcc, v2, v17
	v_cmp_eq_u32_e64 s[2:3], v2, v17
	s_and_saveexec_b64 s[16:17], s[2:3]
	s_cbranch_execz .LBB462_6
; %bb.8:                                ;   in Loop: Header=BB462_7 Depth=2
	s_cmp_eq_u32 s14, 1
	s_cselect_b64 s[2:3], -1, 0
	s_cmp_eq_u32 s14, 2
	v_cndmask_b32_e64 v18, v12, v11, s[2:3]
	s_cselect_b64 s[2:3], -1, 0
	s_cmp_eq_u32 s14, 3
	v_cndmask_b32_e64 v18, v18, v14, s[2:3]
	;; [unrolled: 3-line block ×4, first 2 shown]
	s_cselect_b64 s[2:3], -1, 0
	v_cndmask_b32_e64 v18, v18, v15, s[2:3]
	v_add_f32_e32 v3, v3, v18
	global_store_dword v[8:9], v2, off
	s_branch .LBB462_6
.LBB462_9:                              ;   in Loop: Header=BB462_5 Depth=1
	s_or_b64 exec, exec, s[10:11]
	global_load_dword v2, v[6:7], off offset:4
	s_ashr_i32 s3, s8, 31
	s_mov_b32 s2, s8
	v_lshl_add_u64 v[8:9], s[2:3], 0, v[0:1]
	v_lshl_add_u64 v[8:9], v[8:9], 2, s[6:7]
	s_mov_b64 s[10:11], 0
	v_mov_b32_e32 v17, v10
	s_mov_b64 s[14:15], 0
	s_waitcnt vmcnt(0)
	s_branch .LBB462_11
.LBB462_10:                             ;   in Loop: Header=BB462_11 Depth=2
	s_or_b64 exec, exec, s[16:17]
	s_cmp_gt_u32 s14, 4
	s_cselect_b64 s[2:3], -1, 0
	s_xor_b64 s[16:17], vcc, -1
	s_or_b64 s[2:3], s[16:17], s[2:3]
	s_add_u32 s14, s14, 1
	s_addc_u32 s15, s15, 0
	s_and_b64 s[2:3], exec, s[2:3]
	s_or_b64 s[10:11], s[2:3], s[10:11]
	v_add_u32_e32 v17, 32, v17
	s_andn2_b64 exec, exec, s[10:11]
	s_cbranch_execz .LBB462_13
.LBB462_11:                             ;   Parent Loop BB462_5 Depth=1
                                        ; =>  This Inner Loop Header: Depth=2
	v_cmp_ne_u32_e32 vcc, v2, v17
	v_cmp_eq_u32_e64 s[2:3], v2, v17
	s_and_saveexec_b64 s[16:17], s[2:3]
	s_cbranch_execz .LBB462_10
; %bb.12:                               ;   in Loop: Header=BB462_11 Depth=2
	s_cmp_eq_u32 s14, 1
	s_cselect_b64 s[2:3], -1, 0
	s_cmp_eq_u32 s14, 2
	v_cndmask_b32_e64 v18, v12, v11, s[2:3]
	s_cselect_b64 s[2:3], -1, 0
	s_cmp_eq_u32 s14, 3
	v_cndmask_b32_e64 v18, v18, v14, s[2:3]
	;; [unrolled: 3-line block ×4, first 2 shown]
	s_cselect_b64 s[2:3], -1, 0
	v_cndmask_b32_e64 v18, v18, v15, s[2:3]
	v_add_f32_e32 v3, v3, v18
	global_store_dword v[8:9], v2, off offset:4
	s_branch .LBB462_10
.LBB462_13:                             ;   in Loop: Header=BB462_5 Depth=1
	s_or_b64 exec, exec, s[10:11]
	global_load_dword v2, v[6:7], off offset:8
	s_mov_b64 s[10:11], 0
	v_mov_b32_e32 v17, v10
	s_mov_b64 s[14:15], 0
	s_waitcnt vmcnt(0)
	s_branch .LBB462_15
.LBB462_14:                             ;   in Loop: Header=BB462_15 Depth=2
	s_or_b64 exec, exec, s[16:17]
	s_cmp_gt_u32 s14, 4
	s_cselect_b64 s[2:3], -1, 0
	s_xor_b64 s[16:17], vcc, -1
	s_or_b64 s[2:3], s[16:17], s[2:3]
	s_add_u32 s14, s14, 1
	s_addc_u32 s15, s15, 0
	s_and_b64 s[2:3], exec, s[2:3]
	s_or_b64 s[10:11], s[2:3], s[10:11]
	v_add_u32_e32 v17, 32, v17
	s_andn2_b64 exec, exec, s[10:11]
	s_cbranch_execz .LBB462_17
.LBB462_15:                             ;   Parent Loop BB462_5 Depth=1
                                        ; =>  This Inner Loop Header: Depth=2
	v_cmp_ne_u32_e32 vcc, v2, v17
	v_cmp_eq_u32_e64 s[2:3], v2, v17
	s_and_saveexec_b64 s[16:17], s[2:3]
	s_cbranch_execz .LBB462_14
; %bb.16:                               ;   in Loop: Header=BB462_15 Depth=2
	s_cmp_eq_u32 s14, 1
	s_cselect_b64 s[2:3], -1, 0
	s_cmp_eq_u32 s14, 2
	v_cndmask_b32_e64 v18, v12, v11, s[2:3]
	s_cselect_b64 s[2:3], -1, 0
	s_cmp_eq_u32 s14, 3
	v_cndmask_b32_e64 v18, v18, v14, s[2:3]
	;; [unrolled: 3-line block ×4, first 2 shown]
	s_cselect_b64 s[2:3], -1, 0
	v_cndmask_b32_e64 v18, v18, v15, s[2:3]
	v_add_f32_e32 v3, v3, v18
	global_store_dword v[8:9], v2, off offset:8
	s_branch .LBB462_14
.LBB462_17:                             ;   in Loop: Header=BB462_5 Depth=1
	s_or_b64 exec, exec, s[10:11]
	global_load_dword v2, v[6:7], off offset:12
	s_mov_b64 s[10:11], 0
	v_mov_b32_e32 v6, v10
	s_mov_b64 s[14:15], 0
	s_waitcnt vmcnt(0)
	s_branch .LBB462_19
.LBB462_18:                             ;   in Loop: Header=BB462_19 Depth=2
	s_or_b64 exec, exec, s[16:17]
	s_cmp_gt_u32 s14, 4
	s_cselect_b64 s[2:3], -1, 0
	s_xor_b64 s[16:17], vcc, -1
	s_or_b64 s[2:3], s[16:17], s[2:3]
	s_add_u32 s14, s14, 1
	s_addc_u32 s15, s15, 0
	s_and_b64 s[2:3], exec, s[2:3]
	s_or_b64 s[10:11], s[2:3], s[10:11]
	v_add_u32_e32 v6, 32, v6
	s_andn2_b64 exec, exec, s[10:11]
	s_cbranch_execz .LBB462_4
.LBB462_19:                             ;   Parent Loop BB462_5 Depth=1
                                        ; =>  This Inner Loop Header: Depth=2
	v_cmp_ne_u32_e32 vcc, v2, v6
	v_cmp_eq_u32_e64 s[2:3], v2, v6
	s_and_saveexec_b64 s[16:17], s[2:3]
	s_cbranch_execz .LBB462_18
; %bb.20:                               ;   in Loop: Header=BB462_19 Depth=2
	s_cmp_eq_u32 s14, 1
	s_cselect_b64 s[2:3], -1, 0
	s_cmp_eq_u32 s14, 2
	v_cndmask_b32_e64 v7, v12, v11, s[2:3]
	s_cselect_b64 s[2:3], -1, 0
	s_cmp_eq_u32 s14, 3
	v_cndmask_b32_e64 v7, v7, v14, s[2:3]
	;; [unrolled: 3-line block ×4, first 2 shown]
	s_cselect_b64 s[2:3], -1, 0
	v_cndmask_b32_e64 v7, v7, v15, s[2:3]
	v_add_f32_e32 v3, v3, v7
	global_store_dword v[8:9], v2, off offset:12
	s_branch .LBB462_18
.LBB462_21:
	v_mov_b32_e32 v3, 0
.LBB462_22:
	s_and_b32 s16, s24, 3
	s_cmp_eq_u32 s16, 0
	s_mov_b32 s13, 0
	s_cbranch_scc1 .LBB462_29
; %bb.23:
	s_mov_b32 s17, s13
	s_branch .LBB462_25
.LBB462_24:                             ;   in Loop: Header=BB462_25 Depth=1
	s_or_b64 exec, exec, s[8:9]
	s_add_i32 s12, s12, 1
	s_add_i32 s17, s17, 1
	s_cmp_lg_u32 s17, s16
	s_cbranch_scc0 .LBB462_29
.LBB462_25:                             ; =>This Loop Header: Depth=1
                                        ;     Child Loop BB462_27 Depth 2
	v_lshl_add_u64 v[6:7], s[12:13], 2, v[4:5]
	global_load_dword v1, v[6:7], off
	v_add_u32_e32 v6, s12, v0
	v_ashrrev_i32_e32 v7, 31, v6
	s_waitcnt lgkmcnt(0)
	v_lshl_add_u64 v[6:7], v[6:7], 2, s[6:7]
	s_mov_b64 s[8:9], 0
	v_mov_b32_e32 v2, v10
	s_mov_b64 s[10:11], 0
	s_waitcnt vmcnt(0)
	s_branch .LBB462_27
.LBB462_26:                             ;   in Loop: Header=BB462_27 Depth=2
	s_or_b64 exec, exec, s[14:15]
	s_cmp_gt_u32 s10, 4
	s_cselect_b64 s[2:3], -1, 0
	s_xor_b64 s[14:15], vcc, -1
	s_or_b64 s[2:3], s[14:15], s[2:3]
	s_add_u32 s10, s10, 1
	s_addc_u32 s11, s11, 0
	s_and_b64 s[2:3], exec, s[2:3]
	s_or_b64 s[8:9], s[2:3], s[8:9]
	v_add_u32_e32 v2, 32, v2
	s_andn2_b64 exec, exec, s[8:9]
	s_cbranch_execz .LBB462_24
.LBB462_27:                             ;   Parent Loop BB462_25 Depth=1
                                        ; =>  This Inner Loop Header: Depth=2
	v_cmp_ne_u32_e32 vcc, v1, v2
	v_cmp_eq_u32_e64 s[2:3], v1, v2
	s_and_saveexec_b64 s[14:15], s[2:3]
	s_cbranch_execz .LBB462_26
; %bb.28:                               ;   in Loop: Header=BB462_27 Depth=2
	s_cmp_eq_u32 s10, 1
	s_cselect_b64 s[2:3], -1, 0
	s_cmp_eq_u32 s10, 2
	v_cndmask_b32_e64 v8, v12, v11, s[2:3]
	s_cselect_b64 s[2:3], -1, 0
	s_cmp_eq_u32 s10, 3
	v_cndmask_b32_e64 v8, v8, v14, s[2:3]
	;; [unrolled: 3-line block ×4, first 2 shown]
	s_cselect_b64 s[2:3], -1, 0
	v_cndmask_b32_e64 v8, v8, v15, s[2:3]
	v_add_f32_e32 v3, v3, v8
	global_store_dword v[6:7], v1, off
	s_branch .LBB462_26
.LBB462_29:
	s_waitcnt lgkmcnt(0)
	s_load_dword s6, s[0:1], 0x3c
	s_waitcnt lgkmcnt(0)
	s_bitcmp1_b32 s6, 0
	s_cselect_b64 s[2:3], -1, 0
	s_bitcmp0_b32 s6, 0
	s_cbranch_scc0 .LBB462_33
; %bb.30:
	s_load_dwordx2 s[6:7], s[0:1], 0x40
	s_andn2_b64 vcc, exec, s[2:3]
	s_waitcnt lgkmcnt(0)
	v_cvt_f32_f64_e32 v17, s[6:7]
	s_cbranch_vccz .LBB462_34
.LBB462_31:
	s_andn2_b64 vcc, exec, s[4:5]
	s_cbranch_vccz .LBB462_35
.LBB462_32:
	s_endpgm
.LBB462_33:
	v_mbcnt_lo_u32_b32 v1, -1, 0
	v_mbcnt_hi_u32_b32 v1, -1, v1
	v_and_b32_e32 v2, 0x60, v1
	v_add_u32_e32 v2, 32, v2
	v_xor_b32_e32 v6, 16, v1
	v_cmp_lt_i32_e32 vcc, v6, v2
	v_xor_b32_e32 v7, 8, v1
	s_nop 0
	v_cndmask_b32_e32 v6, v1, v6, vcc
	v_lshlrev_b32_e32 v6, 2, v6
	ds_bpermute_b32 v6, v6, v3
	v_cmp_lt_i32_e32 vcc, v7, v2
	s_waitcnt lgkmcnt(0)
	v_add_f32_e32 v3, v3, v6
	v_cndmask_b32_e32 v6, v1, v7, vcc
	v_lshlrev_b32_e32 v6, 2, v6
	ds_bpermute_b32 v6, v6, v3
	v_xor_b32_e32 v7, 4, v1
	v_cmp_lt_i32_e32 vcc, v7, v2
	s_waitcnt lgkmcnt(0)
	v_add_f32_e32 v3, v3, v6
	v_cndmask_b32_e32 v6, v1, v7, vcc
	v_lshlrev_b32_e32 v6, 2, v6
	ds_bpermute_b32 v6, v6, v3
	v_xor_b32_e32 v7, 2, v1
	;; [unrolled: 7-line block ×3, first 2 shown]
	v_cmp_lt_i32_e32 vcc, v7, v2
	s_waitcnt lgkmcnt(0)
	v_add_f32_e32 v3, v3, v6
	v_cndmask_b32_e32 v1, v1, v7, vcc
	v_lshlrev_b32_e32 v1, 2, v1
	ds_bpermute_b32 v1, v1, v3
	s_waitcnt lgkmcnt(0)
	v_add_f32_e32 v3, v3, v1
	s_load_dwordx2 s[6:7], s[0:1], 0x40
	s_andn2_b64 vcc, exec, s[2:3]
	s_waitcnt lgkmcnt(0)
	v_cvt_f32_f64_e32 v17, s[6:7]
	s_cbranch_vccnz .LBB462_31
.LBB462_34:
	v_cmp_lt_f32_e32 vcc, 0, v3
	s_nop 1
	v_cndmask_b32_e32 v1, 1.0, v3, vcc
	v_div_scale_f32 v2, s[2:3], v1, v1, v17
	v_rcp_f32_e32 v3, v2
	s_nop 0
	v_fma_f32 v6, -v2, v3, 1.0
	v_fmac_f32_e32 v3, v6, v3
	v_div_scale_f32 v6, vcc, v17, v1, v17
	v_mul_f32_e32 v7, v6, v3
	v_fma_f32 v8, -v2, v7, v6
	v_fmac_f32_e32 v7, v8, v3
	v_fma_f32 v2, -v2, v7, v6
	v_div_fmas_f32 v2, v2, v3, v7
	v_div_fixup_f32 v17, v2, v1, v17
	s_andn2_b64 vcc, exec, s[4:5]
	s_cbranch_vccnz .LBB462_32
.LBB462_35:
	s_load_dwordx2 s[8:9], s[0:1], 0x10
	v_or_b32_e32 v22, 32, v10
	v_or_b32_e32 v21, 64, v10
	;; [unrolled: 1-line block ×5, first 2 shown]
	s_cmp_eq_u32 s24, 1
	s_mov_b32 s10, 0
	s_cbranch_scc1 .LBB462_62
; %bb.36:
	v_ashrrev_i32_e32 v1, 31, v0
	s_waitcnt lgkmcnt(0)
	v_lshl_add_u64 v[2:3], v[0:1], 2, s[8:9]
	s_and_b32 s10, s24, 0x7ffffffe
	v_lshl_add_u64 v[2:3], v[2:3], 0, 4
	v_lshl_add_u64 v[6:7], v[4:5], 0, 4
	s_mov_b32 s11, 0
	s_branch .LBB462_38
.LBB462_37:                             ;   in Loop: Header=BB462_38 Depth=1
	s_or_b64 exec, exec, s[0:1]
	s_add_i32 s11, s11, 2
	v_lshl_add_u64 v[2:3], v[2:3], 0, 8
	s_cmp_lg_u32 s10, s11
	v_lshl_add_u64 v[6:7], v[6:7], 0, 8
	s_cbranch_scc0 .LBB462_62
.LBB462_38:                             ; =>This Inner Loop Header: Depth=1
	global_load_dword v1, v[6:7], off offset:-4
	v_mov_b64_e32 v[8:9], 0
	s_waitcnt vmcnt(0)
	v_cmp_eq_u32_e32 vcc, v1, v10
	v_cmp_ne_u32_e64 s[0:1], v1, v10
	s_and_saveexec_b64 s[12:13], s[0:1]
	s_cbranch_execz .LBB462_48
; %bb.39:                               ;   in Loop: Header=BB462_38 Depth=1
	v_cmp_eq_u32_e64 s[0:1], v1, v22
	v_cmp_ne_u32_e64 s[2:3], v1, v22
	v_mov_b64_e32 v[8:9], 1
	s_and_saveexec_b64 s[14:15], s[2:3]
	s_cbranch_execz .LBB462_47
; %bb.40:                               ;   in Loop: Header=BB462_38 Depth=1
	v_cmp_eq_u32_e64 s[2:3], v1, v21
	v_cmp_ne_u32_e64 s[4:5], v1, v21
	v_mov_b64_e32 v[8:9], 2
	;; [unrolled: 6-line block ×4, first 2 shown]
	s_and_saveexec_b64 s[22:23], s[6:7]
	s_xor_b64 s[22:23], exec, s[22:23]
; %bb.43:                               ;   in Loop: Header=BB462_38 Depth=1
	v_cmp_eq_u32_e64 s[6:7], v1, v18
	s_andn2_b64 s[20:21], s[20:21], exec
	s_and_b64 s[6:7], s[6:7], exec
	v_mov_b64_e32 v[8:9], 5
	s_or_b64 s[20:21], s[20:21], s[6:7]
; %bb.44:                               ;   in Loop: Header=BB462_38 Depth=1
	s_or_b64 exec, exec, s[22:23]
	s_andn2_b64 s[4:5], s[4:5], exec
	s_and_b64 s[6:7], s[20:21], exec
	s_or_b64 s[4:5], s[4:5], s[6:7]
.LBB462_45:                             ;   in Loop: Header=BB462_38 Depth=1
	s_or_b64 exec, exec, s[18:19]
	s_andn2_b64 s[2:3], s[2:3], exec
	s_and_b64 s[4:5], s[4:5], exec
	s_or_b64 s[2:3], s[2:3], s[4:5]
.LBB462_46:                             ;   in Loop: Header=BB462_38 Depth=1
	s_or_b64 exec, exec, s[16:17]
	s_andn2_b64 s[0:1], s[0:1], exec
	s_and_b64 s[2:3], s[2:3], exec
	s_or_b64 s[0:1], s[0:1], s[2:3]
.LBB462_47:                             ;   in Loop: Header=BB462_38 Depth=1
	s_or_b64 exec, exec, s[14:15]
	s_andn2_b64 s[2:3], vcc, exec
	s_and_b64 s[0:1], s[0:1], exec
	s_or_b64 vcc, s[2:3], s[0:1]
.LBB462_48:                             ;   in Loop: Header=BB462_38 Depth=1
	s_or_b64 exec, exec, s[12:13]
	s_and_saveexec_b64 s[0:1], vcc
	s_cbranch_execz .LBB462_50
; %bb.49:                               ;   in Loop: Header=BB462_38 Depth=1
	v_cmp_eq_u32_e32 vcc, 1, v8
	v_add_u32_e32 v24, s11, v0
	v_ashrrev_i32_e32 v25, 31, v24
	v_cndmask_b32_e32 v1, v12, v11, vcc
	v_cmp_eq_u32_e32 vcc, 2, v8
	s_nop 1
	v_cndmask_b32_e32 v1, v1, v14, vcc
	v_cmp_eq_u32_e32 vcc, 3, v8
	s_nop 1
	;; [unrolled: 3-line block ×3, first 2 shown]
	v_cndmask_b32_e32 v1, v1, v16, vcc
	v_cmp_eq_u32_e32 vcc, 5, v8
	v_lshl_add_u64 v[8:9], v[24:25], 2, s[8:9]
	s_nop 0
	v_cndmask_b32_e32 v1, v1, v15, vcc
	v_mul_f32_e32 v1, v17, v1
	global_store_dword v[8:9], v1, off
.LBB462_50:                             ;   in Loop: Header=BB462_38 Depth=1
	s_or_b64 exec, exec, s[0:1]
	global_load_dword v1, v[6:7], off
	v_mov_b64_e32 v[8:9], 0
	s_waitcnt vmcnt(0)
	v_cmp_eq_u32_e64 s[4:5], v1, v10
	v_cmp_ne_u32_e32 vcc, v1, v10
	s_and_saveexec_b64 s[6:7], vcc
	s_cbranch_execz .LBB462_60
; %bb.51:                               ;   in Loop: Header=BB462_38 Depth=1
	v_cmp_eq_u32_e32 vcc, v1, v22
	v_cmp_ne_u32_e64 s[0:1], v1, v22
	v_mov_b64_e32 v[8:9], 1
	s_and_saveexec_b64 s[12:13], s[0:1]
	s_cbranch_execz .LBB462_59
; %bb.52:                               ;   in Loop: Header=BB462_38 Depth=1
	v_cmp_eq_u32_e64 s[0:1], v1, v21
	v_cmp_ne_u32_e64 s[2:3], v1, v21
	v_mov_b64_e32 v[8:9], 2
	s_and_saveexec_b64 s[14:15], s[2:3]
	s_cbranch_execz .LBB462_58
; %bb.53:                               ;   in Loop: Header=BB462_38 Depth=1
	v_cmp_eq_u32_e64 s[16:17], v1, v20
	;; [unrolled: 6-line block ×3, first 2 shown]
	v_cmp_ne_u32_e64 s[2:3], v1, v19
	v_mov_b64_e32 v[8:9], 4
	s_and_saveexec_b64 s[22:23], s[2:3]
; %bb.55:                               ;   in Loop: Header=BB462_38 Depth=1
	v_cmp_eq_u32_e64 s[2:3], v1, v18
	s_andn2_b64 s[20:21], s[20:21], exec
	s_and_b64 s[2:3], s[2:3], exec
	v_mov_b64_e32 v[8:9], 5
	s_or_b64 s[20:21], s[20:21], s[2:3]
; %bb.56:                               ;   in Loop: Header=BB462_38 Depth=1
	s_or_b64 exec, exec, s[22:23]
	s_andn2_b64 s[2:3], s[16:17], exec
	s_and_b64 s[16:17], s[20:21], exec
	s_or_b64 s[16:17], s[2:3], s[16:17]
.LBB462_57:                             ;   in Loop: Header=BB462_38 Depth=1
	s_or_b64 exec, exec, s[18:19]
	s_andn2_b64 s[0:1], s[0:1], exec
	s_and_b64 s[2:3], s[16:17], exec
	s_or_b64 s[0:1], s[0:1], s[2:3]
.LBB462_58:                             ;   in Loop: Header=BB462_38 Depth=1
	s_or_b64 exec, exec, s[14:15]
	s_andn2_b64 s[2:3], vcc, exec
	s_and_b64 s[0:1], s[0:1], exec
	s_or_b64 vcc, s[2:3], s[0:1]
.LBB462_59:                             ;   in Loop: Header=BB462_38 Depth=1
	s_or_b64 exec, exec, s[12:13]
	s_andn2_b64 s[0:1], s[4:5], exec
	s_and_b64 s[2:3], vcc, exec
	s_or_b64 s[4:5], s[0:1], s[2:3]
.LBB462_60:                             ;   in Loop: Header=BB462_38 Depth=1
	s_or_b64 exec, exec, s[6:7]
	s_and_saveexec_b64 s[0:1], s[4:5]
	s_cbranch_execz .LBB462_37
; %bb.61:                               ;   in Loop: Header=BB462_38 Depth=1
	v_cmp_eq_u32_e32 vcc, 1, v8
	s_nop 1
	v_cndmask_b32_e32 v1, v12, v11, vcc
	v_cmp_eq_u32_e32 vcc, 2, v8
	s_nop 1
	v_cndmask_b32_e32 v1, v1, v14, vcc
	;; [unrolled: 3-line block ×5, first 2 shown]
	v_mul_f32_e32 v1, v17, v1
	global_store_dword v[2:3], v1, off
	s_branch .LBB462_37
.LBB462_62:
	s_bitcmp0_b32 s24, 0
	s_mov_b32 s11, 0
	s_cbranch_scc1 .LBB462_32
; %bb.63:
	v_lshl_add_u64 v[2:3], s[10:11], 2, v[4:5]
	global_load_dword v1, v[2:3], off
	v_mov_b64_e32 v[2:3], 0
	s_waitcnt vmcnt(0)
	v_cmp_eq_u32_e64 s[4:5], v1, v10
	v_cmp_ne_u32_e32 vcc, v1, v10
	s_and_saveexec_b64 s[6:7], vcc
	s_cbranch_execz .LBB462_73
; %bb.64:
	v_cmp_eq_u32_e32 vcc, v1, v22
	v_cmp_ne_u32_e64 s[0:1], v1, v22
	v_mov_b64_e32 v[2:3], 1
	s_and_saveexec_b64 s[12:13], s[0:1]
	s_cbranch_execz .LBB462_72
; %bb.65:
	v_cmp_eq_u32_e64 s[0:1], v1, v21
	v_cmp_ne_u32_e64 s[2:3], v1, v21
	v_mov_b64_e32 v[2:3], 2
	s_and_saveexec_b64 s[14:15], s[2:3]
	s_cbranch_execz .LBB462_71
; %bb.66:
	v_cmp_eq_u32_e64 s[16:17], v1, v20
	v_cmp_ne_u32_e64 s[2:3], v1, v20
	v_mov_b64_e32 v[2:3], 3
	s_and_saveexec_b64 s[18:19], s[2:3]
	s_cbranch_execz .LBB462_70
; %bb.67:
	v_cmp_eq_u32_e64 s[20:21], v1, v19
	v_cmp_ne_u32_e64 s[2:3], v1, v19
	v_mov_b64_e32 v[2:3], 4
	s_and_saveexec_b64 s[22:23], s[2:3]
; %bb.68:
	v_cmp_eq_u32_e64 s[2:3], v1, v18
	s_andn2_b64 s[20:21], s[20:21], exec
	s_and_b64 s[2:3], s[2:3], exec
	v_mov_b64_e32 v[2:3], 5
	s_or_b64 s[20:21], s[20:21], s[2:3]
; %bb.69:
	s_or_b64 exec, exec, s[22:23]
	s_andn2_b64 s[2:3], s[16:17], exec
	s_and_b64 s[16:17], s[20:21], exec
	s_or_b64 s[16:17], s[2:3], s[16:17]
.LBB462_70:
	s_or_b64 exec, exec, s[18:19]
	s_andn2_b64 s[0:1], s[0:1], exec
	s_and_b64 s[2:3], s[16:17], exec
	s_or_b64 s[0:1], s[0:1], s[2:3]
.LBB462_71:
	s_or_b64 exec, exec, s[14:15]
	s_andn2_b64 s[2:3], vcc, exec
	s_and_b64 s[0:1], s[0:1], exec
	s_or_b64 vcc, s[2:3], s[0:1]
.LBB462_72:
	s_or_b64 exec, exec, s[12:13]
	s_andn2_b64 s[0:1], s[4:5], exec
	s_and_b64 s[2:3], vcc, exec
	s_or_b64 s[4:5], s[0:1], s[2:3]
.LBB462_73:
	s_or_b64 exec, exec, s[6:7]
	s_and_b64 exec, exec, s[4:5]
	s_cbranch_execz .LBB462_32
; %bb.74:
	v_cmp_eq_u32_e32 vcc, 1, v2
	v_add_u32_e32 v0, s10, v0
	s_nop 0
	v_cndmask_b32_e32 v1, v12, v11, vcc
	v_cmp_eq_u32_e32 vcc, 2, v2
	s_nop 1
	v_cndmask_b32_e32 v1, v1, v14, vcc
	v_cmp_eq_u32_e32 vcc, 3, v2
	;; [unrolled: 3-line block ×4, first 2 shown]
	s_nop 1
	v_cndmask_b32_e32 v1, v1, v15, vcc
	v_mul_f32_e32 v2, v17, v1
	v_ashrrev_i32_e32 v1, 31, v0
	s_waitcnt lgkmcnt(0)
	v_lshl_add_u64 v[0:1], v[0:1], 2, s[8:9]
	global_store_dword v[0:1], v2, off
	s_endpgm
	.section	.rodata,"a",@progbits
	.p2align	6, 0x0
	.amdhsa_kernel _ZN4vllm3moe22topkGatingSoftplusSqrtILi6ELi192ELi4ELi2ELi32ELb1Ej14__hip_bfloat16EEvPKT6_PKbPfiPT5_PiiiibdPKfPKS9_SF_
		.amdhsa_group_segment_fixed_size 0
		.amdhsa_private_segment_fixed_size 0
		.amdhsa_kernarg_size 96
		.amdhsa_user_sgpr_count 2
		.amdhsa_user_sgpr_dispatch_ptr 0
		.amdhsa_user_sgpr_queue_ptr 0
		.amdhsa_user_sgpr_kernarg_segment_ptr 1
		.amdhsa_user_sgpr_dispatch_id 0
		.amdhsa_user_sgpr_kernarg_preload_length 0
		.amdhsa_user_sgpr_kernarg_preload_offset 0
		.amdhsa_user_sgpr_private_segment_size 0
		.amdhsa_uses_dynamic_stack 0
		.amdhsa_enable_private_segment 0
		.amdhsa_system_sgpr_workgroup_id_x 1
		.amdhsa_system_sgpr_workgroup_id_y 0
		.amdhsa_system_sgpr_workgroup_id_z 0
		.amdhsa_system_sgpr_workgroup_info 0
		.amdhsa_system_vgpr_workitem_id 1
		.amdhsa_next_free_vgpr 26
		.amdhsa_next_free_sgpr 25
		.amdhsa_accum_offset 28
		.amdhsa_reserve_vcc 1
		.amdhsa_float_round_mode_32 0
		.amdhsa_float_round_mode_16_64 0
		.amdhsa_float_denorm_mode_32 3
		.amdhsa_float_denorm_mode_16_64 3
		.amdhsa_dx10_clamp 1
		.amdhsa_ieee_mode 1
		.amdhsa_fp16_overflow 0
		.amdhsa_tg_split 0
		.amdhsa_exception_fp_ieee_invalid_op 0
		.amdhsa_exception_fp_denorm_src 0
		.amdhsa_exception_fp_ieee_div_zero 0
		.amdhsa_exception_fp_ieee_overflow 0
		.amdhsa_exception_fp_ieee_underflow 0
		.amdhsa_exception_fp_ieee_inexact 0
		.amdhsa_exception_int_div_zero 0
	.end_amdhsa_kernel
	.section	.text._ZN4vllm3moe22topkGatingSoftplusSqrtILi6ELi192ELi4ELi2ELi32ELb1Ej14__hip_bfloat16EEvPKT6_PKbPfiPT5_PiiiibdPKfPKS9_SF_,"axG",@progbits,_ZN4vllm3moe22topkGatingSoftplusSqrtILi6ELi192ELi4ELi2ELi32ELb1Ej14__hip_bfloat16EEvPKT6_PKbPfiPT5_PiiiibdPKfPKS9_SF_,comdat
.Lfunc_end462:
	.size	_ZN4vllm3moe22topkGatingSoftplusSqrtILi6ELi192ELi4ELi2ELi32ELb1Ej14__hip_bfloat16EEvPKT6_PKbPfiPT5_PiiiibdPKfPKS9_SF_, .Lfunc_end462-_ZN4vllm3moe22topkGatingSoftplusSqrtILi6ELi192ELi4ELi2ELi32ELb1Ej14__hip_bfloat16EEvPKT6_PKbPfiPT5_PiiiibdPKfPKS9_SF_
                                        ; -- End function
	.section	.AMDGPU.csdata,"",@progbits
; Kernel info:
; codeLenInByte = 4312
; NumSgprs: 31
; NumVgprs: 26
; NumAgprs: 0
; TotalNumVgprs: 26
; ScratchSize: 0
; MemoryBound: 0
; FloatMode: 240
; IeeeMode: 1
; LDSByteSize: 0 bytes/workgroup (compile time only)
; SGPRBlocks: 3
; VGPRBlocks: 3
; NumSGPRsForWavesPerEU: 31
; NumVGPRsForWavesPerEU: 26
; AccumOffset: 28
; Occupancy: 8
; WaveLimiterHint : 1
; COMPUTE_PGM_RSRC2:SCRATCH_EN: 0
; COMPUTE_PGM_RSRC2:USER_SGPR: 2
; COMPUTE_PGM_RSRC2:TRAP_HANDLER: 0
; COMPUTE_PGM_RSRC2:TGID_X_EN: 1
; COMPUTE_PGM_RSRC2:TGID_Y_EN: 0
; COMPUTE_PGM_RSRC2:TGID_Z_EN: 0
; COMPUTE_PGM_RSRC2:TIDIG_COMP_CNT: 1
; COMPUTE_PGM_RSRC3_GFX90A:ACCUM_OFFSET: 6
; COMPUTE_PGM_RSRC3_GFX90A:TG_SPLIT: 0
	.section	.text._ZN4vllm3moe22topkGatingSoftplusSqrtILi6ELi192ELi4ELi2ELi32ELb0Ej14__hip_bfloat16EEvPKT6_PKbPfiPT5_PiiiibdPKfPKS9_SF_,"axG",@progbits,_ZN4vllm3moe22topkGatingSoftplusSqrtILi6ELi192ELi4ELi2ELi32ELb0Ej14__hip_bfloat16EEvPKT6_PKbPfiPT5_PiiiibdPKfPKS9_SF_,comdat
	.protected	_ZN4vllm3moe22topkGatingSoftplusSqrtILi6ELi192ELi4ELi2ELi32ELb0Ej14__hip_bfloat16EEvPKT6_PKbPfiPT5_PiiiibdPKfPKS9_SF_ ; -- Begin function _ZN4vllm3moe22topkGatingSoftplusSqrtILi6ELi192ELi4ELi2ELi32ELb0Ej14__hip_bfloat16EEvPKT6_PKbPfiPT5_PiiiibdPKfPKS9_SF_
	.globl	_ZN4vllm3moe22topkGatingSoftplusSqrtILi6ELi192ELi4ELi2ELi32ELb0Ej14__hip_bfloat16EEvPKT6_PKbPfiPT5_PiiiibdPKfPKS9_SF_
	.p2align	8
	.type	_ZN4vllm3moe22topkGatingSoftplusSqrtILi6ELi192ELi4ELi2ELi32ELb0Ej14__hip_bfloat16EEvPKT6_PKbPfiPT5_PiiiibdPKfPKS9_SF_,@function
_ZN4vllm3moe22topkGatingSoftplusSqrtILi6ELi192ELi4ELi2ELi32ELb0Ej14__hip_bfloat16EEvPKT6_PKbPfiPT5_PiiiibdPKfPKS9_SF_: ; @_ZN4vllm3moe22topkGatingSoftplusSqrtILi6ELi192ELi4ELi2ELi32ELb0Ej14__hip_bfloat16EEvPKT6_PKbPfiPT5_PiiiibdPKfPKS9_SF_
; %bb.0:
	s_load_dword s30, s[0:1], 0x18
	v_and_b32_e32 v1, 0x3ff, v0
	s_lshl_b32 s2, s2, 2
	v_lshrrev_b32_e32 v2, 5, v1
	v_bfe_u32 v0, v0, 10, 10
	v_add3_u32 v6, s2, v0, v2
	s_waitcnt lgkmcnt(0)
	v_cmp_gt_i32_e32 vcc, s30, v6
	s_and_saveexec_b64 s[2:3], vcc
	s_cbranch_execz .LBB463_57
; %bb.1:
	s_load_dwordx4 s[4:7], s[0:1], 0x0
	s_load_dwordx2 s[20:21], s[0:1], 0x10
	s_waitcnt lgkmcnt(0)
	s_cmp_eq_u64 s[6:7], 0
	s_cbranch_scc1 .LBB463_3
; %bb.2:
	v_ashrrev_i32_e32 v7, 31, v6
	v_lshl_add_u64 v[2:3], s[6:7], 0, v[6:7]
	global_load_ubyte v0, v[2:3], off
	s_waitcnt vmcnt(0)
	v_and_b32_e32 v0, 1, v0
	v_cmp_eq_u32_e32 vcc, 1, v0
	s_xor_b64 s[2:3], vcc, -1
	s_orn2_b64 s[22:23], s[2:3], exec
	s_branch .LBB463_4
.LBB463_3:
	s_mov_b64 s[22:23], -1
.LBB463_4:
	s_movk_i32 s2, 0xc0
	v_mul_lo_u32 v4, v6, s2
	v_mov_b32_e32 v2, s4
	v_mov_b32_e32 v3, s5
	v_ashrrev_i32_e32 v5, 31, v4
	v_and_b32_e32 v8, 31, v1
	v_lshl_add_u64 v[2:3], v[4:5], 1, v[2:3]
	v_mov_b32_e32 v1, 0
	v_lshlrev_b32_e32 v0, 1, v8
	v_lshl_add_u64 v[10:11], v[2:3], 0, v[0:1]
	global_load_ushort v0, v[10:11], off
	global_load_ushort v1, v[10:11], off offset:64
	global_load_ushort v2, v[10:11], off offset:128
	;; [unrolled: 1-line block ×5, first 2 shown]
	s_mov_b32 s16, 0x800000
	v_mov_b32_e32 v10, 0x4f800000
	s_mov_b32 s13, 0x3f317217
	s_mov_b32 s14, 0x7f800000
	v_mov_b32_e32 v11, 0x41b17218
	s_mov_b32 s12, 0x41a00000
	s_mov_b32 s15, 0xf800000
	s_load_dwordx4 s[8:11], s[0:1], 0x40
	s_waitcnt lgkmcnt(0)
	s_cmp_lg_u64 s[10:11], 0
	s_cselect_b64 s[6:7], -1, 0
	s_and_b64 s[2:3], exec, s[6:7]
	s_waitcnt vmcnt(5)
	v_lshlrev_b32_e32 v0, 16, v0
	v_mul_f32_e32 v7, 0x3fb8aa3b, v0
	v_exp_f32_e32 v7, v7
	s_nop 0
	v_add_f32_e32 v7, 1.0, v7
	v_cmp_gt_f32_e32 vcc, s16, v7
	s_nop 1
	v_cndmask_b32_e32 v9, 1.0, v10, vcc
	v_mul_f32_e32 v7, v7, v9
	v_log_f32_e32 v12, v7
	v_cndmask_b32_e32 v13, 0, v11, vcc
	v_mov_b32_e32 v9, 0x260
	v_lshlrev_b32_e32 v7, 2, v8
	v_mul_f32_e32 v14, 0x3f317217, v12
	v_fma_f32 v14, v12, s13, -v14
	v_fmac_f32_e32 v14, 0x3377d1cf, v12
	v_fmac_f32_e32 v14, 0x3f317217, v12
	v_cmp_lt_f32_e64 vcc, |v12|, s14
	s_nop 1
	v_cndmask_b32_e32 v12, v12, v14, vcc
	v_sub_f32_e32 v12, v12, v13
	v_cmp_lt_f32_e32 vcc, s12, v0
	s_nop 1
	v_cndmask_b32_e32 v0, v12, v0, vcc
	v_mul_f32_e32 v12, 0x4f800000, v0
	v_cmp_gt_f32_e32 vcc, s15, v0
	s_nop 1
	v_cndmask_b32_e32 v0, v0, v12, vcc
	v_sqrt_f32_e32 v12, v0
	s_nop 0
	v_add_u32_e32 v13, -1, v12
	v_add_u32_e32 v14, 1, v12
	v_fma_f32 v15, -v13, v12, v0
	v_fma_f32 v16, -v14, v12, v0
	v_cmp_ge_f32_e64 s[4:5], 0, v15
	s_nop 1
	v_cndmask_b32_e64 v12, v12, v13, s[4:5]
	v_cmp_lt_f32_e64 s[4:5], 0, v16
	s_nop 1
	v_cndmask_b32_e64 v12, v12, v14, s[4:5]
	v_mul_f32_e32 v13, 0x37800000, v12
	v_cndmask_b32_e32 v12, v12, v13, vcc
	v_cmp_class_f32_e32 vcc, v0, v9
	s_nop 1
	v_cndmask_b32_e32 v0, v12, v0, vcc
	s_mov_b64 vcc, s[2:3]
	s_cbranch_vccz .LBB463_6
; %bb.5:
	global_load_dword v12, v7, s[10:11]
	s_waitcnt vmcnt(0)
	v_add_f32_e32 v0, v0, v12
.LBB463_6:
	s_waitcnt vmcnt(4)
	v_lshlrev_b32_e32 v1, 16, v1
	v_mul_f32_e32 v12, 0x3fb8aa3b, v1
	v_exp_f32_e32 v12, v12
	s_nop 0
	v_add_f32_e32 v12, 1.0, v12
	v_cmp_gt_f32_e32 vcc, s16, v12
	s_nop 1
	v_cndmask_b32_e32 v10, 1.0, v10, vcc
	v_mul_f32_e32 v10, v12, v10
	v_log_f32_e32 v10, v10
	v_cndmask_b32_e32 v11, 0, v11, vcc
	v_mul_f32_e32 v12, 0x3f317217, v10
	v_fma_f32 v12, v10, s13, -v12
	v_fmac_f32_e32 v12, 0x3377d1cf, v10
	v_fmac_f32_e32 v12, 0x3f317217, v10
	v_cmp_lt_f32_e64 vcc, |v10|, s14
	s_nop 1
	v_cndmask_b32_e32 v10, v10, v12, vcc
	v_sub_f32_e32 v10, v10, v11
	v_cmp_lt_f32_e32 vcc, s12, v1
	s_nop 1
	v_cndmask_b32_e32 v1, v10, v1, vcc
	v_mul_f32_e32 v10, 0x4f800000, v1
	v_cmp_gt_f32_e32 vcc, s15, v1
	s_nop 1
	v_cndmask_b32_e32 v1, v1, v10, vcc
	v_sqrt_f32_e32 v10, v1
	v_cmp_class_f32_e64 s[4:5], v1, v9
	v_add_u32_e32 v11, -1, v10
	v_add_u32_e32 v12, 1, v10
	v_fma_f32 v13, -v11, v10, v1
	v_fma_f32 v14, -v12, v10, v1
	v_cmp_ge_f32_e64 s[2:3], 0, v13
	s_nop 1
	v_cndmask_b32_e64 v10, v10, v11, s[2:3]
	v_cmp_lt_f32_e64 s[2:3], 0, v14
	s_nop 1
	v_cndmask_b32_e64 v10, v10, v12, s[2:3]
	v_mul_f32_e32 v11, 0x37800000, v10
	v_cndmask_b32_e32 v10, v10, v11, vcc
	v_cndmask_b32_e64 v11, 0, 1, s[6:7]
	v_cmp_ne_u32_e64 s[2:3], 1, v11
	s_andn2_b64 vcc, exec, s[6:7]
	v_cndmask_b32_e64 v1, v10, v1, s[4:5]
	s_cbranch_vccnz .LBB463_8
; %bb.7:
	global_load_dword v9, v7, s[10:11] offset:128
	s_waitcnt vmcnt(0)
	v_add_f32_e32 v1, v1, v9
.LBB463_8:
	s_waitcnt vmcnt(3)
	v_lshlrev_b32_e32 v2, 16, v2
	v_mul_f32_e32 v9, 0x3fb8aa3b, v2
	v_exp_f32_e32 v9, v9
	s_mov_b32 s14, 0x800000
	v_mov_b32_e32 v10, 0x4f800000
	s_mov_b32 s7, 0x3f317217
	v_add_f32_e32 v9, 1.0, v9
	v_cmp_gt_f32_e32 vcc, s14, v9
	s_mov_b32 s12, 0x7f800000
	s_mov_b32 s6, 0x41a00000
	v_cndmask_b32_e32 v11, 1.0, v10, vcc
	v_mul_f32_e32 v9, v9, v11
	v_log_f32_e32 v9, v9
	s_mov_b32 s13, 0xf800000
	v_mul_f32_e32 v11, 0x3f317217, v9
	v_fma_f32 v11, v9, s7, -v11
	v_fmac_f32_e32 v11, 0x3377d1cf, v9
	v_fmac_f32_e32 v11, 0x3f317217, v9
	v_cmp_lt_f32_e64 s[4:5], |v9|, s12
	s_nop 1
	v_cndmask_b32_e64 v9, v9, v11, s[4:5]
	v_mov_b32_e32 v11, 0x41b17218
	v_cndmask_b32_e32 v12, 0, v11, vcc
	v_sub_f32_e32 v9, v9, v12
	v_cmp_lt_f32_e32 vcc, s6, v2
	s_nop 1
	v_cndmask_b32_e32 v2, v9, v2, vcc
	v_mul_f32_e32 v9, 0x4f800000, v2
	v_cmp_gt_f32_e32 vcc, s13, v2
	s_nop 1
	v_cndmask_b32_e32 v2, v2, v9, vcc
	v_sqrt_f32_e32 v9, v2
	s_nop 0
	v_add_u32_e32 v12, -1, v9
	v_fma_f32 v13, -v12, v9, v2
	v_cmp_ge_f32_e64 s[4:5], 0, v13
	v_add_u32_e32 v13, 1, v9
	s_nop 0
	v_cndmask_b32_e64 v12, v9, v12, s[4:5]
	v_fma_f32 v9, -v13, v9, v2
	v_cmp_lt_f32_e64 s[4:5], 0, v9
	s_nop 1
	v_cndmask_b32_e64 v9, v12, v13, s[4:5]
	v_mul_f32_e32 v12, 0x37800000, v9
	v_cndmask_b32_e32 v12, v9, v12, vcc
	v_mov_b32_e32 v9, 0x260
	v_cmp_class_f32_e64 s[4:5], v2, v9
	s_and_b64 vcc, exec, s[2:3]
	s_nop 0
	v_cndmask_b32_e64 v2, v12, v2, s[4:5]
	s_cbranch_vccnz .LBB463_10
; %bb.9:
	global_load_dword v12, v7, s[10:11] offset:256
	s_waitcnt vmcnt(0)
	v_add_f32_e32 v2, v2, v12
.LBB463_10:
	s_waitcnt vmcnt(2)
	v_lshlrev_b32_e32 v3, 16, v3
	v_mul_f32_e32 v12, 0x3fb8aa3b, v3
	v_exp_f32_e32 v12, v12
	s_nop 0
	v_add_f32_e32 v12, 1.0, v12
	v_cmp_gt_f32_e32 vcc, s14, v12
	s_nop 1
	v_cndmask_b32_e32 v10, 1.0, v10, vcc
	v_mul_f32_e32 v10, v12, v10
	v_log_f32_e32 v10, v10
	v_cndmask_b32_e32 v11, 0, v11, vcc
	v_mul_f32_e32 v12, 0x3f317217, v10
	v_fma_f32 v12, v10, s7, -v12
	v_fmac_f32_e32 v12, 0x3377d1cf, v10
	v_fmac_f32_e32 v12, 0x3f317217, v10
	v_cmp_lt_f32_e64 vcc, |v10|, s12
	s_nop 1
	v_cndmask_b32_e32 v10, v10, v12, vcc
	v_sub_f32_e32 v10, v10, v11
	v_cmp_lt_f32_e32 vcc, s6, v3
	s_nop 1
	v_cndmask_b32_e32 v3, v10, v3, vcc
	v_mul_f32_e32 v10, 0x4f800000, v3
	v_cmp_gt_f32_e32 vcc, s13, v3
	s_nop 1
	v_cndmask_b32_e32 v3, v3, v10, vcc
	v_sqrt_f32_e32 v10, v3
	s_nop 0
	v_add_u32_e32 v11, -1, v10
	v_add_u32_e32 v12, 1, v10
	v_fma_f32 v13, -v11, v10, v3
	v_fma_f32 v14, -v12, v10, v3
	v_cmp_ge_f32_e64 s[4:5], 0, v13
	s_nop 1
	v_cndmask_b32_e64 v10, v10, v11, s[4:5]
	v_cmp_lt_f32_e64 s[4:5], 0, v14
	s_nop 1
	v_cndmask_b32_e64 v10, v10, v12, s[4:5]
	v_mul_f32_e32 v11, 0x37800000, v10
	v_cndmask_b32_e32 v10, v10, v11, vcc
	v_cmp_class_f32_e64 s[4:5], v3, v9
	s_and_b64 vcc, exec, s[2:3]
	s_nop 0
	v_cndmask_b32_e64 v3, v10, v3, s[4:5]
	s_cbranch_vccnz .LBB463_12
; %bb.11:
	global_load_dword v9, v7, s[10:11] offset:384
	s_waitcnt vmcnt(0)
	v_add_f32_e32 v3, v3, v9
.LBB463_12:
	s_waitcnt vmcnt(1)
	v_lshlrev_b32_e32 v4, 16, v4
	v_mul_f32_e32 v9, 0x3fb8aa3b, v4
	v_exp_f32_e32 v9, v9
	v_mov_b32_e32 v10, 0x4f800000
	v_add_f32_e32 v9, 1.0, v9
	v_cmp_gt_f32_e32 vcc, s14, v9
	s_nop 1
	v_cndmask_b32_e32 v11, 1.0, v10, vcc
	v_mul_f32_e32 v9, v9, v11
	v_log_f32_e32 v9, v9
	s_nop 0
	v_mul_f32_e32 v11, 0x3f317217, v9
	v_fma_f32 v11, v9, s7, -v11
	v_fmac_f32_e32 v11, 0x3377d1cf, v9
	v_fmac_f32_e32 v11, 0x3f317217, v9
	v_cmp_lt_f32_e64 s[4:5], |v9|, s12
	s_nop 1
	v_cndmask_b32_e64 v9, v9, v11, s[4:5]
	v_mov_b32_e32 v11, 0x41b17218
	v_cndmask_b32_e32 v12, 0, v11, vcc
	v_sub_f32_e32 v9, v9, v12
	v_cmp_lt_f32_e32 vcc, s6, v4
	s_nop 1
	v_cndmask_b32_e32 v4, v9, v4, vcc
	v_mul_f32_e32 v9, 0x4f800000, v4
	v_cmp_gt_f32_e32 vcc, s13, v4
	s_nop 1
	v_cndmask_b32_e32 v4, v4, v9, vcc
	v_sqrt_f32_e32 v9, v4
	s_nop 0
	v_add_u32_e32 v12, -1, v9
	v_fma_f32 v13, -v12, v9, v4
	v_cmp_ge_f32_e64 s[4:5], 0, v13
	v_add_u32_e32 v13, 1, v9
	s_nop 0
	v_cndmask_b32_e64 v12, v9, v12, s[4:5]
	v_fma_f32 v9, -v13, v9, v4
	v_cmp_lt_f32_e64 s[4:5], 0, v9
	s_nop 1
	v_cndmask_b32_e64 v9, v12, v13, s[4:5]
	v_mul_f32_e32 v12, 0x37800000, v9
	v_cndmask_b32_e32 v12, v9, v12, vcc
	v_mov_b32_e32 v9, 0x260
	v_cmp_class_f32_e64 s[4:5], v4, v9
	s_and_b64 vcc, exec, s[2:3]
	s_nop 0
	v_cndmask_b32_e64 v4, v12, v4, s[4:5]
	s_cbranch_vccnz .LBB463_14
; %bb.13:
	global_load_dword v12, v7, s[10:11] offset:512
	s_waitcnt vmcnt(0)
	v_add_f32_e32 v4, v4, v12
.LBB463_14:
	s_waitcnt vmcnt(0)
	v_lshlrev_b32_e32 v5, 16, v5
	v_mul_f32_e32 v12, 0x3fb8aa3b, v5
	v_exp_f32_e32 v12, v12
	s_nop 0
	v_add_f32_e32 v12, 1.0, v12
	v_cmp_gt_f32_e32 vcc, s14, v12
	s_nop 1
	v_cndmask_b32_e32 v10, 1.0, v10, vcc
	v_mul_f32_e32 v10, v12, v10
	v_log_f32_e32 v10, v10
	v_cndmask_b32_e32 v11, 0, v11, vcc
	v_mul_f32_e32 v12, 0x3f317217, v10
	v_fma_f32 v12, v10, s7, -v12
	v_fmac_f32_e32 v12, 0x3377d1cf, v10
	v_fmac_f32_e32 v12, 0x3f317217, v10
	v_cmp_lt_f32_e64 vcc, |v10|, s12
	s_nop 1
	v_cndmask_b32_e32 v10, v10, v12, vcc
	v_sub_f32_e32 v10, v10, v11
	v_cmp_lt_f32_e32 vcc, s6, v5
	s_nop 1
	v_cndmask_b32_e32 v5, v10, v5, vcc
	v_mul_f32_e32 v10, 0x4f800000, v5
	v_cmp_gt_f32_e32 vcc, s13, v5
	s_nop 1
	v_cndmask_b32_e32 v5, v5, v10, vcc
	v_sqrt_f32_e32 v10, v5
	s_nop 0
	v_add_u32_e32 v11, -1, v10
	v_add_u32_e32 v12, 1, v10
	v_fma_f32 v13, -v11, v10, v5
	v_fma_f32 v14, -v12, v10, v5
	v_cmp_ge_f32_e64 s[4:5], 0, v13
	s_nop 1
	v_cndmask_b32_e64 v10, v10, v11, s[4:5]
	v_cmp_lt_f32_e64 s[4:5], 0, v14
	s_nop 1
	v_cndmask_b32_e64 v10, v10, v12, s[4:5]
	v_mul_f32_e32 v11, 0x37800000, v10
	v_cndmask_b32_e32 v10, v10, v11, vcc
	v_cmp_class_f32_e64 s[4:5], v5, v9
	s_and_b64 vcc, exec, s[2:3]
	s_nop 0
	v_cndmask_b32_e64 v5, v10, v5, s[4:5]
	s_cbranch_vccnz .LBB463_16
; %bb.15:
	global_load_dword v7, v7, s[10:11] offset:640
	s_waitcnt vmcnt(0)
	v_add_f32_e32 v5, v5, v7
.LBB463_16:
	s_load_dwordx4 s[12:15], s[0:1], 0x30
	s_mov_b32 s31, 0
	v_cmp_eq_u32_e64 s[6:7], 0, v8
	s_waitcnt lgkmcnt(0)
	s_bitcmp1_b32 s15, 0
	s_cselect_b64 s[4:5], -1, 0
	s_cmp_gt_i32 s12, 0
	s_cselect_b64 s[24:25], -1, 0
	s_and_b64 vcc, exec, s[24:25]
	s_cbranch_vccz .LBB463_43
; %bb.17:
	v_mbcnt_lo_u32_b32 v7, -1, 0
	v_mbcnt_hi_u32_b32 v7, -1, v7
	v_and_b32_e32 v9, 0x60, v7
	v_add_u32_e32 v10, 32, v9
	v_xor_b32_e32 v11, 16, v7
	v_cmp_lt_i32_e32 vcc, v11, v10
	s_load_dwordx4 s[16:19], s[0:1], 0x20
	v_mul_lo_u32 v9, v6, s12
	v_cndmask_b32_e32 v11, v7, v11, vcc
	v_lshlrev_b32_e32 v17, 2, v11
	v_xor_b32_e32 v11, 8, v7
	v_cmp_lt_i32_e32 vcc, v11, v10
	v_or_b32_e32 v12, 32, v8
	v_or_b32_e32 v13, 64, v8
	v_cndmask_b32_e32 v11, v7, v11, vcc
	v_lshlrev_b32_e32 v18, 2, v11
	v_xor_b32_e32 v11, 4, v7
	v_cmp_lt_i32_e32 vcc, v11, v10
	v_or_b32_e32 v14, 0x60, v8
	v_or_b32_e32 v15, 0x80, v8
	v_cndmask_b32_e32 v11, v7, v11, vcc
	v_lshlrev_b32_e32 v19, 2, v11
	v_xor_b32_e32 v11, 2, v7
	v_cmp_lt_i32_e32 vcc, v11, v10
	v_or_b32_e32 v16, 0xa0, v8
	v_mov_b32_e32 v22, 0xc0
	v_cndmask_b32_e32 v11, v7, v11, vcc
	v_lshlrev_b32_e32 v20, 2, v11
	v_xor_b32_e32 v11, 1, v7
	v_cmp_lt_i32_e32 vcc, v11, v10
	v_mov_b32_e32 v23, 0xc61c4000
	v_mov_b32_e32 v24, v6
	v_cndmask_b32_e32 v7, v7, v11, vcc
	v_lshlrev_b32_e32 v21, 2, v7
	v_mov_b32_e32 v7, 0
	s_branch .LBB463_20
.LBB463_18:                             ;   in Loop: Header=BB463_20 Depth=1
	s_waitcnt lgkmcnt(0)
	v_add_u32_e32 v26, s31, v9
	v_cmp_le_i32_e32 vcc, s13, v10
	v_cmp_gt_i32_e64 s[0:1], s14, v10
	v_ashrrev_i32_e32 v27, 31, v26
	s_and_b64 s[0:1], vcc, s[0:1]
	v_lshlrev_b64 v[26:27], 2, v[26:27]
	v_lshl_add_u64 v[28:29], s[20:21], 0, v[26:27]
	v_subrev_u32_e32 v11, s13, v10
	s_and_b64 vcc, s[22:23], s[0:1]
	global_store_dword v[28:29], v25, off
	v_cndmask_b32_e32 v11, v22, v11, vcc
	v_lshl_add_u64 v[28:29], s[16:17], 0, v[26:27]
	global_store_dword v[28:29], v11, off
	v_add_f32_e32 v11, v7, v25
	v_lshl_add_u64 v[26:27], s[18:19], 0, v[26:27]
	v_cndmask_b32_e64 v7, v7, v11, s[4:5]
	global_store_dword v[26:27], v24, off
.LBB463_19:                             ;   in Loop: Header=BB463_20 Depth=1
	s_or_b64 exec, exec, s[26:27]
	v_ashrrev_i32_e32 v11, 31, v10
	v_lshrrev_b32_e32 v11, 27, v11
	v_add_u32_e32 v11, v10, v11
	v_ashrrev_i32_e32 v25, 5, v11
	v_and_b32_e32 v11, 0xffffffe0, v11
	v_sub_u32_e32 v10, v10, v11
	v_cmp_ne_u32_e64 s[0:1], 0, v25
	v_cmp_eq_u32_e32 vcc, v8, v10
	s_add_i32 s31, s31, 1
	v_cndmask_b32_e64 v10, v23, v0, s[0:1]
	v_cmp_ne_u32_e64 s[0:1], 1, v25
	s_cmp_lt_i32 s31, s12
	s_cselect_b64 s[26:27], -1, 0
	v_cndmask_b32_e64 v11, v23, v1, s[0:1]
	v_cmp_ne_u32_e64 s[0:1], 2, v25
	s_and_b64 vcc, s[26:27], vcc
	v_cndmask_b32_e32 v1, v1, v11, vcc
	s_waitcnt lgkmcnt(0)
	v_cndmask_b32_e64 v26, v23, v2, s[0:1]
	v_cmp_ne_u32_e64 s[0:1], 3, v25
	v_cndmask_b32_e32 v2, v2, v26, vcc
	v_cndmask_b32_e32 v0, v0, v10, vcc
	v_cndmask_b32_e64 v27, v23, v3, s[0:1]
	v_cmp_ne_u32_e64 s[0:1], 4, v25
	v_cndmask_b32_e32 v3, v3, v27, vcc
	s_cmp_eq_u32 s12, s31
	v_cndmask_b32_e64 v28, v23, v4, s[0:1]
	v_cmp_ne_u32_e64 s[0:1], 5, v25
	v_cndmask_b32_e32 v4, v4, v28, vcc
	v_add_u32_e32 v24, s30, v24
	v_cndmask_b32_e64 v25, v23, v5, s[0:1]
	v_cndmask_b32_e32 v5, v5, v25, vcc
	s_cbranch_scc1 .LBB463_44
.LBB463_20:                             ; =>This Inner Loop Header: Depth=1
	v_cmp_gt_f32_e32 vcc, v1, v0
	s_nop 1
	v_cndmask_b32_e32 v11, v0, v1, vcc
	v_cndmask_b32_e32 v10, v8, v12, vcc
	v_cmp_gt_f32_e32 vcc, v2, v11
	s_nop 1
	v_cndmask_b32_e32 v11, v11, v2, vcc
	v_cndmask_b32_e32 v10, v10, v13, vcc
	;; [unrolled: 4-line block ×5, first 2 shown]
	ds_bpermute_b32 v11, v17, v25
	ds_bpermute_b32 v26, v17, v10
	s_waitcnt lgkmcnt(0)
	v_cmp_lt_f32_e64 s[26:27], v25, v11
	v_cmp_nlt_f32_e32 vcc, v25, v11
	s_and_saveexec_b64 s[28:29], vcc
; %bb.21:                               ;   in Loop: Header=BB463_20 Depth=1
	v_cmp_eq_f32_e32 vcc, v25, v11
	v_cmp_lt_i32_e64 s[0:1], v26, v10
	s_and_b64 s[0:1], vcc, s[0:1]
	s_andn2_b64 s[26:27], s[26:27], exec
	s_and_b64 s[0:1], s[0:1], exec
	s_or_b64 s[26:27], s[26:27], s[0:1]
; %bb.22:                               ;   in Loop: Header=BB463_20 Depth=1
	s_or_b64 exec, exec, s[28:29]
	s_and_saveexec_b64 s[0:1], s[26:27]
; %bb.23:                               ;   in Loop: Header=BB463_20 Depth=1
	v_mov_b32_e32 v25, v11
	v_mov_b32_e32 v10, v26
; %bb.24:                               ;   in Loop: Header=BB463_20 Depth=1
	s_or_b64 exec, exec, s[0:1]
	ds_bpermute_b32 v11, v18, v25
	ds_bpermute_b32 v26, v18, v10
	s_waitcnt lgkmcnt(1)
	v_cmp_lt_f32_e64 s[26:27], v25, v11
	v_cmp_nlt_f32_e32 vcc, v25, v11
	s_and_saveexec_b64 s[28:29], vcc
	s_cbranch_execz .LBB463_26
; %bb.25:                               ;   in Loop: Header=BB463_20 Depth=1
	v_cmp_eq_f32_e32 vcc, v25, v11
	s_waitcnt lgkmcnt(0)
	v_cmp_lt_i32_e64 s[0:1], v26, v10
	s_and_b64 s[0:1], vcc, s[0:1]
	s_andn2_b64 s[26:27], s[26:27], exec
	s_and_b64 s[0:1], s[0:1], exec
	s_or_b64 s[26:27], s[26:27], s[0:1]
.LBB463_26:                             ;   in Loop: Header=BB463_20 Depth=1
	s_or_b64 exec, exec, s[28:29]
	s_and_saveexec_b64 s[0:1], s[26:27]
	s_cbranch_execz .LBB463_28
; %bb.27:                               ;   in Loop: Header=BB463_20 Depth=1
	v_mov_b32_e32 v25, v11
	s_waitcnt lgkmcnt(0)
	v_mov_b32_e32 v10, v26
.LBB463_28:                             ;   in Loop: Header=BB463_20 Depth=1
	s_or_b64 exec, exec, s[0:1]
	ds_bpermute_b32 v11, v19, v25
	s_waitcnt lgkmcnt(1)
	ds_bpermute_b32 v26, v19, v10
	s_waitcnt lgkmcnt(1)
	v_cmp_lt_f32_e64 s[26:27], v25, v11
	v_cmp_nlt_f32_e32 vcc, v25, v11
	s_and_saveexec_b64 s[28:29], vcc
	s_cbranch_execz .LBB463_30
; %bb.29:                               ;   in Loop: Header=BB463_20 Depth=1
	v_cmp_eq_f32_e32 vcc, v25, v11
	s_waitcnt lgkmcnt(0)
	v_cmp_lt_i32_e64 s[0:1], v26, v10
	s_and_b64 s[0:1], vcc, s[0:1]
	s_andn2_b64 s[26:27], s[26:27], exec
	s_and_b64 s[0:1], s[0:1], exec
	s_or_b64 s[26:27], s[26:27], s[0:1]
.LBB463_30:                             ;   in Loop: Header=BB463_20 Depth=1
	s_or_b64 exec, exec, s[28:29]
	s_and_saveexec_b64 s[0:1], s[26:27]
	s_cbranch_execz .LBB463_32
; %bb.31:                               ;   in Loop: Header=BB463_20 Depth=1
	v_mov_b32_e32 v25, v11
	s_waitcnt lgkmcnt(0)
	v_mov_b32_e32 v10, v26
.LBB463_32:                             ;   in Loop: Header=BB463_20 Depth=1
	s_or_b64 exec, exec, s[0:1]
	ds_bpermute_b32 v11, v20, v25
	s_waitcnt lgkmcnt(1)
	;; [unrolled: 26-line block ×3, first 2 shown]
	ds_bpermute_b32 v26, v21, v10
	s_waitcnt lgkmcnt(1)
	v_cmp_lt_f32_e64 s[26:27], v25, v11
	v_cmp_nlt_f32_e32 vcc, v25, v11
	s_and_saveexec_b64 s[28:29], vcc
	s_cbranch_execnz .LBB463_39
; %bb.37:                               ;   in Loop: Header=BB463_20 Depth=1
	s_or_b64 exec, exec, s[28:29]
	s_and_saveexec_b64 s[0:1], s[26:27]
	s_cbranch_execnz .LBB463_40
.LBB463_38:                             ;   in Loop: Header=BB463_20 Depth=1
	s_or_b64 exec, exec, s[0:1]
	s_and_saveexec_b64 s[26:27], s[6:7]
	s_cbranch_execz .LBB463_19
	s_branch .LBB463_41
.LBB463_39:                             ;   in Loop: Header=BB463_20 Depth=1
	v_cmp_eq_f32_e32 vcc, v25, v11
	s_waitcnt lgkmcnt(0)
	v_cmp_lt_i32_e64 s[0:1], v26, v10
	s_and_b64 s[0:1], vcc, s[0:1]
	s_andn2_b64 s[26:27], s[26:27], exec
	s_and_b64 s[0:1], s[0:1], exec
	s_or_b64 s[26:27], s[26:27], s[0:1]
	s_or_b64 exec, exec, s[28:29]
	s_and_saveexec_b64 s[0:1], s[26:27]
	s_cbranch_execz .LBB463_38
.LBB463_40:                             ;   in Loop: Header=BB463_20 Depth=1
	s_waitcnt lgkmcnt(0)
	v_mov_b32_e32 v10, v26
	v_mov_b32_e32 v25, v11
	s_or_b64 exec, exec, s[0:1]
	s_and_saveexec_b64 s[26:27], s[6:7]
	s_cbranch_execz .LBB463_19
.LBB463_41:                             ;   in Loop: Header=BB463_20 Depth=1
	s_and_b64 vcc, exec, s[2:3]
	s_cbranch_vccnz .LBB463_18
; %bb.42:                               ;   in Loop: Header=BB463_20 Depth=1
	v_ashrrev_i32_e32 v11, 31, v10
	s_waitcnt lgkmcnt(0)
	v_lshl_add_u64 v[26:27], v[10:11], 2, s[10:11]
	global_load_dword v11, v[26:27], off
	s_waitcnt vmcnt(0)
	v_sub_f32_e32 v25, v25, v11
	s_branch .LBB463_18
.LBB463_43:
	v_mov_b32_e32 v7, 0
.LBB463_44:
	v_cmp_eq_u32_e32 vcc, 0, v8
	s_and_b64 exec, exec, vcc
	s_cbranch_execz .LBB463_57
; %bb.45:
	s_andn2_b64 vcc, exec, s[4:5]
	v_cvt_f32_f64_e32 v0, s[8:9]
	s_cbranch_vccnz .LBB463_47
; %bb.46:
	v_cmp_lt_f32_e32 vcc, 0, v7
	s_nop 1
	v_cndmask_b32_e32 v1, 1.0, v7, vcc
	v_div_scale_f32 v2, s[0:1], v1, v1, v0
	v_rcp_f32_e32 v3, v2
	s_nop 0
	v_fma_f32 v4, -v2, v3, 1.0
	v_fmac_f32_e32 v3, v4, v3
	v_div_scale_f32 v4, vcc, v0, v1, v0
	v_mul_f32_e32 v5, v4, v3
	v_fma_f32 v7, -v2, v5, v4
	v_fmac_f32_e32 v5, v7, v3
	v_fma_f32 v2, -v2, v5, v4
	v_div_fmas_f32 v2, v2, v3, v5
	v_div_fixup_f32 v0, v2, v1, v0
.LBB463_47:
	s_andn2_b64 vcc, exec, s[24:25]
	s_cbranch_vccnz .LBB463_57
; %bb.48:
	v_mul_lo_u32 v2, v6, s12
	s_cmp_gt_u32 s12, 3
	v_ashrrev_i32_e32 v3, 31, v2
	s_cbranch_scc0 .LBB463_52
; %bb.49:
	s_and_b32 s0, s12, 0x7ffffffc
	v_lshl_add_u64 v[4:5], v[2:3], 2, s[20:21]
	v_mov_b32_e32 v1, v0
	v_lshl_add_u64 v[4:5], v[4:5], 0, 8
	s_mov_b32 s1, s0
.LBB463_50:                             ; =>This Inner Loop Header: Depth=1
	global_load_dwordx4 v[6:9], v[4:5], off offset:-8
	s_add_i32 s1, s1, -4
	s_cmp_lg_u32 s1, 0
	s_waitcnt vmcnt(0)
	v_pk_mul_f32 v[6:7], v[0:1], v[6:7]
	v_pk_mul_f32 v[8:9], v[0:1], v[8:9]
	global_store_dwordx4 v[4:5], v[6:9], off offset:-8
	v_lshl_add_u64 v[4:5], v[4:5], 0, 16
	s_cbranch_scc1 .LBB463_50
; %bb.51:
	s_cmp_lg_u32 s0, s12
	s_cselect_b64 s[2:3], -1, 0
	s_branch .LBB463_54
.LBB463_52:
	s_mov_b64 s[2:3], 0
                                        ; implicit-def: $sgpr0
	s_cbranch_execz .LBB463_54
; %bb.53:
	s_mov_b64 s[2:3], -1
	s_mov_b32 s0, 0
.LBB463_54:
	s_andn2_b64 vcc, exec, s[2:3]
	s_cbranch_vccnz .LBB463_57
; %bb.55:
	s_mov_b32 s1, 0
	v_lshl_add_u64 v[2:3], v[2:3], 0, s[0:1]
	s_sub_i32 s2, s12, s0
	v_lshl_add_u64 v[2:3], v[2:3], 2, s[20:21]
.LBB463_56:                             ; =>This Inner Loop Header: Depth=1
	global_load_dword v1, v[2:3], off
	s_add_i32 s2, s2, -1
	s_cmp_lg_u32 s2, 0
	s_waitcnt vmcnt(0)
	v_mul_f32_e32 v1, v0, v1
	global_store_dword v[2:3], v1, off
	v_lshl_add_u64 v[2:3], v[2:3], 0, 4
	s_cbranch_scc1 .LBB463_56
.LBB463_57:
	s_endpgm
	.section	.rodata,"a",@progbits
	.p2align	6, 0x0
	.amdhsa_kernel _ZN4vllm3moe22topkGatingSoftplusSqrtILi6ELi192ELi4ELi2ELi32ELb0Ej14__hip_bfloat16EEvPKT6_PKbPfiPT5_PiiiibdPKfPKS9_SF_
		.amdhsa_group_segment_fixed_size 0
		.amdhsa_private_segment_fixed_size 0
		.amdhsa_kernarg_size 96
		.amdhsa_user_sgpr_count 2
		.amdhsa_user_sgpr_dispatch_ptr 0
		.amdhsa_user_sgpr_queue_ptr 0
		.amdhsa_user_sgpr_kernarg_segment_ptr 1
		.amdhsa_user_sgpr_dispatch_id 0
		.amdhsa_user_sgpr_kernarg_preload_length 0
		.amdhsa_user_sgpr_kernarg_preload_offset 0
		.amdhsa_user_sgpr_private_segment_size 0
		.amdhsa_uses_dynamic_stack 0
		.amdhsa_enable_private_segment 0
		.amdhsa_system_sgpr_workgroup_id_x 1
		.amdhsa_system_sgpr_workgroup_id_y 0
		.amdhsa_system_sgpr_workgroup_id_z 0
		.amdhsa_system_sgpr_workgroup_info 0
		.amdhsa_system_vgpr_workitem_id 1
		.amdhsa_next_free_vgpr 30
		.amdhsa_next_free_sgpr 32
		.amdhsa_accum_offset 32
		.amdhsa_reserve_vcc 1
		.amdhsa_float_round_mode_32 0
		.amdhsa_float_round_mode_16_64 0
		.amdhsa_float_denorm_mode_32 3
		.amdhsa_float_denorm_mode_16_64 3
		.amdhsa_dx10_clamp 1
		.amdhsa_ieee_mode 1
		.amdhsa_fp16_overflow 0
		.amdhsa_tg_split 0
		.amdhsa_exception_fp_ieee_invalid_op 0
		.amdhsa_exception_fp_denorm_src 0
		.amdhsa_exception_fp_ieee_div_zero 0
		.amdhsa_exception_fp_ieee_overflow 0
		.amdhsa_exception_fp_ieee_underflow 0
		.amdhsa_exception_fp_ieee_inexact 0
		.amdhsa_exception_int_div_zero 0
	.end_amdhsa_kernel
	.section	.text._ZN4vllm3moe22topkGatingSoftplusSqrtILi6ELi192ELi4ELi2ELi32ELb0Ej14__hip_bfloat16EEvPKT6_PKbPfiPT5_PiiiibdPKfPKS9_SF_,"axG",@progbits,_ZN4vllm3moe22topkGatingSoftplusSqrtILi6ELi192ELi4ELi2ELi32ELb0Ej14__hip_bfloat16EEvPKT6_PKbPfiPT5_PiiiibdPKfPKS9_SF_,comdat
.Lfunc_end463:
	.size	_ZN4vllm3moe22topkGatingSoftplusSqrtILi6ELi192ELi4ELi2ELi32ELb0Ej14__hip_bfloat16EEvPKT6_PKbPfiPT5_PiiiibdPKfPKS9_SF_, .Lfunc_end463-_ZN4vllm3moe22topkGatingSoftplusSqrtILi6ELi192ELi4ELi2ELi32ELb0Ej14__hip_bfloat16EEvPKT6_PKbPfiPT5_PiiiibdPKfPKS9_SF_
                                        ; -- End function
	.section	.AMDGPU.csdata,"",@progbits
; Kernel info:
; codeLenInByte = 3520
; NumSgprs: 38
; NumVgprs: 30
; NumAgprs: 0
; TotalNumVgprs: 30
; ScratchSize: 0
; MemoryBound: 0
; FloatMode: 240
; IeeeMode: 1
; LDSByteSize: 0 bytes/workgroup (compile time only)
; SGPRBlocks: 4
; VGPRBlocks: 3
; NumSGPRsForWavesPerEU: 38
; NumVGPRsForWavesPerEU: 30
; AccumOffset: 32
; Occupancy: 8
; WaveLimiterHint : 0
; COMPUTE_PGM_RSRC2:SCRATCH_EN: 0
; COMPUTE_PGM_RSRC2:USER_SGPR: 2
; COMPUTE_PGM_RSRC2:TRAP_HANDLER: 0
; COMPUTE_PGM_RSRC2:TGID_X_EN: 1
; COMPUTE_PGM_RSRC2:TGID_Y_EN: 0
; COMPUTE_PGM_RSRC2:TGID_Z_EN: 0
; COMPUTE_PGM_RSRC2:TIDIG_COMP_CNT: 1
; COMPUTE_PGM_RSRC3_GFX90A:ACCUM_OFFSET: 7
; COMPUTE_PGM_RSRC3_GFX90A:TG_SPLIT: 0
	.section	.text._ZN4vllm3moe22topkGatingSoftplusSqrtILi5ELi320ELi4ELi2ELi64ELb1Ej14__hip_bfloat16EEvPKT6_PKbPfiPT5_PiiiibdPKfPKS9_SF_,"axG",@progbits,_ZN4vllm3moe22topkGatingSoftplusSqrtILi5ELi320ELi4ELi2ELi64ELb1Ej14__hip_bfloat16EEvPKT6_PKbPfiPT5_PiiiibdPKfPKS9_SF_,comdat
	.protected	_ZN4vllm3moe22topkGatingSoftplusSqrtILi5ELi320ELi4ELi2ELi64ELb1Ej14__hip_bfloat16EEvPKT6_PKbPfiPT5_PiiiibdPKfPKS9_SF_ ; -- Begin function _ZN4vllm3moe22topkGatingSoftplusSqrtILi5ELi320ELi4ELi2ELi64ELb1Ej14__hip_bfloat16EEvPKT6_PKbPfiPT5_PiiiibdPKfPKS9_SF_
	.globl	_ZN4vllm3moe22topkGatingSoftplusSqrtILi5ELi320ELi4ELi2ELi64ELb1Ej14__hip_bfloat16EEvPKT6_PKbPfiPT5_PiiiibdPKfPKS9_SF_
	.p2align	8
	.type	_ZN4vllm3moe22topkGatingSoftplusSqrtILi5ELi320ELi4ELi2ELi64ELb1Ej14__hip_bfloat16EEvPKT6_PKbPfiPT5_PiiiibdPKfPKS9_SF_,@function
_ZN4vllm3moe22topkGatingSoftplusSqrtILi5ELi320ELi4ELi2ELi64ELb1Ej14__hip_bfloat16EEvPKT6_PKbPfiPT5_PiiiibdPKfPKS9_SF_: ; @_ZN4vllm3moe22topkGatingSoftplusSqrtILi5ELi320ELi4ELi2ELi64ELb1Ej14__hip_bfloat16EEvPKT6_PKbPfiPT5_PiiiibdPKfPKS9_SF_
; %bb.0:
	s_load_dword s3, s[0:1], 0x18
	v_and_b32_e32 v1, 0x3ff, v0
	s_lshl_b32 s2, s2, 2
	v_lshrrev_b32_e32 v2, 6, v1
	v_bfe_u32 v0, v0, 10, 10
	v_add3_u32 v0, s2, v0, v2
	s_waitcnt lgkmcnt(0)
	v_cmp_gt_i32_e32 vcc, s3, v0
	s_and_saveexec_b64 s[2:3], vcc
	s_cbranch_execz .LBB464_32
; %bb.1:
	s_load_dwordx2 s[2:3], s[0:1], 0x0
	s_load_dword s20, s[0:1], 0x30
	s_movk_i32 s4, 0x140
	v_mul_lo_u32 v2, v0, s4
	v_ashrrev_i32_e32 v3, 31, v2
	v_and_b32_e32 v10, 63, v1
	s_waitcnt lgkmcnt(0)
	v_lshl_add_u64 v[2:3], v[2:3], 1, s[2:3]
	v_lshlrev_b32_e32 v4, 1, v10
	v_mov_b32_e32 v5, 0
	v_lshl_add_u64 v[2:3], v[2:3], 0, v[4:5]
	s_load_dwordx4 s[8:11], s[0:1], 0x50
	global_load_ushort v4, v[2:3], off offset:128
	global_load_ushort v6, v[2:3], off
	global_load_ushort v7, v[2:3], off offset:384
	global_load_ushort v8, v[2:3], off offset:256
	;; [unrolled: 1-line block ×3, first 2 shown]
	v_ashrrev_i32_e32 v1, 31, v0
	s_mov_b32 s14, 0x800000
	s_waitcnt lgkmcnt(0)
	v_mov_b32_e32 v2, s8
	v_mov_b32_e32 v3, s9
	v_lshl_add_u64 v[2:3], v[0:1], 2, v[2:3]
	global_load_dword v1, v[2:3], off
	v_mov_b32_e32 v14, 0x4f800000
	s_mov_b32 s15, 0x3f317217
	s_mov_b32 s16, 0x7f800000
	v_mov_b32_e32 v15, 0x41b17218
	s_mov_b32 s13, 0x41a00000
	s_mov_b32 s17, 0xf800000
	v_mov_b32_e32 v16, 0x260
	s_cmp_gt_i32 s20, 0
	s_mov_b32 s12, 0
	v_mul_lo_u32 v0, v0, s20
	s_waitcnt vmcnt(5)
	v_lshlrev_b32_e32 v11, 16, v4
	s_waitcnt vmcnt(4)
	v_lshlrev_b32_e32 v12, 16, v6
	v_mul_f32_e32 v2, 0x3fb8aa3b, v12
	v_mul_f32_e32 v3, 0x3fb8aa3b, v11
	v_exp_f32_e32 v2, v2
	v_exp_f32_e32 v3, v3
	s_waitcnt vmcnt(3)
	v_lshlrev_b32_e32 v13, 16, v7
	s_waitcnt vmcnt(2)
	v_lshlrev_b32_e32 v8, 16, v8
	v_mul_f32_e32 v4, 0x3fb8aa3b, v8
	v_mul_f32_e32 v7, 0x3fb8aa3b, v13
	v_pk_add_f32 v[2:3], v[2:3], 1.0 op_sel_hi:[1,0]
	v_exp_f32_e32 v6, v4
	v_exp_f32_e32 v7, v7
	v_cmp_gt_f32_e32 vcc, s14, v3
	s_waitcnt vmcnt(0)
	v_mul_lo_u32 v4, v1, s20
	v_cmp_gt_f32_e64 s[2:3], s14, v2
	v_cndmask_b32_e32 v1, 1.0, v14, vcc
	v_mul_f32_e32 v1, v3, v1
	v_cndmask_b32_e64 v17, 1.0, v14, s[2:3]
	v_mul_f32_e32 v2, v2, v17
	v_log_f32_e32 v1, v1
	v_pk_add_f32 v[6:7], v[6:7], 1.0 op_sel_hi:[1,0]
	v_log_f32_e32 v2, v2
	v_cmp_gt_f32_e64 s[4:5], s14, v7
	v_cmp_gt_f32_e64 s[6:7], s14, v6
	v_cndmask_b32_e32 v3, 0, v15, vcc
	v_cndmask_b32_e64 v18, 1.0, v14, s[4:5]
	v_cndmask_b32_e64 v19, 1.0, v14, s[6:7]
	v_mul_f32_e32 v7, v7, v18
	v_mul_f32_e32 v18, 0x3f317217, v1
	;; [unrolled: 1-line block ×4, first 2 shown]
	v_fma_f32 v18, v1, s15, -v18
	v_fma_f32 v19, v2, s15, -v19
	v_fmac_f32_e32 v18, 0x3377d1cf, v1
	v_fmac_f32_e32 v19, 0x3377d1cf, v2
	;; [unrolled: 1-line block ×3, first 2 shown]
	v_cmp_lt_f32_e64 vcc, |v1|, s16
	v_fmac_f32_e32 v19, 0x3f317217, v2
	v_cndmask_b32_e64 v17, 0, v15, s[2:3]
	v_cndmask_b32_e32 v1, v1, v18, vcc
	v_cmp_lt_f32_e64 vcc, |v2|, s16
	v_sub_f32_e32 v1, v1, v3
	v_log_f32_e32 v7, v7
	v_cndmask_b32_e32 v2, v2, v19, vcc
	v_sub_f32_e32 v2, v2, v17
	v_cmp_lt_f32_e32 vcc, s13, v12
	v_mul_f32_e32 v20, 0x3f317217, v7
	v_fma_f32 v20, v7, s15, -v20
	v_cndmask_b32_e32 v2, v2, v12, vcc
	v_cmp_lt_f32_e32 vcc, s13, v11
	v_cmp_gt_f32_e64 s[2:3], s17, v2
	v_fmac_f32_e32 v20, 0x3377d1cf, v7
	v_cndmask_b32_e32 v1, v1, v11, vcc
	v_mul_f32_e32 v3, 0x4f800000, v1
	v_cmp_gt_f32_e32 vcc, s17, v1
	v_mul_f32_e32 v11, 0x4f800000, v2
	v_cndmask_b32_e64 v2, v2, v11, s[2:3]
	v_cndmask_b32_e32 v1, v1, v3, vcc
	v_sqrt_f32_e32 v3, v1
	v_sqrt_f32_e32 v11, v2
	v_fmac_f32_e32 v20, 0x3f317217, v7
	v_cmp_lt_f32_e64 s[8:9], |v7|, s16
	v_add_u32_e32 v12, -1, v3
	v_add_u32_e32 v18, -1, v11
	v_cndmask_b32_e64 v7, v7, v20, s[8:9]
	v_fma_f32 v20, -v12, v3, v1
	v_add_u32_e32 v17, 1, v3
	v_fma_f32 v22, -v18, v11, v2
	v_cmp_ge_f32_e64 s[8:9], 0, v20
	v_add_u32_e32 v19, 1, v11
	v_fma_f32 v21, -v17, v3, v1
	v_cndmask_b32_e64 v3, v3, v12, s[8:9]
	v_cmp_ge_f32_e64 s[8:9], 0, v22
	v_fma_f32 v23, -v19, v11, v2
	v_log_f32_e32 v6, v6
	v_cndmask_b32_e64 v11, v11, v18, s[8:9]
	v_cmp_lt_f32_e64 s[8:9], 0, v21
	v_lshlrev_b32_e32 v9, 16, v9
	s_nop 0
	v_cndmask_b32_e64 v3, v3, v17, s[8:9]
	v_cmp_lt_f32_e64 s[8:9], 0, v23
	v_mul_f32_e32 v12, 0x37800000, v3
	v_cndmask_b32_e32 v3, v3, v12, vcc
	v_cndmask_b32_e64 v11, v11, v19, s[8:9]
	v_mul_f32_e32 v17, 0x37800000, v11
	v_cmp_class_f32_e32 vcc, v1, v16
	v_cndmask_b32_e64 v12, v11, v17, s[2:3]
	v_cmp_lt_f32_e64 s[2:3], s13, v8
	v_cndmask_b32_e32 v11, v3, v1, vcc
	v_cmp_class_f32_e32 vcc, v2, v16
	v_cndmask_b32_e64 v1, 0, v15, s[4:5]
	v_sub_f32_e32 v1, v7, v1
	v_cndmask_b32_e32 v12, v12, v2, vcc
	v_mul_f32_e32 v2, 0x3f317217, v6
	v_fma_f32 v2, v6, s15, -v2
	v_fmac_f32_e32 v2, 0x3377d1cf, v6
	v_fmac_f32_e32 v2, 0x3f317217, v6
	v_cmp_lt_f32_e64 vcc, |v6|, s16
	v_cndmask_b32_e64 v3, 0, v15, s[6:7]
	s_nop 0
	v_cndmask_b32_e32 v2, v6, v2, vcc
	v_cmp_lt_f32_e32 vcc, s13, v13
	v_sub_f32_e32 v2, v2, v3
	v_cndmask_b32_e64 v2, v2, v8, s[2:3]
	v_cndmask_b32_e32 v1, v1, v13, vcc
	v_mul_f32_e32 v6, 0x4f800000, v1
	v_cmp_gt_f32_e32 vcc, s17, v1
	s_nop 1
	v_cndmask_b32_e32 v1, v1, v6, vcc
	v_sqrt_f32_e32 v6, v1
	s_nop 0
	v_add_u32_e32 v3, -1, v6
	v_fma_f32 v7, -v3, v6, v1
	v_cmp_ge_f32_e64 s[2:3], 0, v7
	v_add_u32_e32 v7, 1, v6
	s_nop 0
	v_cndmask_b32_e64 v3, v6, v3, s[2:3]
	v_fma_f32 v6, -v7, v6, v1
	v_cmp_lt_f32_e64 s[2:3], 0, v6
	s_nop 1
	v_cndmask_b32_e64 v3, v3, v7, s[2:3]
	v_mul_f32_e32 v7, 0x4f800000, v2
	v_cmp_gt_f32_e64 s[2:3], s17, v2
	v_mul_f32_e32 v6, 0x37800000, v3
	v_cndmask_b32_e32 v3, v3, v6, vcc
	v_cndmask_b32_e64 v2, v2, v7, s[2:3]
	v_sqrt_f32_e32 v7, v2
	v_mul_f32_e32 v6, 0x3fb8aa3b, v9
	v_exp_f32_e32 v6, v6
	v_cmp_class_f32_e32 vcc, v1, v16
	v_add_f32_e32 v6, 1.0, v6
	s_nop 0
	v_cndmask_b32_e32 v13, v3, v1, vcc
	v_add_u32_e32 v1, -1, v7
	v_fma_f32 v3, -v1, v7, v2
	v_cmp_ge_f32_e32 vcc, 0, v3
	v_add_u32_e32 v3, 1, v7
	s_nop 0
	v_cndmask_b32_e32 v1, v7, v1, vcc
	v_cmp_gt_f32_e32 vcc, s14, v6
	v_fma_f32 v7, -v3, v7, v2
	v_cmp_lt_f32_e64 s[4:5], 0, v7
	v_cndmask_b32_e32 v8, 1.0, v14, vcc
	v_mul_f32_e32 v6, v6, v8
	v_log_f32_e32 v6, v6
	v_cndmask_b32_e64 v1, v1, v3, s[4:5]
	v_mul_f32_e32 v3, 0x37800000, v1
	v_cndmask_b32_e64 v1, v1, v3, s[2:3]
	v_mul_f32_e32 v7, 0x3f317217, v6
	v_fma_f32 v7, v6, s15, -v7
	v_fmac_f32_e32 v7, 0x3377d1cf, v6
	v_fmac_f32_e32 v7, 0x3f317217, v6
	v_cmp_lt_f32_e64 s[4:5], |v6|, s16
	v_cmp_class_f32_e64 s[2:3], v2, v16
	s_nop 0
	v_cndmask_b32_e64 v6, v6, v7, s[4:5]
	v_cndmask_b32_e32 v7, 0, v15, vcc
	v_sub_f32_e32 v6, v6, v7
	v_cmp_lt_f32_e32 vcc, s13, v9
	v_cndmask_b32_e64 v14, v1, v2, s[2:3]
	s_cselect_b64 s[4:5], -1, 0
	v_cndmask_b32_e32 v6, v6, v9, vcc
	v_mul_f32_e32 v7, 0x4f800000, v6
	v_cmp_gt_f32_e32 vcc, s17, v6
	s_cmp_lt_i32 s20, 1
	s_nop 0
	v_cndmask_b32_e32 v6, v6, v7, vcc
	v_sqrt_f32_e32 v7, v6
	s_nop 0
	v_add_u32_e32 v1, -1, v7
	v_fma_f32 v2, -v1, v7, v6
	v_cmp_ge_f32_e64 s[2:3], 0, v2
	v_add_u32_e32 v2, 1, v7
	v_fma_f32 v3, -v2, v7, v6
	v_cndmask_b32_e64 v1, v7, v1, s[2:3]
	v_cmp_lt_f32_e64 s[2:3], 0, v3
	s_nop 1
	v_cndmask_b32_e64 v1, v1, v2, s[2:3]
	v_mul_f32_e32 v2, 0x37800000, v1
	v_cndmask_b32_e32 v1, v1, v2, vcc
	v_cmp_class_f32_e32 vcc, v6, v16
	v_lshl_add_u64 v[2:3], v[4:5], 2, s[10:11]
	s_nop 0
	v_cndmask_b32_e32 v15, v1, v6, vcc
	s_cbranch_scc1 .LBB464_29
; %bb.2:
	s_load_dwordx2 s[6:7], s[0:1], 0x20
	s_cmp_lt_u32 s20, 4
	s_cbranch_scc1 .LBB464_21
; %bb.3:
	s_mov_b32 s9, 0
	s_and_b32 s12, s20, 0x7ffffffc
	v_ashrrev_i32_e32 v1, 31, v0
	v_mov_b32_e32 v5, 0
	s_mov_b32 s8, s9
	s_branch .LBB464_5
.LBB464_4:                              ;   in Loop: Header=BB464_5 Depth=1
	s_or_b64 exec, exec, s[10:11]
	s_add_i32 s8, s8, 4
	s_cmp_eq_u32 s8, s12
	s_cbranch_scc1 .LBB464_22
.LBB464_5:                              ; =>This Loop Header: Depth=1
                                        ;     Child Loop BB464_7 Depth 2
                                        ;     Child Loop BB464_11 Depth 2
	;; [unrolled: 1-line block ×4, first 2 shown]
	v_lshl_add_u64 v[6:7], s[8:9], 2, v[2:3]
	global_load_dword v4, v[6:7], off
	v_add_u32_e32 v8, s8, v0
	v_ashrrev_i32_e32 v9, 31, v8
	s_waitcnt lgkmcnt(0)
	v_lshl_add_u64 v[8:9], v[8:9], 2, s[6:7]
	s_mov_b64 s[10:11], 0
	v_mov_b32_e32 v16, v10
	s_mov_b64 s[14:15], 0
	s_waitcnt vmcnt(0)
	s_branch .LBB464_7
.LBB464_6:                              ;   in Loop: Header=BB464_7 Depth=2
	s_or_b64 exec, exec, s[16:17]
	s_cmp_gt_u32 s14, 3
	s_cselect_b64 s[2:3], -1, 0
	s_xor_b64 s[16:17], vcc, -1
	s_or_b64 s[2:3], s[16:17], s[2:3]
	s_add_u32 s14, s14, 1
	s_addc_u32 s15, s15, 0
	s_and_b64 s[2:3], exec, s[2:3]
	s_or_b64 s[10:11], s[2:3], s[10:11]
	v_add_u32_e32 v16, 64, v16
	s_andn2_b64 exec, exec, s[10:11]
	s_cbranch_execz .LBB464_9
.LBB464_7:                              ;   Parent Loop BB464_5 Depth=1
                                        ; =>  This Inner Loop Header: Depth=2
	v_cmp_ne_u32_e32 vcc, v4, v16
	v_cmp_eq_u32_e64 s[2:3], v4, v16
	s_and_saveexec_b64 s[16:17], s[2:3]
	s_cbranch_execz .LBB464_6
; %bb.8:                                ;   in Loop: Header=BB464_7 Depth=2
	s_cmp_eq_u32 s14, 1
	s_cselect_b64 s[2:3], -1, 0
	s_cmp_eq_u32 s14, 2
	v_cndmask_b32_e64 v17, v12, v11, s[2:3]
	s_cselect_b64 s[2:3], -1, 0
	s_cmp_eq_u32 s14, 3
	v_cndmask_b32_e64 v17, v17, v14, s[2:3]
	;; [unrolled: 3-line block ×3, first 2 shown]
	s_cselect_b64 s[2:3], -1, 0
	v_cndmask_b32_e64 v17, v17, v15, s[2:3]
	v_add_f32_e32 v5, v5, v17
	global_store_dword v[8:9], v4, off
	s_branch .LBB464_6
.LBB464_9:                              ;   in Loop: Header=BB464_5 Depth=1
	s_or_b64 exec, exec, s[10:11]
	global_load_dword v4, v[6:7], off offset:4
	s_ashr_i32 s3, s8, 31
	s_mov_b32 s2, s8
	v_lshl_add_u64 v[8:9], s[2:3], 0, v[0:1]
	v_lshl_add_u64 v[8:9], v[8:9], 2, s[6:7]
	s_mov_b64 s[10:11], 0
	v_mov_b32_e32 v16, v10
	s_mov_b64 s[14:15], 0
	s_waitcnt vmcnt(0)
	s_branch .LBB464_11
.LBB464_10:                             ;   in Loop: Header=BB464_11 Depth=2
	s_or_b64 exec, exec, s[16:17]
	s_cmp_gt_u32 s14, 3
	s_cselect_b64 s[2:3], -1, 0
	s_xor_b64 s[16:17], vcc, -1
	s_or_b64 s[2:3], s[16:17], s[2:3]
	s_add_u32 s14, s14, 1
	s_addc_u32 s15, s15, 0
	s_and_b64 s[2:3], exec, s[2:3]
	s_or_b64 s[10:11], s[2:3], s[10:11]
	v_add_u32_e32 v16, 64, v16
	s_andn2_b64 exec, exec, s[10:11]
	s_cbranch_execz .LBB464_13
.LBB464_11:                             ;   Parent Loop BB464_5 Depth=1
                                        ; =>  This Inner Loop Header: Depth=2
	v_cmp_ne_u32_e32 vcc, v4, v16
	v_cmp_eq_u32_e64 s[2:3], v4, v16
	s_and_saveexec_b64 s[16:17], s[2:3]
	s_cbranch_execz .LBB464_10
; %bb.12:                               ;   in Loop: Header=BB464_11 Depth=2
	s_cmp_eq_u32 s14, 1
	s_cselect_b64 s[2:3], -1, 0
	s_cmp_eq_u32 s14, 2
	v_cndmask_b32_e64 v17, v12, v11, s[2:3]
	s_cselect_b64 s[2:3], -1, 0
	s_cmp_eq_u32 s14, 3
	v_cndmask_b32_e64 v17, v17, v14, s[2:3]
	s_cselect_b64 s[2:3], -1, 0
	s_cmp_eq_u32 s14, 4
	v_cndmask_b32_e64 v17, v17, v13, s[2:3]
	s_cselect_b64 s[2:3], -1, 0
	v_cndmask_b32_e64 v17, v17, v15, s[2:3]
	v_add_f32_e32 v5, v5, v17
	global_store_dword v[8:9], v4, off offset:4
	s_branch .LBB464_10
.LBB464_13:                             ;   in Loop: Header=BB464_5 Depth=1
	s_or_b64 exec, exec, s[10:11]
	global_load_dword v4, v[6:7], off offset:8
	s_mov_b64 s[10:11], 0
	v_mov_b32_e32 v16, v10
	s_mov_b64 s[14:15], 0
	s_waitcnt vmcnt(0)
	s_branch .LBB464_15
.LBB464_14:                             ;   in Loop: Header=BB464_15 Depth=2
	s_or_b64 exec, exec, s[16:17]
	s_cmp_gt_u32 s14, 3
	s_cselect_b64 s[2:3], -1, 0
	s_xor_b64 s[16:17], vcc, -1
	s_or_b64 s[2:3], s[16:17], s[2:3]
	s_add_u32 s14, s14, 1
	s_addc_u32 s15, s15, 0
	s_and_b64 s[2:3], exec, s[2:3]
	s_or_b64 s[10:11], s[2:3], s[10:11]
	v_add_u32_e32 v16, 64, v16
	s_andn2_b64 exec, exec, s[10:11]
	s_cbranch_execz .LBB464_17
.LBB464_15:                             ;   Parent Loop BB464_5 Depth=1
                                        ; =>  This Inner Loop Header: Depth=2
	v_cmp_ne_u32_e32 vcc, v4, v16
	v_cmp_eq_u32_e64 s[2:3], v4, v16
	s_and_saveexec_b64 s[16:17], s[2:3]
	s_cbranch_execz .LBB464_14
; %bb.16:                               ;   in Loop: Header=BB464_15 Depth=2
	s_cmp_eq_u32 s14, 1
	s_cselect_b64 s[2:3], -1, 0
	s_cmp_eq_u32 s14, 2
	v_cndmask_b32_e64 v17, v12, v11, s[2:3]
	s_cselect_b64 s[2:3], -1, 0
	s_cmp_eq_u32 s14, 3
	v_cndmask_b32_e64 v17, v17, v14, s[2:3]
	;; [unrolled: 3-line block ×3, first 2 shown]
	s_cselect_b64 s[2:3], -1, 0
	v_cndmask_b32_e64 v17, v17, v15, s[2:3]
	v_add_f32_e32 v5, v5, v17
	global_store_dword v[8:9], v4, off offset:8
	s_branch .LBB464_14
.LBB464_17:                             ;   in Loop: Header=BB464_5 Depth=1
	s_or_b64 exec, exec, s[10:11]
	global_load_dword v4, v[6:7], off offset:12
	s_mov_b64 s[10:11], 0
	v_mov_b32_e32 v6, v10
	s_mov_b64 s[14:15], 0
	s_waitcnt vmcnt(0)
	s_branch .LBB464_19
.LBB464_18:                             ;   in Loop: Header=BB464_19 Depth=2
	s_or_b64 exec, exec, s[16:17]
	s_cmp_gt_u32 s14, 3
	s_cselect_b64 s[2:3], -1, 0
	s_xor_b64 s[16:17], vcc, -1
	s_or_b64 s[2:3], s[16:17], s[2:3]
	s_add_u32 s14, s14, 1
	s_addc_u32 s15, s15, 0
	s_and_b64 s[2:3], exec, s[2:3]
	s_or_b64 s[10:11], s[2:3], s[10:11]
	v_add_u32_e32 v6, 64, v6
	s_andn2_b64 exec, exec, s[10:11]
	s_cbranch_execz .LBB464_4
.LBB464_19:                             ;   Parent Loop BB464_5 Depth=1
                                        ; =>  This Inner Loop Header: Depth=2
	v_cmp_ne_u32_e32 vcc, v4, v6
	v_cmp_eq_u32_e64 s[2:3], v4, v6
	s_and_saveexec_b64 s[16:17], s[2:3]
	s_cbranch_execz .LBB464_18
; %bb.20:                               ;   in Loop: Header=BB464_19 Depth=2
	s_cmp_eq_u32 s14, 1
	s_cselect_b64 s[2:3], -1, 0
	s_cmp_eq_u32 s14, 2
	v_cndmask_b32_e64 v7, v12, v11, s[2:3]
	s_cselect_b64 s[2:3], -1, 0
	s_cmp_eq_u32 s14, 3
	v_cndmask_b32_e64 v7, v7, v14, s[2:3]
	;; [unrolled: 3-line block ×3, first 2 shown]
	s_cselect_b64 s[2:3], -1, 0
	v_cndmask_b32_e64 v7, v7, v15, s[2:3]
	v_add_f32_e32 v5, v5, v7
	global_store_dword v[8:9], v4, off offset:12
	s_branch .LBB464_18
.LBB464_21:
	v_mov_b32_e32 v5, 0
.LBB464_22:
	s_and_b32 s16, s20, 3
	s_cmp_eq_u32 s16, 0
	s_mov_b32 s13, 0
	s_cbranch_scc1 .LBB464_29
; %bb.23:
	s_mov_b32 s17, s13
	s_branch .LBB464_25
.LBB464_24:                             ;   in Loop: Header=BB464_25 Depth=1
	s_or_b64 exec, exec, s[8:9]
	s_add_i32 s12, s12, 1
	s_add_i32 s17, s17, 1
	s_cmp_lg_u32 s17, s16
	s_cbranch_scc0 .LBB464_29
.LBB464_25:                             ; =>This Loop Header: Depth=1
                                        ;     Child Loop BB464_27 Depth 2
	v_lshl_add_u64 v[6:7], s[12:13], 2, v[2:3]
	global_load_dword v1, v[6:7], off
	v_add_u32_e32 v6, s12, v0
	v_ashrrev_i32_e32 v7, 31, v6
	s_waitcnt lgkmcnt(0)
	v_lshl_add_u64 v[6:7], v[6:7], 2, s[6:7]
	s_mov_b64 s[8:9], 0
	v_mov_b32_e32 v4, v10
	s_mov_b64 s[10:11], 0
	s_waitcnt vmcnt(0)
	s_branch .LBB464_27
.LBB464_26:                             ;   in Loop: Header=BB464_27 Depth=2
	s_or_b64 exec, exec, s[14:15]
	s_cmp_gt_u32 s10, 3
	s_cselect_b64 s[2:3], -1, 0
	s_xor_b64 s[14:15], vcc, -1
	s_or_b64 s[2:3], s[14:15], s[2:3]
	s_add_u32 s10, s10, 1
	s_addc_u32 s11, s11, 0
	s_and_b64 s[2:3], exec, s[2:3]
	s_or_b64 s[8:9], s[2:3], s[8:9]
	v_add_u32_e32 v4, 64, v4
	s_andn2_b64 exec, exec, s[8:9]
	s_cbranch_execz .LBB464_24
.LBB464_27:                             ;   Parent Loop BB464_25 Depth=1
                                        ; =>  This Inner Loop Header: Depth=2
	v_cmp_ne_u32_e32 vcc, v1, v4
	v_cmp_eq_u32_e64 s[2:3], v1, v4
	s_and_saveexec_b64 s[14:15], s[2:3]
	s_cbranch_execz .LBB464_26
; %bb.28:                               ;   in Loop: Header=BB464_27 Depth=2
	s_cmp_eq_u32 s10, 1
	s_cselect_b64 s[2:3], -1, 0
	s_cmp_eq_u32 s10, 2
	v_cndmask_b32_e64 v8, v12, v11, s[2:3]
	s_cselect_b64 s[2:3], -1, 0
	s_cmp_eq_u32 s10, 3
	v_cndmask_b32_e64 v8, v8, v14, s[2:3]
	;; [unrolled: 3-line block ×3, first 2 shown]
	s_cselect_b64 s[2:3], -1, 0
	v_cndmask_b32_e64 v8, v8, v15, s[2:3]
	v_add_f32_e32 v5, v5, v8
	global_store_dword v[6:7], v1, off
	s_branch .LBB464_26
.LBB464_29:
	s_waitcnt lgkmcnt(0)
	s_load_dword s6, s[0:1], 0x3c
	s_waitcnt lgkmcnt(0)
	s_bitcmp1_b32 s6, 0
	s_cselect_b64 s[2:3], -1, 0
	s_bitcmp0_b32 s6, 0
	s_cbranch_scc0 .LBB464_33
; %bb.30:
	s_load_dwordx2 s[6:7], s[0:1], 0x40
	s_andn2_b64 vcc, exec, s[2:3]
	s_waitcnt lgkmcnt(0)
	v_cvt_f32_f64_e32 v16, s[6:7]
	s_cbranch_vccz .LBB464_34
.LBB464_31:
	s_andn2_b64 vcc, exec, s[4:5]
	s_cbranch_vccz .LBB464_35
.LBB464_32:
	s_endpgm
.LBB464_33:
	v_mbcnt_lo_u32_b32 v1, -1, 0
	v_mbcnt_hi_u32_b32 v1, -1, v1
	v_and_b32_e32 v4, 64, v1
	v_add_u32_e32 v4, 64, v4
	v_xor_b32_e32 v6, 32, v1
	v_cmp_lt_i32_e32 vcc, v6, v4
	v_xor_b32_e32 v7, 16, v1
	s_nop 0
	v_cndmask_b32_e32 v6, v1, v6, vcc
	v_lshlrev_b32_e32 v6, 2, v6
	ds_bpermute_b32 v6, v6, v5
	v_cmp_lt_i32_e32 vcc, v7, v4
	s_waitcnt lgkmcnt(0)
	v_add_f32_e32 v5, v5, v6
	v_cndmask_b32_e32 v6, v1, v7, vcc
	v_lshlrev_b32_e32 v6, 2, v6
	ds_bpermute_b32 v6, v6, v5
	v_xor_b32_e32 v7, 8, v1
	v_cmp_lt_i32_e32 vcc, v7, v4
	s_waitcnt lgkmcnt(0)
	v_add_f32_e32 v5, v5, v6
	v_cndmask_b32_e32 v6, v1, v7, vcc
	v_lshlrev_b32_e32 v6, 2, v6
	ds_bpermute_b32 v6, v6, v5
	v_xor_b32_e32 v7, 4, v1
	v_cmp_lt_i32_e32 vcc, v7, v4
	s_waitcnt lgkmcnt(0)
	v_add_f32_e32 v5, v5, v6
	v_cndmask_b32_e32 v6, v1, v7, vcc
	v_lshlrev_b32_e32 v6, 2, v6
	ds_bpermute_b32 v6, v6, v5
	v_xor_b32_e32 v7, 2, v1
	v_cmp_lt_i32_e32 vcc, v7, v4
	s_waitcnt lgkmcnt(0)
	v_add_f32_e32 v5, v5, v6
	v_cndmask_b32_e32 v6, v1, v7, vcc
	v_lshlrev_b32_e32 v6, 2, v6
	ds_bpermute_b32 v6, v6, v5
	v_xor_b32_e32 v7, 1, v1
	v_cmp_lt_i32_e32 vcc, v7, v4
	s_waitcnt lgkmcnt(0)
	v_add_f32_e32 v5, v5, v6
	v_cndmask_b32_e32 v1, v1, v7, vcc
	v_lshlrev_b32_e32 v1, 2, v1
	ds_bpermute_b32 v1, v1, v5
	s_waitcnt lgkmcnt(0)
	v_add_f32_e32 v5, v5, v1
	s_load_dwordx2 s[6:7], s[0:1], 0x40
	s_andn2_b64 vcc, exec, s[2:3]
	s_waitcnt lgkmcnt(0)
	v_cvt_f32_f64_e32 v16, s[6:7]
	s_cbranch_vccnz .LBB464_31
.LBB464_34:
	v_cmp_lt_f32_e32 vcc, 0, v5
	s_nop 1
	v_cndmask_b32_e32 v1, 1.0, v5, vcc
	v_div_scale_f32 v4, s[2:3], v1, v1, v16
	v_rcp_f32_e32 v5, v4
	s_nop 0
	v_fma_f32 v6, -v4, v5, 1.0
	v_fmac_f32_e32 v5, v6, v5
	v_div_scale_f32 v6, vcc, v16, v1, v16
	v_mul_f32_e32 v7, v6, v5
	v_fma_f32 v8, -v4, v7, v6
	v_fmac_f32_e32 v7, v8, v5
	v_fma_f32 v4, -v4, v7, v6
	v_div_fmas_f32 v4, v4, v5, v7
	v_div_fixup_f32 v16, v4, v1, v16
	s_andn2_b64 vcc, exec, s[4:5]
	s_cbranch_vccnz .LBB464_32
.LBB464_35:
	s_load_dwordx2 s[6:7], s[0:1], 0x10
	v_or_b32_e32 v20, 64, v10
	v_or_b32_e32 v19, 0x80, v10
	;; [unrolled: 1-line block ×4, first 2 shown]
	s_cmp_eq_u32 s20, 1
	s_mov_b32 s8, 0
	s_cbranch_scc1 .LBB464_58
; %bb.36:
	v_ashrrev_i32_e32 v1, 31, v0
	s_waitcnt lgkmcnt(0)
	v_lshl_add_u64 v[4:5], v[0:1], 2, s[6:7]
	s_and_b32 s8, s20, 0x7ffffffe
	v_lshl_add_u64 v[4:5], v[4:5], 0, 4
	v_lshl_add_u64 v[6:7], v[2:3], 0, 4
	s_mov_b32 s9, 0
	s_branch .LBB464_38
.LBB464_37:                             ;   in Loop: Header=BB464_38 Depth=1
	s_or_b64 exec, exec, s[0:1]
	s_add_i32 s9, s9, 2
	v_lshl_add_u64 v[4:5], v[4:5], 0, 8
	s_cmp_lg_u32 s8, s9
	v_lshl_add_u64 v[6:7], v[6:7], 0, 8
	s_cbranch_scc0 .LBB464_58
.LBB464_38:                             ; =>This Inner Loop Header: Depth=1
	global_load_dword v1, v[6:7], off offset:-4
	v_mov_b64_e32 v[8:9], 0
	s_waitcnt vmcnt(0)
	v_cmp_eq_u32_e32 vcc, v1, v10
	v_cmp_ne_u32_e64 s[0:1], v1, v10
	s_and_saveexec_b64 s[10:11], s[0:1]
	s_cbranch_execz .LBB464_46
; %bb.39:                               ;   in Loop: Header=BB464_38 Depth=1
	v_cmp_eq_u32_e64 s[0:1], v1, v20
	v_cmp_ne_u32_e64 s[2:3], v1, v20
	v_mov_b64_e32 v[8:9], 1
	s_and_saveexec_b64 s[12:13], s[2:3]
	s_cbranch_execz .LBB464_45
; %bb.40:                               ;   in Loop: Header=BB464_38 Depth=1
	v_cmp_eq_u32_e64 s[2:3], v1, v19
	v_cmp_ne_u32_e64 s[4:5], v1, v19
	v_mov_b64_e32 v[8:9], 2
	;; [unrolled: 6-line block ×3, first 2 shown]
	s_and_saveexec_b64 s[18:19], s[4:5]
	s_xor_b64 s[18:19], exec, s[18:19]
; %bb.42:                               ;   in Loop: Header=BB464_38 Depth=1
	v_cmp_eq_u32_e64 s[4:5], v1, v17
	s_andn2_b64 s[16:17], s[16:17], exec
	s_and_b64 s[4:5], s[4:5], exec
	v_mov_b64_e32 v[8:9], 4
	s_or_b64 s[16:17], s[16:17], s[4:5]
; %bb.43:                               ;   in Loop: Header=BB464_38 Depth=1
	s_or_b64 exec, exec, s[18:19]
	s_andn2_b64 s[2:3], s[2:3], exec
	s_and_b64 s[4:5], s[16:17], exec
	s_or_b64 s[2:3], s[2:3], s[4:5]
.LBB464_44:                             ;   in Loop: Header=BB464_38 Depth=1
	s_or_b64 exec, exec, s[14:15]
	s_andn2_b64 s[0:1], s[0:1], exec
	s_and_b64 s[2:3], s[2:3], exec
	s_or_b64 s[0:1], s[0:1], s[2:3]
.LBB464_45:                             ;   in Loop: Header=BB464_38 Depth=1
	s_or_b64 exec, exec, s[12:13]
	s_andn2_b64 s[2:3], vcc, exec
	s_and_b64 s[0:1], s[0:1], exec
	s_or_b64 vcc, s[2:3], s[0:1]
.LBB464_46:                             ;   in Loop: Header=BB464_38 Depth=1
	s_or_b64 exec, exec, s[10:11]
	s_and_saveexec_b64 s[0:1], vcc
	s_cbranch_execz .LBB464_48
; %bb.47:                               ;   in Loop: Header=BB464_38 Depth=1
	v_cmp_eq_u32_e32 vcc, 1, v8
	v_add_u32_e32 v22, s9, v0
	v_ashrrev_i32_e32 v23, 31, v22
	v_cndmask_b32_e32 v1, v12, v11, vcc
	v_cmp_eq_u32_e32 vcc, 2, v8
	s_nop 1
	v_cndmask_b32_e32 v1, v1, v14, vcc
	v_cmp_eq_u32_e32 vcc, 3, v8
	s_nop 1
	v_cndmask_b32_e32 v1, v1, v13, vcc
	v_cmp_eq_u32_e32 vcc, 4, v8
	v_lshl_add_u64 v[8:9], v[22:23], 2, s[6:7]
	s_nop 0
	v_cndmask_b32_e32 v1, v1, v15, vcc
	v_mul_f32_e32 v1, v16, v1
	global_store_dword v[8:9], v1, off
.LBB464_48:                             ;   in Loop: Header=BB464_38 Depth=1
	s_or_b64 exec, exec, s[0:1]
	global_load_dword v1, v[6:7], off
	v_mov_b64_e32 v[8:9], 0
	s_waitcnt vmcnt(0)
	v_cmp_eq_u32_e64 s[2:3], v1, v10
	v_cmp_ne_u32_e32 vcc, v1, v10
	s_and_saveexec_b64 s[4:5], vcc
	s_cbranch_execz .LBB464_56
; %bb.49:                               ;   in Loop: Header=BB464_38 Depth=1
	v_cmp_eq_u32_e32 vcc, v1, v20
	v_cmp_ne_u32_e64 s[0:1], v1, v20
	v_mov_b64_e32 v[8:9], 1
	s_and_saveexec_b64 s[10:11], s[0:1]
	s_cbranch_execz .LBB464_55
; %bb.50:                               ;   in Loop: Header=BB464_38 Depth=1
	v_cmp_eq_u32_e64 s[12:13], v1, v19
	v_cmp_ne_u32_e64 s[0:1], v1, v19
	v_mov_b64_e32 v[8:9], 2
	s_and_saveexec_b64 s[14:15], s[0:1]
	s_cbranch_execz .LBB464_54
; %bb.51:                               ;   in Loop: Header=BB464_38 Depth=1
	v_cmp_eq_u32_e64 s[16:17], v1, v18
	v_cmp_ne_u32_e64 s[0:1], v1, v18
	v_mov_b64_e32 v[8:9], 3
	s_and_saveexec_b64 s[18:19], s[0:1]
; %bb.52:                               ;   in Loop: Header=BB464_38 Depth=1
	v_cmp_eq_u32_e64 s[0:1], v1, v17
	s_andn2_b64 s[16:17], s[16:17], exec
	s_and_b64 s[0:1], s[0:1], exec
	v_mov_b64_e32 v[8:9], 4
	s_or_b64 s[16:17], s[16:17], s[0:1]
; %bb.53:                               ;   in Loop: Header=BB464_38 Depth=1
	s_or_b64 exec, exec, s[18:19]
	s_andn2_b64 s[0:1], s[12:13], exec
	s_and_b64 s[12:13], s[16:17], exec
	s_or_b64 s[12:13], s[0:1], s[12:13]
.LBB464_54:                             ;   in Loop: Header=BB464_38 Depth=1
	s_or_b64 exec, exec, s[14:15]
	s_andn2_b64 s[0:1], vcc, exec
	s_and_b64 s[12:13], s[12:13], exec
	s_or_b64 vcc, s[0:1], s[12:13]
.LBB464_55:                             ;   in Loop: Header=BB464_38 Depth=1
	s_or_b64 exec, exec, s[10:11]
	s_andn2_b64 s[0:1], s[2:3], exec
	s_and_b64 s[2:3], vcc, exec
	s_or_b64 s[2:3], s[0:1], s[2:3]
.LBB464_56:                             ;   in Loop: Header=BB464_38 Depth=1
	s_or_b64 exec, exec, s[4:5]
	s_and_saveexec_b64 s[0:1], s[2:3]
	s_cbranch_execz .LBB464_37
; %bb.57:                               ;   in Loop: Header=BB464_38 Depth=1
	v_cmp_eq_u32_e32 vcc, 1, v8
	s_nop 1
	v_cndmask_b32_e32 v1, v12, v11, vcc
	v_cmp_eq_u32_e32 vcc, 2, v8
	s_nop 1
	v_cndmask_b32_e32 v1, v1, v14, vcc
	;; [unrolled: 3-line block ×4, first 2 shown]
	v_mul_f32_e32 v1, v16, v1
	global_store_dword v[4:5], v1, off
	s_branch .LBB464_37
.LBB464_58:
	s_bitcmp0_b32 s20, 0
	s_mov_b32 s9, 0
	s_cbranch_scc1 .LBB464_32
; %bb.59:
	v_lshl_add_u64 v[2:3], s[8:9], 2, v[2:3]
	global_load_dword v1, v[2:3], off
	v_mov_b64_e32 v[2:3], 0
	s_waitcnt vmcnt(0)
	v_cmp_eq_u32_e64 s[2:3], v1, v10
	v_cmp_ne_u32_e32 vcc, v1, v10
	s_and_saveexec_b64 s[4:5], vcc
	s_cbranch_execz .LBB464_67
; %bb.60:
	v_cmp_eq_u32_e32 vcc, v1, v20
	v_cmp_ne_u32_e64 s[0:1], v1, v20
	v_mov_b64_e32 v[2:3], 1
	s_and_saveexec_b64 s[10:11], s[0:1]
	s_cbranch_execz .LBB464_66
; %bb.61:
	v_cmp_eq_u32_e64 s[12:13], v1, v19
	v_cmp_ne_u32_e64 s[0:1], v1, v19
	v_mov_b64_e32 v[2:3], 2
	s_and_saveexec_b64 s[14:15], s[0:1]
	s_cbranch_execz .LBB464_65
; %bb.62:
	v_cmp_eq_u32_e64 s[16:17], v1, v18
	v_cmp_ne_u32_e64 s[0:1], v1, v18
	v_mov_b64_e32 v[2:3], 3
	s_and_saveexec_b64 s[18:19], s[0:1]
; %bb.63:
	v_cmp_eq_u32_e64 s[0:1], v1, v17
	s_andn2_b64 s[16:17], s[16:17], exec
	s_and_b64 s[0:1], s[0:1], exec
	v_mov_b64_e32 v[2:3], 4
	s_or_b64 s[16:17], s[16:17], s[0:1]
; %bb.64:
	s_or_b64 exec, exec, s[18:19]
	s_andn2_b64 s[0:1], s[12:13], exec
	s_and_b64 s[12:13], s[16:17], exec
	s_or_b64 s[12:13], s[0:1], s[12:13]
.LBB464_65:
	s_or_b64 exec, exec, s[14:15]
	s_andn2_b64 s[0:1], vcc, exec
	s_and_b64 s[12:13], s[12:13], exec
	s_or_b64 vcc, s[0:1], s[12:13]
.LBB464_66:
	s_or_b64 exec, exec, s[10:11]
	s_andn2_b64 s[0:1], s[2:3], exec
	s_and_b64 s[2:3], vcc, exec
	s_or_b64 s[2:3], s[0:1], s[2:3]
.LBB464_67:
	s_or_b64 exec, exec, s[4:5]
	s_and_b64 exec, exec, s[2:3]
	s_cbranch_execz .LBB464_32
; %bb.68:
	v_cmp_eq_u32_e32 vcc, 1, v2
	v_add_u32_e32 v0, s8, v0
	s_nop 0
	v_cndmask_b32_e32 v1, v12, v11, vcc
	v_cmp_eq_u32_e32 vcc, 2, v2
	s_nop 1
	v_cndmask_b32_e32 v1, v1, v14, vcc
	v_cmp_eq_u32_e32 vcc, 3, v2
	;; [unrolled: 3-line block ×3, first 2 shown]
	s_nop 1
	v_cndmask_b32_e32 v1, v1, v15, vcc
	v_mul_f32_e32 v2, v16, v1
	v_ashrrev_i32_e32 v1, 31, v0
	s_waitcnt lgkmcnt(0)
	v_lshl_add_u64 v[0:1], v[0:1], 2, s[6:7]
	global_store_dword v[0:1], v2, off
	s_endpgm
	.section	.rodata,"a",@progbits
	.p2align	6, 0x0
	.amdhsa_kernel _ZN4vllm3moe22topkGatingSoftplusSqrtILi5ELi320ELi4ELi2ELi64ELb1Ej14__hip_bfloat16EEvPKT6_PKbPfiPT5_PiiiibdPKfPKS9_SF_
		.amdhsa_group_segment_fixed_size 0
		.amdhsa_private_segment_fixed_size 0
		.amdhsa_kernarg_size 96
		.amdhsa_user_sgpr_count 2
		.amdhsa_user_sgpr_dispatch_ptr 0
		.amdhsa_user_sgpr_queue_ptr 0
		.amdhsa_user_sgpr_kernarg_segment_ptr 1
		.amdhsa_user_sgpr_dispatch_id 0
		.amdhsa_user_sgpr_kernarg_preload_length 0
		.amdhsa_user_sgpr_kernarg_preload_offset 0
		.amdhsa_user_sgpr_private_segment_size 0
		.amdhsa_uses_dynamic_stack 0
		.amdhsa_enable_private_segment 0
		.amdhsa_system_sgpr_workgroup_id_x 1
		.amdhsa_system_sgpr_workgroup_id_y 0
		.amdhsa_system_sgpr_workgroup_id_z 0
		.amdhsa_system_sgpr_workgroup_info 0
		.amdhsa_system_vgpr_workitem_id 1
		.amdhsa_next_free_vgpr 24
		.amdhsa_next_free_sgpr 21
		.amdhsa_accum_offset 24
		.amdhsa_reserve_vcc 1
		.amdhsa_float_round_mode_32 0
		.amdhsa_float_round_mode_16_64 0
		.amdhsa_float_denorm_mode_32 3
		.amdhsa_float_denorm_mode_16_64 3
		.amdhsa_dx10_clamp 1
		.amdhsa_ieee_mode 1
		.amdhsa_fp16_overflow 0
		.amdhsa_tg_split 0
		.amdhsa_exception_fp_ieee_invalid_op 0
		.amdhsa_exception_fp_denorm_src 0
		.amdhsa_exception_fp_ieee_div_zero 0
		.amdhsa_exception_fp_ieee_overflow 0
		.amdhsa_exception_fp_ieee_underflow 0
		.amdhsa_exception_fp_ieee_inexact 0
		.amdhsa_exception_int_div_zero 0
	.end_amdhsa_kernel
	.section	.text._ZN4vllm3moe22topkGatingSoftplusSqrtILi5ELi320ELi4ELi2ELi64ELb1Ej14__hip_bfloat16EEvPKT6_PKbPfiPT5_PiiiibdPKfPKS9_SF_,"axG",@progbits,_ZN4vllm3moe22topkGatingSoftplusSqrtILi5ELi320ELi4ELi2ELi64ELb1Ej14__hip_bfloat16EEvPKT6_PKbPfiPT5_PiiiibdPKfPKS9_SF_,comdat
.Lfunc_end464:
	.size	_ZN4vllm3moe22topkGatingSoftplusSqrtILi5ELi320ELi4ELi2ELi64ELb1Ej14__hip_bfloat16EEvPKT6_PKbPfiPT5_PiiiibdPKfPKS9_SF_, .Lfunc_end464-_ZN4vllm3moe22topkGatingSoftplusSqrtILi5ELi320ELi4ELi2ELi64ELb1Ej14__hip_bfloat16EEvPKT6_PKbPfiPT5_PiiiibdPKfPKS9_SF_
                                        ; -- End function
	.section	.AMDGPU.csdata,"",@progbits
; Kernel info:
; codeLenInByte = 3872
; NumSgprs: 27
; NumVgprs: 24
; NumAgprs: 0
; TotalNumVgprs: 24
; ScratchSize: 0
; MemoryBound: 0
; FloatMode: 240
; IeeeMode: 1
; LDSByteSize: 0 bytes/workgroup (compile time only)
; SGPRBlocks: 3
; VGPRBlocks: 2
; NumSGPRsForWavesPerEU: 27
; NumVGPRsForWavesPerEU: 24
; AccumOffset: 24
; Occupancy: 8
; WaveLimiterHint : 1
; COMPUTE_PGM_RSRC2:SCRATCH_EN: 0
; COMPUTE_PGM_RSRC2:USER_SGPR: 2
; COMPUTE_PGM_RSRC2:TRAP_HANDLER: 0
; COMPUTE_PGM_RSRC2:TGID_X_EN: 1
; COMPUTE_PGM_RSRC2:TGID_Y_EN: 0
; COMPUTE_PGM_RSRC2:TGID_Z_EN: 0
; COMPUTE_PGM_RSRC2:TIDIG_COMP_CNT: 1
; COMPUTE_PGM_RSRC3_GFX90A:ACCUM_OFFSET: 5
; COMPUTE_PGM_RSRC3_GFX90A:TG_SPLIT: 0
	.section	.text._ZN4vllm3moe22topkGatingSoftplusSqrtILi5ELi320ELi4ELi2ELi64ELb0Ej14__hip_bfloat16EEvPKT6_PKbPfiPT5_PiiiibdPKfPKS9_SF_,"axG",@progbits,_ZN4vllm3moe22topkGatingSoftplusSqrtILi5ELi320ELi4ELi2ELi64ELb0Ej14__hip_bfloat16EEvPKT6_PKbPfiPT5_PiiiibdPKfPKS9_SF_,comdat
	.protected	_ZN4vllm3moe22topkGatingSoftplusSqrtILi5ELi320ELi4ELi2ELi64ELb0Ej14__hip_bfloat16EEvPKT6_PKbPfiPT5_PiiiibdPKfPKS9_SF_ ; -- Begin function _ZN4vllm3moe22topkGatingSoftplusSqrtILi5ELi320ELi4ELi2ELi64ELb0Ej14__hip_bfloat16EEvPKT6_PKbPfiPT5_PiiiibdPKfPKS9_SF_
	.globl	_ZN4vllm3moe22topkGatingSoftplusSqrtILi5ELi320ELi4ELi2ELi64ELb0Ej14__hip_bfloat16EEvPKT6_PKbPfiPT5_PiiiibdPKfPKS9_SF_
	.p2align	8
	.type	_ZN4vllm3moe22topkGatingSoftplusSqrtILi5ELi320ELi4ELi2ELi64ELb0Ej14__hip_bfloat16EEvPKT6_PKbPfiPT5_PiiiibdPKfPKS9_SF_,@function
_ZN4vllm3moe22topkGatingSoftplusSqrtILi5ELi320ELi4ELi2ELi64ELb0Ej14__hip_bfloat16EEvPKT6_PKbPfiPT5_PiiiibdPKfPKS9_SF_: ; @_ZN4vllm3moe22topkGatingSoftplusSqrtILi5ELi320ELi4ELi2ELi64ELb0Ej14__hip_bfloat16EEvPKT6_PKbPfiPT5_PiiiibdPKfPKS9_SF_
; %bb.0:
	s_load_dword s30, s[0:1], 0x18
	v_and_b32_e32 v1, 0x3ff, v0
	s_lshl_b32 s2, s2, 2
	v_lshrrev_b32_e32 v2, 6, v1
	v_bfe_u32 v0, v0, 10, 10
	v_add3_u32 v6, s2, v0, v2
	s_waitcnt lgkmcnt(0)
	v_cmp_gt_i32_e32 vcc, s30, v6
	s_and_saveexec_b64 s[2:3], vcc
	s_cbranch_execz .LBB465_59
; %bb.1:
	s_load_dwordx4 s[4:7], s[0:1], 0x0
	s_load_dwordx2 s[20:21], s[0:1], 0x10
	s_waitcnt lgkmcnt(0)
	s_cmp_eq_u64 s[6:7], 0
	s_cbranch_scc1 .LBB465_3
; %bb.2:
	v_ashrrev_i32_e32 v7, 31, v6
	v_lshl_add_u64 v[2:3], s[6:7], 0, v[6:7]
	global_load_ubyte v0, v[2:3], off
	s_waitcnt vmcnt(0)
	v_and_b32_e32 v0, 1, v0
	v_cmp_eq_u32_e32 vcc, 1, v0
	s_xor_b64 s[2:3], vcc, -1
	s_orn2_b64 s[22:23], s[2:3], exec
	s_branch .LBB465_4
.LBB465_3:
	s_mov_b64 s[22:23], -1
.LBB465_4:
	s_movk_i32 s2, 0x140
	v_mul_lo_u32 v4, v6, s2
	v_mov_b32_e32 v2, s4
	v_mov_b32_e32 v3, s5
	v_ashrrev_i32_e32 v5, 31, v4
	v_and_b32_e32 v8, 63, v1
	v_lshl_add_u64 v[2:3], v[4:5], 1, v[2:3]
	v_mov_b32_e32 v1, 0
	v_lshlrev_b32_e32 v0, 1, v8
	v_lshl_add_u64 v[10:11], v[2:3], 0, v[0:1]
	global_load_ushort v0, v[10:11], off
	global_load_ushort v1, v[10:11], off offset:128
	global_load_ushort v2, v[10:11], off offset:256
	;; [unrolled: 1-line block ×4, first 2 shown]
	s_mov_b32 s16, 0x800000
	v_mov_b32_e32 v9, 0x4f800000
	s_mov_b32 s7, 0x3f317217
	s_mov_b32 s14, 0x7f800000
	v_mov_b32_e32 v10, 0x41b17218
	s_mov_b32 s6, 0x41a00000
	s_mov_b32 s15, 0xf800000
	s_load_dwordx4 s[8:11], s[0:1], 0x40
	s_waitcnt lgkmcnt(0)
	s_cmp_lg_u64 s[10:11], 0
	s_cselect_b64 s[12:13], -1, 0
	s_and_b64 s[2:3], exec, s[12:13]
	s_waitcnt vmcnt(4)
	v_lshlrev_b32_e32 v0, 16, v0
	v_mul_f32_e32 v5, 0x3fb8aa3b, v0
	v_exp_f32_e32 v5, v5
	s_nop 0
	v_add_f32_e32 v5, 1.0, v5
	v_cmp_gt_f32_e32 vcc, s16, v5
	s_nop 1
	v_cndmask_b32_e32 v7, 1.0, v9, vcc
	v_mul_f32_e32 v5, v5, v7
	v_log_f32_e32 v11, v5
	v_cndmask_b32_e32 v12, 0, v10, vcc
	v_mov_b32_e32 v7, 0x260
	v_lshlrev_b32_e32 v5, 2, v8
	v_mul_f32_e32 v13, 0x3f317217, v11
	v_fma_f32 v13, v11, s7, -v13
	v_fmac_f32_e32 v13, 0x3377d1cf, v11
	v_fmac_f32_e32 v13, 0x3f317217, v11
	v_cmp_lt_f32_e64 vcc, |v11|, s14
	s_nop 1
	v_cndmask_b32_e32 v11, v11, v13, vcc
	v_sub_f32_e32 v11, v11, v12
	v_cmp_lt_f32_e32 vcc, s6, v0
	s_nop 1
	v_cndmask_b32_e32 v0, v11, v0, vcc
	v_mul_f32_e32 v11, 0x4f800000, v0
	v_cmp_gt_f32_e32 vcc, s15, v0
	s_nop 1
	v_cndmask_b32_e32 v0, v0, v11, vcc
	v_sqrt_f32_e32 v11, v0
	s_nop 0
	v_add_u32_e32 v12, -1, v11
	v_add_u32_e32 v13, 1, v11
	v_fma_f32 v14, -v12, v11, v0
	v_fma_f32 v15, -v13, v11, v0
	v_cmp_ge_f32_e64 s[4:5], 0, v14
	s_nop 1
	v_cndmask_b32_e64 v11, v11, v12, s[4:5]
	v_cmp_lt_f32_e64 s[4:5], 0, v15
	s_nop 1
	v_cndmask_b32_e64 v11, v11, v13, s[4:5]
	v_mul_f32_e32 v12, 0x37800000, v11
	v_cndmask_b32_e32 v11, v11, v12, vcc
	v_cmp_class_f32_e32 vcc, v0, v7
	s_nop 1
	v_cndmask_b32_e32 v0, v11, v0, vcc
	s_mov_b64 vcc, s[2:3]
	s_cbranch_vccz .LBB465_6
; %bb.5:
	global_load_dword v11, v5, s[10:11]
	s_waitcnt vmcnt(0)
	v_add_f32_e32 v0, v0, v11
.LBB465_6:
	s_waitcnt vmcnt(3)
	v_lshlrev_b32_e32 v1, 16, v1
	v_mul_f32_e32 v11, 0x3fb8aa3b, v1
	v_exp_f32_e32 v11, v11
	s_nop 0
	v_add_f32_e32 v11, 1.0, v11
	v_cmp_gt_f32_e32 vcc, s16, v11
	s_nop 1
	v_cndmask_b32_e32 v9, 1.0, v9, vcc
	v_mul_f32_e32 v9, v11, v9
	v_log_f32_e32 v9, v9
	v_cndmask_b32_e32 v10, 0, v10, vcc
	v_mul_f32_e32 v11, 0x3f317217, v9
	v_fma_f32 v11, v9, s7, -v11
	v_fmac_f32_e32 v11, 0x3377d1cf, v9
	v_fmac_f32_e32 v11, 0x3f317217, v9
	v_cmp_lt_f32_e64 vcc, |v9|, s14
	s_nop 1
	v_cndmask_b32_e32 v9, v9, v11, vcc
	v_sub_f32_e32 v9, v9, v10
	v_cmp_lt_f32_e32 vcc, s6, v1
	s_nop 1
	v_cndmask_b32_e32 v1, v9, v1, vcc
	v_mul_f32_e32 v9, 0x4f800000, v1
	v_cmp_gt_f32_e32 vcc, s15, v1
	s_nop 1
	v_cndmask_b32_e32 v1, v1, v9, vcc
	v_sqrt_f32_e32 v9, v1
	s_nop 0
	v_add_u32_e32 v10, -1, v9
	v_add_u32_e32 v11, 1, v9
	v_fma_f32 v12, -v10, v9, v1
	v_fma_f32 v13, -v11, v9, v1
	v_cmp_ge_f32_e64 s[2:3], 0, v12
	s_nop 1
	v_cndmask_b32_e64 v9, v9, v10, s[2:3]
	v_cmp_lt_f32_e64 s[2:3], 0, v13
	s_nop 1
	v_cndmask_b32_e64 v9, v9, v11, s[2:3]
	v_mul_f32_e32 v10, 0x37800000, v9
	v_cndmask_b32_e32 v9, v9, v10, vcc
	v_cndmask_b32_e64 v10, 0, 1, s[12:13]
	v_cmp_class_f32_e64 s[2:3], v1, v7
	v_cmp_ne_u32_e64 s[6:7], 1, v10
	s_andn2_b64 vcc, exec, s[12:13]
	v_cndmask_b32_e64 v1, v9, v1, s[2:3]
	s_cbranch_vccnz .LBB465_8
; %bb.7:
	global_load_dword v7, v5, s[10:11] offset:256
	s_waitcnt vmcnt(0)
	v_add_f32_e32 v1, v1, v7
.LBB465_8:
	s_waitcnt vmcnt(2)
	v_lshlrev_b32_e32 v2, 16, v2
	v_mul_f32_e32 v7, 0x3fb8aa3b, v2
	v_exp_f32_e32 v7, v7
	s_mov_b32 s14, 0x800000
	v_mov_b32_e32 v9, 0x4f800000
	s_mov_b32 s5, 0x3f317217
	v_add_f32_e32 v7, 1.0, v7
	v_cmp_gt_f32_e32 vcc, s14, v7
	s_mov_b32 s12, 0x7f800000
	s_mov_b32 s4, 0x41a00000
	v_cndmask_b32_e32 v10, 1.0, v9, vcc
	v_mul_f32_e32 v7, v7, v10
	v_log_f32_e32 v7, v7
	s_mov_b32 s13, 0xf800000
	v_mul_f32_e32 v10, 0x3f317217, v7
	v_fma_f32 v10, v7, s5, -v10
	v_fmac_f32_e32 v10, 0x3377d1cf, v7
	v_fmac_f32_e32 v10, 0x3f317217, v7
	v_cmp_lt_f32_e64 s[2:3], |v7|, s12
	s_nop 1
	v_cndmask_b32_e64 v7, v7, v10, s[2:3]
	v_mov_b32_e32 v10, 0x41b17218
	v_cndmask_b32_e32 v11, 0, v10, vcc
	v_sub_f32_e32 v7, v7, v11
	v_cmp_lt_f32_e32 vcc, s4, v2
	s_nop 1
	v_cndmask_b32_e32 v2, v7, v2, vcc
	v_mul_f32_e32 v7, 0x4f800000, v2
	v_cmp_gt_f32_e32 vcc, s13, v2
	s_nop 1
	v_cndmask_b32_e32 v2, v2, v7, vcc
	v_sqrt_f32_e32 v7, v2
	s_nop 0
	v_add_u32_e32 v11, -1, v7
	v_fma_f32 v12, -v11, v7, v2
	v_cmp_ge_f32_e64 s[2:3], 0, v12
	v_add_u32_e32 v12, 1, v7
	s_nop 0
	v_cndmask_b32_e64 v11, v7, v11, s[2:3]
	v_fma_f32 v7, -v12, v7, v2
	v_cmp_lt_f32_e64 s[2:3], 0, v7
	s_nop 1
	v_cndmask_b32_e64 v7, v11, v12, s[2:3]
	v_mul_f32_e32 v11, 0x37800000, v7
	v_cndmask_b32_e32 v11, v7, v11, vcc
	v_mov_b32_e32 v7, 0x260
	v_cmp_class_f32_e64 s[2:3], v2, v7
	s_and_b64 vcc, exec, s[6:7]
	s_nop 0
	v_cndmask_b32_e64 v2, v11, v2, s[2:3]
	s_cbranch_vccnz .LBB465_10
; %bb.9:
	global_load_dword v11, v5, s[10:11] offset:512
	s_waitcnt vmcnt(0)
	v_add_f32_e32 v2, v2, v11
.LBB465_10:
	s_waitcnt vmcnt(1)
	v_lshlrev_b32_e32 v3, 16, v3
	v_mul_f32_e32 v11, 0x3fb8aa3b, v3
	v_exp_f32_e32 v11, v11
	s_nop 0
	v_add_f32_e32 v11, 1.0, v11
	v_cmp_gt_f32_e32 vcc, s14, v11
	s_nop 1
	v_cndmask_b32_e32 v9, 1.0, v9, vcc
	v_mul_f32_e32 v9, v11, v9
	v_log_f32_e32 v9, v9
	v_cndmask_b32_e32 v10, 0, v10, vcc
	v_mul_f32_e32 v11, 0x3f317217, v9
	v_fma_f32 v11, v9, s5, -v11
	v_fmac_f32_e32 v11, 0x3377d1cf, v9
	v_fmac_f32_e32 v11, 0x3f317217, v9
	v_cmp_lt_f32_e64 vcc, |v9|, s12
	s_nop 1
	v_cndmask_b32_e32 v9, v9, v11, vcc
	v_sub_f32_e32 v9, v9, v10
	v_cmp_lt_f32_e32 vcc, s4, v3
	s_nop 1
	v_cndmask_b32_e32 v3, v9, v3, vcc
	v_mul_f32_e32 v9, 0x4f800000, v3
	v_cmp_gt_f32_e32 vcc, s13, v3
	s_nop 1
	v_cndmask_b32_e32 v3, v3, v9, vcc
	v_sqrt_f32_e32 v9, v3
	s_nop 0
	v_add_u32_e32 v10, -1, v9
	v_add_u32_e32 v11, 1, v9
	v_fma_f32 v12, -v10, v9, v3
	v_fma_f32 v13, -v11, v9, v3
	v_cmp_ge_f32_e64 s[2:3], 0, v12
	s_nop 1
	v_cndmask_b32_e64 v9, v9, v10, s[2:3]
	v_cmp_lt_f32_e64 s[2:3], 0, v13
	s_nop 1
	v_cndmask_b32_e64 v9, v9, v11, s[2:3]
	v_mul_f32_e32 v10, 0x37800000, v9
	v_cndmask_b32_e32 v9, v9, v10, vcc
	v_cmp_class_f32_e64 s[2:3], v3, v7
	s_and_b64 vcc, exec, s[6:7]
	s_nop 0
	v_cndmask_b32_e64 v3, v9, v3, s[2:3]
	s_cbranch_vccnz .LBB465_12
; %bb.11:
	global_load_dword v7, v5, s[10:11] offset:768
	s_waitcnt vmcnt(0)
	v_add_f32_e32 v3, v3, v7
.LBB465_12:
	s_waitcnt vmcnt(0)
	v_lshlrev_b32_e32 v4, 16, v4
	v_mul_f32_e32 v7, 0x3fb8aa3b, v4
	v_exp_f32_e32 v7, v7
	s_mov_b32 s2, 0x800000
	v_mov_b32_e32 v9, 0x4f800000
	s_mov_b32 s3, 0x7f800000
	v_add_f32_e32 v7, 1.0, v7
	v_cmp_gt_f32_e32 vcc, s2, v7
	s_mov_b32 s2, 0x3f317217
	s_nop 0
	v_cndmask_b32_e32 v9, 1.0, v9, vcc
	v_mul_f32_e32 v7, v7, v9
	v_log_f32_e32 v7, v7
	s_nop 0
	v_mul_f32_e32 v9, 0x3f317217, v7
	v_fma_f32 v9, v7, s2, -v9
	v_fmamk_f32 v9, v7, 0x3377d1cf, v9
	v_fmac_f32_e32 v9, 0x3f317217, v7
	v_cmp_lt_f32_e64 s[2:3], |v7|, s3
	s_nop 1
	v_cndmask_b32_e64 v7, v7, v9, s[2:3]
	v_mov_b32_e32 v9, 0x41b17218
	v_cndmask_b32_e32 v9, 0, v9, vcc
	v_sub_f32_e32 v7, v7, v9
	v_cmp_lt_f32_e32 vcc, s4, v4
	s_mov_b32 s2, 0xf800000
	s_nop 0
	v_cndmask_b32_e32 v4, v7, v4, vcc
	v_mul_f32_e32 v7, 0x4f800000, v4
	v_cmp_gt_f32_e32 vcc, s2, v4
	s_nop 1
	v_cndmask_b32_e32 v4, v4, v7, vcc
	v_sqrt_f32_e32 v7, v4
	s_nop 0
	v_add_u32_e32 v9, -1, v7
	v_fma_f32 v10, -v9, v7, v4
	v_cmp_ge_f32_e64 s[2:3], 0, v10
	v_add_u32_e32 v10, 1, v7
	s_nop 0
	v_cndmask_b32_e64 v9, v7, v9, s[2:3]
	v_fma_f32 v7, -v10, v7, v4
	v_cmp_lt_f32_e64 s[2:3], 0, v7
	s_nop 1
	v_cndmask_b32_e64 v7, v9, v10, s[2:3]
	v_mul_f32_e32 v9, 0x37800000, v7
	v_cndmask_b32_e32 v7, v7, v9, vcc
	v_mov_b32_e32 v9, 0x260
	v_cmp_class_f32_e64 s[2:3], v4, v9
	s_and_b64 vcc, exec, s[6:7]
	s_nop 0
	v_cndmask_b32_e64 v4, v7, v4, s[2:3]
	s_cbranch_vccnz .LBB465_14
; %bb.13:
	global_load_dword v5, v5, s[10:11] offset:1024
	s_waitcnt vmcnt(0)
	v_add_f32_e32 v4, v4, v5
.LBB465_14:
	s_load_dwordx4 s[12:15], s[0:1], 0x30
	v_cmp_eq_u32_e64 s[4:5], 0, v8
	s_waitcnt lgkmcnt(0)
	s_bitcmp1_b32 s15, 0
	s_cselect_b64 s[2:3], -1, 0
	s_cmp_gt_i32 s12, 0
	s_cselect_b64 s[24:25], -1, 0
	s_and_b64 vcc, exec, s[24:25]
	s_cbranch_vccz .LBB465_45
; %bb.15:
	v_mbcnt_lo_u32_b32 v5, -1, 0
	v_mbcnt_hi_u32_b32 v7, -1, v5
	v_and_b32_e32 v5, 64, v7
	v_add_u32_e32 v10, 64, v5
	v_xor_b32_e32 v11, 32, v7
	v_cmp_lt_i32_e32 vcc, v11, v10
	s_load_dwordx4 s[16:19], s[0:1], 0x20
	s_mov_b32 s15, 0
	v_cndmask_b32_e32 v11, v7, v11, vcc
	v_lshlrev_b32_e32 v15, 2, v11
	v_xor_b32_e32 v11, 16, v7
	v_cmp_lt_i32_e32 vcc, v11, v10
	v_mul_lo_u32 v5, v6, s12
	v_or_b32_e32 v9, 64, v8
	v_cndmask_b32_e32 v11, v7, v11, vcc
	v_lshlrev_b32_e32 v16, 2, v11
	v_xor_b32_e32 v11, 8, v7
	v_cmp_lt_i32_e32 vcc, v11, v10
	v_or_b32_e32 v12, 0x80, v8
	v_or_b32_e32 v13, 0xc0, v8
	v_cndmask_b32_e32 v11, v7, v11, vcc
	v_lshlrev_b32_e32 v17, 2, v11
	v_xor_b32_e32 v11, 4, v7
	v_cmp_lt_i32_e32 vcc, v11, v10
	v_or_b32_e32 v14, 0x100, v8
	v_mov_b32_e32 v21, 0x140
	v_cndmask_b32_e32 v11, v7, v11, vcc
	v_lshlrev_b32_e32 v18, 2, v11
	v_xor_b32_e32 v11, 2, v7
	v_cmp_lt_i32_e32 vcc, v11, v10
	v_mov_b32_e32 v22, 0xc61c4000
	v_mov_b32_e32 v23, v6
	v_cndmask_b32_e32 v11, v7, v11, vcc
	v_lshlrev_b32_e32 v19, 2, v11
	v_xor_b32_e32 v11, 1, v7
	v_cmp_lt_i32_e32 vcc, v11, v10
	s_nop 1
	v_cndmask_b32_e32 v7, v7, v11, vcc
	v_lshlrev_b32_e32 v20, 2, v7
	v_mov_b32_e32 v7, 0
	s_branch .LBB465_18
.LBB465_16:                             ;   in Loop: Header=BB465_18 Depth=1
	v_add_u32_e32 v26, s15, v5
	v_cmp_le_i32_e32 vcc, s13, v10
	v_cmp_gt_i32_e64 s[0:1], s14, v10
	v_ashrrev_i32_e32 v27, 31, v26
	s_and_b64 s[0:1], vcc, s[0:1]
	v_lshlrev_b64 v[26:27], 2, v[26:27]
	v_lshl_add_u64 v[28:29], s[20:21], 0, v[26:27]
	v_subrev_u32_e32 v11, s13, v10
	s_and_b64 vcc, s[22:23], s[0:1]
	global_store_dword v[28:29], v24, off
	v_cndmask_b32_e32 v11, v21, v11, vcc
	v_lshl_add_u64 v[28:29], s[16:17], 0, v[26:27]
	global_store_dword v[28:29], v11, off
	v_add_f32_e32 v11, v7, v24
	v_lshl_add_u64 v[26:27], s[18:19], 0, v[26:27]
	v_cndmask_b32_e64 v7, v7, v11, s[2:3]
	global_store_dword v[26:27], v23, off
.LBB465_17:                             ;   in Loop: Header=BB465_18 Depth=1
	s_or_b64 exec, exec, s[26:27]
	v_ashrrev_i32_e32 v11, 31, v10
	v_lshrrev_b32_e32 v11, 26, v11
	v_add_u32_e32 v11, v10, v11
	v_ashrrev_i32_e32 v24, 6, v11
	v_and_b32_e32 v11, 0xffffffc0, v11
	v_sub_u32_e32 v10, v10, v11
	v_cmp_ne_u32_e64 s[0:1], 0, v24
	v_cmp_eq_u32_e32 vcc, v8, v10
	s_add_i32 s15, s15, 1
	v_cndmask_b32_e64 v10, v22, v0, s[0:1]
	v_cmp_ne_u32_e64 s[0:1], 1, v24
	s_cmp_lt_i32 s15, s12
	s_cselect_b64 s[26:27], -1, 0
	v_cndmask_b32_e64 v11, v22, v1, s[0:1]
	v_cmp_ne_u32_e64 s[0:1], 2, v24
	s_and_b64 vcc, s[26:27], vcc
	v_cndmask_b32_e32 v1, v1, v11, vcc
	s_waitcnt lgkmcnt(0)
	v_cndmask_b32_e64 v25, v22, v2, s[0:1]
	v_cmp_ne_u32_e64 s[0:1], 3, v24
	v_cndmask_b32_e32 v2, v2, v25, vcc
	v_cndmask_b32_e32 v0, v0, v10, vcc
	v_cndmask_b32_e64 v26, v22, v3, s[0:1]
	v_cmp_ne_u32_e64 s[0:1], 4, v24
	v_cndmask_b32_e32 v3, v3, v26, vcc
	s_cmp_eq_u32 s12, s15
	v_cndmask_b32_e64 v24, v22, v4, s[0:1]
	v_cndmask_b32_e32 v4, v4, v24, vcc
	v_add_u32_e32 v23, s30, v23
	s_cbranch_scc1 .LBB465_46
.LBB465_18:                             ; =>This Inner Loop Header: Depth=1
	v_cmp_gt_f32_e32 vcc, v1, v0
	s_nop 1
	v_cndmask_b32_e32 v11, v0, v1, vcc
	v_cndmask_b32_e32 v10, v8, v9, vcc
	v_cmp_gt_f32_e32 vcc, v2, v11
	s_nop 1
	v_cndmask_b32_e32 v11, v11, v2, vcc
	v_cndmask_b32_e32 v10, v10, v12, vcc
	;; [unrolled: 4-line block ×4, first 2 shown]
	ds_bpermute_b32 v11, v15, v24
	ds_bpermute_b32 v25, v15, v10
	s_waitcnt lgkmcnt(0)
	v_cmp_lt_f32_e64 s[26:27], v24, v11
	v_cmp_nlt_f32_e32 vcc, v24, v11
	s_and_saveexec_b64 s[28:29], vcc
; %bb.19:                               ;   in Loop: Header=BB465_18 Depth=1
	v_cmp_eq_f32_e32 vcc, v24, v11
	v_cmp_lt_i32_e64 s[0:1], v25, v10
	s_and_b64 s[0:1], vcc, s[0:1]
	s_andn2_b64 s[26:27], s[26:27], exec
	s_and_b64 s[0:1], s[0:1], exec
	s_or_b64 s[26:27], s[26:27], s[0:1]
; %bb.20:                               ;   in Loop: Header=BB465_18 Depth=1
	s_or_b64 exec, exec, s[28:29]
	s_and_saveexec_b64 s[0:1], s[26:27]
; %bb.21:                               ;   in Loop: Header=BB465_18 Depth=1
	v_mov_b32_e32 v24, v11
	v_mov_b32_e32 v10, v25
; %bb.22:                               ;   in Loop: Header=BB465_18 Depth=1
	s_or_b64 exec, exec, s[0:1]
	ds_bpermute_b32 v11, v16, v24
	ds_bpermute_b32 v25, v16, v10
	s_waitcnt lgkmcnt(1)
	v_cmp_lt_f32_e64 s[26:27], v24, v11
	v_cmp_nlt_f32_e32 vcc, v24, v11
	s_and_saveexec_b64 s[28:29], vcc
	s_cbranch_execz .LBB465_24
; %bb.23:                               ;   in Loop: Header=BB465_18 Depth=1
	v_cmp_eq_f32_e32 vcc, v24, v11
	s_waitcnt lgkmcnt(0)
	v_cmp_lt_i32_e64 s[0:1], v25, v10
	s_and_b64 s[0:1], vcc, s[0:1]
	s_andn2_b64 s[26:27], s[26:27], exec
	s_and_b64 s[0:1], s[0:1], exec
	s_or_b64 s[26:27], s[26:27], s[0:1]
.LBB465_24:                             ;   in Loop: Header=BB465_18 Depth=1
	s_or_b64 exec, exec, s[28:29]
	s_and_saveexec_b64 s[0:1], s[26:27]
	s_cbranch_execz .LBB465_26
; %bb.25:                               ;   in Loop: Header=BB465_18 Depth=1
	v_mov_b32_e32 v24, v11
	s_waitcnt lgkmcnt(0)
	v_mov_b32_e32 v10, v25
.LBB465_26:                             ;   in Loop: Header=BB465_18 Depth=1
	s_or_b64 exec, exec, s[0:1]
	ds_bpermute_b32 v11, v17, v24
	s_waitcnt lgkmcnt(1)
	ds_bpermute_b32 v25, v17, v10
	s_waitcnt lgkmcnt(1)
	v_cmp_lt_f32_e64 s[26:27], v24, v11
	v_cmp_nlt_f32_e32 vcc, v24, v11
	s_and_saveexec_b64 s[28:29], vcc
	s_cbranch_execz .LBB465_28
; %bb.27:                               ;   in Loop: Header=BB465_18 Depth=1
	v_cmp_eq_f32_e32 vcc, v24, v11
	s_waitcnt lgkmcnt(0)
	v_cmp_lt_i32_e64 s[0:1], v25, v10
	s_and_b64 s[0:1], vcc, s[0:1]
	s_andn2_b64 s[26:27], s[26:27], exec
	s_and_b64 s[0:1], s[0:1], exec
	s_or_b64 s[26:27], s[26:27], s[0:1]
.LBB465_28:                             ;   in Loop: Header=BB465_18 Depth=1
	s_or_b64 exec, exec, s[28:29]
	s_and_saveexec_b64 s[0:1], s[26:27]
	s_cbranch_execz .LBB465_30
; %bb.29:                               ;   in Loop: Header=BB465_18 Depth=1
	v_mov_b32_e32 v24, v11
	s_waitcnt lgkmcnt(0)
	v_mov_b32_e32 v10, v25
.LBB465_30:                             ;   in Loop: Header=BB465_18 Depth=1
	s_or_b64 exec, exec, s[0:1]
	ds_bpermute_b32 v11, v18, v24
	s_waitcnt lgkmcnt(1)
	;; [unrolled: 26-line block ×4, first 2 shown]
	ds_bpermute_b32 v25, v20, v10
	s_waitcnt lgkmcnt(1)
	v_cmp_lt_f32_e64 s[26:27], v24, v11
	v_cmp_nlt_f32_e32 vcc, v24, v11
	s_and_saveexec_b64 s[28:29], vcc
	s_cbranch_execnz .LBB465_41
; %bb.39:                               ;   in Loop: Header=BB465_18 Depth=1
	s_or_b64 exec, exec, s[28:29]
	s_and_saveexec_b64 s[0:1], s[26:27]
	s_cbranch_execnz .LBB465_42
.LBB465_40:                             ;   in Loop: Header=BB465_18 Depth=1
	s_or_b64 exec, exec, s[0:1]
	s_and_saveexec_b64 s[26:27], s[4:5]
	s_cbranch_execz .LBB465_17
	s_branch .LBB465_43
.LBB465_41:                             ;   in Loop: Header=BB465_18 Depth=1
	v_cmp_eq_f32_e32 vcc, v24, v11
	s_waitcnt lgkmcnt(0)
	v_cmp_lt_i32_e64 s[0:1], v25, v10
	s_and_b64 s[0:1], vcc, s[0:1]
	s_andn2_b64 s[26:27], s[26:27], exec
	s_and_b64 s[0:1], s[0:1], exec
	s_or_b64 s[26:27], s[26:27], s[0:1]
	s_or_b64 exec, exec, s[28:29]
	s_and_saveexec_b64 s[0:1], s[26:27]
	s_cbranch_execz .LBB465_40
.LBB465_42:                             ;   in Loop: Header=BB465_18 Depth=1
	s_waitcnt lgkmcnt(0)
	v_mov_b32_e32 v10, v25
	v_mov_b32_e32 v24, v11
	s_or_b64 exec, exec, s[0:1]
	s_and_saveexec_b64 s[26:27], s[4:5]
	s_cbranch_execz .LBB465_17
.LBB465_43:                             ;   in Loop: Header=BB465_18 Depth=1
	s_and_b64 vcc, exec, s[6:7]
	s_cbranch_vccnz .LBB465_16
; %bb.44:                               ;   in Loop: Header=BB465_18 Depth=1
	v_ashrrev_i32_e32 v11, 31, v10
	v_lshl_add_u64 v[26:27], v[10:11], 2, s[10:11]
	global_load_dword v11, v[26:27], off
	s_waitcnt vmcnt(0)
	v_sub_f32_e32 v24, v24, v11
	s_branch .LBB465_16
.LBB465_45:
	v_mov_b32_e32 v7, 0
.LBB465_46:
	v_cmp_eq_u32_e32 vcc, 0, v8
	s_and_b64 exec, exec, vcc
	s_cbranch_execz .LBB465_59
; %bb.47:
	s_andn2_b64 vcc, exec, s[2:3]
	v_cvt_f32_f64_e32 v0, s[8:9]
	s_cbranch_vccnz .LBB465_49
; %bb.48:
	v_cmp_lt_f32_e32 vcc, 0, v7
	s_nop 1
	v_cndmask_b32_e32 v1, 1.0, v7, vcc
	v_div_scale_f32 v2, s[0:1], v1, v1, v0
	v_rcp_f32_e32 v3, v2
	s_nop 0
	v_fma_f32 v4, -v2, v3, 1.0
	v_fmac_f32_e32 v3, v4, v3
	v_div_scale_f32 v4, vcc, v0, v1, v0
	v_mul_f32_e32 v5, v4, v3
	v_fma_f32 v7, -v2, v5, v4
	v_fmac_f32_e32 v5, v7, v3
	v_fma_f32 v2, -v2, v5, v4
	v_div_fmas_f32 v2, v2, v3, v5
	v_div_fixup_f32 v0, v2, v1, v0
.LBB465_49:
	s_andn2_b64 vcc, exec, s[24:25]
	s_cbranch_vccnz .LBB465_59
; %bb.50:
	v_mul_lo_u32 v2, v6, s12
	s_cmp_gt_u32 s12, 3
	v_ashrrev_i32_e32 v3, 31, v2
	s_cbranch_scc0 .LBB465_54
; %bb.51:
	s_and_b32 s0, s12, 0x7ffffffc
	v_lshl_add_u64 v[4:5], v[2:3], 2, s[20:21]
	v_mov_b32_e32 v1, v0
	v_lshl_add_u64 v[4:5], v[4:5], 0, 8
	s_mov_b32 s1, s0
.LBB465_52:                             ; =>This Inner Loop Header: Depth=1
	global_load_dwordx4 v[6:9], v[4:5], off offset:-8
	s_add_i32 s1, s1, -4
	s_cmp_lg_u32 s1, 0
	s_waitcnt vmcnt(0)
	v_pk_mul_f32 v[6:7], v[0:1], v[6:7]
	v_pk_mul_f32 v[8:9], v[0:1], v[8:9]
	global_store_dwordx4 v[4:5], v[6:9], off offset:-8
	v_lshl_add_u64 v[4:5], v[4:5], 0, 16
	s_cbranch_scc1 .LBB465_52
; %bb.53:
	s_cmp_lg_u32 s0, s12
	s_cselect_b64 s[2:3], -1, 0
	s_branch .LBB465_56
.LBB465_54:
	s_mov_b64 s[2:3], 0
                                        ; implicit-def: $sgpr0
	s_cbranch_execz .LBB465_56
; %bb.55:
	s_mov_b64 s[2:3], -1
	s_mov_b32 s0, 0
.LBB465_56:
	s_andn2_b64 vcc, exec, s[2:3]
	s_cbranch_vccnz .LBB465_59
; %bb.57:
	s_mov_b32 s1, 0
	v_lshl_add_u64 v[2:3], v[2:3], 0, s[0:1]
	s_sub_i32 s2, s12, s0
	v_lshl_add_u64 v[2:3], v[2:3], 2, s[20:21]
.LBB465_58:                             ; =>This Inner Loop Header: Depth=1
	global_load_dword v1, v[2:3], off
	s_add_i32 s2, s2, -1
	s_cmp_lg_u32 s2, 0
	s_waitcnt vmcnt(0)
	v_mul_f32_e32 v1, v0, v1
	global_store_dword v[2:3], v1, off
	v_lshl_add_u64 v[2:3], v[2:3], 0, 4
	s_cbranch_scc1 .LBB465_58
.LBB465_59:
	s_endpgm
	.section	.rodata,"a",@progbits
	.p2align	6, 0x0
	.amdhsa_kernel _ZN4vllm3moe22topkGatingSoftplusSqrtILi5ELi320ELi4ELi2ELi64ELb0Ej14__hip_bfloat16EEvPKT6_PKbPfiPT5_PiiiibdPKfPKS9_SF_
		.amdhsa_group_segment_fixed_size 0
		.amdhsa_private_segment_fixed_size 0
		.amdhsa_kernarg_size 96
		.amdhsa_user_sgpr_count 2
		.amdhsa_user_sgpr_dispatch_ptr 0
		.amdhsa_user_sgpr_queue_ptr 0
		.amdhsa_user_sgpr_kernarg_segment_ptr 1
		.amdhsa_user_sgpr_dispatch_id 0
		.amdhsa_user_sgpr_kernarg_preload_length 0
		.amdhsa_user_sgpr_kernarg_preload_offset 0
		.amdhsa_user_sgpr_private_segment_size 0
		.amdhsa_uses_dynamic_stack 0
		.amdhsa_enable_private_segment 0
		.amdhsa_system_sgpr_workgroup_id_x 1
		.amdhsa_system_sgpr_workgroup_id_y 0
		.amdhsa_system_sgpr_workgroup_id_z 0
		.amdhsa_system_sgpr_workgroup_info 0
		.amdhsa_system_vgpr_workitem_id 1
		.amdhsa_next_free_vgpr 30
		.amdhsa_next_free_sgpr 31
		.amdhsa_accum_offset 32
		.amdhsa_reserve_vcc 1
		.amdhsa_float_round_mode_32 0
		.amdhsa_float_round_mode_16_64 0
		.amdhsa_float_denorm_mode_32 3
		.amdhsa_float_denorm_mode_16_64 3
		.amdhsa_dx10_clamp 1
		.amdhsa_ieee_mode 1
		.amdhsa_fp16_overflow 0
		.amdhsa_tg_split 0
		.amdhsa_exception_fp_ieee_invalid_op 0
		.amdhsa_exception_fp_denorm_src 0
		.amdhsa_exception_fp_ieee_div_zero 0
		.amdhsa_exception_fp_ieee_overflow 0
		.amdhsa_exception_fp_ieee_underflow 0
		.amdhsa_exception_fp_ieee_inexact 0
		.amdhsa_exception_int_div_zero 0
	.end_amdhsa_kernel
	.section	.text._ZN4vllm3moe22topkGatingSoftplusSqrtILi5ELi320ELi4ELi2ELi64ELb0Ej14__hip_bfloat16EEvPKT6_PKbPfiPT5_PiiiibdPKfPKS9_SF_,"axG",@progbits,_ZN4vllm3moe22topkGatingSoftplusSqrtILi5ELi320ELi4ELi2ELi64ELb0Ej14__hip_bfloat16EEvPKT6_PKbPfiPT5_PiiiibdPKfPKS9_SF_,comdat
.Lfunc_end465:
	.size	_ZN4vllm3moe22topkGatingSoftplusSqrtILi5ELi320ELi4ELi2ELi64ELb0Ej14__hip_bfloat16EEvPKT6_PKbPfiPT5_PiiiibdPKfPKS9_SF_, .Lfunc_end465-_ZN4vllm3moe22topkGatingSoftplusSqrtILi5ELi320ELi4ELi2ELi64ELb0Ej14__hip_bfloat16EEvPKT6_PKbPfiPT5_PiiiibdPKfPKS9_SF_
                                        ; -- End function
	.section	.AMDGPU.csdata,"",@progbits
; Kernel info:
; codeLenInByte = 3356
; NumSgprs: 37
; NumVgprs: 30
; NumAgprs: 0
; TotalNumVgprs: 30
; ScratchSize: 0
; MemoryBound: 0
; FloatMode: 240
; IeeeMode: 1
; LDSByteSize: 0 bytes/workgroup (compile time only)
; SGPRBlocks: 4
; VGPRBlocks: 3
; NumSGPRsForWavesPerEU: 37
; NumVGPRsForWavesPerEU: 30
; AccumOffset: 32
; Occupancy: 8
; WaveLimiterHint : 1
; COMPUTE_PGM_RSRC2:SCRATCH_EN: 0
; COMPUTE_PGM_RSRC2:USER_SGPR: 2
; COMPUTE_PGM_RSRC2:TRAP_HANDLER: 0
; COMPUTE_PGM_RSRC2:TGID_X_EN: 1
; COMPUTE_PGM_RSRC2:TGID_Y_EN: 0
; COMPUTE_PGM_RSRC2:TGID_Z_EN: 0
; COMPUTE_PGM_RSRC2:TIDIG_COMP_CNT: 1
; COMPUTE_PGM_RSRC3_GFX90A:ACCUM_OFFSET: 7
; COMPUTE_PGM_RSRC3_GFX90A:TG_SPLIT: 0
	.section	.text._ZN4vllm3moe22topkGatingSoftplusSqrtILi10ELi320ELi4ELi2ELi32ELb1Ej14__hip_bfloat16EEvPKT6_PKbPfiPT5_PiiiibdPKfPKS9_SF_,"axG",@progbits,_ZN4vllm3moe22topkGatingSoftplusSqrtILi10ELi320ELi4ELi2ELi32ELb1Ej14__hip_bfloat16EEvPKT6_PKbPfiPT5_PiiiibdPKfPKS9_SF_,comdat
	.protected	_ZN4vllm3moe22topkGatingSoftplusSqrtILi10ELi320ELi4ELi2ELi32ELb1Ej14__hip_bfloat16EEvPKT6_PKbPfiPT5_PiiiibdPKfPKS9_SF_ ; -- Begin function _ZN4vllm3moe22topkGatingSoftplusSqrtILi10ELi320ELi4ELi2ELi32ELb1Ej14__hip_bfloat16EEvPKT6_PKbPfiPT5_PiiiibdPKfPKS9_SF_
	.globl	_ZN4vllm3moe22topkGatingSoftplusSqrtILi10ELi320ELi4ELi2ELi32ELb1Ej14__hip_bfloat16EEvPKT6_PKbPfiPT5_PiiiibdPKfPKS9_SF_
	.p2align	8
	.type	_ZN4vllm3moe22topkGatingSoftplusSqrtILi10ELi320ELi4ELi2ELi32ELb1Ej14__hip_bfloat16EEvPKT6_PKbPfiPT5_PiiiibdPKfPKS9_SF_,@function
_ZN4vllm3moe22topkGatingSoftplusSqrtILi10ELi320ELi4ELi2ELi32ELb1Ej14__hip_bfloat16EEvPKT6_PKbPfiPT5_PiiiibdPKfPKS9_SF_: ; @_ZN4vllm3moe22topkGatingSoftplusSqrtILi10ELi320ELi4ELi2ELi32ELb1Ej14__hip_bfloat16EEvPKT6_PKbPfiPT5_PiiiibdPKfPKS9_SF_
; %bb.0:
	s_load_dword s3, s[0:1], 0x18
	v_and_b32_e32 v1, 0x3ff, v0
	s_lshl_b32 s2, s2, 2
	v_lshrrev_b32_e32 v2, 5, v1
	v_bfe_u32 v0, v0, 10, 10
	v_add3_u32 v10, s2, v0, v2
	s_waitcnt lgkmcnt(0)
	v_cmp_gt_i32_e32 vcc, s3, v10
	s_and_saveexec_b64 s[2:3], vcc
	s_cbranch_execz .LBB466_32
; %bb.1:
	s_load_dwordx2 s[2:3], s[0:1], 0x0
	s_load_dword s19, s[0:1], 0x30
	s_movk_i32 s4, 0x140
	v_mul_lo_u32 v2, v10, s4
	v_ashrrev_i32_e32 v3, 31, v2
	v_and_b32_e32 v20, 31, v1
	s_waitcnt lgkmcnt(0)
	v_lshl_add_u64 v[2:3], v[2:3], 1, s[2:3]
	v_lshlrev_b32_e32 v12, 1, v20
	v_mov_b32_e32 v13, 0
	v_lshl_add_u64 v[4:5], v[2:3], 0, v[12:13]
	s_load_dwordx4 s[8:11], s[0:1], 0x50
	global_load_ushort v2, v[4:5], off offset:64
	global_load_ushort v3, v[4:5], off
	global_load_ushort v6, v[4:5], off offset:192
	global_load_ushort v7, v[4:5], off offset:128
	v_ashrrev_i32_e32 v11, 31, v10
	s_mov_b32 s17, 0x800000
	v_mov_b32_e32 v9, 0x4f800000
	s_waitcnt lgkmcnt(0)
	v_mov_b32_e32 v0, s8
	v_mov_b32_e32 v1, s9
	v_lshl_add_u64 v[0:1], v[10:11], 2, v[0:1]
	global_load_dword v11, v[0:1], off
	global_load_ushort v14, v[4:5], off offset:256
	global_load_ushort v15, v[4:5], off offset:320
	;; [unrolled: 1-line block ×4, first 2 shown]
	s_mov_b32 s16, 0x3f317217
	s_mov_b32 s15, 0x7f800000
	v_mov_b32_e32 v8, 0x41b17218
	s_mov_b32 s14, 0x41a00000
	s_mov_b32 s13, 0xf800000
	v_mov_b32_e32 v21, 0x260
	s_cmp_gt_i32 s19, 0
	s_mov_b32 s12, 0
	v_mul_lo_u32 v10, v10, s19
	s_waitcnt vmcnt(8)
	v_lshlrev_b32_e32 v18, 16, v2
	s_waitcnt vmcnt(7)
	v_lshlrev_b32_e32 v19, 16, v3
	v_mul_f32_e32 v0, 0x3fb8aa3b, v19
	v_mul_f32_e32 v1, 0x3fb8aa3b, v18
	v_exp_f32_e32 v0, v0
	v_exp_f32_e32 v1, v1
	s_waitcnt vmcnt(6)
	v_lshlrev_b32_e32 v6, 16, v6
	s_waitcnt vmcnt(5)
	v_lshlrev_b32_e32 v7, 16, v7
	v_mul_f32_e32 v2, 0x3fb8aa3b, v7
	v_mul_f32_e32 v3, 0x3fb8aa3b, v6
	v_pk_add_f32 v[0:1], v[0:1], 1.0 op_sel_hi:[1,0]
	v_exp_f32_e32 v2, v2
	v_exp_f32_e32 v3, v3
	v_cmp_gt_f32_e32 vcc, s17, v1
	s_waitcnt vmcnt(4)
	v_mul_lo_u32 v12, v11, s19
	v_cmp_gt_f32_e64 s[2:3], s17, v0
	v_cndmask_b32_e32 v11, 1.0, v9, vcc
	v_mul_f32_e32 v1, v1, v11
	v_cndmask_b32_e64 v22, 1.0, v9, s[2:3]
	v_mul_f32_e32 v0, v0, v22
	v_log_f32_e32 v1, v1
	v_pk_add_f32 v[2:3], v[2:3], 1.0 op_sel_hi:[1,0]
	v_log_f32_e32 v0, v0
	v_cmp_gt_f32_e64 s[4:5], s17, v3
	v_cmp_gt_f32_e64 s[6:7], s17, v2
	v_cndmask_b32_e32 v11, 0, v8, vcc
	v_cndmask_b32_e64 v23, 1.0, v9, s[4:5]
	v_cndmask_b32_e64 v24, 1.0, v9, s[6:7]
	v_mul_f32_e32 v3, v3, v23
	v_mul_f32_e32 v23, 0x3f317217, v1
	;; [unrolled: 1-line block ×4, first 2 shown]
	v_fma_f32 v23, v1, s16, -v23
	v_fma_f32 v24, v0, s16, -v24
	v_fmac_f32_e32 v23, 0x3377d1cf, v1
	v_fmac_f32_e32 v24, 0x3377d1cf, v0
	;; [unrolled: 1-line block ×3, first 2 shown]
	v_cmp_lt_f32_e64 vcc, |v1|, s15
	v_fmac_f32_e32 v24, 0x3f317217, v0
	v_cndmask_b32_e64 v22, 0, v8, s[2:3]
	v_cndmask_b32_e32 v1, v1, v23, vcc
	v_cmp_lt_f32_e64 vcc, |v0|, s15
	v_sub_f32_e32 v1, v1, v11
	v_log_f32_e32 v3, v3
	v_cndmask_b32_e32 v0, v0, v24, vcc
	v_sub_f32_e32 v0, v0, v22
	v_cmp_lt_f32_e32 vcc, s14, v19
	v_mul_f32_e32 v25, 0x3f317217, v3
	v_log_f32_e32 v2, v2
	v_cndmask_b32_e32 v0, v0, v19, vcc
	v_cmp_lt_f32_e32 vcc, s14, v18
	v_cmp_gt_f32_e64 s[2:3], s13, v0
	v_fma_f32 v25, v3, s16, -v25
	v_cndmask_b32_e32 v1, v1, v18, vcc
	v_mul_f32_e32 v11, 0x4f800000, v1
	v_cmp_gt_f32_e32 vcc, s13, v1
	v_mul_f32_e32 v18, 0x4f800000, v0
	v_cndmask_b32_e64 v0, v0, v18, s[2:3]
	v_cndmask_b32_e32 v1, v1, v11, vcc
	v_sqrt_f32_e32 v11, v1
	v_sqrt_f32_e32 v18, v0
	v_fmac_f32_e32 v25, 0x3377d1cf, v3
	v_fmac_f32_e32 v25, 0x3f317217, v3
	v_add_u32_e32 v19, -1, v11
	v_add_u32_e32 v23, -1, v18
	v_fma_f32 v26, -v19, v11, v1
	v_add_u32_e32 v22, 1, v11
	v_fma_f32 v28, -v23, v18, v0
	v_cmp_ge_f32_e64 s[8:9], 0, v26
	v_add_u32_e32 v24, 1, v18
	v_fma_f32 v27, -v22, v11, v1
	v_cndmask_b32_e64 v11, v11, v19, s[8:9]
	v_cmp_ge_f32_e64 s[8:9], 0, v28
	v_fma_f32 v29, -v24, v18, v0
	s_waitcnt vmcnt(2)
	v_lshlrev_b32_e32 v15, 16, v15
	v_cndmask_b32_e64 v18, v18, v23, s[8:9]
	v_cmp_lt_f32_e64 s[8:9], 0, v27
	v_lshlrev_b32_e32 v14, 16, v14
	s_waitcnt vmcnt(0)
	v_lshlrev_b32_e32 v17, 16, v17
	v_cndmask_b32_e64 v11, v11, v22, s[8:9]
	v_cmp_lt_f32_e64 s[8:9], 0, v29
	v_mul_f32_e32 v19, 0x37800000, v11
	v_cndmask_b32_e32 v11, v11, v19, vcc
	v_cndmask_b32_e64 v18, v18, v24, s[8:9]
	v_mul_f32_e32 v22, 0x37800000, v18
	v_cmp_class_f32_e32 vcc, v1, v21
	v_cndmask_b32_e64 v18, v18, v22, s[2:3]
	v_cmp_lt_f32_e64 s[2:3], s14, v7
	v_cndmask_b32_e32 v1, v11, v1, vcc
	v_cmp_class_f32_e32 vcc, v0, v21
	v_cndmask_b32_e64 v11, 0, v8, s[4:5]
	v_lshlrev_b32_e32 v16, 16, v16
	v_cndmask_b32_e32 v0, v18, v0, vcc
	v_cmp_lt_f32_e64 vcc, |v3|, s15
	s_nop 1
	v_cndmask_b32_e32 v3, v3, v25, vcc
	v_sub_f32_e32 v3, v3, v11
	v_mul_f32_e32 v11, 0x3f317217, v2
	v_fma_f32 v11, v2, s16, -v11
	v_fmac_f32_e32 v11, 0x3377d1cf, v2
	v_fmac_f32_e32 v11, 0x3f317217, v2
	v_cmp_lt_f32_e64 vcc, |v2|, s15
	s_nop 1
	v_cndmask_b32_e32 v2, v2, v11, vcc
	v_cmp_lt_f32_e32 vcc, s14, v6
	v_cndmask_b32_e64 v11, 0, v8, s[6:7]
	v_sub_f32_e32 v2, v2, v11
	v_cndmask_b32_e32 v3, v3, v6, vcc
	v_mul_f32_e32 v6, 0x4f800000, v3
	v_cmp_gt_f32_e32 vcc, s13, v3
	v_cndmask_b32_e64 v2, v2, v7, s[2:3]
	s_nop 0
	v_cndmask_b32_e32 v3, v3, v6, vcc
	v_sqrt_f32_e32 v6, v3
	s_nop 0
	v_add_u32_e32 v7, -1, v6
	v_fma_f32 v11, -v7, v6, v3
	v_cmp_ge_f32_e64 s[2:3], 0, v11
	v_add_u32_e32 v11, 1, v6
	s_nop 0
	v_cndmask_b32_e64 v7, v6, v7, s[2:3]
	v_fma_f32 v6, -v11, v6, v3
	v_cmp_lt_f32_e64 s[2:3], 0, v6
	s_nop 1
	v_cndmask_b32_e64 v6, v7, v11, s[2:3]
	v_mul_f32_e32 v11, 0x4f800000, v2
	v_cmp_gt_f32_e64 s[2:3], s13, v2
	v_mul_f32_e32 v7, 0x37800000, v6
	v_cndmask_b32_e32 v6, v6, v7, vcc
	v_cndmask_b32_e64 v2, v2, v11, s[2:3]
	v_sqrt_f32_e32 v11, v2
	v_cmp_class_f32_e32 vcc, v3, v21
	v_add_u32_e32 v19, 1, v11
	s_nop 0
	v_cndmask_b32_e32 v3, v6, v3, vcc
	v_add_u32_e32 v6, -1, v11
	v_fma_f32 v7, -v6, v11, v2
	v_cmp_ge_f32_e32 vcc, 0, v7
	v_mul_f32_e32 v7, 0x3fb8aa3b, v15
	v_exp_f32_e32 v7, v7
	v_cndmask_b32_e32 v18, v11, v6, vcc
	v_mul_f32_e32 v6, 0x3fb8aa3b, v14
	v_fma_f32 v11, -v19, v11, v2
	v_exp_f32_e32 v6, v6
	v_cmp_lt_f32_e32 vcc, 0, v11
	v_pk_add_f32 v[6:7], v[6:7], 1.0 op_sel_hi:[1,0]
	s_nop 0
	v_cndmask_b32_e32 v11, v18, v19, vcc
	v_mul_f32_e32 v18, 0x37800000, v11
	v_cndmask_b32_e64 v11, v11, v18, s[2:3]
	v_cmp_class_f32_e64 s[2:3], v2, v21
	v_cmp_gt_f32_e32 vcc, s17, v7
	s_nop 0
	v_cndmask_b32_e64 v2, v11, v2, s[2:3]
	v_cmp_gt_f32_e64 s[2:3], s17, v6
	v_cndmask_b32_e32 v19, 1.0, v9, vcc
	v_mul_f32_e32 v7, v7, v19
	v_cndmask_b32_e64 v18, 1.0, v9, s[2:3]
	v_mul_f32_e32 v6, v6, v18
	global_load_ushort v18, v[4:5], off offset:512
	global_load_ushort v19, v[4:5], off offset:576
	v_log_f32_e32 v7, v7
	v_log_f32_e32 v6, v6
	v_mul_f32_e32 v11, 0x3f317217, v7
	v_fma_f32 v11, v7, s16, -v11
	v_fmac_f32_e32 v11, 0x3377d1cf, v7
	v_fmac_f32_e32 v11, 0x3f317217, v7
	v_cmp_lt_f32_e64 s[4:5], |v7|, s15
	s_waitcnt vmcnt(1)
	v_lshlrev_b32_e32 v18, 16, v18
	v_cndmask_b32_e64 v7, v7, v11, s[4:5]
	v_cndmask_b32_e32 v11, 0, v8, vcc
	v_sub_f32_e32 v7, v7, v11
	v_mul_f32_e32 v11, 0x3f317217, v6
	v_fma_f32 v11, v6, s16, -v11
	v_fmac_f32_e32 v11, 0x3377d1cf, v6
	v_fmac_f32_e32 v11, 0x3f317217, v6
	v_cmp_lt_f32_e64 vcc, |v6|, s15
	s_waitcnt vmcnt(0)
	v_lshlrev_b32_e32 v19, 16, v19
	v_cndmask_b32_e32 v6, v6, v11, vcc
	v_cmp_lt_f32_e32 vcc, s14, v15
	v_cndmask_b32_e64 v11, 0, v8, s[2:3]
	v_sub_f32_e32 v6, v6, v11
	v_cndmask_b32_e32 v7, v7, v15, vcc
	v_mul_f32_e32 v15, 0x4f800000, v7
	v_cmp_gt_f32_e32 vcc, s13, v7
	v_cmp_lt_f32_e64 s[2:3], s14, v14
	s_nop 0
	v_cndmask_b32_e32 v7, v7, v15, vcc
	v_sqrt_f32_e32 v15, v7
	v_cndmask_b32_e64 v6, v6, v14, s[2:3]
	v_add_u32_e32 v11, -1, v15
	v_fma_f32 v14, -v11, v15, v7
	v_cmp_ge_f32_e64 s[2:3], 0, v14
	v_add_u32_e32 v14, 1, v15
	s_nop 0
	v_cndmask_b32_e64 v11, v15, v11, s[2:3]
	v_fma_f32 v15, -v14, v15, v7
	v_cmp_lt_f32_e64 s[2:3], 0, v15
	v_mul_f32_e32 v15, 0x4f800000, v6
	s_nop 0
	v_cndmask_b32_e64 v11, v11, v14, s[2:3]
	v_cmp_gt_f32_e64 s[2:3], s13, v6
	v_mul_f32_e32 v14, 0x37800000, v11
	v_cndmask_b32_e32 v5, v11, v14, vcc
	v_cndmask_b32_e64 v4, v6, v15, s[2:3]
	v_sqrt_f32_e32 v6, v4
	v_cmp_class_f32_e32 vcc, v7, v21
	v_add_u32_e32 v14, 1, v6
	s_nop 0
	v_cndmask_b32_e32 v5, v5, v7, vcc
	v_add_u32_e32 v7, -1, v6
	v_fma_f32 v11, -v7, v6, v4
	v_cmp_ge_f32_e32 vcc, 0, v11
	v_fma_f32 v15, -v14, v6, v4
	s_nop 0
	v_cndmask_b32_e32 v11, v6, v7, vcc
	v_mul_f32_e32 v6, 0x3fb8aa3b, v16
	v_mul_f32_e32 v7, 0x3fb8aa3b, v17
	v_exp_f32_e32 v6, v6
	v_exp_f32_e32 v7, v7
	v_cmp_lt_f32_e32 vcc, 0, v15
	v_pk_add_f32 v[6:7], v[6:7], 1.0 op_sel_hi:[1,0]
	s_nop 0
	v_cndmask_b32_e32 v11, v11, v14, vcc
	v_cmp_gt_f32_e32 vcc, s17, v7
	v_mul_f32_e32 v14, 0x37800000, v11
	v_cndmask_b32_e64 v11, v11, v14, s[2:3]
	v_cndmask_b32_e32 v15, 1.0, v9, vcc
	v_mul_f32_e32 v7, v7, v15
	v_log_f32_e32 v7, v7
	v_cmp_class_f32_e64 s[2:3], v4, v21
	v_cmp_lt_f32_e64 s[4:5], |v7|, s15
	s_nop 0
	v_cndmask_b32_e64 v4, v11, v4, s[2:3]
	v_cmp_gt_f32_e64 s[2:3], s17, v6
	v_mul_f32_e32 v11, 0x3f317217, v7
	v_fma_f32 v11, v7, s16, -v11
	v_cndmask_b32_e64 v14, 1.0, v9, s[2:3]
	v_mul_f32_e32 v6, v6, v14
	v_log_f32_e32 v6, v6
	v_fmac_f32_e32 v11, 0x3377d1cf, v7
	v_fmac_f32_e32 v11, 0x3f317217, v7
	v_cndmask_b32_e64 v7, v7, v11, s[4:5]
	v_cndmask_b32_e32 v11, 0, v8, vcc
	v_sub_f32_e32 v7, v7, v11
	v_mul_f32_e32 v11, 0x3f317217, v6
	v_fma_f32 v11, v6, s16, -v11
	v_fmac_f32_e32 v11, 0x3377d1cf, v6
	v_fmac_f32_e32 v11, 0x3f317217, v6
	v_cmp_lt_f32_e64 vcc, |v6|, s15
	s_nop 1
	v_cndmask_b32_e32 v6, v6, v11, vcc
	v_cmp_lt_f32_e32 vcc, s14, v17
	v_cndmask_b32_e64 v11, 0, v8, s[2:3]
	v_sub_f32_e32 v6, v6, v11
	v_cndmask_b32_e32 v7, v7, v17, vcc
	v_mul_f32_e32 v14, 0x4f800000, v7
	v_cmp_gt_f32_e32 vcc, s13, v7
	v_cmp_lt_f32_e64 s[2:3], s14, v16
	s_nop 0
	v_cndmask_b32_e32 v7, v7, v14, vcc
	v_sqrt_f32_e32 v14, v7
	v_cndmask_b32_e64 v6, v6, v16, s[2:3]
	v_add_u32_e32 v11, -1, v14
	v_fma_f32 v15, -v11, v14, v7
	v_cmp_ge_f32_e64 s[2:3], 0, v15
	v_add_u32_e32 v15, 1, v14
	s_nop 0
	v_cndmask_b32_e64 v11, v14, v11, s[2:3]
	v_fma_f32 v14, -v15, v14, v7
	v_cmp_lt_f32_e64 s[2:3], 0, v14
	s_nop 1
	v_cndmask_b32_e64 v11, v11, v15, s[2:3]
	v_mul_f32_e32 v15, 0x4f800000, v6
	v_cmp_gt_f32_e64 s[2:3], s13, v6
	v_mul_f32_e32 v14, 0x37800000, v11
	v_cndmask_b32_e32 v11, v11, v14, vcc
	v_cndmask_b32_e64 v6, v6, v15, s[2:3]
	v_sqrt_f32_e32 v15, v6
	v_cmp_class_f32_e32 vcc, v7, v21
	v_add_u32_e32 v16, 1, v15
	s_nop 0
	v_cndmask_b32_e32 v7, v11, v7, vcc
	v_add_u32_e32 v11, -1, v15
	v_fma_f32 v14, -v11, v15, v6
	v_cmp_ge_f32_e32 vcc, 0, v14
	v_fma_f32 v17, -v16, v15, v6
	v_mul_f32_e32 v14, 0x3fb8aa3b, v18
	v_cndmask_b32_e32 v11, v15, v11, vcc
	v_mul_f32_e32 v15, 0x3fb8aa3b, v19
	v_exp_f32_e32 v14, v14
	v_exp_f32_e32 v15, v15
	v_cmp_lt_f32_e32 vcc, 0, v17
	v_pk_add_f32 v[14:15], v[14:15], 1.0 op_sel_hi:[1,0]
	s_nop 0
	v_cndmask_b32_e32 v11, v11, v16, vcc
	v_cmp_gt_f32_e32 vcc, s17, v15
	v_mul_f32_e32 v16, 0x37800000, v11
	v_cndmask_b32_e64 v11, v11, v16, s[2:3]
	v_cndmask_b32_e32 v17, 1.0, v9, vcc
	v_mul_f32_e32 v15, v15, v17
	v_log_f32_e32 v15, v15
	v_cmp_class_f32_e64 s[2:3], v6, v21
	v_cmp_lt_f32_e64 s[4:5], |v15|, s15
	s_nop 0
	v_cndmask_b32_e64 v6, v11, v6, s[2:3]
	v_cmp_gt_f32_e64 s[2:3], s17, v14
	v_mul_f32_e32 v11, 0x3f317217, v15
	v_fma_f32 v11, v15, s16, -v11
	v_cndmask_b32_e64 v9, 1.0, v9, s[2:3]
	v_mul_f32_e32 v9, v14, v9
	v_log_f32_e32 v9, v9
	v_fmac_f32_e32 v11, 0x3377d1cf, v15
	v_fmac_f32_e32 v11, 0x3f317217, v15
	v_cndmask_b32_e64 v11, v15, v11, s[4:5]
	v_cndmask_b32_e32 v14, 0, v8, vcc
	v_sub_f32_e32 v11, v11, v14
	v_mul_f32_e32 v14, 0x3f317217, v9
	v_fma_f32 v14, v9, s16, -v14
	v_fmac_f32_e32 v14, 0x3377d1cf, v9
	v_fmac_f32_e32 v14, 0x3f317217, v9
	v_cmp_lt_f32_e64 vcc, |v9|, s15
	v_cndmask_b32_e64 v8, 0, v8, s[2:3]
	v_cmp_lt_f32_e64 s[2:3], s14, v18
	v_cndmask_b32_e32 v9, v9, v14, vcc
	v_cmp_lt_f32_e32 vcc, s14, v19
	v_sub_f32_e32 v8, v9, v8
	v_cndmask_b32_e64 v8, v8, v18, s[2:3]
	v_cndmask_b32_e32 v11, v11, v19, vcc
	v_mul_f32_e32 v14, 0x4f800000, v11
	v_cmp_gt_f32_e32 vcc, s13, v11
	s_cselect_b64 s[4:5], -1, 0
	s_cmp_lt_i32 s19, 1
	v_cndmask_b32_e32 v11, v11, v14, vcc
	v_sqrt_f32_e32 v14, v11
	s_nop 0
	v_add_u32_e32 v9, -1, v14
	v_fma_f32 v15, -v9, v14, v11
	v_cmp_ge_f32_e64 s[2:3], 0, v15
	v_add_u32_e32 v15, 1, v14
	s_nop 0
	v_cndmask_b32_e64 v9, v14, v9, s[2:3]
	v_fma_f32 v14, -v15, v14, v11
	v_cmp_lt_f32_e64 s[2:3], 0, v14
	s_nop 1
	v_cndmask_b32_e64 v9, v9, v15, s[2:3]
	v_mul_f32_e32 v15, 0x4f800000, v8
	v_cmp_gt_f32_e64 s[2:3], s13, v8
	v_mul_f32_e32 v14, 0x37800000, v9
	v_cndmask_b32_e32 v9, v9, v14, vcc
	v_cndmask_b32_e64 v8, v8, v15, s[2:3]
	v_sqrt_f32_e32 v15, v8
	v_cmp_class_f32_e32 vcc, v11, v21
	s_nop 1
	v_cndmask_b32_e32 v9, v9, v11, vcc
	v_add_u32_e32 v11, -1, v15
	v_fma_f32 v14, -v11, v15, v8
	v_cmp_ge_f32_e32 vcc, 0, v14
	v_add_u32_e32 v14, 1, v15
	s_nop 0
	v_cndmask_b32_e32 v11, v15, v11, vcc
	v_fma_f32 v15, -v14, v15, v8
	v_cmp_lt_f32_e32 vcc, 0, v15
	s_nop 1
	v_cndmask_b32_e32 v11, v11, v14, vcc
	v_mul_f32_e32 v14, 0x37800000, v11
	v_cndmask_b32_e64 v11, v11, v14, s[2:3]
	v_cmp_class_f32_e32 vcc, v8, v21
	v_lshl_add_u64 v[14:15], v[12:13], 2, s[10:11]
	s_nop 0
	v_cndmask_b32_e32 v8, v11, v8, vcc
	s_cbranch_scc1 .LBB466_29
; %bb.2:
	s_load_dwordx2 s[6:7], s[0:1], 0x20
	s_cmp_lt_u32 s19, 4
	s_cbranch_scc1 .LBB466_21
; %bb.3:
	s_mov_b32 s9, 0
	s_and_b32 s12, s19, 0x7ffffffc
	v_ashrrev_i32_e32 v11, 31, v10
	v_mov_b32_e32 v13, 0
	s_mov_b32 s8, s9
	s_branch .LBB466_5
.LBB466_4:                              ;   in Loop: Header=BB466_5 Depth=1
	s_or_b64 exec, exec, s[10:11]
	s_add_i32 s8, s8, 4
	s_cmp_eq_u32 s8, s12
	s_cbranch_scc1 .LBB466_22
.LBB466_5:                              ; =>This Loop Header: Depth=1
                                        ;     Child Loop BB466_7 Depth 2
                                        ;     Child Loop BB466_11 Depth 2
                                        ;     Child Loop BB466_15 Depth 2
                                        ;     Child Loop BB466_19 Depth 2
	v_lshl_add_u64 v[16:17], s[8:9], 2, v[14:15]
	global_load_dword v12, v[16:17], off
	v_add_u32_e32 v18, s8, v10
	v_ashrrev_i32_e32 v19, 31, v18
	s_waitcnt lgkmcnt(0)
	v_lshl_add_u64 v[18:19], v[18:19], 2, s[6:7]
	s_mov_b64 s[10:11], 0
	v_mov_b32_e32 v21, v20
	s_mov_b64 s[14:15], 0
	s_waitcnt vmcnt(0)
	s_branch .LBB466_7
.LBB466_6:                              ;   in Loop: Header=BB466_7 Depth=2
	s_or_b64 exec, exec, s[16:17]
	s_cmp_gt_u32 s14, 8
	s_cselect_b64 s[2:3], -1, 0
	s_xor_b64 s[16:17], vcc, -1
	s_or_b64 s[2:3], s[16:17], s[2:3]
	s_add_u32 s14, s14, 1
	s_addc_u32 s15, s15, 0
	s_and_b64 s[2:3], exec, s[2:3]
	s_or_b64 s[10:11], s[2:3], s[10:11]
	v_add_u32_e32 v21, 32, v21
	s_andn2_b64 exec, exec, s[10:11]
	s_cbranch_execz .LBB466_9
.LBB466_7:                              ;   Parent Loop BB466_5 Depth=1
                                        ; =>  This Inner Loop Header: Depth=2
	v_cmp_ne_u32_e32 vcc, v12, v21
	v_cmp_eq_u32_e64 s[2:3], v12, v21
	s_and_saveexec_b64 s[16:17], s[2:3]
	s_cbranch_execz .LBB466_6
; %bb.8:                                ;   in Loop: Header=BB466_7 Depth=2
	s_set_gpr_idx_on s14, gpr_idx(SRC0)
	v_mov_b32_e32 v22, v0
	s_set_gpr_idx_off
	v_add_f32_e32 v13, v13, v22
	global_store_dword v[18:19], v12, off
	s_branch .LBB466_6
.LBB466_9:                              ;   in Loop: Header=BB466_5 Depth=1
	s_or_b64 exec, exec, s[10:11]
	global_load_dword v12, v[16:17], off offset:4
	s_ashr_i32 s3, s8, 31
	s_mov_b32 s2, s8
	v_lshl_add_u64 v[18:19], s[2:3], 0, v[10:11]
	v_lshl_add_u64 v[18:19], v[18:19], 2, s[6:7]
	s_mov_b64 s[10:11], 0
	v_mov_b32_e32 v21, v20
	s_mov_b64 s[14:15], 0
	s_waitcnt vmcnt(0)
	s_branch .LBB466_11
.LBB466_10:                             ;   in Loop: Header=BB466_11 Depth=2
	s_or_b64 exec, exec, s[16:17]
	s_cmp_gt_u32 s14, 8
	s_cselect_b64 s[2:3], -1, 0
	s_xor_b64 s[16:17], vcc, -1
	s_or_b64 s[2:3], s[16:17], s[2:3]
	s_add_u32 s14, s14, 1
	s_addc_u32 s15, s15, 0
	s_and_b64 s[2:3], exec, s[2:3]
	s_or_b64 s[10:11], s[2:3], s[10:11]
	v_add_u32_e32 v21, 32, v21
	s_andn2_b64 exec, exec, s[10:11]
	s_cbranch_execz .LBB466_13
.LBB466_11:                             ;   Parent Loop BB466_5 Depth=1
                                        ; =>  This Inner Loop Header: Depth=2
	v_cmp_ne_u32_e32 vcc, v12, v21
	v_cmp_eq_u32_e64 s[2:3], v12, v21
	s_and_saveexec_b64 s[16:17], s[2:3]
	s_cbranch_execz .LBB466_10
; %bb.12:                               ;   in Loop: Header=BB466_11 Depth=2
	s_set_gpr_idx_on s14, gpr_idx(SRC0)
	v_mov_b32_e32 v22, v0
	s_set_gpr_idx_off
	v_add_f32_e32 v13, v13, v22
	global_store_dword v[18:19], v12, off offset:4
	s_branch .LBB466_10
.LBB466_13:                             ;   in Loop: Header=BB466_5 Depth=1
	s_or_b64 exec, exec, s[10:11]
	global_load_dword v12, v[16:17], off offset:8
	s_mov_b64 s[10:11], 0
	v_mov_b32_e32 v21, v20
	s_mov_b64 s[14:15], 0
	s_waitcnt vmcnt(0)
	s_branch .LBB466_15
.LBB466_14:                             ;   in Loop: Header=BB466_15 Depth=2
	s_or_b64 exec, exec, s[16:17]
	s_cmp_gt_u32 s14, 8
	s_cselect_b64 s[2:3], -1, 0
	s_xor_b64 s[16:17], vcc, -1
	s_or_b64 s[2:3], s[16:17], s[2:3]
	s_add_u32 s14, s14, 1
	s_addc_u32 s15, s15, 0
	s_and_b64 s[2:3], exec, s[2:3]
	s_or_b64 s[10:11], s[2:3], s[10:11]
	v_add_u32_e32 v21, 32, v21
	s_andn2_b64 exec, exec, s[10:11]
	s_cbranch_execz .LBB466_17
.LBB466_15:                             ;   Parent Loop BB466_5 Depth=1
                                        ; =>  This Inner Loop Header: Depth=2
	v_cmp_ne_u32_e32 vcc, v12, v21
	v_cmp_eq_u32_e64 s[2:3], v12, v21
	s_and_saveexec_b64 s[16:17], s[2:3]
	s_cbranch_execz .LBB466_14
; %bb.16:                               ;   in Loop: Header=BB466_15 Depth=2
	s_set_gpr_idx_on s14, gpr_idx(SRC0)
	v_mov_b32_e32 v22, v0
	s_set_gpr_idx_off
	v_add_f32_e32 v13, v13, v22
	global_store_dword v[18:19], v12, off offset:8
	s_branch .LBB466_14
.LBB466_17:                             ;   in Loop: Header=BB466_5 Depth=1
	s_or_b64 exec, exec, s[10:11]
	global_load_dword v12, v[16:17], off offset:12
	s_mov_b64 s[10:11], 0
	v_mov_b32_e32 v16, v20
	s_mov_b64 s[14:15], 0
	s_waitcnt vmcnt(0)
	s_branch .LBB466_19
.LBB466_18:                             ;   in Loop: Header=BB466_19 Depth=2
	s_or_b64 exec, exec, s[16:17]
	s_cmp_gt_u32 s14, 8
	s_cselect_b64 s[2:3], -1, 0
	s_xor_b64 s[16:17], vcc, -1
	s_or_b64 s[2:3], s[16:17], s[2:3]
	s_add_u32 s14, s14, 1
	s_addc_u32 s15, s15, 0
	s_and_b64 s[2:3], exec, s[2:3]
	s_or_b64 s[10:11], s[2:3], s[10:11]
	v_add_u32_e32 v16, 32, v16
	s_andn2_b64 exec, exec, s[10:11]
	s_cbranch_execz .LBB466_4
.LBB466_19:                             ;   Parent Loop BB466_5 Depth=1
                                        ; =>  This Inner Loop Header: Depth=2
	v_cmp_ne_u32_e32 vcc, v12, v16
	v_cmp_eq_u32_e64 s[2:3], v12, v16
	s_and_saveexec_b64 s[16:17], s[2:3]
	s_cbranch_execz .LBB466_18
; %bb.20:                               ;   in Loop: Header=BB466_19 Depth=2
	s_set_gpr_idx_on s14, gpr_idx(SRC0)
	v_mov_b32_e32 v17, v0
	s_set_gpr_idx_off
	v_add_f32_e32 v13, v13, v17
	global_store_dword v[18:19], v12, off offset:12
	s_branch .LBB466_18
.LBB466_21:
	v_mov_b32_e32 v13, 0
.LBB466_22:
	s_and_b32 s16, s19, 3
	s_cmp_eq_u32 s16, 0
	s_mov_b32 s13, 0
	s_cbranch_scc1 .LBB466_29
; %bb.23:
	s_mov_b32 s17, s13
	s_branch .LBB466_25
.LBB466_24:                             ;   in Loop: Header=BB466_25 Depth=1
	s_or_b64 exec, exec, s[8:9]
	s_add_i32 s12, s12, 1
	s_add_i32 s17, s17, 1
	s_cmp_lg_u32 s17, s16
	s_cbranch_scc0 .LBB466_29
.LBB466_25:                             ; =>This Loop Header: Depth=1
                                        ;     Child Loop BB466_27 Depth 2
	v_lshl_add_u64 v[16:17], s[12:13], 2, v[14:15]
	global_load_dword v11, v[16:17], off
	v_add_u32_e32 v16, s12, v10
	v_ashrrev_i32_e32 v17, 31, v16
	s_waitcnt lgkmcnt(0)
	v_lshl_add_u64 v[16:17], v[16:17], 2, s[6:7]
	s_mov_b64 s[8:9], 0
	v_mov_b32_e32 v12, v20
	s_mov_b64 s[10:11], 0
	s_waitcnt vmcnt(0)
	s_branch .LBB466_27
.LBB466_26:                             ;   in Loop: Header=BB466_27 Depth=2
	s_or_b64 exec, exec, s[14:15]
	s_cmp_gt_u32 s10, 8
	s_cselect_b64 s[2:3], -1, 0
	s_xor_b64 s[14:15], vcc, -1
	s_or_b64 s[2:3], s[14:15], s[2:3]
	s_add_u32 s10, s10, 1
	s_addc_u32 s11, s11, 0
	s_and_b64 s[2:3], exec, s[2:3]
	s_or_b64 s[8:9], s[2:3], s[8:9]
	v_add_u32_e32 v12, 32, v12
	s_andn2_b64 exec, exec, s[8:9]
	s_cbranch_execz .LBB466_24
.LBB466_27:                             ;   Parent Loop BB466_25 Depth=1
                                        ; =>  This Inner Loop Header: Depth=2
	v_cmp_ne_u32_e32 vcc, v11, v12
	v_cmp_eq_u32_e64 s[2:3], v11, v12
	s_and_saveexec_b64 s[14:15], s[2:3]
	s_cbranch_execz .LBB466_26
; %bb.28:                               ;   in Loop: Header=BB466_27 Depth=2
	s_set_gpr_idx_on s10, gpr_idx(SRC0)
	v_mov_b32_e32 v18, v0
	s_set_gpr_idx_off
	v_add_f32_e32 v13, v13, v18
	global_store_dword v[16:17], v11, off
	s_branch .LBB466_26
.LBB466_29:
	s_waitcnt lgkmcnt(0)
	s_load_dword s6, s[0:1], 0x3c
	s_waitcnt lgkmcnt(0)
	s_bitcmp1_b32 s6, 0
	s_cselect_b64 s[2:3], -1, 0
	s_bitcmp0_b32 s6, 0
	s_cbranch_scc0 .LBB466_33
; %bb.30:
	s_load_dwordx2 s[6:7], s[0:1], 0x40
	s_andn2_b64 vcc, exec, s[2:3]
	s_waitcnt lgkmcnt(0)
	v_cvt_f32_f64_e32 v21, s[6:7]
	s_cbranch_vccz .LBB466_34
.LBB466_31:
	s_andn2_b64 vcc, exec, s[4:5]
	s_cbranch_vccz .LBB466_35
.LBB466_32:
	s_endpgm
.LBB466_33:
	v_mbcnt_lo_u32_b32 v11, -1, 0
	v_mbcnt_hi_u32_b32 v11, -1, v11
	v_and_b32_e32 v12, 0x60, v11
	v_add_u32_e32 v12, 32, v12
	v_xor_b32_e32 v16, 16, v11
	v_cmp_lt_i32_e32 vcc, v16, v12
	v_xor_b32_e32 v17, 8, v11
	s_nop 0
	v_cndmask_b32_e32 v16, v11, v16, vcc
	v_lshlrev_b32_e32 v16, 2, v16
	ds_bpermute_b32 v16, v16, v13
	v_cmp_lt_i32_e32 vcc, v17, v12
	s_waitcnt lgkmcnt(0)
	v_add_f32_e32 v13, v13, v16
	v_cndmask_b32_e32 v16, v11, v17, vcc
	v_lshlrev_b32_e32 v16, 2, v16
	ds_bpermute_b32 v16, v16, v13
	v_xor_b32_e32 v17, 4, v11
	v_cmp_lt_i32_e32 vcc, v17, v12
	s_waitcnt lgkmcnt(0)
	v_add_f32_e32 v13, v13, v16
	v_cndmask_b32_e32 v16, v11, v17, vcc
	v_lshlrev_b32_e32 v16, 2, v16
	ds_bpermute_b32 v16, v16, v13
	v_xor_b32_e32 v17, 2, v11
	;; [unrolled: 7-line block ×3, first 2 shown]
	v_cmp_lt_i32_e32 vcc, v17, v12
	s_waitcnt lgkmcnt(0)
	v_add_f32_e32 v13, v13, v16
	v_cndmask_b32_e32 v11, v11, v17, vcc
	v_lshlrev_b32_e32 v11, 2, v11
	ds_bpermute_b32 v11, v11, v13
	s_waitcnt lgkmcnt(0)
	v_add_f32_e32 v13, v13, v11
	s_load_dwordx2 s[6:7], s[0:1], 0x40
	s_andn2_b64 vcc, exec, s[2:3]
	s_waitcnt lgkmcnt(0)
	v_cvt_f32_f64_e32 v21, s[6:7]
	s_cbranch_vccnz .LBB466_31
.LBB466_34:
	v_cmp_lt_f32_e32 vcc, 0, v13
	s_nop 1
	v_cndmask_b32_e32 v11, 1.0, v13, vcc
	v_div_scale_f32 v12, s[2:3], v11, v11, v21
	v_rcp_f32_e32 v13, v12
	s_nop 0
	v_fma_f32 v16, -v12, v13, 1.0
	v_fmac_f32_e32 v13, v16, v13
	v_div_scale_f32 v16, vcc, v21, v11, v21
	v_mul_f32_e32 v17, v16, v13
	v_fma_f32 v18, -v12, v17, v16
	v_fmac_f32_e32 v17, v18, v13
	v_fma_f32 v12, -v12, v17, v16
	v_div_fmas_f32 v12, v12, v13, v17
	v_div_fixup_f32 v21, v12, v11, v21
	s_andn2_b64 vcc, exec, s[4:5]
	s_cbranch_vccnz .LBB466_32
.LBB466_35:
	s_load_dwordx2 s[16:17], s[0:1], 0x10
	v_or_b32_e32 v30, 32, v20
	v_or_b32_e32 v29, 64, v20
	;; [unrolled: 1-line block ×9, first 2 shown]
	s_cmp_eq_u32 s19, 1
	s_mov_b32 s18, 0
	s_cbranch_scc1 .LBB466_78
; %bb.36:
	v_ashrrev_i32_e32 v11, 31, v10
	s_waitcnt lgkmcnt(0)
	v_lshl_add_u64 v[12:13], v[10:11], 2, s[16:17]
	s_and_b32 s18, s19, 0x7ffffffe
	v_lshl_add_u64 v[12:13], v[12:13], 0, 4
	v_lshl_add_u64 v[16:17], v[14:15], 0, 4
	s_mov_b32 s33, 0
	s_branch .LBB466_38
.LBB466_37:                             ;   in Loop: Header=BB466_38 Depth=1
	s_or_b64 exec, exec, s[0:1]
	s_add_i32 s33, s33, 2
	v_lshl_add_u64 v[12:13], v[12:13], 0, 8
	s_cmp_lg_u32 s18, s33
	v_lshl_add_u64 v[16:17], v[16:17], 0, 8
	s_cbranch_scc0 .LBB466_78
.LBB466_38:                             ; =>This Inner Loop Header: Depth=1
	global_load_dword v11, v[16:17], off offset:-4
	v_mov_b64_e32 v[18:19], 0
	s_waitcnt vmcnt(0)
	v_cmp_eq_u32_e32 vcc, v11, v20
	v_cmp_ne_u32_e64 s[0:1], v11, v20
	s_and_saveexec_b64 s[20:21], s[0:1]
	s_cbranch_execz .LBB466_56
; %bb.39:                               ;   in Loop: Header=BB466_38 Depth=1
	v_cmp_eq_u32_e64 s[0:1], v11, v30
	v_cmp_ne_u32_e64 s[2:3], v11, v30
	v_mov_b64_e32 v[18:19], 1
	s_and_saveexec_b64 s[22:23], s[2:3]
	s_cbranch_execz .LBB466_55
; %bb.40:                               ;   in Loop: Header=BB466_38 Depth=1
	v_cmp_eq_u32_e64 s[2:3], v11, v29
	v_cmp_ne_u32_e64 s[4:5], v11, v29
	v_mov_b64_e32 v[18:19], 2
	;; [unrolled: 6-line block ×8, first 2 shown]
	s_and_saveexec_b64 s[40:41], s[14:15]
	s_xor_b64 s[40:41], exec, s[40:41]
; %bb.47:                               ;   in Loop: Header=BB466_38 Depth=1
	v_cmp_eq_u32_e64 s[14:15], v11, v22
	s_andn2_b64 s[38:39], s[38:39], exec
	s_and_b64 s[14:15], s[14:15], exec
	v_mov_b64_e32 v[18:19], 9
	s_or_b64 s[38:39], s[38:39], s[14:15]
; %bb.48:                               ;   in Loop: Header=BB466_38 Depth=1
	s_or_b64 exec, exec, s[40:41]
	s_andn2_b64 s[12:13], s[12:13], exec
	s_and_b64 s[14:15], s[38:39], exec
	s_or_b64 s[12:13], s[12:13], s[14:15]
.LBB466_49:                             ;   in Loop: Header=BB466_38 Depth=1
	s_or_b64 exec, exec, s[36:37]
	s_andn2_b64 s[10:11], s[10:11], exec
	s_and_b64 s[12:13], s[12:13], exec
	s_or_b64 s[10:11], s[10:11], s[12:13]
.LBB466_50:                             ;   in Loop: Header=BB466_38 Depth=1
	s_or_b64 exec, exec, s[34:35]
	s_andn2_b64 s[8:9], s[8:9], exec
	s_and_b64 s[10:11], s[10:11], exec
	s_or_b64 s[8:9], s[8:9], s[10:11]
.LBB466_51:                             ;   in Loop: Header=BB466_38 Depth=1
	s_or_b64 exec, exec, s[30:31]
	s_andn2_b64 s[6:7], s[6:7], exec
	s_and_b64 s[8:9], s[8:9], exec
	s_or_b64 s[6:7], s[6:7], s[8:9]
.LBB466_52:                             ;   in Loop: Header=BB466_38 Depth=1
	s_or_b64 exec, exec, s[28:29]
	s_andn2_b64 s[4:5], s[4:5], exec
	s_and_b64 s[6:7], s[6:7], exec
	s_or_b64 s[4:5], s[4:5], s[6:7]
.LBB466_53:                             ;   in Loop: Header=BB466_38 Depth=1
	s_or_b64 exec, exec, s[26:27]
	s_andn2_b64 s[2:3], s[2:3], exec
	s_and_b64 s[4:5], s[4:5], exec
	s_or_b64 s[2:3], s[2:3], s[4:5]
.LBB466_54:                             ;   in Loop: Header=BB466_38 Depth=1
	s_or_b64 exec, exec, s[24:25]
	s_andn2_b64 s[0:1], s[0:1], exec
	s_and_b64 s[2:3], s[2:3], exec
	s_or_b64 s[0:1], s[0:1], s[2:3]
.LBB466_55:                             ;   in Loop: Header=BB466_38 Depth=1
	s_or_b64 exec, exec, s[22:23]
	s_andn2_b64 s[2:3], vcc, exec
	s_and_b64 s[0:1], s[0:1], exec
	s_or_b64 vcc, s[2:3], s[0:1]
.LBB466_56:                             ;   in Loop: Header=BB466_38 Depth=1
	s_or_b64 exec, exec, s[20:21]
	s_and_saveexec_b64 s[0:1], vcc
	s_cbranch_execz .LBB466_58
; %bb.57:                               ;   in Loop: Header=BB466_38 Depth=1
	v_cmp_eq_u32_e32 vcc, 1, v18
	v_add_u32_e32 v32, s33, v10
	v_ashrrev_i32_e32 v33, 31, v32
	v_cndmask_b32_e32 v11, v0, v1, vcc
	v_cmp_eq_u32_e32 vcc, 2, v18
	s_nop 1
	v_cndmask_b32_e32 v11, v11, v2, vcc
	v_cmp_eq_u32_e32 vcc, 3, v18
	s_nop 1
	;; [unrolled: 3-line block ×7, first 2 shown]
	v_cndmask_b32_e32 v11, v11, v8, vcc
	v_cmp_eq_u32_e32 vcc, 9, v18
	v_lshl_add_u64 v[18:19], v[32:33], 2, s[16:17]
	s_nop 0
	v_cndmask_b32_e32 v11, v11, v9, vcc
	v_mul_f32_e32 v11, v21, v11
	global_store_dword v[18:19], v11, off
.LBB466_58:                             ;   in Loop: Header=BB466_38 Depth=1
	s_or_b64 exec, exec, s[0:1]
	global_load_dword v11, v[16:17], off
	v_mov_b64_e32 v[18:19], 0
	s_waitcnt vmcnt(0)
	v_cmp_eq_u32_e64 s[12:13], v11, v20
	v_cmp_ne_u32_e32 vcc, v11, v20
	s_and_saveexec_b64 s[14:15], vcc
	s_cbranch_execz .LBB466_76
; %bb.59:                               ;   in Loop: Header=BB466_38 Depth=1
	v_cmp_eq_u32_e32 vcc, v11, v30
	v_cmp_ne_u32_e64 s[0:1], v11, v30
	v_mov_b64_e32 v[18:19], 1
	s_and_saveexec_b64 s[20:21], s[0:1]
	s_cbranch_execz .LBB466_75
; %bb.60:                               ;   in Loop: Header=BB466_38 Depth=1
	v_cmp_eq_u32_e64 s[0:1], v11, v29
	v_cmp_ne_u32_e64 s[2:3], v11, v29
	v_mov_b64_e32 v[18:19], 2
	s_and_saveexec_b64 s[22:23], s[2:3]
	s_cbranch_execz .LBB466_74
; %bb.61:                               ;   in Loop: Header=BB466_38 Depth=1
	v_cmp_eq_u32_e64 s[2:3], v11, v28
	;; [unrolled: 6-line block ×7, first 2 shown]
	v_cmp_ne_u32_e64 s[10:11], v11, v23
	v_mov_b64_e32 v[18:19], 8
	s_and_saveexec_b64 s[40:41], s[10:11]
; %bb.67:                               ;   in Loop: Header=BB466_38 Depth=1
	v_cmp_eq_u32_e64 s[10:11], v11, v22
	s_andn2_b64 s[38:39], s[38:39], exec
	s_and_b64 s[10:11], s[10:11], exec
	v_mov_b64_e32 v[18:19], 9
	s_or_b64 s[38:39], s[38:39], s[10:11]
; %bb.68:                               ;   in Loop: Header=BB466_38 Depth=1
	s_or_b64 exec, exec, s[40:41]
	s_andn2_b64 s[10:11], s[34:35], exec
	s_and_b64 s[34:35], s[38:39], exec
	s_or_b64 s[34:35], s[10:11], s[34:35]
.LBB466_69:                             ;   in Loop: Header=BB466_38 Depth=1
	s_or_b64 exec, exec, s[36:37]
	s_andn2_b64 s[8:9], s[8:9], exec
	s_and_b64 s[10:11], s[34:35], exec
	s_or_b64 s[8:9], s[8:9], s[10:11]
.LBB466_70:                             ;   in Loop: Header=BB466_38 Depth=1
	s_or_b64 exec, exec, s[30:31]
	s_andn2_b64 s[6:7], s[6:7], exec
	s_and_b64 s[8:9], s[8:9], exec
	s_or_b64 s[6:7], s[6:7], s[8:9]
.LBB466_71:                             ;   in Loop: Header=BB466_38 Depth=1
	s_or_b64 exec, exec, s[28:29]
	s_andn2_b64 s[4:5], s[4:5], exec
	s_and_b64 s[6:7], s[6:7], exec
	s_or_b64 s[4:5], s[4:5], s[6:7]
.LBB466_72:                             ;   in Loop: Header=BB466_38 Depth=1
	s_or_b64 exec, exec, s[26:27]
	s_andn2_b64 s[2:3], s[2:3], exec
	s_and_b64 s[4:5], s[4:5], exec
	s_or_b64 s[2:3], s[2:3], s[4:5]
.LBB466_73:                             ;   in Loop: Header=BB466_38 Depth=1
	s_or_b64 exec, exec, s[24:25]
	s_andn2_b64 s[0:1], s[0:1], exec
	s_and_b64 s[2:3], s[2:3], exec
	s_or_b64 s[0:1], s[0:1], s[2:3]
.LBB466_74:                             ;   in Loop: Header=BB466_38 Depth=1
	s_or_b64 exec, exec, s[22:23]
	s_andn2_b64 s[2:3], vcc, exec
	s_and_b64 s[0:1], s[0:1], exec
	s_or_b64 vcc, s[2:3], s[0:1]
.LBB466_75:                             ;   in Loop: Header=BB466_38 Depth=1
	s_or_b64 exec, exec, s[20:21]
	s_andn2_b64 s[0:1], s[12:13], exec
	s_and_b64 s[2:3], vcc, exec
	s_or_b64 s[12:13], s[0:1], s[2:3]
.LBB466_76:                             ;   in Loop: Header=BB466_38 Depth=1
	s_or_b64 exec, exec, s[14:15]
	s_and_saveexec_b64 s[0:1], s[12:13]
	s_cbranch_execz .LBB466_37
; %bb.77:                               ;   in Loop: Header=BB466_38 Depth=1
	v_cmp_eq_u32_e32 vcc, 1, v18
	s_nop 1
	v_cndmask_b32_e32 v11, v0, v1, vcc
	v_cmp_eq_u32_e32 vcc, 2, v18
	s_nop 1
	v_cndmask_b32_e32 v11, v11, v2, vcc
	;; [unrolled: 3-line block ×9, first 2 shown]
	v_mul_f32_e32 v11, v21, v11
	global_store_dword v[12:13], v11, off
	s_branch .LBB466_37
.LBB466_78:
	s_bitcmp0_b32 s19, 0
	s_mov_b32 s19, 0
	s_cbranch_scc1 .LBB466_32
; %bb.79:
	v_lshl_add_u64 v[12:13], s[18:19], 2, v[14:15]
	global_load_dword v11, v[12:13], off
	v_mov_b64_e32 v[12:13], 0
	s_waitcnt vmcnt(0)
	v_cmp_eq_u32_e64 s[12:13], v11, v20
	v_cmp_ne_u32_e32 vcc, v11, v20
	s_and_saveexec_b64 s[14:15], vcc
	s_cbranch_execz .LBB466_97
; %bb.80:
	v_cmp_eq_u32_e32 vcc, v11, v30
	v_cmp_ne_u32_e64 s[0:1], v11, v30
	v_mov_b64_e32 v[12:13], 1
	s_and_saveexec_b64 s[20:21], s[0:1]
	s_cbranch_execz .LBB466_96
; %bb.81:
	v_cmp_eq_u32_e64 s[0:1], v11, v29
	v_cmp_ne_u32_e64 s[2:3], v11, v29
	v_mov_b64_e32 v[12:13], 2
	s_and_saveexec_b64 s[22:23], s[2:3]
	s_cbranch_execz .LBB466_95
; %bb.82:
	v_cmp_eq_u32_e64 s[2:3], v11, v28
	;; [unrolled: 6-line block ×7, first 2 shown]
	v_cmp_ne_u32_e64 s[10:11], v11, v23
	v_mov_b64_e32 v[12:13], 8
	s_and_saveexec_b64 s[40:41], s[10:11]
; %bb.88:
	v_cmp_eq_u32_e64 s[10:11], v11, v22
	s_andn2_b64 s[38:39], s[38:39], exec
	s_and_b64 s[10:11], s[10:11], exec
	v_mov_b64_e32 v[12:13], 9
	s_or_b64 s[38:39], s[38:39], s[10:11]
; %bb.89:
	s_or_b64 exec, exec, s[40:41]
	s_andn2_b64 s[10:11], s[34:35], exec
	s_and_b64 s[34:35], s[38:39], exec
	s_or_b64 s[34:35], s[10:11], s[34:35]
.LBB466_90:
	s_or_b64 exec, exec, s[36:37]
	s_andn2_b64 s[8:9], s[8:9], exec
	s_and_b64 s[10:11], s[34:35], exec
	s_or_b64 s[8:9], s[8:9], s[10:11]
.LBB466_91:
	s_or_b64 exec, exec, s[30:31]
	s_andn2_b64 s[6:7], s[6:7], exec
	s_and_b64 s[8:9], s[8:9], exec
	s_or_b64 s[6:7], s[6:7], s[8:9]
.LBB466_92:
	s_or_b64 exec, exec, s[28:29]
	s_andn2_b64 s[4:5], s[4:5], exec
	s_and_b64 s[6:7], s[6:7], exec
	s_or_b64 s[4:5], s[4:5], s[6:7]
.LBB466_93:
	s_or_b64 exec, exec, s[26:27]
	s_andn2_b64 s[2:3], s[2:3], exec
	s_and_b64 s[4:5], s[4:5], exec
	s_or_b64 s[2:3], s[2:3], s[4:5]
.LBB466_94:
	s_or_b64 exec, exec, s[24:25]
	s_andn2_b64 s[0:1], s[0:1], exec
	s_and_b64 s[2:3], s[2:3], exec
	s_or_b64 s[0:1], s[0:1], s[2:3]
.LBB466_95:
	s_or_b64 exec, exec, s[22:23]
	s_andn2_b64 s[2:3], vcc, exec
	s_and_b64 s[0:1], s[0:1], exec
	s_or_b64 vcc, s[2:3], s[0:1]
.LBB466_96:
	s_or_b64 exec, exec, s[20:21]
	s_andn2_b64 s[0:1], s[12:13], exec
	s_and_b64 s[2:3], vcc, exec
	s_or_b64 s[12:13], s[0:1], s[2:3]
.LBB466_97:
	s_or_b64 exec, exec, s[14:15]
	s_and_b64 exec, exec, s[12:13]
	s_cbranch_execz .LBB466_32
; %bb.98:
	v_cmp_eq_u32_e32 vcc, 1, v12
	v_add_u32_e32 v10, s18, v10
	v_ashrrev_i32_e32 v11, 31, v10
	v_cndmask_b32_e32 v0, v0, v1, vcc
	v_cmp_eq_u32_e32 vcc, 2, v12
	s_nop 1
	v_cndmask_b32_e32 v0, v0, v2, vcc
	v_cmp_eq_u32_e32 vcc, 3, v12
	s_nop 1
	;; [unrolled: 3-line block ×8, first 2 shown]
	v_cndmask_b32_e32 v0, v0, v9, vcc
	v_mul_f32_e32 v2, v21, v0
	s_waitcnt lgkmcnt(0)
	v_lshl_add_u64 v[0:1], v[10:11], 2, s[16:17]
	global_store_dword v[0:1], v2, off
	s_endpgm
	.section	.rodata,"a",@progbits
	.p2align	6, 0x0
	.amdhsa_kernel _ZN4vllm3moe22topkGatingSoftplusSqrtILi10ELi320ELi4ELi2ELi32ELb1Ej14__hip_bfloat16EEvPKT6_PKbPfiPT5_PiiiibdPKfPKS9_SF_
		.amdhsa_group_segment_fixed_size 0
		.amdhsa_private_segment_fixed_size 0
		.amdhsa_kernarg_size 96
		.amdhsa_user_sgpr_count 2
		.amdhsa_user_sgpr_dispatch_ptr 0
		.amdhsa_user_sgpr_queue_ptr 0
		.amdhsa_user_sgpr_kernarg_segment_ptr 1
		.amdhsa_user_sgpr_dispatch_id 0
		.amdhsa_user_sgpr_kernarg_preload_length 0
		.amdhsa_user_sgpr_kernarg_preload_offset 0
		.amdhsa_user_sgpr_private_segment_size 0
		.amdhsa_uses_dynamic_stack 0
		.amdhsa_enable_private_segment 0
		.amdhsa_system_sgpr_workgroup_id_x 1
		.amdhsa_system_sgpr_workgroup_id_y 0
		.amdhsa_system_sgpr_workgroup_id_z 0
		.amdhsa_system_sgpr_workgroup_info 0
		.amdhsa_system_vgpr_workitem_id 1
		.amdhsa_next_free_vgpr 34
		.amdhsa_next_free_sgpr 42
		.amdhsa_accum_offset 36
		.amdhsa_reserve_vcc 1
		.amdhsa_float_round_mode_32 0
		.amdhsa_float_round_mode_16_64 0
		.amdhsa_float_denorm_mode_32 3
		.amdhsa_float_denorm_mode_16_64 3
		.amdhsa_dx10_clamp 1
		.amdhsa_ieee_mode 1
		.amdhsa_fp16_overflow 0
		.amdhsa_tg_split 0
		.amdhsa_exception_fp_ieee_invalid_op 0
		.amdhsa_exception_fp_denorm_src 0
		.amdhsa_exception_fp_ieee_div_zero 0
		.amdhsa_exception_fp_ieee_overflow 0
		.amdhsa_exception_fp_ieee_underflow 0
		.amdhsa_exception_fp_ieee_inexact 0
		.amdhsa_exception_int_div_zero 0
	.end_amdhsa_kernel
	.section	.text._ZN4vllm3moe22topkGatingSoftplusSqrtILi10ELi320ELi4ELi2ELi32ELb1Ej14__hip_bfloat16EEvPKT6_PKbPfiPT5_PiiiibdPKfPKS9_SF_,"axG",@progbits,_ZN4vllm3moe22topkGatingSoftplusSqrtILi10ELi320ELi4ELi2ELi32ELb1Ej14__hip_bfloat16EEvPKT6_PKbPfiPT5_PiiiibdPKfPKS9_SF_,comdat
.Lfunc_end466:
	.size	_ZN4vllm3moe22topkGatingSoftplusSqrtILi10ELi320ELi4ELi2ELi32ELb1Ej14__hip_bfloat16EEvPKT6_PKbPfiPT5_PiiiibdPKfPKS9_SF_, .Lfunc_end466-_ZN4vllm3moe22topkGatingSoftplusSqrtILi10ELi320ELi4ELi2ELi32ELb1Ej14__hip_bfloat16EEvPKT6_PKbPfiPT5_PiiiibdPKfPKS9_SF_
                                        ; -- End function
	.section	.AMDGPU.csdata,"",@progbits
; Kernel info:
; codeLenInByte = 5600
; NumSgprs: 48
; NumVgprs: 34
; NumAgprs: 0
; TotalNumVgprs: 34
; ScratchSize: 0
; MemoryBound: 0
; FloatMode: 240
; IeeeMode: 1
; LDSByteSize: 0 bytes/workgroup (compile time only)
; SGPRBlocks: 5
; VGPRBlocks: 4
; NumSGPRsForWavesPerEU: 48
; NumVGPRsForWavesPerEU: 34
; AccumOffset: 36
; Occupancy: 8
; WaveLimiterHint : 1
; COMPUTE_PGM_RSRC2:SCRATCH_EN: 0
; COMPUTE_PGM_RSRC2:USER_SGPR: 2
; COMPUTE_PGM_RSRC2:TRAP_HANDLER: 0
; COMPUTE_PGM_RSRC2:TGID_X_EN: 1
; COMPUTE_PGM_RSRC2:TGID_Y_EN: 0
; COMPUTE_PGM_RSRC2:TGID_Z_EN: 0
; COMPUTE_PGM_RSRC2:TIDIG_COMP_CNT: 1
; COMPUTE_PGM_RSRC3_GFX90A:ACCUM_OFFSET: 8
; COMPUTE_PGM_RSRC3_GFX90A:TG_SPLIT: 0
	.section	.text._ZN4vllm3moe22topkGatingSoftplusSqrtILi10ELi320ELi4ELi2ELi32ELb0Ej14__hip_bfloat16EEvPKT6_PKbPfiPT5_PiiiibdPKfPKS9_SF_,"axG",@progbits,_ZN4vllm3moe22topkGatingSoftplusSqrtILi10ELi320ELi4ELi2ELi32ELb0Ej14__hip_bfloat16EEvPKT6_PKbPfiPT5_PiiiibdPKfPKS9_SF_,comdat
	.protected	_ZN4vllm3moe22topkGatingSoftplusSqrtILi10ELi320ELi4ELi2ELi32ELb0Ej14__hip_bfloat16EEvPKT6_PKbPfiPT5_PiiiibdPKfPKS9_SF_ ; -- Begin function _ZN4vllm3moe22topkGatingSoftplusSqrtILi10ELi320ELi4ELi2ELi32ELb0Ej14__hip_bfloat16EEvPKT6_PKbPfiPT5_PiiiibdPKfPKS9_SF_
	.globl	_ZN4vllm3moe22topkGatingSoftplusSqrtILi10ELi320ELi4ELi2ELi32ELb0Ej14__hip_bfloat16EEvPKT6_PKbPfiPT5_PiiiibdPKfPKS9_SF_
	.p2align	8
	.type	_ZN4vllm3moe22topkGatingSoftplusSqrtILi10ELi320ELi4ELi2ELi32ELb0Ej14__hip_bfloat16EEvPKT6_PKbPfiPT5_PiiiibdPKfPKS9_SF_,@function
_ZN4vllm3moe22topkGatingSoftplusSqrtILi10ELi320ELi4ELi2ELi32ELb0Ej14__hip_bfloat16EEvPKT6_PKbPfiPT5_PiiiibdPKfPKS9_SF_: ; @_ZN4vllm3moe22topkGatingSoftplusSqrtILi10ELi320ELi4ELi2ELi32ELb0Ej14__hip_bfloat16EEvPKT6_PKbPfiPT5_PiiiibdPKfPKS9_SF_
; %bb.0:
	s_load_dword s30, s[0:1], 0x18
	v_and_b32_e32 v1, 0x3ff, v0
	s_lshl_b32 s2, s2, 2
	v_lshrrev_b32_e32 v2, 5, v1
	v_bfe_u32 v0, v0, 10, 10
	v_add3_u32 v10, s2, v0, v2
	s_waitcnt lgkmcnt(0)
	v_cmp_gt_i32_e32 vcc, s30, v10
	s_and_saveexec_b64 s[2:3], vcc
	s_cbranch_execz .LBB467_65
; %bb.1:
	s_load_dwordx4 s[4:7], s[0:1], 0x0
	s_load_dwordx2 s[20:21], s[0:1], 0x10
	s_waitcnt lgkmcnt(0)
	s_cmp_eq_u64 s[6:7], 0
	s_cbranch_scc1 .LBB467_3
; %bb.2:
	v_ashrrev_i32_e32 v11, 31, v10
	v_lshl_add_u64 v[2:3], s[6:7], 0, v[10:11]
	global_load_ubyte v0, v[2:3], off
	s_waitcnt vmcnt(0)
	v_and_b32_e32 v0, 1, v0
	v_cmp_eq_u32_e32 vcc, 1, v0
	s_xor_b64 s[2:3], vcc, -1
	s_orn2_b64 s[22:23], s[2:3], exec
	s_branch .LBB467_4
.LBB467_3:
	s_mov_b64 s[22:23], -1
.LBB467_4:
	s_movk_i32 s2, 0x140
	v_mul_lo_u32 v4, v10, s2
	v_mov_b32_e32 v2, s4
	v_mov_b32_e32 v3, s5
	v_ashrrev_i32_e32 v5, 31, v4
	v_and_b32_e32 v12, 31, v1
	v_lshl_add_u64 v[2:3], v[4:5], 1, v[2:3]
	v_mov_b32_e32 v1, 0
	v_lshlrev_b32_e32 v0, 1, v12
	v_lshl_add_u64 v[14:15], v[2:3], 0, v[0:1]
	global_load_ushort v0, v[14:15], off
	global_load_ushort v1, v[14:15], off offset:64
	global_load_ushort v2, v[14:15], off offset:128
	;; [unrolled: 1-line block ×9, first 2 shown]
	s_mov_b32 s16, 0x800000
	v_mov_b32_e32 v14, 0x4f800000
	s_mov_b32 s13, 0x3f317217
	s_mov_b32 s14, 0x7f800000
	v_mov_b32_e32 v15, 0x41b17218
	s_mov_b32 s12, 0x41a00000
	s_mov_b32 s15, 0xf800000
	s_load_dwordx4 s[8:11], s[0:1], 0x40
	s_waitcnt lgkmcnt(0)
	s_cmp_lg_u64 s[10:11], 0
	s_cselect_b64 s[6:7], -1, 0
	s_and_b64 s[2:3], exec, s[6:7]
	s_waitcnt vmcnt(9)
	v_lshlrev_b32_e32 v0, 16, v0
	v_mul_f32_e32 v11, 0x3fb8aa3b, v0
	v_exp_f32_e32 v11, v11
	s_nop 0
	v_add_f32_e32 v11, 1.0, v11
	v_cmp_gt_f32_e32 vcc, s16, v11
	s_nop 1
	v_cndmask_b32_e32 v13, 1.0, v14, vcc
	v_mul_f32_e32 v11, v11, v13
	v_log_f32_e32 v16, v11
	v_cndmask_b32_e32 v17, 0, v15, vcc
	v_mov_b32_e32 v13, 0x260
	v_lshlrev_b32_e32 v11, 2, v12
	v_mul_f32_e32 v18, 0x3f317217, v16
	v_fma_f32 v18, v16, s13, -v18
	v_fmac_f32_e32 v18, 0x3377d1cf, v16
	v_fmac_f32_e32 v18, 0x3f317217, v16
	v_cmp_lt_f32_e64 vcc, |v16|, s14
	s_nop 1
	v_cndmask_b32_e32 v16, v16, v18, vcc
	v_sub_f32_e32 v16, v16, v17
	v_cmp_lt_f32_e32 vcc, s12, v0
	s_nop 1
	v_cndmask_b32_e32 v0, v16, v0, vcc
	v_mul_f32_e32 v16, 0x4f800000, v0
	v_cmp_gt_f32_e32 vcc, s15, v0
	s_nop 1
	v_cndmask_b32_e32 v0, v0, v16, vcc
	v_sqrt_f32_e32 v16, v0
	s_nop 0
	v_add_u32_e32 v17, -1, v16
	v_add_u32_e32 v18, 1, v16
	v_fma_f32 v19, -v17, v16, v0
	v_fma_f32 v20, -v18, v16, v0
	v_cmp_ge_f32_e64 s[4:5], 0, v19
	s_nop 1
	v_cndmask_b32_e64 v16, v16, v17, s[4:5]
	v_cmp_lt_f32_e64 s[4:5], 0, v20
	s_nop 1
	v_cndmask_b32_e64 v16, v16, v18, s[4:5]
	v_mul_f32_e32 v17, 0x37800000, v16
	v_cndmask_b32_e32 v16, v16, v17, vcc
	v_cmp_class_f32_e32 vcc, v0, v13
	s_nop 1
	v_cndmask_b32_e32 v0, v16, v0, vcc
	s_mov_b64 vcc, s[2:3]
	s_cbranch_vccz .LBB467_6
; %bb.5:
	global_load_dword v16, v11, s[10:11]
	s_waitcnt vmcnt(0)
	v_add_f32_e32 v0, v0, v16
.LBB467_6:
	s_waitcnt vmcnt(8)
	v_lshlrev_b32_e32 v1, 16, v1
	v_mul_f32_e32 v16, 0x3fb8aa3b, v1
	v_exp_f32_e32 v16, v16
	s_nop 0
	v_add_f32_e32 v16, 1.0, v16
	v_cmp_gt_f32_e32 vcc, s16, v16
	s_nop 1
	v_cndmask_b32_e32 v14, 1.0, v14, vcc
	v_mul_f32_e32 v14, v16, v14
	v_log_f32_e32 v14, v14
	v_cndmask_b32_e32 v15, 0, v15, vcc
	v_mul_f32_e32 v16, 0x3f317217, v14
	v_fma_f32 v16, v14, s13, -v16
	v_fmac_f32_e32 v16, 0x3377d1cf, v14
	v_fmac_f32_e32 v16, 0x3f317217, v14
	v_cmp_lt_f32_e64 vcc, |v14|, s14
	s_nop 1
	v_cndmask_b32_e32 v14, v14, v16, vcc
	v_sub_f32_e32 v14, v14, v15
	v_cmp_lt_f32_e32 vcc, s12, v1
	s_nop 1
	v_cndmask_b32_e32 v1, v14, v1, vcc
	v_mul_f32_e32 v14, 0x4f800000, v1
	v_cmp_gt_f32_e32 vcc, s15, v1
	s_nop 1
	v_cndmask_b32_e32 v1, v1, v14, vcc
	v_sqrt_f32_e32 v14, v1
	v_cmp_class_f32_e64 s[4:5], v1, v13
	v_add_u32_e32 v15, -1, v14
	v_add_u32_e32 v16, 1, v14
	v_fma_f32 v17, -v15, v14, v1
	v_fma_f32 v18, -v16, v14, v1
	v_cmp_ge_f32_e64 s[2:3], 0, v17
	s_nop 1
	v_cndmask_b32_e64 v14, v14, v15, s[2:3]
	v_cmp_lt_f32_e64 s[2:3], 0, v18
	s_nop 1
	v_cndmask_b32_e64 v14, v14, v16, s[2:3]
	v_mul_f32_e32 v15, 0x37800000, v14
	v_cndmask_b32_e32 v14, v14, v15, vcc
	v_cndmask_b32_e64 v15, 0, 1, s[6:7]
	v_cmp_ne_u32_e64 s[2:3], 1, v15
	s_andn2_b64 vcc, exec, s[6:7]
	v_cndmask_b32_e64 v1, v14, v1, s[4:5]
	s_cbranch_vccnz .LBB467_8
; %bb.7:
	global_load_dword v13, v11, s[10:11] offset:128
	s_waitcnt vmcnt(0)
	v_add_f32_e32 v1, v1, v13
.LBB467_8:
	s_waitcnt vmcnt(7)
	v_lshlrev_b32_e32 v2, 16, v2
	v_mul_f32_e32 v13, 0x3fb8aa3b, v2
	v_exp_f32_e32 v13, v13
	s_mov_b32 s14, 0x800000
	v_mov_b32_e32 v14, 0x4f800000
	s_mov_b32 s7, 0x3f317217
	v_add_f32_e32 v13, 1.0, v13
	v_cmp_gt_f32_e32 vcc, s14, v13
	s_mov_b32 s12, 0x7f800000
	s_mov_b32 s6, 0x41a00000
	v_cndmask_b32_e32 v15, 1.0, v14, vcc
	v_mul_f32_e32 v13, v13, v15
	v_log_f32_e32 v13, v13
	s_mov_b32 s13, 0xf800000
	v_mul_f32_e32 v15, 0x3f317217, v13
	v_fma_f32 v15, v13, s7, -v15
	v_fmac_f32_e32 v15, 0x3377d1cf, v13
	v_fmac_f32_e32 v15, 0x3f317217, v13
	v_cmp_lt_f32_e64 s[4:5], |v13|, s12
	s_nop 1
	v_cndmask_b32_e64 v13, v13, v15, s[4:5]
	v_mov_b32_e32 v15, 0x41b17218
	v_cndmask_b32_e32 v16, 0, v15, vcc
	v_sub_f32_e32 v13, v13, v16
	v_cmp_lt_f32_e32 vcc, s6, v2
	s_nop 1
	v_cndmask_b32_e32 v2, v13, v2, vcc
	v_mul_f32_e32 v13, 0x4f800000, v2
	v_cmp_gt_f32_e32 vcc, s13, v2
	s_nop 1
	v_cndmask_b32_e32 v2, v2, v13, vcc
	v_sqrt_f32_e32 v13, v2
	s_nop 0
	v_add_u32_e32 v16, -1, v13
	v_fma_f32 v17, -v16, v13, v2
	v_cmp_ge_f32_e64 s[4:5], 0, v17
	v_add_u32_e32 v17, 1, v13
	s_nop 0
	v_cndmask_b32_e64 v16, v13, v16, s[4:5]
	v_fma_f32 v13, -v17, v13, v2
	v_cmp_lt_f32_e64 s[4:5], 0, v13
	s_nop 1
	v_cndmask_b32_e64 v13, v16, v17, s[4:5]
	v_mul_f32_e32 v16, 0x37800000, v13
	v_cndmask_b32_e32 v16, v13, v16, vcc
	v_mov_b32_e32 v13, 0x260
	v_cmp_class_f32_e64 s[4:5], v2, v13
	s_and_b64 vcc, exec, s[2:3]
	s_nop 0
	v_cndmask_b32_e64 v2, v16, v2, s[4:5]
	s_cbranch_vccnz .LBB467_10
; %bb.9:
	global_load_dword v16, v11, s[10:11] offset:256
	s_waitcnt vmcnt(0)
	v_add_f32_e32 v2, v2, v16
.LBB467_10:
	s_waitcnt vmcnt(6)
	v_lshlrev_b32_e32 v3, 16, v3
	v_mul_f32_e32 v16, 0x3fb8aa3b, v3
	v_exp_f32_e32 v16, v16
	s_nop 0
	v_add_f32_e32 v16, 1.0, v16
	v_cmp_gt_f32_e32 vcc, s14, v16
	s_nop 1
	v_cndmask_b32_e32 v14, 1.0, v14, vcc
	v_mul_f32_e32 v14, v16, v14
	v_log_f32_e32 v14, v14
	v_cndmask_b32_e32 v15, 0, v15, vcc
	v_mul_f32_e32 v16, 0x3f317217, v14
	v_fma_f32 v16, v14, s7, -v16
	v_fmac_f32_e32 v16, 0x3377d1cf, v14
	v_fmac_f32_e32 v16, 0x3f317217, v14
	v_cmp_lt_f32_e64 vcc, |v14|, s12
	s_nop 1
	v_cndmask_b32_e32 v14, v14, v16, vcc
	v_sub_f32_e32 v14, v14, v15
	v_cmp_lt_f32_e32 vcc, s6, v3
	s_nop 1
	v_cndmask_b32_e32 v3, v14, v3, vcc
	v_mul_f32_e32 v14, 0x4f800000, v3
	v_cmp_gt_f32_e32 vcc, s13, v3
	s_nop 1
	v_cndmask_b32_e32 v3, v3, v14, vcc
	v_sqrt_f32_e32 v14, v3
	s_nop 0
	v_add_u32_e32 v15, -1, v14
	v_add_u32_e32 v16, 1, v14
	v_fma_f32 v17, -v15, v14, v3
	v_fma_f32 v18, -v16, v14, v3
	v_cmp_ge_f32_e64 s[4:5], 0, v17
	s_nop 1
	v_cndmask_b32_e64 v14, v14, v15, s[4:5]
	v_cmp_lt_f32_e64 s[4:5], 0, v18
	s_nop 1
	v_cndmask_b32_e64 v14, v14, v16, s[4:5]
	v_mul_f32_e32 v15, 0x37800000, v14
	v_cndmask_b32_e32 v14, v14, v15, vcc
	v_cmp_class_f32_e64 s[4:5], v3, v13
	s_and_b64 vcc, exec, s[2:3]
	s_nop 0
	v_cndmask_b32_e64 v3, v14, v3, s[4:5]
	s_cbranch_vccnz .LBB467_12
; %bb.11:
	global_load_dword v13, v11, s[10:11] offset:384
	s_waitcnt vmcnt(0)
	v_add_f32_e32 v3, v3, v13
.LBB467_12:
	s_waitcnt vmcnt(5)
	v_lshlrev_b32_e32 v4, 16, v4
	v_mul_f32_e32 v13, 0x3fb8aa3b, v4
	v_exp_f32_e32 v13, v13
	v_mov_b32_e32 v14, 0x4f800000
	v_add_f32_e32 v13, 1.0, v13
	v_cmp_gt_f32_e32 vcc, s14, v13
	s_nop 1
	v_cndmask_b32_e32 v15, 1.0, v14, vcc
	v_mul_f32_e32 v13, v13, v15
	v_log_f32_e32 v13, v13
	s_nop 0
	v_mul_f32_e32 v15, 0x3f317217, v13
	v_fma_f32 v15, v13, s7, -v15
	v_fmac_f32_e32 v15, 0x3377d1cf, v13
	v_fmac_f32_e32 v15, 0x3f317217, v13
	v_cmp_lt_f32_e64 s[4:5], |v13|, s12
	s_nop 1
	v_cndmask_b32_e64 v13, v13, v15, s[4:5]
	v_mov_b32_e32 v15, 0x41b17218
	v_cndmask_b32_e32 v16, 0, v15, vcc
	v_sub_f32_e32 v13, v13, v16
	v_cmp_lt_f32_e32 vcc, s6, v4
	s_nop 1
	v_cndmask_b32_e32 v4, v13, v4, vcc
	v_mul_f32_e32 v13, 0x4f800000, v4
	v_cmp_gt_f32_e32 vcc, s13, v4
	s_nop 1
	v_cndmask_b32_e32 v4, v4, v13, vcc
	v_sqrt_f32_e32 v13, v4
	s_nop 0
	v_add_u32_e32 v16, -1, v13
	v_fma_f32 v17, -v16, v13, v4
	v_cmp_ge_f32_e64 s[4:5], 0, v17
	v_add_u32_e32 v17, 1, v13
	s_nop 0
	v_cndmask_b32_e64 v16, v13, v16, s[4:5]
	v_fma_f32 v13, -v17, v13, v4
	v_cmp_lt_f32_e64 s[4:5], 0, v13
	s_nop 1
	v_cndmask_b32_e64 v13, v16, v17, s[4:5]
	v_mul_f32_e32 v16, 0x37800000, v13
	v_cndmask_b32_e32 v16, v13, v16, vcc
	v_mov_b32_e32 v13, 0x260
	v_cmp_class_f32_e64 s[4:5], v4, v13
	s_and_b64 vcc, exec, s[2:3]
	s_nop 0
	v_cndmask_b32_e64 v4, v16, v4, s[4:5]
	s_cbranch_vccnz .LBB467_14
; %bb.13:
	global_load_dword v16, v11, s[10:11] offset:512
	s_waitcnt vmcnt(0)
	v_add_f32_e32 v4, v4, v16
.LBB467_14:
	s_waitcnt vmcnt(4)
	v_lshlrev_b32_e32 v5, 16, v5
	v_mul_f32_e32 v16, 0x3fb8aa3b, v5
	v_exp_f32_e32 v16, v16
	s_nop 0
	v_add_f32_e32 v16, 1.0, v16
	v_cmp_gt_f32_e32 vcc, s14, v16
	s_nop 1
	v_cndmask_b32_e32 v14, 1.0, v14, vcc
	v_mul_f32_e32 v14, v16, v14
	v_log_f32_e32 v14, v14
	v_cndmask_b32_e32 v15, 0, v15, vcc
	v_mul_f32_e32 v16, 0x3f317217, v14
	v_fma_f32 v16, v14, s7, -v16
	v_fmac_f32_e32 v16, 0x3377d1cf, v14
	v_fmac_f32_e32 v16, 0x3f317217, v14
	v_cmp_lt_f32_e64 vcc, |v14|, s12
	s_nop 1
	v_cndmask_b32_e32 v14, v14, v16, vcc
	v_sub_f32_e32 v14, v14, v15
	v_cmp_lt_f32_e32 vcc, s6, v5
	s_nop 1
	v_cndmask_b32_e32 v5, v14, v5, vcc
	v_mul_f32_e32 v14, 0x4f800000, v5
	v_cmp_gt_f32_e32 vcc, s13, v5
	s_nop 1
	v_cndmask_b32_e32 v5, v5, v14, vcc
	v_sqrt_f32_e32 v14, v5
	s_nop 0
	v_add_u32_e32 v15, -1, v14
	v_add_u32_e32 v16, 1, v14
	v_fma_f32 v17, -v15, v14, v5
	v_fma_f32 v18, -v16, v14, v5
	v_cmp_ge_f32_e64 s[4:5], 0, v17
	s_nop 1
	v_cndmask_b32_e64 v14, v14, v15, s[4:5]
	v_cmp_lt_f32_e64 s[4:5], 0, v18
	s_nop 1
	v_cndmask_b32_e64 v14, v14, v16, s[4:5]
	v_mul_f32_e32 v15, 0x37800000, v14
	v_cndmask_b32_e32 v14, v14, v15, vcc
	v_cmp_class_f32_e64 s[4:5], v5, v13
	s_and_b64 vcc, exec, s[2:3]
	s_nop 0
	v_cndmask_b32_e64 v5, v14, v5, s[4:5]
	s_cbranch_vccnz .LBB467_16
; %bb.15:
	global_load_dword v13, v11, s[10:11] offset:640
	s_waitcnt vmcnt(0)
	v_add_f32_e32 v5, v5, v13
.LBB467_16:
	s_waitcnt vmcnt(3)
	v_lshlrev_b32_e32 v6, 16, v6
	v_mul_f32_e32 v13, 0x3fb8aa3b, v6
	v_exp_f32_e32 v13, v13
	v_mov_b32_e32 v14, 0x4f800000
	v_add_f32_e32 v13, 1.0, v13
	v_cmp_gt_f32_e32 vcc, s14, v13
	s_nop 1
	v_cndmask_b32_e32 v15, 1.0, v14, vcc
	v_mul_f32_e32 v13, v13, v15
	v_log_f32_e32 v13, v13
	s_nop 0
	v_mul_f32_e32 v15, 0x3f317217, v13
	v_fma_f32 v15, v13, s7, -v15
	v_fmac_f32_e32 v15, 0x3377d1cf, v13
	v_fmac_f32_e32 v15, 0x3f317217, v13
	v_cmp_lt_f32_e64 s[4:5], |v13|, s12
	s_nop 1
	v_cndmask_b32_e64 v13, v13, v15, s[4:5]
	v_mov_b32_e32 v15, 0x41b17218
	v_cndmask_b32_e32 v16, 0, v15, vcc
	v_sub_f32_e32 v13, v13, v16
	v_cmp_lt_f32_e32 vcc, s6, v6
	s_nop 1
	v_cndmask_b32_e32 v6, v13, v6, vcc
	v_mul_f32_e32 v13, 0x4f800000, v6
	v_cmp_gt_f32_e32 vcc, s13, v6
	s_nop 1
	v_cndmask_b32_e32 v6, v6, v13, vcc
	v_sqrt_f32_e32 v13, v6
	s_nop 0
	v_add_u32_e32 v16, -1, v13
	v_fma_f32 v17, -v16, v13, v6
	v_cmp_ge_f32_e64 s[4:5], 0, v17
	v_add_u32_e32 v17, 1, v13
	s_nop 0
	v_cndmask_b32_e64 v16, v13, v16, s[4:5]
	v_fma_f32 v13, -v17, v13, v6
	v_cmp_lt_f32_e64 s[4:5], 0, v13
	s_nop 1
	v_cndmask_b32_e64 v13, v16, v17, s[4:5]
	v_mul_f32_e32 v16, 0x37800000, v13
	v_cndmask_b32_e32 v16, v13, v16, vcc
	v_mov_b32_e32 v13, 0x260
	v_cmp_class_f32_e64 s[4:5], v6, v13
	s_and_b64 vcc, exec, s[2:3]
	s_nop 0
	v_cndmask_b32_e64 v6, v16, v6, s[4:5]
	s_cbranch_vccnz .LBB467_18
; %bb.17:
	global_load_dword v16, v11, s[10:11] offset:768
	s_waitcnt vmcnt(0)
	v_add_f32_e32 v6, v6, v16
.LBB467_18:
	s_waitcnt vmcnt(2)
	v_lshlrev_b32_e32 v7, 16, v7
	v_mul_f32_e32 v16, 0x3fb8aa3b, v7
	v_exp_f32_e32 v16, v16
	s_nop 0
	v_add_f32_e32 v16, 1.0, v16
	v_cmp_gt_f32_e32 vcc, s14, v16
	s_nop 1
	v_cndmask_b32_e32 v14, 1.0, v14, vcc
	v_mul_f32_e32 v14, v16, v14
	v_log_f32_e32 v14, v14
	v_cndmask_b32_e32 v15, 0, v15, vcc
	v_mul_f32_e32 v16, 0x3f317217, v14
	v_fma_f32 v16, v14, s7, -v16
	v_fmac_f32_e32 v16, 0x3377d1cf, v14
	v_fmac_f32_e32 v16, 0x3f317217, v14
	v_cmp_lt_f32_e64 vcc, |v14|, s12
	s_nop 1
	v_cndmask_b32_e32 v14, v14, v16, vcc
	v_sub_f32_e32 v14, v14, v15
	v_cmp_lt_f32_e32 vcc, s6, v7
	s_nop 1
	v_cndmask_b32_e32 v7, v14, v7, vcc
	v_mul_f32_e32 v14, 0x4f800000, v7
	v_cmp_gt_f32_e32 vcc, s13, v7
	s_nop 1
	v_cndmask_b32_e32 v7, v7, v14, vcc
	v_sqrt_f32_e32 v14, v7
	s_nop 0
	v_add_u32_e32 v15, -1, v14
	v_add_u32_e32 v16, 1, v14
	v_fma_f32 v17, -v15, v14, v7
	v_fma_f32 v18, -v16, v14, v7
	v_cmp_ge_f32_e64 s[4:5], 0, v17
	s_nop 1
	v_cndmask_b32_e64 v14, v14, v15, s[4:5]
	v_cmp_lt_f32_e64 s[4:5], 0, v18
	s_nop 1
	v_cndmask_b32_e64 v14, v14, v16, s[4:5]
	v_mul_f32_e32 v15, 0x37800000, v14
	v_cndmask_b32_e32 v14, v14, v15, vcc
	v_cmp_class_f32_e64 s[4:5], v7, v13
	s_and_b64 vcc, exec, s[2:3]
	s_nop 0
	v_cndmask_b32_e64 v7, v14, v7, s[4:5]
	s_cbranch_vccnz .LBB467_20
; %bb.19:
	global_load_dword v13, v11, s[10:11] offset:896
	s_waitcnt vmcnt(0)
	v_add_f32_e32 v7, v7, v13
.LBB467_20:
	s_waitcnt vmcnt(1)
	v_lshlrev_b32_e32 v8, 16, v8
	v_mul_f32_e32 v13, 0x3fb8aa3b, v8
	v_exp_f32_e32 v13, v13
	v_mov_b32_e32 v14, 0x4f800000
	v_add_f32_e32 v13, 1.0, v13
	v_cmp_gt_f32_e32 vcc, s14, v13
	s_nop 1
	v_cndmask_b32_e32 v15, 1.0, v14, vcc
	v_mul_f32_e32 v13, v13, v15
	v_log_f32_e32 v13, v13
	s_nop 0
	v_mul_f32_e32 v15, 0x3f317217, v13
	v_fma_f32 v15, v13, s7, -v15
	v_fmac_f32_e32 v15, 0x3377d1cf, v13
	v_fmac_f32_e32 v15, 0x3f317217, v13
	v_cmp_lt_f32_e64 s[4:5], |v13|, s12
	s_nop 1
	v_cndmask_b32_e64 v13, v13, v15, s[4:5]
	v_mov_b32_e32 v15, 0x41b17218
	v_cndmask_b32_e32 v16, 0, v15, vcc
	v_sub_f32_e32 v13, v13, v16
	v_cmp_lt_f32_e32 vcc, s6, v8
	s_nop 1
	v_cndmask_b32_e32 v8, v13, v8, vcc
	v_mul_f32_e32 v13, 0x4f800000, v8
	v_cmp_gt_f32_e32 vcc, s13, v8
	s_nop 1
	v_cndmask_b32_e32 v8, v8, v13, vcc
	v_sqrt_f32_e32 v13, v8
	s_nop 0
	v_add_u32_e32 v16, -1, v13
	v_fma_f32 v17, -v16, v13, v8
	v_cmp_ge_f32_e64 s[4:5], 0, v17
	v_add_u32_e32 v17, 1, v13
	s_nop 0
	v_cndmask_b32_e64 v16, v13, v16, s[4:5]
	v_fma_f32 v13, -v17, v13, v8
	v_cmp_lt_f32_e64 s[4:5], 0, v13
	s_nop 1
	v_cndmask_b32_e64 v13, v16, v17, s[4:5]
	v_mul_f32_e32 v16, 0x37800000, v13
	v_cndmask_b32_e32 v16, v13, v16, vcc
	v_mov_b32_e32 v13, 0x260
	v_cmp_class_f32_e64 s[4:5], v8, v13
	s_and_b64 vcc, exec, s[2:3]
	s_nop 0
	v_cndmask_b32_e64 v8, v16, v8, s[4:5]
	s_cbranch_vccnz .LBB467_22
; %bb.21:
	global_load_dword v16, v11, s[10:11] offset:1024
	s_waitcnt vmcnt(0)
	v_add_f32_e32 v8, v8, v16
.LBB467_22:
	s_waitcnt vmcnt(0)
	v_lshlrev_b32_e32 v9, 16, v9
	v_mul_f32_e32 v16, 0x3fb8aa3b, v9
	v_exp_f32_e32 v16, v16
	s_nop 0
	v_add_f32_e32 v16, 1.0, v16
	v_cmp_gt_f32_e32 vcc, s14, v16
	s_nop 1
	v_cndmask_b32_e32 v14, 1.0, v14, vcc
	v_mul_f32_e32 v14, v16, v14
	v_log_f32_e32 v14, v14
	v_cndmask_b32_e32 v15, 0, v15, vcc
	v_mul_f32_e32 v16, 0x3f317217, v14
	v_fma_f32 v16, v14, s7, -v16
	v_fmac_f32_e32 v16, 0x3377d1cf, v14
	v_fmac_f32_e32 v16, 0x3f317217, v14
	v_cmp_lt_f32_e64 vcc, |v14|, s12
	s_nop 1
	v_cndmask_b32_e32 v14, v14, v16, vcc
	v_sub_f32_e32 v14, v14, v15
	v_cmp_lt_f32_e32 vcc, s6, v9
	s_nop 1
	v_cndmask_b32_e32 v9, v14, v9, vcc
	v_mul_f32_e32 v14, 0x4f800000, v9
	v_cmp_gt_f32_e32 vcc, s13, v9
	s_nop 1
	v_cndmask_b32_e32 v9, v9, v14, vcc
	v_sqrt_f32_e32 v14, v9
	s_nop 0
	v_add_u32_e32 v15, -1, v14
	v_add_u32_e32 v16, 1, v14
	v_fma_f32 v17, -v15, v14, v9
	v_fma_f32 v18, -v16, v14, v9
	v_cmp_ge_f32_e64 s[4:5], 0, v17
	s_nop 1
	v_cndmask_b32_e64 v14, v14, v15, s[4:5]
	v_cmp_lt_f32_e64 s[4:5], 0, v18
	s_nop 1
	v_cndmask_b32_e64 v14, v14, v16, s[4:5]
	v_mul_f32_e32 v15, 0x37800000, v14
	v_cndmask_b32_e32 v14, v14, v15, vcc
	v_cmp_class_f32_e64 s[4:5], v9, v13
	s_and_b64 vcc, exec, s[2:3]
	s_nop 0
	v_cndmask_b32_e64 v9, v14, v9, s[4:5]
	s_cbranch_vccnz .LBB467_24
; %bb.23:
	global_load_dword v11, v11, s[10:11] offset:1152
	s_waitcnt vmcnt(0)
	v_add_f32_e32 v9, v9, v11
.LBB467_24:
	s_load_dwordx4 s[12:15], s[0:1], 0x30
	s_mov_b32 s31, 0
	v_cmp_eq_u32_e64 s[6:7], 0, v12
	s_waitcnt lgkmcnt(0)
	s_bitcmp1_b32 s15, 0
	s_cselect_b64 s[4:5], -1, 0
	s_cmp_gt_i32 s12, 0
	s_cselect_b64 s[24:25], -1, 0
	s_and_b64 vcc, exec, s[24:25]
	s_cbranch_vccz .LBB467_51
; %bb.25:
	v_mbcnt_lo_u32_b32 v11, -1, 0
	v_mbcnt_hi_u32_b32 v14, -1, v11
	v_and_b32_e32 v11, 0x60, v14
	v_add_u32_e32 v15, 32, v11
	v_xor_b32_e32 v16, 16, v14
	v_cmp_lt_i32_e32 vcc, v16, v15
	s_load_dwordx4 s[16:19], s[0:1], 0x20
	v_mul_lo_u32 v11, v10, s12
	v_cndmask_b32_e32 v16, v14, v16, vcc
	v_lshlrev_b32_e32 v25, 2, v16
	v_xor_b32_e32 v16, 8, v14
	v_cmp_lt_i32_e32 vcc, v16, v15
	v_or_b32_e32 v13, 32, v12
	v_or_b32_e32 v17, 64, v12
	v_cndmask_b32_e32 v16, v14, v16, vcc
	v_lshlrev_b32_e32 v26, 2, v16
	v_xor_b32_e32 v16, 4, v14
	v_cmp_lt_i32_e32 vcc, v16, v15
	v_or_b32_e32 v18, 0x60, v12
	v_or_b32_e32 v19, 0x80, v12
	;; [unrolled: 6-line block ×4, first 2 shown]
	v_cndmask_b32_e32 v14, v14, v16, vcc
	v_or_b32_e32 v24, 0x120, v12
	v_lshlrev_b32_e32 v29, 2, v14
	v_mov_b32_e32 v16, 0
	v_mov_b32_e32 v30, 0x140
	;; [unrolled: 1-line block ×4, first 2 shown]
	s_branch .LBB467_28
.LBB467_26:                             ;   in Loop: Header=BB467_28 Depth=1
	s_waitcnt lgkmcnt(0)
	v_add_u32_e32 v34, s31, v11
	v_cmp_le_i32_e32 vcc, s13, v14
	v_cmp_gt_i32_e64 s[0:1], s14, v14
	v_ashrrev_i32_e32 v35, 31, v34
	s_and_b64 s[0:1], vcc, s[0:1]
	v_lshlrev_b64 v[34:35], 2, v[34:35]
	v_lshl_add_u64 v[36:37], s[20:21], 0, v[34:35]
	v_subrev_u32_e32 v15, s13, v14
	s_and_b64 vcc, s[22:23], s[0:1]
	global_store_dword v[36:37], v33, off
	v_cndmask_b32_e32 v15, v30, v15, vcc
	v_lshl_add_u64 v[36:37], s[16:17], 0, v[34:35]
	global_store_dword v[36:37], v15, off
	v_add_f32_e32 v15, v16, v33
	v_lshl_add_u64 v[34:35], s[18:19], 0, v[34:35]
	v_cndmask_b32_e64 v16, v16, v15, s[4:5]
	global_store_dword v[34:35], v32, off
.LBB467_27:                             ;   in Loop: Header=BB467_28 Depth=1
	s_or_b64 exec, exec, s[26:27]
	v_ashrrev_i32_e32 v15, 31, v14
	v_lshrrev_b32_e32 v15, 27, v15
	v_add_u32_e32 v15, v14, v15
	v_and_b32_e32 v33, 0xffffffe0, v15
	v_sub_u32_e32 v14, v14, v33
	s_add_i32 s31, s31, 1
	v_cmp_eq_u32_e32 vcc, v12, v14
	s_cmp_lt_i32 s31, s12
	v_ashrrev_i32_e32 v14, 5, v15
	s_cselect_b64 s[26:27], -1, 0
	v_cmp_ne_u32_e64 s[0:1], 9, v14
	s_and_b64 vcc, s[26:27], vcc
	s_cmp_eq_u32 s12, s31
	v_cndmask_b32_e64 v15, v31, v9, s[0:1]
	v_cmp_ne_u32_e64 s[0:1], 8, v14
	v_cndmask_b32_e32 v9, v9, v15, vcc
	v_add_u32_e32 v32, s30, v32
	v_cndmask_b32_e64 v15, v31, v8, s[0:1]
	v_cmp_ne_u32_e64 s[0:1], 7, v14
	v_cndmask_b32_e32 v8, v8, v15, vcc
	s_nop 0
	v_cndmask_b32_e64 v15, v31, v7, s[0:1]
	v_cmp_ne_u32_e64 s[0:1], 6, v14
	v_cndmask_b32_e32 v7, v7, v15, vcc
	s_nop 0
	;; [unrolled: 4-line block ×8, first 2 shown]
	v_cndmask_b32_e64 v14, v31, v0, s[0:1]
	v_cndmask_b32_e32 v0, v0, v14, vcc
	s_cbranch_scc1 .LBB467_52
.LBB467_28:                             ; =>This Inner Loop Header: Depth=1
	v_cmp_gt_f32_e32 vcc, v1, v0
	s_nop 1
	v_cndmask_b32_e32 v15, v0, v1, vcc
	v_cndmask_b32_e32 v14, v12, v13, vcc
	v_cmp_gt_f32_e32 vcc, v2, v15
	s_nop 1
	v_cndmask_b32_e32 v15, v15, v2, vcc
	v_cndmask_b32_e32 v14, v14, v17, vcc
	;; [unrolled: 4-line block ×9, first 2 shown]
	ds_bpermute_b32 v15, v25, v33
	s_waitcnt lgkmcnt(0)
	ds_bpermute_b32 v34, v25, v14
	s_waitcnt lgkmcnt(0)
	v_cmp_lt_f32_e64 s[26:27], v33, v15
	v_cmp_nlt_f32_e32 vcc, v33, v15
	s_and_saveexec_b64 s[28:29], vcc
; %bb.29:                               ;   in Loop: Header=BB467_28 Depth=1
	v_cmp_eq_f32_e32 vcc, v33, v15
	v_cmp_lt_i32_e64 s[0:1], v34, v14
	s_and_b64 s[0:1], vcc, s[0:1]
	s_andn2_b64 s[26:27], s[26:27], exec
	s_and_b64 s[0:1], s[0:1], exec
	s_or_b64 s[26:27], s[26:27], s[0:1]
; %bb.30:                               ;   in Loop: Header=BB467_28 Depth=1
	s_or_b64 exec, exec, s[28:29]
	s_and_saveexec_b64 s[0:1], s[26:27]
; %bb.31:                               ;   in Loop: Header=BB467_28 Depth=1
	v_mov_b32_e32 v33, v15
	v_mov_b32_e32 v14, v34
; %bb.32:                               ;   in Loop: Header=BB467_28 Depth=1
	s_or_b64 exec, exec, s[0:1]
	ds_bpermute_b32 v15, v26, v33
	ds_bpermute_b32 v34, v26, v14
	s_waitcnt lgkmcnt(1)
	v_cmp_lt_f32_e64 s[26:27], v33, v15
	v_cmp_nlt_f32_e32 vcc, v33, v15
	s_and_saveexec_b64 s[28:29], vcc
	s_cbranch_execz .LBB467_34
; %bb.33:                               ;   in Loop: Header=BB467_28 Depth=1
	v_cmp_eq_f32_e32 vcc, v33, v15
	s_waitcnt lgkmcnt(0)
	v_cmp_lt_i32_e64 s[0:1], v34, v14
	s_and_b64 s[0:1], vcc, s[0:1]
	s_andn2_b64 s[26:27], s[26:27], exec
	s_and_b64 s[0:1], s[0:1], exec
	s_or_b64 s[26:27], s[26:27], s[0:1]
.LBB467_34:                             ;   in Loop: Header=BB467_28 Depth=1
	s_or_b64 exec, exec, s[28:29]
	s_and_saveexec_b64 s[0:1], s[26:27]
	s_cbranch_execz .LBB467_36
; %bb.35:                               ;   in Loop: Header=BB467_28 Depth=1
	v_mov_b32_e32 v33, v15
	s_waitcnt lgkmcnt(0)
	v_mov_b32_e32 v14, v34
.LBB467_36:                             ;   in Loop: Header=BB467_28 Depth=1
	s_or_b64 exec, exec, s[0:1]
	ds_bpermute_b32 v15, v27, v33
	s_waitcnt lgkmcnt(1)
	ds_bpermute_b32 v34, v27, v14
	s_waitcnt lgkmcnt(1)
	v_cmp_lt_f32_e64 s[26:27], v33, v15
	v_cmp_nlt_f32_e32 vcc, v33, v15
	s_and_saveexec_b64 s[28:29], vcc
	s_cbranch_execz .LBB467_38
; %bb.37:                               ;   in Loop: Header=BB467_28 Depth=1
	v_cmp_eq_f32_e32 vcc, v33, v15
	s_waitcnt lgkmcnt(0)
	v_cmp_lt_i32_e64 s[0:1], v34, v14
	s_and_b64 s[0:1], vcc, s[0:1]
	s_andn2_b64 s[26:27], s[26:27], exec
	s_and_b64 s[0:1], s[0:1], exec
	s_or_b64 s[26:27], s[26:27], s[0:1]
.LBB467_38:                             ;   in Loop: Header=BB467_28 Depth=1
	s_or_b64 exec, exec, s[28:29]
	s_and_saveexec_b64 s[0:1], s[26:27]
	s_cbranch_execz .LBB467_40
; %bb.39:                               ;   in Loop: Header=BB467_28 Depth=1
	v_mov_b32_e32 v33, v15
	s_waitcnt lgkmcnt(0)
	v_mov_b32_e32 v14, v34
.LBB467_40:                             ;   in Loop: Header=BB467_28 Depth=1
	s_or_b64 exec, exec, s[0:1]
	ds_bpermute_b32 v15, v28, v33
	s_waitcnt lgkmcnt(1)
	;; [unrolled: 26-line block ×3, first 2 shown]
	ds_bpermute_b32 v34, v29, v14
	s_waitcnt lgkmcnt(1)
	v_cmp_lt_f32_e64 s[26:27], v33, v15
	v_cmp_nlt_f32_e32 vcc, v33, v15
	s_and_saveexec_b64 s[28:29], vcc
	s_cbranch_execnz .LBB467_47
; %bb.45:                               ;   in Loop: Header=BB467_28 Depth=1
	s_or_b64 exec, exec, s[28:29]
	s_and_saveexec_b64 s[0:1], s[26:27]
	s_cbranch_execnz .LBB467_48
.LBB467_46:                             ;   in Loop: Header=BB467_28 Depth=1
	s_or_b64 exec, exec, s[0:1]
	s_and_saveexec_b64 s[26:27], s[6:7]
	s_cbranch_execz .LBB467_27
	s_branch .LBB467_49
.LBB467_47:                             ;   in Loop: Header=BB467_28 Depth=1
	v_cmp_eq_f32_e32 vcc, v33, v15
	s_waitcnt lgkmcnt(0)
	v_cmp_lt_i32_e64 s[0:1], v34, v14
	s_and_b64 s[0:1], vcc, s[0:1]
	s_andn2_b64 s[26:27], s[26:27], exec
	s_and_b64 s[0:1], s[0:1], exec
	s_or_b64 s[26:27], s[26:27], s[0:1]
	s_or_b64 exec, exec, s[28:29]
	s_and_saveexec_b64 s[0:1], s[26:27]
	s_cbranch_execz .LBB467_46
.LBB467_48:                             ;   in Loop: Header=BB467_28 Depth=1
	s_waitcnt lgkmcnt(0)
	v_mov_b32_e32 v14, v34
	v_mov_b32_e32 v33, v15
	s_or_b64 exec, exec, s[0:1]
	s_and_saveexec_b64 s[26:27], s[6:7]
	s_cbranch_execz .LBB467_27
.LBB467_49:                             ;   in Loop: Header=BB467_28 Depth=1
	s_and_b64 vcc, exec, s[2:3]
	s_cbranch_vccnz .LBB467_26
; %bb.50:                               ;   in Loop: Header=BB467_28 Depth=1
	v_ashrrev_i32_e32 v15, 31, v14
	s_waitcnt lgkmcnt(0)
	v_lshl_add_u64 v[34:35], v[14:15], 2, s[10:11]
	global_load_dword v15, v[34:35], off
	s_waitcnt vmcnt(0)
	v_sub_f32_e32 v33, v33, v15
	s_branch .LBB467_26
.LBB467_51:
	v_mov_b32_e32 v16, 0
.LBB467_52:
	v_cmp_eq_u32_e32 vcc, 0, v12
	s_and_b64 exec, exec, vcc
	s_cbranch_execz .LBB467_65
; %bb.53:
	s_andn2_b64 vcc, exec, s[4:5]
	v_cvt_f32_f64_e32 v0, s[8:9]
	s_cbranch_vccnz .LBB467_55
; %bb.54:
	v_cmp_lt_f32_e32 vcc, 0, v16
	s_nop 1
	v_cndmask_b32_e32 v1, 1.0, v16, vcc
	v_div_scale_f32 v2, s[0:1], v1, v1, v0
	v_rcp_f32_e32 v3, v2
	s_nop 0
	v_fma_f32 v4, -v2, v3, 1.0
	v_fmac_f32_e32 v3, v4, v3
	v_div_scale_f32 v4, vcc, v0, v1, v0
	v_mul_f32_e32 v5, v4, v3
	v_fma_f32 v6, -v2, v5, v4
	v_fmac_f32_e32 v5, v6, v3
	v_fma_f32 v2, -v2, v5, v4
	v_div_fmas_f32 v2, v2, v3, v5
	v_div_fixup_f32 v0, v2, v1, v0
.LBB467_55:
	s_andn2_b64 vcc, exec, s[24:25]
	s_cbranch_vccnz .LBB467_65
; %bb.56:
	v_mul_lo_u32 v2, v10, s12
	s_cmp_gt_u32 s12, 3
	v_ashrrev_i32_e32 v3, 31, v2
	s_cbranch_scc0 .LBB467_60
; %bb.57:
	s_and_b32 s0, s12, 0x7ffffffc
	v_lshl_add_u64 v[4:5], v[2:3], 2, s[20:21]
	v_mov_b32_e32 v1, v0
	v_lshl_add_u64 v[4:5], v[4:5], 0, 8
	s_mov_b32 s1, s0
.LBB467_58:                             ; =>This Inner Loop Header: Depth=1
	global_load_dwordx4 v[6:9], v[4:5], off offset:-8
	s_add_i32 s1, s1, -4
	s_cmp_lg_u32 s1, 0
	s_waitcnt vmcnt(0)
	v_pk_mul_f32 v[6:7], v[0:1], v[6:7]
	v_pk_mul_f32 v[8:9], v[0:1], v[8:9]
	global_store_dwordx4 v[4:5], v[6:9], off offset:-8
	v_lshl_add_u64 v[4:5], v[4:5], 0, 16
	s_cbranch_scc1 .LBB467_58
; %bb.59:
	s_cmp_lg_u32 s0, s12
	s_cselect_b64 s[2:3], -1, 0
	s_branch .LBB467_62
.LBB467_60:
	s_mov_b64 s[2:3], 0
                                        ; implicit-def: $sgpr0
	s_cbranch_execz .LBB467_62
; %bb.61:
	s_mov_b64 s[2:3], -1
	s_mov_b32 s0, 0
.LBB467_62:
	s_andn2_b64 vcc, exec, s[2:3]
	s_cbranch_vccnz .LBB467_65
; %bb.63:
	s_mov_b32 s1, 0
	v_lshl_add_u64 v[2:3], v[2:3], 0, s[0:1]
	s_sub_i32 s2, s12, s0
	v_lshl_add_u64 v[2:3], v[2:3], 2, s[20:21]
.LBB467_64:                             ; =>This Inner Loop Header: Depth=1
	global_load_dword v1, v[2:3], off
	s_add_i32 s2, s2, -1
	s_cmp_lg_u32 s2, 0
	s_waitcnt vmcnt(0)
	v_mul_f32_e32 v1, v0, v1
	global_store_dword v[2:3], v1, off
	v_lshl_add_u64 v[2:3], v[2:3], 0, 4
	s_cbranch_scc1 .LBB467_64
.LBB467_65:
	s_endpgm
	.section	.rodata,"a",@progbits
	.p2align	6, 0x0
	.amdhsa_kernel _ZN4vllm3moe22topkGatingSoftplusSqrtILi10ELi320ELi4ELi2ELi32ELb0Ej14__hip_bfloat16EEvPKT6_PKbPfiPT5_PiiiibdPKfPKS9_SF_
		.amdhsa_group_segment_fixed_size 0
		.amdhsa_private_segment_fixed_size 0
		.amdhsa_kernarg_size 96
		.amdhsa_user_sgpr_count 2
		.amdhsa_user_sgpr_dispatch_ptr 0
		.amdhsa_user_sgpr_queue_ptr 0
		.amdhsa_user_sgpr_kernarg_segment_ptr 1
		.amdhsa_user_sgpr_dispatch_id 0
		.amdhsa_user_sgpr_kernarg_preload_length 0
		.amdhsa_user_sgpr_kernarg_preload_offset 0
		.amdhsa_user_sgpr_private_segment_size 0
		.amdhsa_uses_dynamic_stack 0
		.amdhsa_enable_private_segment 0
		.amdhsa_system_sgpr_workgroup_id_x 1
		.amdhsa_system_sgpr_workgroup_id_y 0
		.amdhsa_system_sgpr_workgroup_id_z 0
		.amdhsa_system_sgpr_workgroup_info 0
		.amdhsa_system_vgpr_workitem_id 1
		.amdhsa_next_free_vgpr 38
		.amdhsa_next_free_sgpr 32
		.amdhsa_accum_offset 40
		.amdhsa_reserve_vcc 1
		.amdhsa_float_round_mode_32 0
		.amdhsa_float_round_mode_16_64 0
		.amdhsa_float_denorm_mode_32 3
		.amdhsa_float_denorm_mode_16_64 3
		.amdhsa_dx10_clamp 1
		.amdhsa_ieee_mode 1
		.amdhsa_fp16_overflow 0
		.amdhsa_tg_split 0
		.amdhsa_exception_fp_ieee_invalid_op 0
		.amdhsa_exception_fp_denorm_src 0
		.amdhsa_exception_fp_ieee_div_zero 0
		.amdhsa_exception_fp_ieee_overflow 0
		.amdhsa_exception_fp_ieee_underflow 0
		.amdhsa_exception_fp_ieee_inexact 0
		.amdhsa_exception_int_div_zero 0
	.end_amdhsa_kernel
	.section	.text._ZN4vllm3moe22topkGatingSoftplusSqrtILi10ELi320ELi4ELi2ELi32ELb0Ej14__hip_bfloat16EEvPKT6_PKbPfiPT5_PiiiibdPKfPKS9_SF_,"axG",@progbits,_ZN4vllm3moe22topkGatingSoftplusSqrtILi10ELi320ELi4ELi2ELi32ELb0Ej14__hip_bfloat16EEvPKT6_PKbPfiPT5_PiiiibdPKfPKS9_SF_,comdat
.Lfunc_end467:
	.size	_ZN4vllm3moe22topkGatingSoftplusSqrtILi10ELi320ELi4ELi2ELi32ELb0Ej14__hip_bfloat16EEvPKT6_PKbPfiPT5_PiiiibdPKfPKS9_SF_, .Lfunc_end467-_ZN4vllm3moe22topkGatingSoftplusSqrtILi10ELi320ELi4ELi2ELi32ELb0Ej14__hip_bfloat16EEvPKT6_PKbPfiPT5_PiiiibdPKfPKS9_SF_
                                        ; -- End function
	.section	.AMDGPU.csdata,"",@progbits
; Kernel info:
; codeLenInByte = 4872
; NumSgprs: 38
; NumVgprs: 38
; NumAgprs: 0
; TotalNumVgprs: 38
; ScratchSize: 0
; MemoryBound: 0
; FloatMode: 240
; IeeeMode: 1
; LDSByteSize: 0 bytes/workgroup (compile time only)
; SGPRBlocks: 4
; VGPRBlocks: 4
; NumSGPRsForWavesPerEU: 38
; NumVGPRsForWavesPerEU: 38
; AccumOffset: 40
; Occupancy: 8
; WaveLimiterHint : 0
; COMPUTE_PGM_RSRC2:SCRATCH_EN: 0
; COMPUTE_PGM_RSRC2:USER_SGPR: 2
; COMPUTE_PGM_RSRC2:TRAP_HANDLER: 0
; COMPUTE_PGM_RSRC2:TGID_X_EN: 1
; COMPUTE_PGM_RSRC2:TGID_Y_EN: 0
; COMPUTE_PGM_RSRC2:TGID_Z_EN: 0
; COMPUTE_PGM_RSRC2:TIDIG_COMP_CNT: 1
; COMPUTE_PGM_RSRC3_GFX90A:ACCUM_OFFSET: 9
; COMPUTE_PGM_RSRC3_GFX90A:TG_SPLIT: 0
	.section	.text._ZN4vllm3moe22topkGatingSoftplusSqrtILi6ELi384ELi4ELi4ELi64ELb1Ej14__hip_bfloat16EEvPKT6_PKbPfiPT5_PiiiibdPKfPKS9_SF_,"axG",@progbits,_ZN4vllm3moe22topkGatingSoftplusSqrtILi6ELi384ELi4ELi4ELi64ELb1Ej14__hip_bfloat16EEvPKT6_PKbPfiPT5_PiiiibdPKfPKS9_SF_,comdat
	.protected	_ZN4vllm3moe22topkGatingSoftplusSqrtILi6ELi384ELi4ELi4ELi64ELb1Ej14__hip_bfloat16EEvPKT6_PKbPfiPT5_PiiiibdPKfPKS9_SF_ ; -- Begin function _ZN4vllm3moe22topkGatingSoftplusSqrtILi6ELi384ELi4ELi4ELi64ELb1Ej14__hip_bfloat16EEvPKT6_PKbPfiPT5_PiiiibdPKfPKS9_SF_
	.globl	_ZN4vllm3moe22topkGatingSoftplusSqrtILi6ELi384ELi4ELi4ELi64ELb1Ej14__hip_bfloat16EEvPKT6_PKbPfiPT5_PiiiibdPKfPKS9_SF_
	.p2align	8
	.type	_ZN4vllm3moe22topkGatingSoftplusSqrtILi6ELi384ELi4ELi4ELi64ELb1Ej14__hip_bfloat16EEvPKT6_PKbPfiPT5_PiiiibdPKfPKS9_SF_,@function
_ZN4vllm3moe22topkGatingSoftplusSqrtILi6ELi384ELi4ELi4ELi64ELb1Ej14__hip_bfloat16EEvPKT6_PKbPfiPT5_PiiiibdPKfPKS9_SF_: ; @_ZN4vllm3moe22topkGatingSoftplusSqrtILi6ELi384ELi4ELi4ELi64ELb1Ej14__hip_bfloat16EEvPKT6_PKbPfiPT5_PiiiibdPKfPKS9_SF_
; %bb.0:
	s_load_dword s3, s[0:1], 0x18
	v_and_b32_e32 v1, 0x3ff, v0
	s_lshl_b32 s2, s2, 2
	v_lshrrev_b32_e32 v2, 6, v1
	v_bfe_u32 v0, v0, 10, 10
	v_add3_u32 v0, s2, v0, v2
	s_waitcnt lgkmcnt(0)
	v_cmp_gt_i32_e32 vcc, s3, v0
	s_and_saveexec_b64 s[2:3], vcc
	s_cbranch_execz .LBB468_32
; %bb.1:
	s_load_dwordx2 s[2:3], s[0:1], 0x0
	s_load_dword s24, s[0:1], 0x30
	s_movk_i32 s4, 0x180
	v_mul_lo_u32 v2, v0, s4
	v_lshlrev_b32_e32 v1, 1, v1
	v_ashrrev_i32_e32 v3, 31, v2
	v_and_b32_e32 v10, 0x7e, v1
	s_waitcnt lgkmcnt(0)
	v_lshl_add_u64 v[4:5], v[2:3], 1, s[2:3]
	v_lshlrev_b32_e32 v2, 1, v10
	v_mov_b32_e32 v3, 0
	v_lshl_add_u64 v[4:5], v[4:5], 0, v[2:3]
	s_load_dwordx4 s[8:11], s[0:1], 0x50
	global_load_dword v2, v[4:5], off
	global_load_dword v6, v[4:5], off offset:256
	global_load_dword v8, v[4:5], off offset:512
	v_ashrrev_i32_e32 v1, 31, v0
	s_mov_b32 s17, 0x800000
	v_mov_b32_e32 v11, 0x4f800000
	s_waitcnt lgkmcnt(0)
	v_mov_b32_e32 v4, s8
	v_mov_b32_e32 v5, s9
	v_lshl_add_u64 v[4:5], v[0:1], 2, v[4:5]
	global_load_dword v1, v[4:5], off
	s_mov_b32 s15, 0x3f317217
	s_mov_b32 s16, 0x7f800000
	v_mov_b32_e32 v12, 0x41b17218
	s_mov_b32 s13, 0x41a00000
	s_mov_b32 s14, 0xf800000
	v_mov_b32_e32 v13, 0x260
	s_cmp_gt_i32 s24, 0
	s_mov_b32 s12, 0
	v_mul_lo_u32 v0, v0, s24
	s_waitcnt vmcnt(3)
	v_and_b32_e32 v9, 0xffff0000, v2
	v_lshlrev_b32_e32 v14, 16, v2
	v_mul_f32_e32 v2, 0x3fb8aa3b, v14
	v_mul_f32_e32 v5, 0x3fb8aa3b, v9
	v_exp_f32_e32 v4, v2
	v_exp_f32_e32 v5, v5
	s_waitcnt vmcnt(2)
	v_and_b32_e32 v15, 0xffff0000, v6
	v_lshlrev_b32_e32 v16, 16, v6
	v_mul_f32_e32 v6, 0x3fb8aa3b, v16
	v_mul_f32_e32 v7, 0x3fb8aa3b, v15
	v_pk_add_f32 v[4:5], v[4:5], 1.0 op_sel_hi:[1,0]
	v_exp_f32_e32 v6, v6
	v_exp_f32_e32 v7, v7
	v_cmp_gt_f32_e32 vcc, s17, v5
	s_waitcnt vmcnt(0)
	v_mul_lo_u32 v2, v1, s24
	v_cmp_gt_f32_e64 s[2:3], s17, v4
	v_cndmask_b32_e32 v1, 1.0, v11, vcc
	v_and_b32_e32 v17, 0xffff0000, v8
	v_lshlrev_b32_e32 v18, 16, v8
	v_cndmask_b32_e64 v8, 1.0, v11, s[2:3]
	v_mul_f32_e32 v1, v5, v1
	v_mul_f32_e32 v4, v4, v8
	v_log_f32_e32 v1, v1
	v_pk_add_f32 v[6:7], v[6:7], 1.0 op_sel_hi:[1,0]
	v_log_f32_e32 v4, v4
	v_cmp_gt_f32_e64 s[4:5], s17, v7
	v_cmp_gt_f32_e64 s[6:7], s17, v6
	v_cndmask_b32_e32 v5, 0, v12, vcc
	v_cndmask_b32_e64 v19, 1.0, v11, s[4:5]
	v_cndmask_b32_e64 v20, 1.0, v11, s[6:7]
	v_mul_f32_e32 v7, v7, v19
	v_mul_f32_e32 v19, 0x3f317217, v1
	;; [unrolled: 1-line block ×4, first 2 shown]
	v_fma_f32 v19, v1, s15, -v19
	v_fma_f32 v20, v4, s15, -v20
	v_fmac_f32_e32 v19, 0x3377d1cf, v1
	v_fmac_f32_e32 v20, 0x3377d1cf, v4
	;; [unrolled: 1-line block ×3, first 2 shown]
	v_cmp_lt_f32_e64 vcc, |v1|, s16
	v_fmac_f32_e32 v20, 0x3f317217, v4
	v_cndmask_b32_e64 v8, 0, v12, s[2:3]
	v_cndmask_b32_e32 v1, v1, v19, vcc
	v_cmp_lt_f32_e64 vcc, |v4|, s16
	v_sub_f32_e32 v1, v1, v5
	v_log_f32_e32 v7, v7
	v_cndmask_b32_e32 v4, v4, v20, vcc
	v_sub_f32_e32 v4, v4, v8
	v_cmp_lt_f32_e32 vcc, s13, v14
	v_mul_f32_e32 v21, 0x3f317217, v7
	v_fma_f32 v21, v7, s15, -v21
	v_cndmask_b32_e32 v4, v4, v14, vcc
	v_cmp_lt_f32_e32 vcc, s13, v9
	v_mul_f32_e32 v8, 0x4f800000, v4
	v_cmp_gt_f32_e64 s[2:3], s14, v4
	v_cndmask_b32_e32 v1, v1, v9, vcc
	v_mul_f32_e32 v5, 0x4f800000, v1
	v_cmp_gt_f32_e32 vcc, s14, v1
	v_cndmask_b32_e64 v4, v4, v8, s[2:3]
	v_sqrt_f32_e32 v8, v4
	v_cndmask_b32_e32 v1, v1, v5, vcc
	v_sqrt_f32_e32 v5, v1
	v_fmac_f32_e32 v21, 0x3377d1cf, v7
	v_fmac_f32_e32 v21, 0x3f317217, v7
	v_cmp_lt_f32_e64 s[8:9], |v7|, s16
	v_add_u32_e32 v9, -1, v5
	v_add_u32_e32 v19, -1, v8
	v_cndmask_b32_e64 v7, v7, v21, s[8:9]
	v_fma_f32 v21, -v9, v5, v1
	v_add_u32_e32 v14, 1, v5
	v_fma_f32 v23, -v19, v8, v4
	v_cmp_ge_f32_e64 s[8:9], 0, v21
	v_add_u32_e32 v20, 1, v8
	v_fma_f32 v22, -v14, v5, v1
	v_cndmask_b32_e64 v5, v5, v9, s[8:9]
	v_cmp_ge_f32_e64 s[8:9], 0, v23
	v_fma_f32 v24, -v20, v8, v4
	v_log_f32_e32 v6, v6
	v_cndmask_b32_e64 v8, v8, v19, s[8:9]
	v_cmp_lt_f32_e64 s[8:9], 0, v22
	s_nop 1
	v_cndmask_b32_e64 v5, v5, v14, s[8:9]
	v_mul_f32_e32 v9, 0x37800000, v5
	v_cndmask_b32_e32 v5, v5, v9, vcc
	v_cmp_class_f32_e32 vcc, v1, v13
	v_cmp_lt_f32_e64 s[8:9], 0, v24
	s_nop 0
	v_cndmask_b32_e32 v5, v5, v1, vcc
	v_cndmask_b32_e64 v1, 0, v12, s[4:5]
	v_cndmask_b32_e64 v8, v8, v20, s[8:9]
	v_sub_f32_e32 v1, v7, v1
	v_mul_f32_e32 v7, 0x3f317217, v6
	v_mul_f32_e32 v14, 0x37800000, v8
	v_fma_f32 v7, v6, s15, -v7
	v_cndmask_b32_e64 v8, v8, v14, s[2:3]
	v_cmp_class_f32_e32 vcc, v4, v13
	v_fmac_f32_e32 v7, 0x3377d1cf, v6
	v_fmac_f32_e32 v7, 0x3f317217, v6
	v_cndmask_b32_e32 v4, v8, v4, vcc
	v_cmp_lt_f32_e64 vcc, |v6|, s16
	v_cmp_lt_f32_e64 s[2:3], s13, v16
	s_nop 0
	v_cndmask_b32_e32 v6, v6, v7, vcc
	v_cmp_lt_f32_e32 vcc, s13, v15
	v_cndmask_b32_e64 v7, 0, v12, s[6:7]
	v_sub_f32_e32 v6, v6, v7
	v_cndmask_b32_e32 v1, v1, v15, vcc
	v_mul_f32_e32 v8, 0x4f800000, v1
	v_cmp_gt_f32_e32 vcc, s14, v1
	v_cndmask_b32_e64 v6, v6, v16, s[2:3]
	s_nop 0
	v_cndmask_b32_e32 v1, v1, v8, vcc
	v_sqrt_f32_e32 v8, v1
	s_nop 0
	v_add_u32_e32 v7, -1, v8
	v_fma_f32 v9, -v7, v8, v1
	v_cmp_ge_f32_e64 s[2:3], 0, v9
	v_add_u32_e32 v9, 1, v8
	s_nop 0
	v_cndmask_b32_e64 v7, v8, v7, s[2:3]
	v_fma_f32 v8, -v9, v8, v1
	v_cmp_lt_f32_e64 s[2:3], 0, v8
	s_nop 1
	v_cndmask_b32_e64 v7, v7, v9, s[2:3]
	v_mul_f32_e32 v9, 0x4f800000, v6
	v_cmp_gt_f32_e64 s[2:3], s14, v6
	v_mul_f32_e32 v8, 0x37800000, v7
	v_cndmask_b32_e32 v7, v7, v8, vcc
	v_cndmask_b32_e64 v6, v6, v9, s[2:3]
	v_sqrt_f32_e32 v9, v6
	v_cmp_class_f32_e32 vcc, v1, v13
	v_add_u32_e32 v14, 1, v9
	s_nop 0
	v_cndmask_b32_e32 v7, v7, v1, vcc
	v_add_u32_e32 v1, -1, v9
	v_fma_f32 v8, -v1, v9, v6
	v_cmp_ge_f32_e32 vcc, 0, v8
	v_fma_f32 v15, -v14, v9, v6
	v_mul_f32_e32 v8, 0x3fb8aa3b, v18
	v_cndmask_b32_e32 v1, v9, v1, vcc
	v_mul_f32_e32 v9, 0x3fb8aa3b, v17
	v_exp_f32_e32 v8, v8
	v_exp_f32_e32 v9, v9
	v_cmp_lt_f32_e32 vcc, 0, v15
	v_pk_add_f32 v[8:9], v[8:9], 1.0 op_sel_hi:[1,0]
	s_nop 0
	v_cndmask_b32_e32 v1, v1, v14, vcc
	v_mul_f32_e32 v14, 0x37800000, v1
	v_cmp_gt_f32_e32 vcc, s17, v9
	v_cndmask_b32_e64 v1, v1, v14, s[2:3]
	v_cmp_class_f32_e64 s[2:3], v6, v13
	v_cndmask_b32_e32 v14, 1.0, v11, vcc
	v_mul_f32_e32 v9, v9, v14
	v_log_f32_e32 v9, v9
	v_cndmask_b32_e64 v6, v1, v6, s[2:3]
	v_cmp_gt_f32_e64 s[2:3], s17, v8
	scratch_store_dwordx4 off, v[4:7], off
	v_mul_f32_e32 v1, 0x3f317217, v9
	v_fma_f32 v1, v9, s15, -v1
	v_cndmask_b32_e64 v4, 1.0, v11, s[2:3]
	v_mul_f32_e32 v4, v8, v4
	v_log_f32_e32 v4, v4
	v_fmac_f32_e32 v1, 0x3377d1cf, v9
	v_fmac_f32_e32 v1, 0x3f317217, v9
	v_cmp_lt_f32_e64 s[4:5], |v9|, s16
	v_cndmask_b32_e32 v5, 0, v12, vcc
	v_cmp_lt_f32_e64 vcc, |v4|, s16
	v_cndmask_b32_e64 v1, v9, v1, s[4:5]
	v_sub_f32_e32 v1, v1, v5
	v_mul_f32_e32 v5, 0x3f317217, v4
	v_fma_f32 v5, v4, s15, -v5
	v_fmac_f32_e32 v5, 0x3377d1cf, v4
	v_fmac_f32_e32 v5, 0x3f317217, v4
	v_cndmask_b32_e32 v4, v4, v5, vcc
	v_cmp_lt_f32_e32 vcc, s13, v17
	v_cndmask_b32_e64 v5, 0, v12, s[2:3]
	v_sub_f32_e32 v4, v4, v5
	v_cndmask_b32_e32 v1, v1, v17, vcc
	v_mul_f32_e32 v6, 0x4f800000, v1
	v_cmp_gt_f32_e32 vcc, s14, v1
	v_cmp_lt_f32_e64 s[2:3], s13, v18
	s_cselect_b64 s[4:5], -1, 0
	v_cndmask_b32_e32 v1, v1, v6, vcc
	v_sqrt_f32_e32 v6, v1
	v_cndmask_b32_e64 v4, v4, v18, s[2:3]
	s_cmp_lt_i32 s24, 1
	v_add_u32_e32 v5, -1, v6
	v_fma_f32 v7, -v5, v6, v1
	v_cmp_ge_f32_e64 s[2:3], 0, v7
	v_add_u32_e32 v7, 1, v6
	s_nop 0
	v_cndmask_b32_e64 v5, v6, v5, s[2:3]
	v_fma_f32 v6, -v7, v6, v1
	v_cmp_lt_f32_e64 s[2:3], 0, v6
	s_nop 1
	v_cndmask_b32_e64 v5, v5, v7, s[2:3]
	v_mul_f32_e32 v7, 0x4f800000, v4
	v_cmp_gt_f32_e64 s[2:3], s14, v4
	v_mul_f32_e32 v6, 0x37800000, v5
	v_cndmask_b32_e32 v5, v5, v6, vcc
	v_cndmask_b32_e64 v4, v4, v7, s[2:3]
	v_sqrt_f32_e32 v7, v4
	v_cmp_class_f32_e32 vcc, v1, v13
	s_nop 1
	v_cndmask_b32_e32 v5, v5, v1, vcc
	v_add_u32_e32 v1, -1, v7
	v_fma_f32 v6, -v1, v7, v4
	v_cmp_ge_f32_e32 vcc, 0, v6
	v_add_u32_e32 v6, 1, v7
	s_nop 0
	v_cndmask_b32_e32 v1, v7, v1, vcc
	v_fma_f32 v7, -v6, v7, v4
	v_cmp_lt_f32_e32 vcc, 0, v7
	s_nop 1
	v_cndmask_b32_e32 v1, v1, v6, vcc
	v_mul_f32_e32 v6, 0x37800000, v1
	v_cndmask_b32_e64 v1, v1, v6, s[2:3]
	v_cmp_class_f32_e32 vcc, v4, v13
	s_nop 1
	v_cndmask_b32_e32 v4, v1, v4, vcc
	scratch_store_dwordx2 off, v[4:5], off offset:16
	v_lshl_add_u64 v[4:5], v[2:3], 2, s[10:11]
	s_cbranch_scc1 .LBB468_29
; %bb.2:
	s_load_dwordx2 s[6:7], s[0:1], 0x20
	s_cmp_lt_u32 s24, 4
	s_cbranch_scc1 .LBB468_21
; %bb.3:
	s_mov_b32 s9, 0
	s_and_b32 s12, s24, 0x7ffffffc
	v_ashrrev_i32_e32 v1, 31, v0
	v_mov_b32_e32 v3, 0
	s_mov_b32 s8, s9
	s_branch .LBB468_5
.LBB468_4:                              ;   in Loop: Header=BB468_5 Depth=1
	s_or_b64 exec, exec, s[10:11]
	s_add_i32 s8, s8, 4
	s_cmp_eq_u32 s8, s12
	s_cbranch_scc1 .LBB468_22
.LBB468_5:                              ; =>This Loop Header: Depth=1
                                        ;     Child Loop BB468_7 Depth 2
                                        ;     Child Loop BB468_11 Depth 2
                                        ;     Child Loop BB468_15 Depth 2
                                        ;     Child Loop BB468_19 Depth 2
	v_lshl_add_u64 v[6:7], s[8:9], 2, v[4:5]
	global_load_dword v2, v[6:7], off
	v_add_u32_e32 v8, s8, v0
	v_ashrrev_i32_e32 v9, 31, v8
	s_waitcnt lgkmcnt(0)
	v_lshl_add_u64 v[8:9], v[8:9], 2, s[6:7]
	v_mov_b32_e32 v11, 0
	s_mov_b64 s[10:11], 0
	s_mov_b32 s13, 0
	s_mov_b32 s16, 0
	s_branch .LBB468_7
.LBB468_6:                              ;   in Loop: Header=BB468_7 Depth=2
	s_or_b64 exec, exec, s[14:15]
	s_add_i32 s17, s16, 1
	s_cmp_gt_u32 s16, 4
	s_cselect_b64 s[2:3], -1, 0
	s_xor_b64 s[14:15], vcc, -1
	s_or_b64 s[2:3], s[14:15], s[2:3]
	s_add_i32 s13, s13, 64
	s_and_b64 s[2:3], exec, s[2:3]
	v_add_u32_e32 v11, 4, v11
	s_or_b64 s[10:11], s[2:3], s[10:11]
	s_mov_b32 s16, s17
	s_andn2_b64 exec, exec, s[10:11]
	s_cbranch_execz .LBB468_9
.LBB468_7:                              ;   Parent Loop BB468_5 Depth=1
                                        ; =>  This Inner Loop Header: Depth=2
	s_and_b32 s2, s16, 1
	s_and_b32 s3, s13, 0x180
	s_or_b32 s2, s2, s3
	v_or_b32_e32 v12, s2, v10
	s_waitcnt vmcnt(0)
	v_cmp_ne_u32_e32 vcc, v2, v12
	v_cmp_eq_u32_e64 s[2:3], v2, v12
	s_and_saveexec_b64 s[14:15], s[2:3]
	s_cbranch_execz .LBB468_6
; %bb.8:                                ;   in Loop: Header=BB468_7 Depth=2
	scratch_load_dword v12, v11, off
	s_waitcnt vmcnt(0)
	v_add_f32_e32 v3, v3, v12
	global_store_dword v[8:9], v2, off
	s_branch .LBB468_6
.LBB468_9:                              ;   in Loop: Header=BB468_5 Depth=1
	s_or_b64 exec, exec, s[10:11]
	global_load_dword v2, v[6:7], off offset:4
	s_ashr_i32 s3, s8, 31
	s_mov_b32 s2, s8
	v_lshl_add_u64 v[8:9], s[2:3], 0, v[0:1]
	v_lshl_add_u64 v[8:9], v[8:9], 2, s[6:7]
	v_mov_b32_e32 v11, 0
	s_mov_b32 s13, 0
	s_mov_b64 s[10:11], 0
	s_mov_b32 s16, 0
	s_branch .LBB468_11
.LBB468_10:                             ;   in Loop: Header=BB468_11 Depth=2
	s_or_b64 exec, exec, s[14:15]
	s_add_i32 s17, s16, 1
	s_cmp_gt_u32 s16, 4
	s_cselect_b64 s[2:3], -1, 0
	s_xor_b64 s[14:15], vcc, -1
	s_or_b64 s[2:3], s[14:15], s[2:3]
	s_add_i32 s13, s13, 64
	s_and_b64 s[2:3], exec, s[2:3]
	v_add_u32_e32 v11, 4, v11
	s_or_b64 s[10:11], s[2:3], s[10:11]
	s_mov_b32 s16, s17
	s_andn2_b64 exec, exec, s[10:11]
	s_cbranch_execz .LBB468_13
.LBB468_11:                             ;   Parent Loop BB468_5 Depth=1
                                        ; =>  This Inner Loop Header: Depth=2
	s_and_b32 s2, s16, 1
	s_and_b32 s3, s13, 0x180
	s_or_b32 s2, s2, s3
	v_or_b32_e32 v12, s2, v10
	s_waitcnt vmcnt(0)
	v_cmp_ne_u32_e32 vcc, v2, v12
	v_cmp_eq_u32_e64 s[2:3], v2, v12
	s_and_saveexec_b64 s[14:15], s[2:3]
	s_cbranch_execz .LBB468_10
; %bb.12:                               ;   in Loop: Header=BB468_11 Depth=2
	scratch_load_dword v12, v11, off
	s_waitcnt vmcnt(0)
	v_add_f32_e32 v3, v3, v12
	global_store_dword v[8:9], v2, off offset:4
	s_branch .LBB468_10
.LBB468_13:                             ;   in Loop: Header=BB468_5 Depth=1
	s_or_b64 exec, exec, s[10:11]
	global_load_dword v2, v[6:7], off offset:8
	v_mov_b32_e32 v11, 0
	s_mov_b32 s13, 0
	s_mov_b64 s[10:11], 0
	s_mov_b32 s16, 0
	s_branch .LBB468_15
.LBB468_14:                             ;   in Loop: Header=BB468_15 Depth=2
	s_or_b64 exec, exec, s[14:15]
	s_add_i32 s17, s16, 1
	s_cmp_gt_u32 s16, 4
	s_cselect_b64 s[2:3], -1, 0
	s_xor_b64 s[14:15], vcc, -1
	s_or_b64 s[2:3], s[14:15], s[2:3]
	s_add_i32 s13, s13, 64
	s_and_b64 s[2:3], exec, s[2:3]
	v_add_u32_e32 v11, 4, v11
	s_or_b64 s[10:11], s[2:3], s[10:11]
	s_mov_b32 s16, s17
	s_andn2_b64 exec, exec, s[10:11]
	s_cbranch_execz .LBB468_17
.LBB468_15:                             ;   Parent Loop BB468_5 Depth=1
                                        ; =>  This Inner Loop Header: Depth=2
	s_and_b32 s2, s16, 1
	s_and_b32 s3, s13, 0x180
	s_or_b32 s2, s2, s3
	v_or_b32_e32 v12, s2, v10
	s_waitcnt vmcnt(0)
	v_cmp_ne_u32_e32 vcc, v2, v12
	v_cmp_eq_u32_e64 s[2:3], v2, v12
	s_and_saveexec_b64 s[14:15], s[2:3]
	s_cbranch_execz .LBB468_14
; %bb.16:                               ;   in Loop: Header=BB468_15 Depth=2
	scratch_load_dword v12, v11, off
	s_waitcnt vmcnt(0)
	v_add_f32_e32 v3, v3, v12
	global_store_dword v[8:9], v2, off offset:8
	s_branch .LBB468_14
.LBB468_17:                             ;   in Loop: Header=BB468_5 Depth=1
	s_or_b64 exec, exec, s[10:11]
	global_load_dword v2, v[6:7], off offset:12
	v_mov_b32_e32 v6, 0
	s_mov_b32 s13, 0
	s_mov_b64 s[10:11], 0
	s_mov_b32 s16, 0
	s_branch .LBB468_19
.LBB468_18:                             ;   in Loop: Header=BB468_19 Depth=2
	s_or_b64 exec, exec, s[14:15]
	s_add_i32 s17, s16, 1
	s_cmp_gt_u32 s16, 4
	s_cselect_b64 s[2:3], -1, 0
	s_xor_b64 s[14:15], vcc, -1
	s_or_b64 s[2:3], s[14:15], s[2:3]
	s_add_i32 s13, s13, 64
	s_and_b64 s[2:3], exec, s[2:3]
	v_add_u32_e32 v6, 4, v6
	s_or_b64 s[10:11], s[2:3], s[10:11]
	s_mov_b32 s16, s17
	s_andn2_b64 exec, exec, s[10:11]
	s_cbranch_execz .LBB468_4
.LBB468_19:                             ;   Parent Loop BB468_5 Depth=1
                                        ; =>  This Inner Loop Header: Depth=2
	s_and_b32 s2, s16, 1
	s_and_b32 s3, s13, 0x180
	s_or_b32 s2, s2, s3
	v_or_b32_e32 v7, s2, v10
	s_waitcnt vmcnt(0)
	v_cmp_ne_u32_e32 vcc, v2, v7
	v_cmp_eq_u32_e64 s[2:3], v2, v7
	s_and_saveexec_b64 s[14:15], s[2:3]
	s_cbranch_execz .LBB468_18
; %bb.20:                               ;   in Loop: Header=BB468_19 Depth=2
	scratch_load_dword v7, v6, off
	s_waitcnt vmcnt(0)
	v_add_f32_e32 v3, v3, v7
	global_store_dword v[8:9], v2, off offset:12
	s_branch .LBB468_18
.LBB468_21:
	v_mov_b32_e32 v3, 0
.LBB468_22:
	s_and_b32 s14, s24, 3
	s_cmp_eq_u32 s14, 0
	s_mov_b32 s13, 0
	s_cbranch_scc1 .LBB468_29
; %bb.23:
	s_mov_b32 s15, s13
	s_branch .LBB468_25
.LBB468_24:                             ;   in Loop: Header=BB468_25 Depth=1
	s_or_b64 exec, exec, s[8:9]
	s_add_i32 s12, s12, 1
	s_add_i32 s15, s15, 1
	s_cmp_lg_u32 s15, s14
	s_cbranch_scc0 .LBB468_29
.LBB468_25:                             ; =>This Loop Header: Depth=1
                                        ;     Child Loop BB468_27 Depth 2
	v_lshl_add_u64 v[6:7], s[12:13], 2, v[4:5]
	global_load_dword v1, v[6:7], off
	v_add_u32_e32 v6, s12, v0
	v_ashrrev_i32_e32 v7, 31, v6
	s_waitcnt lgkmcnt(0)
	v_lshl_add_u64 v[6:7], v[6:7], 2, s[6:7]
	v_mov_b32_e32 v2, 0
	s_mov_b32 s16, 0
	s_mov_b64 s[8:9], 0
	s_mov_b32 s17, 0
	s_branch .LBB468_27
.LBB468_26:                             ;   in Loop: Header=BB468_27 Depth=2
	s_or_b64 exec, exec, s[10:11]
	s_add_i32 s18, s17, 1
	s_cmp_gt_u32 s17, 4
	s_cselect_b64 s[2:3], -1, 0
	s_xor_b64 s[10:11], vcc, -1
	s_or_b64 s[2:3], s[10:11], s[2:3]
	s_add_i32 s16, s16, 64
	s_and_b64 s[2:3], exec, s[2:3]
	v_add_u32_e32 v2, 4, v2
	s_or_b64 s[8:9], s[2:3], s[8:9]
	s_mov_b32 s17, s18
	s_andn2_b64 exec, exec, s[8:9]
	s_cbranch_execz .LBB468_24
.LBB468_27:                             ;   Parent Loop BB468_25 Depth=1
                                        ; =>  This Inner Loop Header: Depth=2
	s_and_b32 s2, s17, 1
	s_and_b32 s3, s16, 0x180
	s_or_b32 s2, s2, s3
	v_or_b32_e32 v8, s2, v10
	s_waitcnt vmcnt(0)
	v_cmp_ne_u32_e32 vcc, v1, v8
	v_cmp_eq_u32_e64 s[2:3], v1, v8
	s_and_saveexec_b64 s[10:11], s[2:3]
	s_cbranch_execz .LBB468_26
; %bb.28:                               ;   in Loop: Header=BB468_27 Depth=2
	scratch_load_dword v8, v2, off
	s_waitcnt vmcnt(0)
	v_add_f32_e32 v3, v3, v8
	global_store_dword v[6:7], v1, off
	s_branch .LBB468_26
.LBB468_29:
	s_waitcnt lgkmcnt(0)
	s_load_dword s6, s[0:1], 0x3c
	s_waitcnt lgkmcnt(0)
	s_bitcmp1_b32 s6, 0
	s_cselect_b64 s[2:3], -1, 0
	s_bitcmp0_b32 s6, 0
	s_cbranch_scc0 .LBB468_33
; %bb.30:
	s_load_dwordx2 s[6:7], s[0:1], 0x40
	s_andn2_b64 vcc, exec, s[2:3]
	s_waitcnt lgkmcnt(0)
	v_cvt_f32_f64_e32 v8, s[6:7]
	s_cbranch_vccz .LBB468_34
.LBB468_31:
	s_andn2_b64 vcc, exec, s[4:5]
	s_cbranch_vccz .LBB468_35
.LBB468_32:
	s_endpgm
.LBB468_33:
	v_mbcnt_lo_u32_b32 v1, -1, 0
	v_mbcnt_hi_u32_b32 v1, -1, v1
	v_and_b32_e32 v2, 64, v1
	v_add_u32_e32 v2, 64, v2
	v_xor_b32_e32 v6, 32, v1
	v_cmp_lt_i32_e32 vcc, v6, v2
	v_xor_b32_e32 v7, 16, v1
	s_nop 0
	v_cndmask_b32_e32 v6, v1, v6, vcc
	v_lshlrev_b32_e32 v6, 2, v6
	ds_bpermute_b32 v6, v6, v3
	v_cmp_lt_i32_e32 vcc, v7, v2
	s_waitcnt lgkmcnt(0)
	v_add_f32_e32 v3, v3, v6
	v_cndmask_b32_e32 v6, v1, v7, vcc
	v_lshlrev_b32_e32 v6, 2, v6
	ds_bpermute_b32 v6, v6, v3
	v_xor_b32_e32 v7, 8, v1
	v_cmp_lt_i32_e32 vcc, v7, v2
	s_waitcnt lgkmcnt(0)
	v_add_f32_e32 v3, v3, v6
	v_cndmask_b32_e32 v6, v1, v7, vcc
	v_lshlrev_b32_e32 v6, 2, v6
	ds_bpermute_b32 v6, v6, v3
	v_xor_b32_e32 v7, 4, v1
	;; [unrolled: 7-line block ×4, first 2 shown]
	v_cmp_lt_i32_e32 vcc, v7, v2
	s_waitcnt lgkmcnt(0)
	v_add_f32_e32 v3, v3, v6
	v_cndmask_b32_e32 v1, v1, v7, vcc
	v_lshlrev_b32_e32 v1, 2, v1
	ds_bpermute_b32 v1, v1, v3
	s_waitcnt lgkmcnt(0)
	v_add_f32_e32 v3, v3, v1
	s_load_dwordx2 s[6:7], s[0:1], 0x40
	s_andn2_b64 vcc, exec, s[2:3]
	s_waitcnt lgkmcnt(0)
	v_cvt_f32_f64_e32 v8, s[6:7]
	s_cbranch_vccnz .LBB468_31
.LBB468_34:
	v_cmp_lt_f32_e32 vcc, 0, v3
	s_nop 1
	v_cndmask_b32_e32 v1, 1.0, v3, vcc
	v_div_scale_f32 v2, s[2:3], v1, v1, v8
	v_rcp_f32_e32 v3, v2
	s_nop 0
	v_fma_f32 v6, -v2, v3, 1.0
	v_fmac_f32_e32 v3, v6, v3
	v_div_scale_f32 v6, vcc, v8, v1, v8
	v_mul_f32_e32 v7, v6, v3
	v_fma_f32 v9, -v2, v7, v6
	v_fmac_f32_e32 v7, v9, v3
	v_fma_f32 v2, -v2, v7, v6
	v_div_fmas_f32 v2, v2, v3, v7
	v_div_fixup_f32 v8, v2, v1, v8
	s_andn2_b64 vcc, exec, s[4:5]
	s_cbranch_vccnz .LBB468_32
.LBB468_35:
	s_load_dwordx2 s[8:9], s[0:1], 0x10
	v_mov_b32_e32 v1, 0
	v_or_b32_e32 v16, 4, v1
	v_or_b32_e32 v14, 8, v1
	;; [unrolled: 1-line block ×3, first 2 shown]
	v_add_u32_e32 v9, 16, v1
	v_add_u32_e32 v11, 20, v1
	v_or_b32_e32 v19, 1, v10
	v_or_b32_e32 v18, 0x80, v10
	;; [unrolled: 1-line block ×5, first 2 shown]
	s_cmp_eq_u32 s24, 1
	s_mov_b32 s10, 0
	s_cbranch_scc1 .LBB468_62
; %bb.36:
	v_ashrrev_i32_e32 v1, 31, v0
	s_waitcnt lgkmcnt(0)
	v_lshl_add_u64 v[2:3], v[0:1], 2, s[8:9]
	s_and_b32 s10, s24, 0x7ffffffe
	v_lshl_add_u64 v[2:3], v[2:3], 0, 4
	v_lshl_add_u64 v[6:7], v[4:5], 0, 4
	s_mov_b32 s11, 0
	s_branch .LBB468_38
.LBB468_37:                             ;   in Loop: Header=BB468_38 Depth=1
	s_or_b64 exec, exec, s[0:1]
	s_add_i32 s11, s11, 2
	v_lshl_add_u64 v[2:3], v[2:3], 0, 8
	s_cmp_eq_u32 s10, s11
	v_lshl_add_u64 v[6:7], v[6:7], 0, 8
	s_cbranch_scc1 .LBB468_62
.LBB468_38:                             ; =>This Inner Loop Header: Depth=1
	global_load_dword v20, v[6:7], off offset:-4
	v_mov_b32_e32 v1, 0
	s_waitcnt vmcnt(0)
	v_cmp_eq_u32_e32 vcc, v20, v10
	v_cmp_ne_u32_e64 s[0:1], v20, v10
	s_and_saveexec_b64 s[12:13], s[0:1]
	s_cbranch_execz .LBB468_48
; %bb.39:                               ;   in Loop: Header=BB468_38 Depth=1
	v_cmp_eq_u32_e64 s[0:1], v20, v19
	v_cmp_ne_u32_e64 s[2:3], v20, v19
	v_mov_b32_e32 v1, v16
	s_and_saveexec_b64 s[14:15], s[2:3]
	s_cbranch_execz .LBB468_47
; %bb.40:                               ;   in Loop: Header=BB468_38 Depth=1
	v_cmp_eq_u32_e64 s[2:3], v20, v18
	v_cmp_ne_u32_e64 s[4:5], v20, v18
	v_mov_b32_e32 v1, v14
	;; [unrolled: 6-line block ×4, first 2 shown]
	s_and_saveexec_b64 s[22:23], s[6:7]
	s_xor_b64 s[22:23], exec, s[22:23]
; %bb.43:                               ;   in Loop: Header=BB468_38 Depth=1
	v_cmp_eq_u32_e64 s[6:7], v20, v13
	s_andn2_b64 s[20:21], s[20:21], exec
	s_and_b64 s[6:7], s[6:7], exec
	s_or_b64 s[20:21], s[20:21], s[6:7]
	v_mov_b32_e32 v1, v11
; %bb.44:                               ;   in Loop: Header=BB468_38 Depth=1
	s_or_b64 exec, exec, s[22:23]
	s_andn2_b64 s[4:5], s[4:5], exec
	s_and_b64 s[6:7], s[20:21], exec
	s_or_b64 s[4:5], s[4:5], s[6:7]
.LBB468_45:                             ;   in Loop: Header=BB468_38 Depth=1
	s_or_b64 exec, exec, s[18:19]
	s_andn2_b64 s[2:3], s[2:3], exec
	s_and_b64 s[4:5], s[4:5], exec
	s_or_b64 s[2:3], s[2:3], s[4:5]
.LBB468_46:                             ;   in Loop: Header=BB468_38 Depth=1
	s_or_b64 exec, exec, s[16:17]
	s_andn2_b64 s[0:1], s[0:1], exec
	s_and_b64 s[2:3], s[2:3], exec
	s_or_b64 s[0:1], s[0:1], s[2:3]
.LBB468_47:                             ;   in Loop: Header=BB468_38 Depth=1
	s_or_b64 exec, exec, s[14:15]
	s_andn2_b64 s[2:3], vcc, exec
	s_and_b64 s[0:1], s[0:1], exec
	s_or_b64 vcc, s[2:3], s[0:1]
.LBB468_48:                             ;   in Loop: Header=BB468_38 Depth=1
	s_or_b64 exec, exec, s[12:13]
	s_and_saveexec_b64 s[0:1], vcc
	s_cbranch_execz .LBB468_50
; %bb.49:                               ;   in Loop: Header=BB468_38 Depth=1
	scratch_load_dword v1, v1, off
	v_add_u32_e32 v20, s11, v0
	v_ashrrev_i32_e32 v21, 31, v20
	v_lshl_add_u64 v[20:21], v[20:21], 2, s[8:9]
	s_waitcnt vmcnt(0)
	v_mul_f32_e32 v1, v8, v1
	global_store_dword v[20:21], v1, off
.LBB468_50:                             ;   in Loop: Header=BB468_38 Depth=1
	s_or_b64 exec, exec, s[0:1]
	global_load_dword v20, v[6:7], off
	v_mov_b32_e32 v1, 0
	s_waitcnt vmcnt(0)
	v_cmp_eq_u32_e64 s[4:5], v20, v10
	v_cmp_ne_u32_e32 vcc, v20, v10
	s_and_saveexec_b64 s[6:7], vcc
	s_cbranch_execz .LBB468_60
; %bb.51:                               ;   in Loop: Header=BB468_38 Depth=1
	v_cmp_eq_u32_e32 vcc, v20, v19
	v_cmp_ne_u32_e64 s[0:1], v20, v19
	v_mov_b32_e32 v1, v16
	s_and_saveexec_b64 s[12:13], s[0:1]
	s_cbranch_execz .LBB468_59
; %bb.52:                               ;   in Loop: Header=BB468_38 Depth=1
	v_cmp_eq_u32_e64 s[0:1], v20, v18
	v_cmp_ne_u32_e64 s[2:3], v20, v18
	v_mov_b32_e32 v1, v14
	s_and_saveexec_b64 s[14:15], s[2:3]
	s_cbranch_execz .LBB468_58
; %bb.53:                               ;   in Loop: Header=BB468_38 Depth=1
	v_cmp_eq_u32_e64 s[16:17], v20, v17
	;; [unrolled: 6-line block ×3, first 2 shown]
	v_cmp_ne_u32_e64 s[2:3], v20, v15
	v_mov_b32_e32 v1, v9
	s_and_saveexec_b64 s[22:23], s[2:3]
; %bb.55:                               ;   in Loop: Header=BB468_38 Depth=1
	v_cmp_eq_u32_e64 s[2:3], v20, v13
	s_andn2_b64 s[20:21], s[20:21], exec
	s_and_b64 s[2:3], s[2:3], exec
	s_or_b64 s[20:21], s[20:21], s[2:3]
	v_mov_b32_e32 v1, v11
; %bb.56:                               ;   in Loop: Header=BB468_38 Depth=1
	s_or_b64 exec, exec, s[22:23]
	s_andn2_b64 s[2:3], s[16:17], exec
	s_and_b64 s[16:17], s[20:21], exec
	s_or_b64 s[16:17], s[2:3], s[16:17]
.LBB468_57:                             ;   in Loop: Header=BB468_38 Depth=1
	s_or_b64 exec, exec, s[18:19]
	s_andn2_b64 s[0:1], s[0:1], exec
	s_and_b64 s[2:3], s[16:17], exec
	s_or_b64 s[0:1], s[0:1], s[2:3]
.LBB468_58:                             ;   in Loop: Header=BB468_38 Depth=1
	s_or_b64 exec, exec, s[14:15]
	s_andn2_b64 s[2:3], vcc, exec
	s_and_b64 s[0:1], s[0:1], exec
	s_or_b64 vcc, s[2:3], s[0:1]
.LBB468_59:                             ;   in Loop: Header=BB468_38 Depth=1
	s_or_b64 exec, exec, s[12:13]
	s_andn2_b64 s[0:1], s[4:5], exec
	s_and_b64 s[2:3], vcc, exec
	s_or_b64 s[4:5], s[0:1], s[2:3]
.LBB468_60:                             ;   in Loop: Header=BB468_38 Depth=1
	s_or_b64 exec, exec, s[6:7]
	s_and_saveexec_b64 s[0:1], s[4:5]
	s_cbranch_execz .LBB468_37
; %bb.61:                               ;   in Loop: Header=BB468_38 Depth=1
	scratch_load_dword v1, v1, off
	s_waitcnt vmcnt(0)
	v_mul_f32_e32 v1, v8, v1
	global_store_dword v[2:3], v1, off
	s_branch .LBB468_37
.LBB468_62:
	s_bitcmp0_b32 s24, 0
	s_mov_b32 s11, 0
	s_cbranch_scc1 .LBB468_32
; %bb.63:
	v_lshl_add_u64 v[2:3], s[10:11], 2, v[4:5]
	global_load_dword v1, v[2:3], off
	v_mov_b32_e32 v2, 0
	s_waitcnt vmcnt(0)
	v_cmp_eq_u32_e64 s[4:5], v1, v10
	v_cmp_ne_u32_e32 vcc, v1, v10
	s_and_saveexec_b64 s[6:7], vcc
	s_cbranch_execz .LBB468_73
; %bb.64:
	v_cmp_eq_u32_e32 vcc, v1, v19
	v_cmp_ne_u32_e64 s[0:1], v1, v19
	s_and_saveexec_b64 s[12:13], s[0:1]
	s_cbranch_execz .LBB468_72
; %bb.65:
	v_cmp_eq_u32_e64 s[0:1], v1, v18
	v_cmp_ne_u32_e64 s[2:3], v1, v18
	s_and_saveexec_b64 s[14:15], s[2:3]
	s_cbranch_execz .LBB468_71
; %bb.66:
	v_cmp_eq_u32_e64 s[16:17], v1, v17
	;; [unrolled: 5-line block ×3, first 2 shown]
	v_cmp_ne_u32_e64 s[2:3], v1, v15
	s_and_saveexec_b64 s[22:23], s[2:3]
; %bb.68:
	v_cmp_eq_u32_e64 s[2:3], v1, v13
	s_andn2_b64 s[20:21], s[20:21], exec
	s_and_b64 s[2:3], s[2:3], exec
	s_or_b64 s[20:21], s[20:21], s[2:3]
	v_mov_b32_e32 v9, v11
; %bb.69:
	s_or_b64 exec, exec, s[22:23]
	s_andn2_b64 s[2:3], s[16:17], exec
	s_and_b64 s[16:17], s[20:21], exec
	s_or_b64 s[16:17], s[2:3], s[16:17]
	v_mov_b32_e32 v12, v9
.LBB468_70:
	s_or_b64 exec, exec, s[18:19]
	s_andn2_b64 s[0:1], s[0:1], exec
	s_and_b64 s[2:3], s[16:17], exec
	s_or_b64 s[0:1], s[0:1], s[2:3]
	v_mov_b32_e32 v14, v12
.LBB468_71:
	s_or_b64 exec, exec, s[14:15]
	s_andn2_b64 s[2:3], vcc, exec
	s_and_b64 s[0:1], s[0:1], exec
	s_or_b64 vcc, s[2:3], s[0:1]
	v_mov_b32_e32 v16, v14
.LBB468_72:
	s_or_b64 exec, exec, s[12:13]
	s_andn2_b64 s[0:1], s[4:5], exec
	s_and_b64 s[2:3], vcc, exec
	s_or_b64 s[4:5], s[0:1], s[2:3]
	v_mov_b32_e32 v2, v16
.LBB468_73:
	s_or_b64 exec, exec, s[6:7]
	s_and_b64 exec, exec, s[4:5]
	s_cbranch_execz .LBB468_32
; %bb.74:
	scratch_load_dword v2, v2, off
	v_add_u32_e32 v0, s10, v0
	v_ashrrev_i32_e32 v1, 31, v0
	s_waitcnt lgkmcnt(0)
	v_lshl_add_u64 v[0:1], v[0:1], 2, s[8:9]
	s_waitcnt vmcnt(0)
	v_mul_f32_e32 v2, v8, v2
	global_store_dword v[0:1], v2, off
	s_endpgm
	.section	.rodata,"a",@progbits
	.p2align	6, 0x0
	.amdhsa_kernel _ZN4vllm3moe22topkGatingSoftplusSqrtILi6ELi384ELi4ELi4ELi64ELb1Ej14__hip_bfloat16EEvPKT6_PKbPfiPT5_PiiiibdPKfPKS9_SF_
		.amdhsa_group_segment_fixed_size 0
		.amdhsa_private_segment_fixed_size 32
		.amdhsa_kernarg_size 96
		.amdhsa_user_sgpr_count 2
		.amdhsa_user_sgpr_dispatch_ptr 0
		.amdhsa_user_sgpr_queue_ptr 0
		.amdhsa_user_sgpr_kernarg_segment_ptr 1
		.amdhsa_user_sgpr_dispatch_id 0
		.amdhsa_user_sgpr_kernarg_preload_length 0
		.amdhsa_user_sgpr_kernarg_preload_offset 0
		.amdhsa_user_sgpr_private_segment_size 0
		.amdhsa_uses_dynamic_stack 0
		.amdhsa_enable_private_segment 1
		.amdhsa_system_sgpr_workgroup_id_x 1
		.amdhsa_system_sgpr_workgroup_id_y 0
		.amdhsa_system_sgpr_workgroup_id_z 0
		.amdhsa_system_sgpr_workgroup_info 0
		.amdhsa_system_vgpr_workitem_id 1
		.amdhsa_next_free_vgpr 25
		.amdhsa_next_free_sgpr 25
		.amdhsa_accum_offset 28
		.amdhsa_reserve_vcc 1
		.amdhsa_float_round_mode_32 0
		.amdhsa_float_round_mode_16_64 0
		.amdhsa_float_denorm_mode_32 3
		.amdhsa_float_denorm_mode_16_64 3
		.amdhsa_dx10_clamp 1
		.amdhsa_ieee_mode 1
		.amdhsa_fp16_overflow 0
		.amdhsa_tg_split 0
		.amdhsa_exception_fp_ieee_invalid_op 0
		.amdhsa_exception_fp_denorm_src 0
		.amdhsa_exception_fp_ieee_div_zero 0
		.amdhsa_exception_fp_ieee_overflow 0
		.amdhsa_exception_fp_ieee_underflow 0
		.amdhsa_exception_fp_ieee_inexact 0
		.amdhsa_exception_int_div_zero 0
	.end_amdhsa_kernel
	.section	.text._ZN4vllm3moe22topkGatingSoftplusSqrtILi6ELi384ELi4ELi4ELi64ELb1Ej14__hip_bfloat16EEvPKT6_PKbPfiPT5_PiiiibdPKfPKS9_SF_,"axG",@progbits,_ZN4vllm3moe22topkGatingSoftplusSqrtILi6ELi384ELi4ELi4ELi64ELb1Ej14__hip_bfloat16EEvPKT6_PKbPfiPT5_PiiiibdPKfPKS9_SF_,comdat
.Lfunc_end468:
	.size	_ZN4vllm3moe22topkGatingSoftplusSqrtILi6ELi384ELi4ELi4ELi64ELb1Ej14__hip_bfloat16EEvPKT6_PKbPfiPT5_PiiiibdPKfPKS9_SF_, .Lfunc_end468-_ZN4vllm3moe22topkGatingSoftplusSqrtILi6ELi384ELi4ELi4ELi64ELb1Ej14__hip_bfloat16EEvPKT6_PKbPfiPT5_PiiiibdPKfPKS9_SF_
                                        ; -- End function
	.section	.AMDGPU.csdata,"",@progbits
; Kernel info:
; codeLenInByte = 4032
; NumSgprs: 31
; NumVgprs: 25
; NumAgprs: 0
; TotalNumVgprs: 25
; ScratchSize: 32
; MemoryBound: 0
; FloatMode: 240
; IeeeMode: 1
; LDSByteSize: 0 bytes/workgroup (compile time only)
; SGPRBlocks: 3
; VGPRBlocks: 3
; NumSGPRsForWavesPerEU: 31
; NumVGPRsForWavesPerEU: 25
; AccumOffset: 28
; Occupancy: 8
; WaveLimiterHint : 1
; COMPUTE_PGM_RSRC2:SCRATCH_EN: 1
; COMPUTE_PGM_RSRC2:USER_SGPR: 2
; COMPUTE_PGM_RSRC2:TRAP_HANDLER: 0
; COMPUTE_PGM_RSRC2:TGID_X_EN: 1
; COMPUTE_PGM_RSRC2:TGID_Y_EN: 0
; COMPUTE_PGM_RSRC2:TGID_Z_EN: 0
; COMPUTE_PGM_RSRC2:TIDIG_COMP_CNT: 1
; COMPUTE_PGM_RSRC3_GFX90A:ACCUM_OFFSET: 6
; COMPUTE_PGM_RSRC3_GFX90A:TG_SPLIT: 0
	.section	.text._ZN4vllm3moe22topkGatingSoftplusSqrtILi6ELi384ELi4ELi4ELi64ELb0Ej14__hip_bfloat16EEvPKT6_PKbPfiPT5_PiiiibdPKfPKS9_SF_,"axG",@progbits,_ZN4vllm3moe22topkGatingSoftplusSqrtILi6ELi384ELi4ELi4ELi64ELb0Ej14__hip_bfloat16EEvPKT6_PKbPfiPT5_PiiiibdPKfPKS9_SF_,comdat
	.protected	_ZN4vllm3moe22topkGatingSoftplusSqrtILi6ELi384ELi4ELi4ELi64ELb0Ej14__hip_bfloat16EEvPKT6_PKbPfiPT5_PiiiibdPKfPKS9_SF_ ; -- Begin function _ZN4vllm3moe22topkGatingSoftplusSqrtILi6ELi384ELi4ELi4ELi64ELb0Ej14__hip_bfloat16EEvPKT6_PKbPfiPT5_PiiiibdPKfPKS9_SF_
	.globl	_ZN4vllm3moe22topkGatingSoftplusSqrtILi6ELi384ELi4ELi4ELi64ELb0Ej14__hip_bfloat16EEvPKT6_PKbPfiPT5_PiiiibdPKfPKS9_SF_
	.p2align	8
	.type	_ZN4vllm3moe22topkGatingSoftplusSqrtILi6ELi384ELi4ELi4ELi64ELb0Ej14__hip_bfloat16EEvPKT6_PKbPfiPT5_PiiiibdPKfPKS9_SF_,@function
_ZN4vllm3moe22topkGatingSoftplusSqrtILi6ELi384ELi4ELi4ELi64ELb0Ej14__hip_bfloat16EEvPKT6_PKbPfiPT5_PiiiibdPKfPKS9_SF_: ; @_ZN4vllm3moe22topkGatingSoftplusSqrtILi6ELi384ELi4ELi4ELi64ELb0Ej14__hip_bfloat16EEvPKT6_PKbPfiPT5_PiiiibdPKfPKS9_SF_
; %bb.0:
	s_load_dword s30, s[0:1], 0x18
	v_and_b32_e32 v1, 0x3ff, v0
	s_lshl_b32 s2, s2, 2
	v_lshrrev_b32_e32 v2, 6, v1
	v_bfe_u32 v0, v0, 10, 10
	v_add3_u32 v6, s2, v0, v2
	s_waitcnt lgkmcnt(0)
	v_cmp_gt_i32_e32 vcc, s30, v6
	s_and_saveexec_b64 s[2:3], vcc
	s_cbranch_execz .LBB469_65
; %bb.1:
	s_load_dwordx4 s[4:7], s[0:1], 0x0
	s_load_dwordx2 s[20:21], s[0:1], 0x10
	s_waitcnt lgkmcnt(0)
	s_cmp_eq_u64 s[6:7], 0
	s_cbranch_scc1 .LBB469_3
; %bb.2:
	v_ashrrev_i32_e32 v7, 31, v6
	v_lshl_add_u64 v[2:3], s[6:7], 0, v[6:7]
	global_load_ubyte v0, v[2:3], off
	s_waitcnt vmcnt(0)
	v_and_b32_e32 v0, 1, v0
	v_cmp_eq_u32_e32 vcc, 1, v0
	s_xor_b64 s[2:3], vcc, -1
	s_orn2_b64 s[22:23], s[2:3], exec
	s_branch .LBB469_4
.LBB469_3:
	s_mov_b64 s[22:23], -1
.LBB469_4:
	s_movk_i32 s2, 0x180
	v_mul_lo_u32 v4, v6, s2
	v_mov_b32_e32 v2, s4
	v_mov_b32_e32 v3, s5
	v_ashrrev_i32_e32 v5, 31, v4
	v_and_b32_e32 v7, 63, v1
	v_lshl_add_u64 v[2:3], v[4:5], 1, v[2:3]
	v_mov_b32_e32 v1, 0
	v_lshlrev_b32_e32 v0, 2, v7
	v_lshl_add_u64 v[0:1], v[2:3], 0, v[0:1]
	global_load_dword v2, v[0:1], off
	global_load_dword v3, v[0:1], off offset:256
	global_load_dword v5, v[0:1], off offset:512
	s_mov_b32 s16, 0x800000
	v_mov_b32_e32 v4, 0x4f800000
	s_mov_b32 s13, 0x3f317217
	s_mov_b32 s14, 0x7f800000
	v_mov_b32_e32 v9, 0x41b17218
	s_mov_b32 s12, 0x41a00000
	s_mov_b32 s15, 0xf800000
	s_load_dwordx4 s[8:11], s[0:1], 0x40
	s_waitcnt lgkmcnt(0)
	s_cmp_lg_u64 s[10:11], 0
	s_cselect_b64 s[6:7], -1, 0
	s_and_b64 s[2:3], exec, s[6:7]
	s_waitcnt vmcnt(2)
	v_lshlrev_b32_e32 v0, 16, v2
	v_mul_f32_e32 v1, 0x3fb8aa3b, v0
	v_exp_f32_e32 v8, v1
	v_mov_b32_e32 v1, 0x260
	v_add_f32_e32 v8, 1.0, v8
	v_cmp_gt_f32_e32 vcc, s16, v8
	s_nop 1
	v_cndmask_b32_e32 v10, 1.0, v4, vcc
	v_mul_f32_e32 v8, v8, v10
	v_log_f32_e32 v11, v8
	v_cndmask_b32_e32 v12, 0, v9, vcc
	v_lshlrev_b32_e32 v10, 1, v7
	v_lshlrev_b32_e32 v8, 2, v10
	v_mul_f32_e32 v13, 0x3f317217, v11
	v_fma_f32 v13, v11, s13, -v13
	v_fmac_f32_e32 v13, 0x3377d1cf, v11
	v_fmac_f32_e32 v13, 0x3f317217, v11
	v_cmp_lt_f32_e64 vcc, |v11|, s14
	s_nop 1
	v_cndmask_b32_e32 v11, v11, v13, vcc
	v_sub_f32_e32 v11, v11, v12
	v_cmp_lt_f32_e32 vcc, s12, v0
	s_nop 1
	v_cndmask_b32_e32 v0, v11, v0, vcc
	v_mul_f32_e32 v11, 0x4f800000, v0
	v_cmp_gt_f32_e32 vcc, s15, v0
	s_nop 1
	v_cndmask_b32_e32 v0, v0, v11, vcc
	v_sqrt_f32_e32 v11, v0
	s_nop 0
	v_add_u32_e32 v12, -1, v11
	v_add_u32_e32 v13, 1, v11
	v_fma_f32 v14, -v12, v11, v0
	v_fma_f32 v15, -v13, v11, v0
	v_cmp_ge_f32_e64 s[4:5], 0, v14
	s_nop 1
	v_cndmask_b32_e64 v11, v11, v12, s[4:5]
	v_cmp_lt_f32_e64 s[4:5], 0, v15
	s_nop 1
	v_cndmask_b32_e64 v11, v11, v13, s[4:5]
	v_mul_f32_e32 v12, 0x37800000, v11
	v_cndmask_b32_e32 v11, v11, v12, vcc
	v_cmp_class_f32_e32 vcc, v0, v1
	s_nop 1
	v_cndmask_b32_e32 v0, v11, v0, vcc
	s_mov_b64 vcc, s[2:3]
	s_cbranch_vccz .LBB469_6
; %bb.5:
	global_load_dword v11, v8, s[10:11]
	s_waitcnt vmcnt(0)
	v_add_f32_e32 v0, v0, v11
.LBB469_6:
	v_and_b32_e32 v2, 0xffff0000, v2
	v_mul_f32_e32 v11, 0x3fb8aa3b, v2
	v_exp_f32_e32 v11, v11
	s_nop 0
	v_add_f32_e32 v11, 1.0, v11
	v_cmp_gt_f32_e32 vcc, s16, v11
	s_nop 1
	v_cndmask_b32_e32 v4, 1.0, v4, vcc
	v_mul_f32_e32 v4, v11, v4
	v_log_f32_e32 v4, v4
	v_cndmask_b32_e32 v9, 0, v9, vcc
	v_mul_f32_e32 v11, 0x3f317217, v4
	v_fma_f32 v11, v4, s13, -v11
	v_fmac_f32_e32 v11, 0x3377d1cf, v4
	v_fmac_f32_e32 v11, 0x3f317217, v4
	v_cmp_lt_f32_e64 vcc, |v4|, s14
	s_nop 1
	v_cndmask_b32_e32 v4, v4, v11, vcc
	v_sub_f32_e32 v4, v4, v9
	v_cmp_lt_f32_e32 vcc, s12, v2
	s_nop 1
	v_cndmask_b32_e32 v2, v4, v2, vcc
	v_mul_f32_e32 v4, 0x4f800000, v2
	v_cmp_gt_f32_e32 vcc, s15, v2
	s_nop 1
	v_cndmask_b32_e32 v2, v2, v4, vcc
	v_sqrt_f32_e32 v4, v2
	v_cmp_class_f32_e64 s[4:5], v2, v1
	v_add_u32_e32 v9, -1, v4
	v_add_u32_e32 v11, 1, v4
	v_fma_f32 v12, -v9, v4, v2
	v_fma_f32 v13, -v11, v4, v2
	v_cmp_ge_f32_e64 s[2:3], 0, v12
	s_nop 1
	v_cndmask_b32_e64 v4, v4, v9, s[2:3]
	v_cmp_lt_f32_e64 s[2:3], 0, v13
	s_nop 1
	v_cndmask_b32_e64 v4, v4, v11, s[2:3]
	v_mul_f32_e32 v9, 0x37800000, v4
	v_cndmask_b32_e32 v4, v4, v9, vcc
	v_cndmask_b32_e64 v9, 0, 1, s[6:7]
	v_cmp_ne_u32_e64 s[2:3], 1, v9
	s_andn2_b64 vcc, exec, s[6:7]
	v_cndmask_b32_e64 v1, v4, v2, s[4:5]
	s_cbranch_vccnz .LBB469_8
; %bb.7:
	global_load_dword v2, v8, s[10:11] offset:4
	s_waitcnt vmcnt(0)
	v_add_f32_e32 v1, v1, v2
.LBB469_8:
	s_waitcnt vmcnt(1)
	v_lshlrev_b32_e32 v2, 16, v3
	v_mul_f32_e32 v4, 0x3fb8aa3b, v2
	v_exp_f32_e32 v4, v4
	s_mov_b32 s14, 0x800000
	v_mov_b32_e32 v9, 0x4f800000
	s_mov_b32 s7, 0x3f317217
	v_add_f32_e32 v4, 1.0, v4
	v_cmp_gt_f32_e32 vcc, s14, v4
	s_mov_b32 s12, 0x7f800000
	s_mov_b32 s6, 0x41a00000
	v_cndmask_b32_e32 v11, 1.0, v9, vcc
	v_mul_f32_e32 v4, v4, v11
	v_log_f32_e32 v4, v4
	s_mov_b32 s13, 0xf800000
	v_mul_f32_e32 v11, 0x3f317217, v4
	v_fma_f32 v11, v4, s7, -v11
	v_fmac_f32_e32 v11, 0x3377d1cf, v4
	v_fmac_f32_e32 v11, 0x3f317217, v4
	v_cmp_lt_f32_e64 s[4:5], |v4|, s12
	s_nop 1
	v_cndmask_b32_e64 v4, v4, v11, s[4:5]
	v_mov_b32_e32 v11, 0x41b17218
	v_cndmask_b32_e32 v12, 0, v11, vcc
	v_sub_f32_e32 v4, v4, v12
	v_cmp_lt_f32_e32 vcc, s6, v2
	s_nop 1
	v_cndmask_b32_e32 v2, v4, v2, vcc
	v_mul_f32_e32 v4, 0x4f800000, v2
	v_cmp_gt_f32_e32 vcc, s13, v2
	s_nop 1
	v_cndmask_b32_e32 v2, v2, v4, vcc
	v_sqrt_f32_e32 v4, v2
	s_nop 0
	v_add_u32_e32 v12, -1, v4
	v_fma_f32 v13, -v12, v4, v2
	v_cmp_ge_f32_e64 s[4:5], 0, v13
	v_add_u32_e32 v13, 1, v4
	s_nop 0
	v_cndmask_b32_e64 v12, v4, v12, s[4:5]
	v_fma_f32 v4, -v13, v4, v2
	v_cmp_lt_f32_e64 s[4:5], 0, v4
	s_nop 1
	v_cndmask_b32_e64 v4, v12, v13, s[4:5]
	v_mul_f32_e32 v12, 0x37800000, v4
	v_cndmask_b32_e32 v12, v4, v12, vcc
	v_mov_b32_e32 v4, 0x260
	v_cmp_class_f32_e64 s[4:5], v2, v4
	s_and_b64 vcc, exec, s[2:3]
	s_nop 0
	v_cndmask_b32_e64 v2, v12, v2, s[4:5]
	s_cbranch_vccnz .LBB469_10
; %bb.9:
	global_load_dword v12, v8, s[10:11] offset:512
	s_waitcnt vmcnt(0)
	v_add_f32_e32 v2, v2, v12
.LBB469_10:
	v_and_b32_e32 v3, 0xffff0000, v3
	v_mul_f32_e32 v12, 0x3fb8aa3b, v3
	v_exp_f32_e32 v12, v12
	s_nop 0
	v_add_f32_e32 v12, 1.0, v12
	v_cmp_gt_f32_e32 vcc, s14, v12
	s_nop 1
	v_cndmask_b32_e32 v9, 1.0, v9, vcc
	v_mul_f32_e32 v9, v12, v9
	v_log_f32_e32 v9, v9
	v_cndmask_b32_e32 v11, 0, v11, vcc
	v_mul_f32_e32 v12, 0x3f317217, v9
	v_fma_f32 v12, v9, s7, -v12
	v_fmac_f32_e32 v12, 0x3377d1cf, v9
	v_fmac_f32_e32 v12, 0x3f317217, v9
	v_cmp_lt_f32_e64 vcc, |v9|, s12
	s_nop 1
	v_cndmask_b32_e32 v9, v9, v12, vcc
	v_sub_f32_e32 v9, v9, v11
	v_cmp_lt_f32_e32 vcc, s6, v3
	s_nop 1
	v_cndmask_b32_e32 v3, v9, v3, vcc
	v_mul_f32_e32 v9, 0x4f800000, v3
	v_cmp_gt_f32_e32 vcc, s13, v3
	s_nop 1
	v_cndmask_b32_e32 v3, v3, v9, vcc
	v_sqrt_f32_e32 v9, v3
	s_nop 0
	v_add_u32_e32 v11, -1, v9
	v_add_u32_e32 v12, 1, v9
	v_fma_f32 v13, -v11, v9, v3
	v_fma_f32 v14, -v12, v9, v3
	v_cmp_ge_f32_e64 s[4:5], 0, v13
	s_nop 1
	v_cndmask_b32_e64 v9, v9, v11, s[4:5]
	v_cmp_lt_f32_e64 s[4:5], 0, v14
	s_nop 1
	v_cndmask_b32_e64 v9, v9, v12, s[4:5]
	v_mul_f32_e32 v11, 0x37800000, v9
	v_cndmask_b32_e32 v9, v9, v11, vcc
	v_cmp_class_f32_e64 s[4:5], v3, v4
	s_and_b64 vcc, exec, s[2:3]
	s_nop 0
	v_cndmask_b32_e64 v3, v9, v3, s[4:5]
	s_cbranch_vccnz .LBB469_12
; %bb.11:
	global_load_dword v4, v8, s[10:11] offset:516
	s_waitcnt vmcnt(0)
	v_add_f32_e32 v3, v3, v4
.LBB469_12:
	s_waitcnt vmcnt(0)
	v_lshlrev_b32_e32 v4, 16, v5
	v_mul_f32_e32 v9, 0x3fb8aa3b, v4
	v_exp_f32_e32 v9, v9
	v_mov_b32_e32 v11, 0x4f800000
	v_add_f32_e32 v9, 1.0, v9
	v_cmp_gt_f32_e32 vcc, s14, v9
	s_nop 1
	v_cndmask_b32_e32 v12, 1.0, v11, vcc
	v_mul_f32_e32 v9, v9, v12
	v_log_f32_e32 v9, v9
	s_nop 0
	v_mul_f32_e32 v12, 0x3f317217, v9
	v_fma_f32 v12, v9, s7, -v12
	v_fmac_f32_e32 v12, 0x3377d1cf, v9
	v_fmac_f32_e32 v12, 0x3f317217, v9
	v_cmp_lt_f32_e64 s[4:5], |v9|, s12
	s_nop 1
	v_cndmask_b32_e64 v9, v9, v12, s[4:5]
	v_mov_b32_e32 v12, 0x41b17218
	v_cndmask_b32_e32 v13, 0, v12, vcc
	v_sub_f32_e32 v9, v9, v13
	v_cmp_lt_f32_e32 vcc, s6, v4
	s_nop 1
	v_cndmask_b32_e32 v4, v9, v4, vcc
	v_mul_f32_e32 v9, 0x4f800000, v4
	v_cmp_gt_f32_e32 vcc, s13, v4
	s_nop 1
	v_cndmask_b32_e32 v4, v4, v9, vcc
	v_sqrt_f32_e32 v9, v4
	s_nop 0
	v_add_u32_e32 v13, -1, v9
	v_fma_f32 v14, -v13, v9, v4
	v_cmp_ge_f32_e64 s[4:5], 0, v14
	v_add_u32_e32 v14, 1, v9
	s_nop 0
	v_cndmask_b32_e64 v13, v9, v13, s[4:5]
	v_fma_f32 v9, -v14, v9, v4
	v_cmp_lt_f32_e64 s[4:5], 0, v9
	s_nop 1
	v_cndmask_b32_e64 v9, v13, v14, s[4:5]
	v_mul_f32_e32 v13, 0x37800000, v9
	v_cndmask_b32_e32 v13, v9, v13, vcc
	v_mov_b32_e32 v9, 0x260
	v_cmp_class_f32_e64 s[4:5], v4, v9
	s_and_b64 vcc, exec, s[2:3]
	s_nop 0
	v_cndmask_b32_e64 v4, v13, v4, s[4:5]
	s_cbranch_vccnz .LBB469_14
; %bb.13:
	global_load_dword v13, v8, s[10:11] offset:1024
	s_waitcnt vmcnt(0)
	v_add_f32_e32 v4, v4, v13
.LBB469_14:
	v_and_b32_e32 v5, 0xffff0000, v5
	v_mul_f32_e32 v13, 0x3fb8aa3b, v5
	v_exp_f32_e32 v13, v13
	s_nop 0
	v_add_f32_e32 v13, 1.0, v13
	v_cmp_gt_f32_e32 vcc, s14, v13
	s_nop 1
	v_cndmask_b32_e32 v11, 1.0, v11, vcc
	v_mul_f32_e32 v11, v13, v11
	v_log_f32_e32 v11, v11
	v_cndmask_b32_e32 v12, 0, v12, vcc
	v_mul_f32_e32 v13, 0x3f317217, v11
	v_fma_f32 v13, v11, s7, -v13
	v_fmac_f32_e32 v13, 0x3377d1cf, v11
	v_fmac_f32_e32 v13, 0x3f317217, v11
	v_cmp_lt_f32_e64 vcc, |v11|, s12
	s_nop 1
	v_cndmask_b32_e32 v11, v11, v13, vcc
	v_sub_f32_e32 v11, v11, v12
	v_cmp_lt_f32_e32 vcc, s6, v5
	s_nop 1
	v_cndmask_b32_e32 v5, v11, v5, vcc
	v_mul_f32_e32 v11, 0x4f800000, v5
	v_cmp_gt_f32_e32 vcc, s13, v5
	s_nop 1
	v_cndmask_b32_e32 v5, v5, v11, vcc
	v_sqrt_f32_e32 v11, v5
	s_nop 0
	v_add_u32_e32 v12, -1, v11
	v_add_u32_e32 v13, 1, v11
	v_fma_f32 v14, -v12, v11, v5
	v_fma_f32 v15, -v13, v11, v5
	v_cmp_ge_f32_e64 s[4:5], 0, v14
	s_nop 1
	v_cndmask_b32_e64 v11, v11, v12, s[4:5]
	v_cmp_lt_f32_e64 s[4:5], 0, v15
	s_nop 1
	v_cndmask_b32_e64 v11, v11, v13, s[4:5]
	v_mul_f32_e32 v12, 0x37800000, v11
	v_cndmask_b32_e32 v11, v11, v12, vcc
	v_cmp_class_f32_e64 s[4:5], v5, v9
	s_and_b64 vcc, exec, s[2:3]
	s_nop 0
	v_cndmask_b32_e64 v5, v11, v5, s[4:5]
	s_cbranch_vccnz .LBB469_16
; %bb.15:
	global_load_dword v8, v8, s[10:11] offset:1028
	s_waitcnt vmcnt(0)
	v_add_f32_e32 v5, v5, v8
.LBB469_16:
	s_load_dwordx4 s[12:15], s[0:1], 0x30
	s_mov_b32 s31, 0
	v_cmp_eq_u32_e64 s[6:7], 0, v7
	s_waitcnt lgkmcnt(0)
	s_bitcmp1_b32 s15, 0
	s_cselect_b64 s[4:5], -1, 0
	s_cmp_gt_i32 s12, 0
	s_cselect_b64 s[24:25], -1, 0
	s_and_b64 vcc, exec, s[24:25]
	s_cbranch_vccz .LBB469_51
; %bb.17:
	v_mbcnt_lo_u32_b32 v8, -1, 0
	v_mbcnt_hi_u32_b32 v8, -1, v8
	v_and_b32_e32 v9, 64, v8
	v_add_u32_e32 v9, 64, v9
	v_xor_b32_e32 v11, 32, v8
	v_cmp_lt_i32_e32 vcc, v11, v9
	s_load_dwordx4 s[16:19], s[0:1], 0x20
	v_mul_lo_u32 v12, v6, s12
	v_cndmask_b32_e32 v11, v8, v11, vcc
	v_lshlrev_b32_e32 v13, 2, v11
	v_xor_b32_e32 v11, 16, v8
	v_cmp_lt_i32_e32 vcc, v11, v9
	v_mov_b32_e32 v19, 0x80
	v_mov_b32_e32 v20, 0x81
	v_cndmask_b32_e32 v11, v8, v11, vcc
	v_lshlrev_b32_e32 v14, 2, v11
	v_xor_b32_e32 v11, 8, v8
	v_cmp_lt_i32_e32 vcc, v11, v9
	v_mov_b32_e32 v21, 0x100
	v_mov_b32_e32 v22, 0x101
	v_cndmask_b32_e32 v11, v8, v11, vcc
	v_lshlrev_b32_e32 v15, 2, v11
	v_xor_b32_e32 v11, 4, v8
	v_cmp_lt_i32_e32 vcc, v11, v9
	v_mov_b32_e32 v23, 0x180
	v_mov_b32_e32 v24, 0xc61c4000
	v_cndmask_b32_e32 v11, v8, v11, vcc
	v_lshlrev_b32_e32 v16, 2, v11
	v_xor_b32_e32 v11, 2, v8
	v_cmp_lt_i32_e32 vcc, v11, v9
	v_mov_b32_e32 v25, v6
	s_nop 0
	v_cndmask_b32_e32 v11, v8, v11, vcc
	v_lshlrev_b32_e32 v17, 2, v11
	v_xor_b32_e32 v11, 1, v8
	v_cmp_lt_i32_e32 vcc, v11, v9
	s_nop 1
	v_cndmask_b32_e32 v8, v8, v11, vcc
	v_lshlrev_b32_e32 v18, 2, v8
	v_mov_b32_e32 v11, 0
	s_branch .LBB469_20
.LBB469_18:                             ;   in Loop: Header=BB469_20 Depth=1
	s_or_b64 exec, exec, s[0:1]
.LBB469_19:                             ;   in Loop: Header=BB469_20 Depth=1
	s_cmp_eq_u32 s12, s31
	v_add_u32_e32 v25, s30, v25
	s_cbranch_scc1 .LBB469_52
.LBB469_20:                             ; =>This Inner Loop Header: Depth=1
	v_cmp_gt_f32_e32 vcc, v1, v0
	s_nop 1
	v_cndmask_b32_e32 v9, v0, v1, vcc
	v_cndmask_b32_e64 v8, 0, 1, vcc
	v_cmp_gt_f32_e32 vcc, v2, v9
	s_nop 1
	v_cndmask_b32_e32 v9, v9, v2, vcc
	v_cndmask_b32_e32 v8, v8, v19, vcc
	v_cmp_gt_f32_e32 vcc, v3, v9
	s_nop 1
	v_cndmask_b32_e32 v9, v9, v3, vcc
	v_cndmask_b32_e32 v8, v8, v20, vcc
	;; [unrolled: 4-line block ×4, first 2 shown]
	ds_bpermute_b32 v9, v13, v26
	v_or_b32_e32 v8, v10, v8
	s_waitcnt lgkmcnt(0)
	ds_bpermute_b32 v27, v13, v8
	s_waitcnt lgkmcnt(0)
	v_cmp_lt_f32_e64 s[26:27], v26, v9
	v_cmp_nlt_f32_e32 vcc, v26, v9
	s_and_saveexec_b64 s[28:29], vcc
; %bb.21:                               ;   in Loop: Header=BB469_20 Depth=1
	v_cmp_eq_f32_e32 vcc, v26, v9
	v_cmp_lt_i32_e64 s[0:1], v27, v8
	s_and_b64 s[0:1], vcc, s[0:1]
	s_andn2_b64 s[26:27], s[26:27], exec
	s_and_b64 s[0:1], s[0:1], exec
	s_or_b64 s[26:27], s[26:27], s[0:1]
; %bb.22:                               ;   in Loop: Header=BB469_20 Depth=1
	s_or_b64 exec, exec, s[28:29]
	s_and_saveexec_b64 s[0:1], s[26:27]
; %bb.23:                               ;   in Loop: Header=BB469_20 Depth=1
	v_mov_b32_e32 v26, v9
	v_mov_b32_e32 v8, v27
; %bb.24:                               ;   in Loop: Header=BB469_20 Depth=1
	s_or_b64 exec, exec, s[0:1]
	ds_bpermute_b32 v9, v14, v26
	ds_bpermute_b32 v27, v14, v8
	s_waitcnt lgkmcnt(1)
	v_cmp_lt_f32_e64 s[26:27], v26, v9
	v_cmp_nlt_f32_e32 vcc, v26, v9
	s_and_saveexec_b64 s[28:29], vcc
	s_cbranch_execz .LBB469_26
; %bb.25:                               ;   in Loop: Header=BB469_20 Depth=1
	v_cmp_eq_f32_e32 vcc, v26, v9
	s_waitcnt lgkmcnt(0)
	v_cmp_lt_i32_e64 s[0:1], v27, v8
	s_and_b64 s[0:1], vcc, s[0:1]
	s_andn2_b64 s[26:27], s[26:27], exec
	s_and_b64 s[0:1], s[0:1], exec
	s_or_b64 s[26:27], s[26:27], s[0:1]
.LBB469_26:                             ;   in Loop: Header=BB469_20 Depth=1
	s_or_b64 exec, exec, s[28:29]
	s_and_saveexec_b64 s[0:1], s[26:27]
	s_cbranch_execz .LBB469_28
; %bb.27:                               ;   in Loop: Header=BB469_20 Depth=1
	v_mov_b32_e32 v26, v9
	s_waitcnt lgkmcnt(0)
	v_mov_b32_e32 v8, v27
.LBB469_28:                             ;   in Loop: Header=BB469_20 Depth=1
	s_or_b64 exec, exec, s[0:1]
	ds_bpermute_b32 v9, v15, v26
	s_waitcnt lgkmcnt(1)
	ds_bpermute_b32 v27, v15, v8
	s_waitcnt lgkmcnt(1)
	v_cmp_lt_f32_e64 s[26:27], v26, v9
	v_cmp_nlt_f32_e32 vcc, v26, v9
	s_and_saveexec_b64 s[28:29], vcc
	s_cbranch_execz .LBB469_30
; %bb.29:                               ;   in Loop: Header=BB469_20 Depth=1
	v_cmp_eq_f32_e32 vcc, v26, v9
	s_waitcnt lgkmcnt(0)
	v_cmp_lt_i32_e64 s[0:1], v27, v8
	s_and_b64 s[0:1], vcc, s[0:1]
	s_andn2_b64 s[26:27], s[26:27], exec
	s_and_b64 s[0:1], s[0:1], exec
	s_or_b64 s[26:27], s[26:27], s[0:1]
.LBB469_30:                             ;   in Loop: Header=BB469_20 Depth=1
	s_or_b64 exec, exec, s[28:29]
	s_and_saveexec_b64 s[0:1], s[26:27]
	s_cbranch_execz .LBB469_32
; %bb.31:                               ;   in Loop: Header=BB469_20 Depth=1
	v_mov_b32_e32 v26, v9
	s_waitcnt lgkmcnt(0)
	v_mov_b32_e32 v8, v27
.LBB469_32:                             ;   in Loop: Header=BB469_20 Depth=1
	s_or_b64 exec, exec, s[0:1]
	ds_bpermute_b32 v9, v16, v26
	s_waitcnt lgkmcnt(1)
	;; [unrolled: 26-line block ×4, first 2 shown]
	ds_bpermute_b32 v27, v18, v8
	s_waitcnt lgkmcnt(1)
	v_cmp_lt_f32_e64 s[26:27], v26, v9
	v_cmp_nlt_f32_e32 vcc, v26, v9
	s_and_saveexec_b64 s[28:29], vcc
	s_cbranch_execnz .LBB469_44
; %bb.41:                               ;   in Loop: Header=BB469_20 Depth=1
	s_or_b64 exec, exec, s[28:29]
	s_and_saveexec_b64 s[0:1], s[26:27]
	s_cbranch_execnz .LBB469_45
.LBB469_42:                             ;   in Loop: Header=BB469_20 Depth=1
	s_or_b64 exec, exec, s[0:1]
	s_and_saveexec_b64 s[26:27], s[6:7]
	s_cbranch_execnz .LBB469_46
.LBB469_43:                             ;   in Loop: Header=BB469_20 Depth=1
	s_or_b64 exec, exec, s[26:27]
	s_add_i32 s31, s31, 1
	s_cmp_ge_i32 s31, s12
	s_cbranch_scc1 .LBB469_19
	s_branch .LBB469_49
.LBB469_44:                             ;   in Loop: Header=BB469_20 Depth=1
	v_cmp_eq_f32_e32 vcc, v26, v9
	s_waitcnt lgkmcnt(0)
	v_cmp_lt_i32_e64 s[0:1], v27, v8
	s_and_b64 s[0:1], vcc, s[0:1]
	s_andn2_b64 s[26:27], s[26:27], exec
	s_and_b64 s[0:1], s[0:1], exec
	s_or_b64 s[26:27], s[26:27], s[0:1]
	s_or_b64 exec, exec, s[28:29]
	s_and_saveexec_b64 s[0:1], s[26:27]
	s_cbranch_execz .LBB469_42
.LBB469_45:                             ;   in Loop: Header=BB469_20 Depth=1
	s_waitcnt lgkmcnt(0)
	v_mov_b32_e32 v8, v27
	v_mov_b32_e32 v26, v9
	s_or_b64 exec, exec, s[0:1]
	s_and_saveexec_b64 s[26:27], s[6:7]
	s_cbranch_execz .LBB469_43
.LBB469_46:                             ;   in Loop: Header=BB469_20 Depth=1
	s_and_b64 vcc, exec, s[2:3]
	s_cbranch_vccnz .LBB469_48
; %bb.47:                               ;   in Loop: Header=BB469_20 Depth=1
	v_ashrrev_i32_e32 v9, 31, v8
	v_lshl_add_u64 v[28:29], v[8:9], 2, s[10:11]
	global_load_dword v9, v[28:29], off
	s_waitcnt vmcnt(0)
	v_sub_f32_e32 v26, v26, v9
.LBB469_48:                             ;   in Loop: Header=BB469_20 Depth=1
	v_add_u32_e32 v28, s31, v12
	v_cmp_le_i32_e32 vcc, s13, v8
	v_cmp_gt_i32_e64 s[0:1], s14, v8
	v_ashrrev_i32_e32 v29, 31, v28
	s_and_b64 s[0:1], vcc, s[0:1]
	v_lshlrev_b64 v[28:29], 2, v[28:29]
	v_lshl_add_u64 v[30:31], s[20:21], 0, v[28:29]
	v_subrev_u32_e32 v9, s13, v8
	s_and_b64 vcc, s[22:23], s[0:1]
	global_store_dword v[30:31], v26, off
	v_cndmask_b32_e32 v9, v23, v9, vcc
	v_lshl_add_u64 v[30:31], s[16:17], 0, v[28:29]
	global_store_dword v[30:31], v9, off
	v_add_f32_e32 v9, v11, v26
	v_lshl_add_u64 v[28:29], s[18:19], 0, v[28:29]
	v_cndmask_b32_e64 v11, v11, v9, s[4:5]
	global_store_dword v[28:29], v25, off
	s_or_b64 exec, exec, s[26:27]
	s_add_i32 s31, s31, 1
	s_cmp_ge_i32 s31, s12
	s_cbranch_scc1 .LBB469_19
.LBB469_49:                             ;   in Loop: Header=BB469_20 Depth=1
	v_lshrrev_b32_e32 v9, 31, v8
	v_add_u32_e32 v26, v8, v9
	v_ashrrev_i32_e32 v9, 1, v26
	v_ashrrev_i32_e32 v26, 31, v26
	v_lshrrev_b32_e32 v26, 26, v26
	v_add_u32_e32 v26, v9, v26
	v_and_b32_e32 v26, 0xffffffc0, v26
	v_sub_u32_e32 v26, v9, v26
	v_cmp_eq_u32_e32 vcc, v7, v26
	s_and_saveexec_b64 s[0:1], vcc
	s_cbranch_execz .LBB469_18
; %bb.50:                               ;   in Loop: Header=BB469_20 Depth=1
	v_ashrrev_i32_e32 v26, 31, v8
	v_lshrrev_b32_e32 v26, 25, v26
	v_add_u32_e32 v26, v8, v26
	v_lshlrev_b32_e32 v9, 1, v9
	v_ashrrev_i32_e32 v26, 7, v26
	v_sub_u32_e32 v8, v8, v9
	v_lshl_add_u32 v8, v26, 1, v8
	v_cmp_ne_u32_e32 vcc, 5, v8
	s_nop 1
	v_cndmask_b32_e32 v5, v24, v5, vcc
	v_cmp_ne_u32_e32 vcc, 4, v8
	s_nop 1
	v_cndmask_b32_e32 v4, v24, v4, vcc
	;; [unrolled: 3-line block ×6, first 2 shown]
	s_branch .LBB469_18
.LBB469_51:
	v_mov_b32_e32 v11, 0
.LBB469_52:
	v_cmp_eq_u32_e32 vcc, 0, v7
	s_and_b64 exec, exec, vcc
	s_cbranch_execz .LBB469_65
; %bb.53:
	s_andn2_b64 vcc, exec, s[4:5]
	v_cvt_f32_f64_e32 v0, s[8:9]
	s_cbranch_vccnz .LBB469_55
; %bb.54:
	v_cmp_lt_f32_e32 vcc, 0, v11
	s_nop 1
	v_cndmask_b32_e32 v1, 1.0, v11, vcc
	v_div_scale_f32 v2, s[0:1], v1, v1, v0
	v_rcp_f32_e32 v3, v2
	s_nop 0
	v_fma_f32 v4, -v2, v3, 1.0
	v_fmac_f32_e32 v3, v4, v3
	v_div_scale_f32 v4, vcc, v0, v1, v0
	v_mul_f32_e32 v5, v4, v3
	v_fma_f32 v7, -v2, v5, v4
	v_fmac_f32_e32 v5, v7, v3
	v_fma_f32 v2, -v2, v5, v4
	v_div_fmas_f32 v2, v2, v3, v5
	v_div_fixup_f32 v0, v2, v1, v0
.LBB469_55:
	s_andn2_b64 vcc, exec, s[24:25]
	s_cbranch_vccnz .LBB469_65
; %bb.56:
	v_mul_lo_u32 v2, v6, s12
	s_cmp_gt_u32 s12, 3
	v_ashrrev_i32_e32 v3, 31, v2
	s_cbranch_scc0 .LBB469_60
; %bb.57:
	s_and_b32 s0, s12, 0x7ffffffc
	v_lshl_add_u64 v[4:5], v[2:3], 2, s[20:21]
	v_mov_b32_e32 v1, v0
	v_lshl_add_u64 v[4:5], v[4:5], 0, 8
	s_mov_b32 s1, s0
.LBB469_58:                             ; =>This Inner Loop Header: Depth=1
	global_load_dwordx4 v[6:9], v[4:5], off offset:-8
	s_add_i32 s1, s1, -4
	s_cmp_lg_u32 s1, 0
	s_waitcnt vmcnt(0)
	v_pk_mul_f32 v[6:7], v[0:1], v[6:7]
	v_pk_mul_f32 v[8:9], v[0:1], v[8:9]
	global_store_dwordx4 v[4:5], v[6:9], off offset:-8
	v_lshl_add_u64 v[4:5], v[4:5], 0, 16
	s_cbranch_scc1 .LBB469_58
; %bb.59:
	s_cmp_lg_u32 s0, s12
	s_cselect_b64 s[2:3], -1, 0
	s_branch .LBB469_62
.LBB469_60:
	s_mov_b64 s[2:3], 0
                                        ; implicit-def: $sgpr0
	s_cbranch_execz .LBB469_62
; %bb.61:
	s_mov_b64 s[2:3], -1
	s_mov_b32 s0, 0
.LBB469_62:
	s_andn2_b64 vcc, exec, s[2:3]
	s_cbranch_vccnz .LBB469_65
; %bb.63:
	s_mov_b32 s1, 0
	v_lshl_add_u64 v[2:3], v[2:3], 0, s[0:1]
	s_sub_i32 s2, s12, s0
	v_lshl_add_u64 v[2:3], v[2:3], 2, s[20:21]
.LBB469_64:                             ; =>This Inner Loop Header: Depth=1
	global_load_dword v1, v[2:3], off
	s_add_i32 s2, s2, -1
	s_cmp_lg_u32 s2, 0
	s_waitcnt vmcnt(0)
	v_mul_f32_e32 v1, v0, v1
	global_store_dword v[2:3], v1, off
	v_lshl_add_u64 v[2:3], v[2:3], 0, 4
	s_cbranch_scc1 .LBB469_64
.LBB469_65:
	s_endpgm
	.section	.rodata,"a",@progbits
	.p2align	6, 0x0
	.amdhsa_kernel _ZN4vllm3moe22topkGatingSoftplusSqrtILi6ELi384ELi4ELi4ELi64ELb0Ej14__hip_bfloat16EEvPKT6_PKbPfiPT5_PiiiibdPKfPKS9_SF_
		.amdhsa_group_segment_fixed_size 0
		.amdhsa_private_segment_fixed_size 0
		.amdhsa_kernarg_size 96
		.amdhsa_user_sgpr_count 2
		.amdhsa_user_sgpr_dispatch_ptr 0
		.amdhsa_user_sgpr_queue_ptr 0
		.amdhsa_user_sgpr_kernarg_segment_ptr 1
		.amdhsa_user_sgpr_dispatch_id 0
		.amdhsa_user_sgpr_kernarg_preload_length 0
		.amdhsa_user_sgpr_kernarg_preload_offset 0
		.amdhsa_user_sgpr_private_segment_size 0
		.amdhsa_uses_dynamic_stack 0
		.amdhsa_enable_private_segment 0
		.amdhsa_system_sgpr_workgroup_id_x 1
		.amdhsa_system_sgpr_workgroup_id_y 0
		.amdhsa_system_sgpr_workgroup_id_z 0
		.amdhsa_system_sgpr_workgroup_info 0
		.amdhsa_system_vgpr_workitem_id 1
		.amdhsa_next_free_vgpr 32
		.amdhsa_next_free_sgpr 32
		.amdhsa_accum_offset 32
		.amdhsa_reserve_vcc 1
		.amdhsa_float_round_mode_32 0
		.amdhsa_float_round_mode_16_64 0
		.amdhsa_float_denorm_mode_32 3
		.amdhsa_float_denorm_mode_16_64 3
		.amdhsa_dx10_clamp 1
		.amdhsa_ieee_mode 1
		.amdhsa_fp16_overflow 0
		.amdhsa_tg_split 0
		.amdhsa_exception_fp_ieee_invalid_op 0
		.amdhsa_exception_fp_denorm_src 0
		.amdhsa_exception_fp_ieee_div_zero 0
		.amdhsa_exception_fp_ieee_overflow 0
		.amdhsa_exception_fp_ieee_underflow 0
		.amdhsa_exception_fp_ieee_inexact 0
		.amdhsa_exception_int_div_zero 0
	.end_amdhsa_kernel
	.section	.text._ZN4vllm3moe22topkGatingSoftplusSqrtILi6ELi384ELi4ELi4ELi64ELb0Ej14__hip_bfloat16EEvPKT6_PKbPfiPT5_PiiiibdPKfPKS9_SF_,"axG",@progbits,_ZN4vllm3moe22topkGatingSoftplusSqrtILi6ELi384ELi4ELi4ELi64ELb0Ej14__hip_bfloat16EEvPKT6_PKbPfiPT5_PiiiibdPKfPKS9_SF_,comdat
.Lfunc_end469:
	.size	_ZN4vllm3moe22topkGatingSoftplusSqrtILi6ELi384ELi4ELi4ELi64ELb0Ej14__hip_bfloat16EEvPKT6_PKbPfiPT5_PiiiibdPKfPKS9_SF_, .Lfunc_end469-_ZN4vllm3moe22topkGatingSoftplusSqrtILi6ELi384ELi4ELi4ELi64ELb0Ej14__hip_bfloat16EEvPKT6_PKbPfiPT5_PiiiibdPKfPKS9_SF_
                                        ; -- End function
	.section	.AMDGPU.csdata,"",@progbits
; Kernel info:
; codeLenInByte = 3636
; NumSgprs: 38
; NumVgprs: 32
; NumAgprs: 0
; TotalNumVgprs: 32
; ScratchSize: 0
; MemoryBound: 0
; FloatMode: 240
; IeeeMode: 1
; LDSByteSize: 0 bytes/workgroup (compile time only)
; SGPRBlocks: 4
; VGPRBlocks: 3
; NumSGPRsForWavesPerEU: 38
; NumVGPRsForWavesPerEU: 32
; AccumOffset: 32
; Occupancy: 8
; WaveLimiterHint : 1
; COMPUTE_PGM_RSRC2:SCRATCH_EN: 0
; COMPUTE_PGM_RSRC2:USER_SGPR: 2
; COMPUTE_PGM_RSRC2:TRAP_HANDLER: 0
; COMPUTE_PGM_RSRC2:TGID_X_EN: 1
; COMPUTE_PGM_RSRC2:TGID_Y_EN: 0
; COMPUTE_PGM_RSRC2:TGID_Z_EN: 0
; COMPUTE_PGM_RSRC2:TIDIG_COMP_CNT: 1
; COMPUTE_PGM_RSRC3_GFX90A:ACCUM_OFFSET: 7
; COMPUTE_PGM_RSRC3_GFX90A:TG_SPLIT: 0
	.section	.text._ZN4vllm3moe22topkGatingSoftplusSqrtILi12ELi384ELi4ELi4ELi32ELb1Ej14__hip_bfloat16EEvPKT6_PKbPfiPT5_PiiiibdPKfPKS9_SF_,"axG",@progbits,_ZN4vllm3moe22topkGatingSoftplusSqrtILi12ELi384ELi4ELi4ELi32ELb1Ej14__hip_bfloat16EEvPKT6_PKbPfiPT5_PiiiibdPKfPKS9_SF_,comdat
	.protected	_ZN4vllm3moe22topkGatingSoftplusSqrtILi12ELi384ELi4ELi4ELi32ELb1Ej14__hip_bfloat16EEvPKT6_PKbPfiPT5_PiiiibdPKfPKS9_SF_ ; -- Begin function _ZN4vllm3moe22topkGatingSoftplusSqrtILi12ELi384ELi4ELi4ELi32ELb1Ej14__hip_bfloat16EEvPKT6_PKbPfiPT5_PiiiibdPKfPKS9_SF_
	.globl	_ZN4vllm3moe22topkGatingSoftplusSqrtILi12ELi384ELi4ELi4ELi32ELb1Ej14__hip_bfloat16EEvPKT6_PKbPfiPT5_PiiiibdPKfPKS9_SF_
	.p2align	8
	.type	_ZN4vllm3moe22topkGatingSoftplusSqrtILi12ELi384ELi4ELi4ELi32ELb1Ej14__hip_bfloat16EEvPKT6_PKbPfiPT5_PiiiibdPKfPKS9_SF_,@function
_ZN4vllm3moe22topkGatingSoftplusSqrtILi12ELi384ELi4ELi4ELi32ELb1Ej14__hip_bfloat16EEvPKT6_PKbPfiPT5_PiiiibdPKfPKS9_SF_: ; @_ZN4vllm3moe22topkGatingSoftplusSqrtILi12ELi384ELi4ELi4ELi32ELb1Ej14__hip_bfloat16EEvPKT6_PKbPfiPT5_PiiiibdPKfPKS9_SF_
; %bb.0:
	s_load_dword s3, s[0:1], 0x18
	v_and_b32_e32 v1, 0x3ff, v0
	s_lshl_b32 s2, s2, 2
	v_lshrrev_b32_e32 v2, 5, v1
	v_bfe_u32 v0, v0, 10, 10
	v_add3_u32 v4, s2, v0, v2
	s_waitcnt lgkmcnt(0)
	v_cmp_gt_i32_e32 vcc, s3, v4
	s_and_saveexec_b64 s[2:3], vcc
	s_cbranch_execz .LBB470_60
; %bb.1:
	s_load_dwordx2 s[2:3], s[0:1], 0x0
	s_load_dword s33, s[0:1], 0x30
	s_movk_i32 s4, 0x180
	v_mul_lo_u32 v2, v4, s4
	v_lshlrev_b32_e32 v0, 1, v1
	v_ashrrev_i32_e32 v3, 31, v2
	v_and_b32_e32 v10, 62, v0
	s_load_dwordx4 s[4:7], s[0:1], 0x50
	s_waitcnt lgkmcnt(0)
	v_lshl_add_u64 v[2:3], v[2:3], 1, s[2:3]
	v_lshlrev_b32_e32 v0, 1, v10
	v_mov_b32_e32 v1, 0
	v_lshl_add_u64 v[2:3], v[2:3], 0, v[0:1]
	global_load_dword v0, v[2:3], off
	global_load_dword v8, v[2:3], off offset:128
	global_load_dword v9, v[2:3], off offset:256
	;; [unrolled: 1-line block ×5, first 2 shown]
	v_ashrrev_i32_e32 v5, 31, v4
	v_mov_b32_e32 v2, s4
	v_mov_b32_e32 v3, s5
	v_lshl_add_u64 v[2:3], v[4:5], 2, v[2:3]
	global_load_dword v15, v[2:3], off
	s_mov_b32 s13, 0x800000
	v_mov_b32_e32 v7, 0x4f800000
	s_mov_b32 s11, 0x3f317217
	s_mov_b32 s12, 0x7f800000
	v_mov_b32_e32 v6, 0x41b17218
	s_mov_b32 s9, 0x41a00000
	s_mov_b32 s10, 0xf800000
	v_mov_b32_e32 v2, s6
	v_mov_b32_e32 v3, s7
	;; [unrolled: 1-line block ×3, first 2 shown]
	s_cmp_gt_i32 s33, 0
	s_mov_b32 s8, 0
	s_waitcnt vmcnt(6)
	v_and_b32_e32 v16, 0xffff0000, v0
	v_lshlrev_b32_e32 v17, 16, v0
	s_waitcnt vmcnt(4)
	v_and_b32_e32 v20, 0xffff0000, v9
	v_lshlrev_b32_e32 v21, 16, v9
	v_mul_f32_e32 v0, 0x3fb8aa3b, v17
	v_mul_f32_e32 v9, 0x3fb8aa3b, v16
	v_and_b32_e32 v18, 0xffff0000, v8
	v_lshlrev_b32_e32 v19, 16, v8
	v_exp_f32_e32 v8, v0
	v_exp_f32_e32 v9, v9
	s_waitcnt vmcnt(2)
	v_and_b32_e32 v23, 0xffff0000, v12
	v_lshlrev_b32_e32 v24, 16, v12
	v_mul_f32_e32 v12, 0x3fb8aa3b, v19
	v_mul_f32_e32 v13, 0x3fb8aa3b, v18
	v_exp_f32_e32 v12, v12
	v_exp_f32_e32 v13, v13
	v_pk_add_f32 v[8:9], v[8:9], 1.0 op_sel_hi:[1,0]
	s_waitcnt vmcnt(1)
	v_and_b32_e32 v25, 0xffff0000, v14
	v_cmp_gt_f32_e32 vcc, s13, v9
	v_lshlrev_b32_e32 v26, 16, v14
	s_waitcnt vmcnt(0)
	v_mul_lo_u32 v0, v15, s33
	v_pk_add_f32 v[14:15], v[12:13], 1.0 op_sel_hi:[1,0]
	v_cndmask_b32_e32 v12, 1.0, v7, vcc
	v_cmp_gt_f32_e64 s[2:3], s13, v8
	v_mul_f32_e32 v9, v9, v12
	v_log_f32_e32 v9, v9
	v_cndmask_b32_e64 v13, 1.0, v7, s[2:3]
	v_mul_f32_e32 v8, v8, v13
	v_log_f32_e32 v8, v8
	v_cmp_gt_f32_e64 s[4:5], s13, v15
	v_cndmask_b32_e32 v12, 0, v6, vcc
	v_cmp_lt_f32_e64 vcc, |v9|, s12
	v_cndmask_b32_e64 v27, 1.0, v7, s[4:5]
	v_mul_f32_e32 v15, v15, v27
	v_mul_f32_e32 v27, 0x3f317217, v9
	;; [unrolled: 1-line block ×3, first 2 shown]
	v_fma_f32 v27, v9, s11, -v27
	v_fma_f32 v28, v8, s11, -v28
	v_fmac_f32_e32 v27, 0x3377d1cf, v9
	v_fmac_f32_e32 v28, 0x3377d1cf, v8
	v_fmac_f32_e32 v27, 0x3f317217, v9
	v_fmac_f32_e32 v28, 0x3f317217, v8
	v_cndmask_b32_e32 v9, v9, v27, vcc
	v_cmp_lt_f32_e64 vcc, |v8|, s12
	v_cndmask_b32_e64 v13, 0, v6, s[2:3]
	v_sub_f32_e32 v9, v9, v12
	v_cndmask_b32_e32 v8, v8, v28, vcc
	v_sub_f32_e32 v8, v8, v13
	v_cmp_lt_f32_e32 vcc, s9, v17
	v_log_f32_e32 v15, v15
	v_and_b32_e32 v22, 0xffff0000, v11
	v_cndmask_b32_e32 v8, v8, v17, vcc
	v_cmp_lt_f32_e32 vcc, s9, v16
	v_mul_f32_e32 v13, 0x4f800000, v8
	v_cmp_gt_f32_e64 s[2:3], s10, v8
	v_cndmask_b32_e32 v9, v9, v16, vcc
	v_mul_f32_e32 v12, 0x4f800000, v9
	v_cmp_gt_f32_e32 vcc, s10, v9
	v_cndmask_b32_e64 v8, v8, v13, s[2:3]
	v_sqrt_f32_e32 v13, v8
	v_cndmask_b32_e32 v9, v9, v12, vcc
	v_sqrt_f32_e32 v12, v9
	v_lshlrev_b32_e32 v11, 16, v11
	v_add_u32_e32 v27, -1, v13
	v_fma_f32 v31, -v27, v13, v8
	v_add_u32_e32 v16, -1, v12
	v_fma_f32 v29, -v16, v12, v9
	v_add_u32_e32 v17, 1, v12
	v_cmp_ge_f32_e64 s[6:7], 0, v29
	v_add_u32_e32 v28, 1, v13
	v_fma_f32 v30, -v17, v12, v9
	v_cndmask_b32_e64 v12, v12, v16, s[6:7]
	v_cmp_ge_f32_e64 s[6:7], 0, v31
	v_fma_f32 v32, -v28, v13, v8
	v_lshl_add_u64 v[2:3], v[0:1], 2, v[2:3]
	v_cndmask_b32_e64 v13, v13, v27, s[6:7]
	v_cmp_lt_f32_e64 s[6:7], 0, v30
	v_mul_lo_u32 v0, v4, s33
	s_nop 0
	v_cndmask_b32_e64 v12, v12, v17, s[6:7]
	v_cmp_lt_f32_e64 s[6:7], 0, v32
	v_mul_f32_e32 v16, 0x37800000, v12
	v_cndmask_b32_e32 v12, v12, v16, vcc
	v_cndmask_b32_e64 v13, v13, v28, s[6:7]
	v_mul_f32_e32 v17, 0x37800000, v13
	v_cmp_class_f32_e32 vcc, v9, v5
	v_cndmask_b32_e64 v16, v13, v17, s[2:3]
	v_cmp_lt_f32_e64 s[2:3], |v15|, s12
	v_cndmask_b32_e32 v13, v12, v9, vcc
	v_cmp_class_f32_e32 vcc, v8, v5
	s_nop 1
	v_cndmask_b32_e32 v12, v16, v8, vcc
	v_cmp_gt_f32_e32 vcc, s13, v14
	v_mul_f32_e32 v8, 0x3f317217, v15
	v_fma_f32 v8, v15, s11, -v8
	v_cndmask_b32_e32 v9, 1.0, v7, vcc
	v_mul_f32_e32 v9, v14, v9
	v_log_f32_e32 v9, v9
	v_fmac_f32_e32 v8, 0x3377d1cf, v15
	v_fmac_f32_e32 v8, 0x3f317217, v15
	v_cndmask_b32_e64 v8, v15, v8, s[2:3]
	v_cndmask_b32_e64 v14, 0, v6, s[4:5]
	v_sub_f32_e32 v8, v8, v14
	v_mul_f32_e32 v14, 0x3f317217, v9
	v_fma_f32 v14, v9, s11, -v14
	v_fmac_f32_e32 v14, 0x3377d1cf, v9
	v_fmac_f32_e32 v14, 0x3f317217, v9
	v_cmp_lt_f32_e64 s[2:3], |v9|, s12
	s_nop 1
	v_cndmask_b32_e64 v9, v9, v14, s[2:3]
	v_cndmask_b32_e32 v14, 0, v6, vcc
	v_cmp_lt_f32_e32 vcc, s9, v18
	v_sub_f32_e32 v9, v9, v14
	v_cmp_lt_f32_e64 s[2:3], s9, v19
	v_cndmask_b32_e32 v8, v8, v18, vcc
	v_mul_f32_e32 v15, 0x4f800000, v8
	v_cmp_gt_f32_e32 vcc, s10, v8
	v_cndmask_b32_e64 v9, v9, v19, s[2:3]
	s_nop 0
	v_cndmask_b32_e32 v8, v8, v15, vcc
	v_sqrt_f32_e32 v15, v8
	s_nop 0
	v_add_u32_e32 v14, -1, v15
	v_fma_f32 v16, -v14, v15, v8
	v_cmp_ge_f32_e64 s[2:3], 0, v16
	v_add_u32_e32 v16, 1, v15
	s_nop 0
	v_cndmask_b32_e64 v14, v15, v14, s[2:3]
	v_fma_f32 v15, -v16, v15, v8
	v_cmp_lt_f32_e64 s[2:3], 0, v15
	s_nop 1
	v_cndmask_b32_e64 v14, v14, v16, s[2:3]
	v_mul_f32_e32 v16, 0x4f800000, v9
	v_cmp_gt_f32_e64 s[2:3], s10, v9
	v_mul_f32_e32 v15, 0x37800000, v14
	v_cndmask_b32_e32 v14, v14, v15, vcc
	v_cndmask_b32_e64 v16, v9, v16, s[2:3]
	v_sqrt_f32_e32 v9, v16
	v_cmp_class_f32_e32 vcc, v8, v5
	v_add_u32_e32 v17, 1, v9
	s_nop 0
	v_cndmask_b32_e32 v15, v14, v8, vcc
	v_add_u32_e32 v8, -1, v9
	v_fma_f32 v14, -v8, v9, v16
	v_cmp_ge_f32_e32 vcc, 0, v14
	v_fma_f32 v18, -v17, v9, v16
	s_nop 0
	v_cndmask_b32_e32 v14, v9, v8, vcc
	v_mul_f32_e32 v8, 0x3fb8aa3b, v21
	v_mul_f32_e32 v9, 0x3fb8aa3b, v20
	v_exp_f32_e32 v8, v8
	v_exp_f32_e32 v9, v9
	v_cmp_lt_f32_e32 vcc, 0, v18
	v_pk_add_f32 v[8:9], v[8:9], 1.0 op_sel_hi:[1,0]
	s_nop 0
	v_cndmask_b32_e32 v14, v14, v17, vcc
	v_mul_f32_e32 v17, 0x37800000, v14
	v_cmp_gt_f32_e32 vcc, s13, v9
	v_cndmask_b32_e64 v14, v14, v17, s[2:3]
	v_cmp_class_f32_e64 s[2:3], v16, v5
	v_cndmask_b32_e32 v17, 1.0, v7, vcc
	v_mul_f32_e32 v9, v9, v17
	v_log_f32_e32 v9, v9
	v_cndmask_b32_e64 v14, v14, v16, s[2:3]
	v_cmp_gt_f32_e64 s[2:3], s13, v8
	scratch_store_dwordx4 off, v[12:15], off
	v_cmp_lt_f32_e64 s[4:5], |v9|, s12
	s_nop 0
	v_cndmask_b32_e64 v13, 1.0, v7, s[2:3]
	v_mul_f32_e32 v12, 0x3f317217, v9
	v_mul_f32_e32 v8, v8, v13
	v_fma_f32 v12, v9, s11, -v12
	v_log_f32_e32 v8, v8
	v_fmac_f32_e32 v12, 0x3377d1cf, v9
	v_fmac_f32_e32 v12, 0x3f317217, v9
	v_cndmask_b32_e64 v9, v9, v12, s[4:5]
	v_cndmask_b32_e32 v12, 0, v6, vcc
	v_sub_f32_e32 v9, v9, v12
	v_mul_f32_e32 v12, 0x3f317217, v8
	v_fma_f32 v12, v8, s11, -v12
	v_fmac_f32_e32 v12, 0x3377d1cf, v8
	v_fmac_f32_e32 v12, 0x3f317217, v8
	v_cmp_lt_f32_e64 vcc, |v8|, s12
	s_nop 1
	v_cndmask_b32_e32 v8, v8, v12, vcc
	v_cmp_lt_f32_e32 vcc, s9, v20
	v_cndmask_b32_e64 v12, 0, v6, s[2:3]
	v_sub_f32_e32 v8, v8, v12
	v_cndmask_b32_e32 v9, v9, v20, vcc
	v_mul_f32_e32 v13, 0x4f800000, v9
	v_cmp_gt_f32_e32 vcc, s10, v9
	v_cmp_lt_f32_e64 s[2:3], s9, v21
	s_nop 0
	v_cndmask_b32_e32 v9, v9, v13, vcc
	v_sqrt_f32_e32 v13, v9
	v_cndmask_b32_e64 v8, v8, v21, s[2:3]
	v_add_u32_e32 v12, -1, v13
	v_fma_f32 v14, -v12, v13, v9
	v_cmp_ge_f32_e64 s[2:3], 0, v14
	v_add_u32_e32 v14, 1, v13
	s_nop 0
	v_cndmask_b32_e64 v12, v13, v12, s[2:3]
	v_fma_f32 v13, -v14, v13, v9
	v_cmp_lt_f32_e64 s[2:3], 0, v13
	s_nop 1
	v_cndmask_b32_e64 v12, v12, v14, s[2:3]
	v_mul_f32_e32 v14, 0x4f800000, v8
	v_cmp_gt_f32_e64 s[2:3], s10, v8
	v_mul_f32_e32 v13, 0x37800000, v12
	v_cndmask_b32_e32 v12, v12, v13, vcc
	v_cndmask_b32_e64 v14, v8, v14, s[2:3]
	v_sqrt_f32_e32 v8, v14
	v_cmp_class_f32_e32 vcc, v9, v5
	v_add_u32_e32 v15, 1, v8
	s_nop 0
	v_cndmask_b32_e32 v13, v12, v9, vcc
	v_add_u32_e32 v9, -1, v8
	v_fma_f32 v12, -v9, v8, v14
	v_cmp_ge_f32_e32 vcc, 0, v12
	v_fma_f32 v16, -v15, v8, v14
	s_nop 0
	v_cndmask_b32_e32 v12, v8, v9, vcc
	v_mul_f32_e32 v8, 0x3fb8aa3b, v11
	v_mul_f32_e32 v9, 0x3fb8aa3b, v22
	v_exp_f32_e32 v8, v8
	v_exp_f32_e32 v9, v9
	v_cmp_lt_f32_e32 vcc, 0, v16
	v_pk_add_f32 v[8:9], v[8:9], 1.0 op_sel_hi:[1,0]
	s_nop 0
	v_cndmask_b32_e32 v12, v12, v15, vcc
	v_cmp_gt_f32_e32 vcc, s13, v9
	v_mul_f32_e32 v15, 0x37800000, v12
	v_cndmask_b32_e64 v12, v12, v15, s[2:3]
	v_cndmask_b32_e32 v16, 1.0, v7, vcc
	v_mul_f32_e32 v9, v9, v16
	v_log_f32_e32 v9, v9
	v_cmp_class_f32_e64 s[2:3], v14, v5
	v_cmp_lt_f32_e64 s[4:5], |v9|, s12
	s_nop 0
	v_cndmask_b32_e64 v12, v12, v14, s[2:3]
	v_cmp_gt_f32_e64 s[2:3], s13, v8
	v_mul_f32_e32 v14, 0x3f317217, v9
	v_fma_f32 v14, v9, s11, -v14
	v_cndmask_b32_e64 v15, 1.0, v7, s[2:3]
	v_mul_f32_e32 v8, v8, v15
	v_log_f32_e32 v8, v8
	v_fmac_f32_e32 v14, 0x3377d1cf, v9
	v_fmac_f32_e32 v14, 0x3f317217, v9
	v_cndmask_b32_e64 v9, v9, v14, s[4:5]
	v_cndmask_b32_e32 v14, 0, v6, vcc
	v_sub_f32_e32 v9, v9, v14
	v_mul_f32_e32 v14, 0x3f317217, v8
	v_fma_f32 v14, v8, s11, -v14
	v_fmac_f32_e32 v14, 0x3377d1cf, v8
	v_fmac_f32_e32 v14, 0x3f317217, v8
	v_cmp_lt_f32_e64 vcc, |v8|, s12
	s_nop 1
	v_cndmask_b32_e32 v8, v8, v14, vcc
	v_cmp_lt_f32_e32 vcc, s9, v22
	v_cndmask_b32_e64 v14, 0, v6, s[2:3]
	v_sub_f32_e32 v8, v8, v14
	v_cndmask_b32_e32 v9, v9, v22, vcc
	v_mul_f32_e32 v15, 0x4f800000, v9
	v_cmp_gt_f32_e32 vcc, s10, v9
	v_cmp_lt_f32_e64 s[2:3], s9, v11
	s_nop 0
	v_cndmask_b32_e32 v9, v9, v15, vcc
	v_sqrt_f32_e32 v15, v9
	v_cndmask_b32_e64 v8, v8, v11, s[2:3]
	v_add_u32_e32 v11, -1, v15
	v_fma_f32 v14, -v11, v15, v9
	v_cmp_ge_f32_e64 s[2:3], 0, v14
	v_add_u32_e32 v14, 1, v15
	s_nop 0
	v_cndmask_b32_e64 v11, v15, v11, s[2:3]
	v_fma_f32 v15, -v14, v15, v9
	v_cmp_lt_f32_e64 s[2:3], 0, v15
	v_mul_f32_e32 v15, 0x4f800000, v8
	s_nop 0
	v_cndmask_b32_e64 v11, v11, v14, s[2:3]
	v_cmp_gt_f32_e64 s[2:3], s10, v8
	v_mul_f32_e32 v14, 0x37800000, v11
	v_cndmask_b32_e32 v11, v11, v14, vcc
	v_cndmask_b32_e64 v16, v8, v15, s[2:3]
	v_sqrt_f32_e32 v8, v16
	v_cmp_class_f32_e32 vcc, v9, v5
	v_add_u32_e32 v14, 1, v8
	s_nop 0
	v_cndmask_b32_e32 v15, v11, v9, vcc
	v_add_u32_e32 v9, -1, v8
	v_fma_f32 v11, -v9, v8, v16
	v_cmp_ge_f32_e32 vcc, 0, v11
	v_fma_f32 v17, -v14, v8, v16
	s_nop 0
	v_cndmask_b32_e32 v11, v8, v9, vcc
	v_mul_f32_e32 v8, 0x3fb8aa3b, v24
	v_mul_f32_e32 v9, 0x3fb8aa3b, v23
	v_exp_f32_e32 v8, v8
	v_exp_f32_e32 v9, v9
	v_cmp_lt_f32_e32 vcc, 0, v17
	v_pk_add_f32 v[8:9], v[8:9], 1.0 op_sel_hi:[1,0]
	s_nop 0
	v_cndmask_b32_e32 v11, v11, v14, vcc
	v_mul_f32_e32 v14, 0x37800000, v11
	v_cmp_gt_f32_e32 vcc, s13, v9
	v_cndmask_b32_e64 v11, v11, v14, s[2:3]
	v_cmp_class_f32_e64 s[2:3], v16, v5
	v_cndmask_b32_e32 v14, 1.0, v7, vcc
	v_mul_f32_e32 v9, v9, v14
	v_log_f32_e32 v9, v9
	v_cndmask_b32_e64 v14, v11, v16, s[2:3]
	v_cmp_gt_f32_e64 s[2:3], s13, v8
	scratch_store_dwordx4 off, v[12:15], off offset:16
	v_mul_f32_e32 v11, 0x3f317217, v9
	v_fma_f32 v11, v9, s11, -v11
	v_cndmask_b32_e64 v12, 1.0, v7, s[2:3]
	v_mul_f32_e32 v8, v8, v12
	v_log_f32_e32 v8, v8
	v_fmac_f32_e32 v11, 0x3377d1cf, v9
	v_fmac_f32_e32 v11, 0x3f317217, v9
	v_cmp_lt_f32_e64 s[4:5], |v9|, s12
	s_nop 1
	v_cndmask_b32_e64 v9, v9, v11, s[4:5]
	v_cndmask_b32_e32 v11, 0, v6, vcc
	v_sub_f32_e32 v9, v9, v11
	v_mul_f32_e32 v11, 0x3f317217, v8
	v_fma_f32 v11, v8, s11, -v11
	v_fmac_f32_e32 v11, 0x3377d1cf, v8
	v_fmac_f32_e32 v11, 0x3f317217, v8
	v_cmp_lt_f32_e64 vcc, |v8|, s12
	s_nop 1
	v_cndmask_b32_e32 v8, v8, v11, vcc
	v_cmp_lt_f32_e32 vcc, s9, v23
	v_cndmask_b32_e64 v11, 0, v6, s[2:3]
	v_sub_f32_e32 v8, v8, v11
	v_cndmask_b32_e32 v9, v9, v23, vcc
	v_mul_f32_e32 v12, 0x4f800000, v9
	v_cmp_gt_f32_e32 vcc, s10, v9
	v_cmp_lt_f32_e64 s[2:3], s9, v24
	s_nop 0
	v_cndmask_b32_e32 v9, v9, v12, vcc
	v_sqrt_f32_e32 v12, v9
	v_cndmask_b32_e64 v8, v8, v24, s[2:3]
	v_add_u32_e32 v11, -1, v12
	v_fma_f32 v13, -v11, v12, v9
	v_cmp_ge_f32_e64 s[2:3], 0, v13
	v_add_u32_e32 v13, 1, v12
	s_nop 0
	v_cndmask_b32_e64 v11, v12, v11, s[2:3]
	v_fma_f32 v12, -v13, v12, v9
	v_cmp_lt_f32_e64 s[2:3], 0, v12
	s_nop 1
	v_cndmask_b32_e64 v11, v11, v13, s[2:3]
	v_mul_f32_e32 v13, 0x4f800000, v8
	v_cmp_gt_f32_e64 s[2:3], s10, v8
	v_mul_f32_e32 v12, 0x37800000, v11
	v_cndmask_b32_e32 v11, v11, v12, vcc
	v_cndmask_b32_e64 v14, v8, v13, s[2:3]
	v_sqrt_f32_e32 v8, v14
	v_cmp_class_f32_e32 vcc, v9, v5
	v_add_u32_e32 v12, 1, v8
	s_nop 0
	v_cndmask_b32_e32 v13, v11, v9, vcc
	v_add_u32_e32 v9, -1, v8
	v_fma_f32 v11, -v9, v8, v14
	v_cmp_ge_f32_e32 vcc, 0, v11
	v_fma_f32 v15, -v12, v8, v14
	s_nop 0
	v_cndmask_b32_e32 v11, v8, v9, vcc
	v_mul_f32_e32 v8, 0x3fb8aa3b, v26
	v_mul_f32_e32 v9, 0x3fb8aa3b, v25
	v_exp_f32_e32 v8, v8
	v_exp_f32_e32 v9, v9
	v_cmp_lt_f32_e32 vcc, 0, v15
	v_pk_add_f32 v[8:9], v[8:9], 1.0 op_sel_hi:[1,0]
	s_nop 0
	v_cndmask_b32_e32 v11, v11, v12, vcc
	v_cmp_gt_f32_e32 vcc, s13, v9
	v_mul_f32_e32 v12, 0x37800000, v11
	v_cndmask_b32_e64 v11, v11, v12, s[2:3]
	v_cndmask_b32_e32 v15, 1.0, v7, vcc
	v_mul_f32_e32 v9, v9, v15
	v_log_f32_e32 v9, v9
	v_cmp_class_f32_e64 s[2:3], v14, v5
	v_cmp_lt_f32_e64 s[4:5], |v9|, s12
	s_nop 0
	v_cndmask_b32_e64 v12, v11, v14, s[2:3]
	v_cmp_gt_f32_e64 s[2:3], s13, v8
	v_mul_f32_e32 v11, 0x3f317217, v9
	v_fma_f32 v11, v9, s11, -v11
	v_cndmask_b32_e64 v7, 1.0, v7, s[2:3]
	v_mul_f32_e32 v7, v8, v7
	v_log_f32_e32 v7, v7
	v_fmac_f32_e32 v11, 0x3377d1cf, v9
	v_fmac_f32_e32 v11, 0x3f317217, v9
	v_cndmask_b32_e64 v8, v9, v11, s[4:5]
	v_cndmask_b32_e32 v9, 0, v6, vcc
	v_sub_f32_e32 v8, v8, v9
	v_mul_f32_e32 v9, 0x3f317217, v7
	v_fma_f32 v9, v7, s11, -v9
	v_fmac_f32_e32 v9, 0x3377d1cf, v7
	v_fmac_f32_e32 v9, 0x3f317217, v7
	v_cmp_lt_f32_e64 vcc, |v7|, s12
	v_cndmask_b32_e64 v6, 0, v6, s[2:3]
	v_cmp_lt_f32_e64 s[2:3], s9, v26
	v_cndmask_b32_e32 v7, v7, v9, vcc
	v_cmp_lt_f32_e32 vcc, s9, v25
	v_sub_f32_e32 v6, v7, v6
	v_cndmask_b32_e64 v6, v6, v26, s[2:3]
	v_cndmask_b32_e32 v8, v8, v25, vcc
	v_mul_f32_e32 v9, 0x4f800000, v8
	v_cmp_gt_f32_e32 vcc, s10, v8
	s_cselect_b64 s[4:5], -1, 0
	s_cmp_lt_i32 s33, 1
	v_cndmask_b32_e32 v8, v8, v9, vcc
	v_sqrt_f32_e32 v9, v8
	s_nop 0
	v_add_u32_e32 v7, -1, v9
	v_fma_f32 v11, -v7, v9, v8
	v_cmp_ge_f32_e64 s[2:3], 0, v11
	v_add_u32_e32 v11, 1, v9
	s_nop 0
	v_cndmask_b32_e64 v7, v9, v7, s[2:3]
	v_fma_f32 v9, -v11, v9, v8
	v_cmp_lt_f32_e64 s[2:3], 0, v9
	s_nop 1
	v_cndmask_b32_e64 v7, v7, v11, s[2:3]
	v_mul_f32_e32 v11, 0x4f800000, v6
	v_cmp_gt_f32_e64 s[2:3], s10, v6
	v_mul_f32_e32 v9, 0x37800000, v7
	v_cndmask_b32_e32 v7, v7, v9, vcc
	v_cndmask_b32_e64 v6, v6, v11, s[2:3]
	v_sqrt_f32_e32 v11, v6
	v_cmp_class_f32_e32 vcc, v8, v5
	s_nop 1
	v_cndmask_b32_e32 v15, v7, v8, vcc
	v_add_u32_e32 v7, -1, v11
	v_fma_f32 v8, -v7, v11, v6
	v_cmp_ge_f32_e32 vcc, 0, v8
	v_add_u32_e32 v8, 1, v11
	v_fma_f32 v9, -v8, v11, v6
	v_cndmask_b32_e32 v7, v11, v7, vcc
	v_cmp_lt_f32_e32 vcc, 0, v9
	s_nop 1
	v_cndmask_b32_e32 v7, v7, v8, vcc
	v_mul_f32_e32 v8, 0x37800000, v7
	v_cndmask_b32_e64 v7, v7, v8, s[2:3]
	v_cmp_class_f32_e32 vcc, v6, v5
	s_nop 1
	v_cndmask_b32_e32 v14, v7, v6, vcc
	scratch_store_dwordx4 off, v[12:15], off offset:32
	s_cbranch_scc1 .LBB470_29
; %bb.2:
	s_load_dwordx2 s[6:7], s[0:1], 0x20
	s_cmp_lt_u32 s33, 4
	v_mul_lo_u32 v4, v4, s33
	s_cbranch_scc1 .LBB470_21
; %bb.3:
	s_mov_b32 s11, 0
	s_and_b32 s8, s33, 0x7ffffffc
	v_ashrrev_i32_e32 v5, 31, v4
	v_mov_b32_e32 v1, 0
	s_mov_b32 s10, s11
	s_branch .LBB470_5
.LBB470_4:                              ;   in Loop: Header=BB470_5 Depth=1
	s_or_b64 exec, exec, s[12:13]
	s_add_i32 s10, s10, 4
	s_cmp_eq_u32 s10, s8
	s_cbranch_scc1 .LBB470_22
.LBB470_5:                              ; =>This Loop Header: Depth=1
                                        ;     Child Loop BB470_7 Depth 2
                                        ;     Child Loop BB470_11 Depth 2
	;; [unrolled: 1-line block ×4, first 2 shown]
	v_lshl_add_u64 v[6:7], s[10:11], 2, v[2:3]
	global_load_dword v11, v[6:7], off
	v_add_u32_e32 v8, s10, v4
	v_ashrrev_i32_e32 v9, 31, v8
	s_waitcnt lgkmcnt(0)
	v_lshl_add_u64 v[8:9], v[8:9], 2, s[6:7]
	v_mov_b32_e32 v12, 0
	s_mov_b64 s[12:13], 0
	s_mov_b32 s9, 0
	s_mov_b32 s16, 0
	s_branch .LBB470_7
.LBB470_6:                              ;   in Loop: Header=BB470_7 Depth=2
	s_or_b64 exec, exec, s[14:15]
	s_add_i32 s17, s16, 1
	s_cmp_gt_u32 s16, 10
	s_cselect_b64 s[2:3], -1, 0
	s_xor_b64 s[14:15], vcc, -1
	s_or_b64 s[2:3], s[14:15], s[2:3]
	s_add_i32 s9, s9, 32
	s_and_b64 s[2:3], exec, s[2:3]
	v_add_u32_e32 v12, 4, v12
	s_or_b64 s[12:13], s[2:3], s[12:13]
	s_mov_b32 s16, s17
	s_andn2_b64 exec, exec, s[12:13]
	s_cbranch_execz .LBB470_9
.LBB470_7:                              ;   Parent Loop BB470_5 Depth=1
                                        ; =>  This Inner Loop Header: Depth=2
	s_and_b32 s2, s16, 1
	s_and_b32 s3, s9, 0x1c0
	s_or_b32 s2, s2, s3
	v_or_b32_e32 v13, s2, v10
	s_waitcnt vmcnt(0)
	v_cmp_ne_u32_e32 vcc, v11, v13
	v_cmp_eq_u32_e64 s[2:3], v11, v13
	s_and_saveexec_b64 s[14:15], s[2:3]
	s_cbranch_execz .LBB470_6
; %bb.8:                                ;   in Loop: Header=BB470_7 Depth=2
	scratch_load_dword v13, v12, off
	s_waitcnt vmcnt(0)
	v_add_f32_e32 v1, v1, v13
	global_store_dword v[8:9], v11, off
	s_branch .LBB470_6
.LBB470_9:                              ;   in Loop: Header=BB470_5 Depth=1
	s_or_b64 exec, exec, s[12:13]
	global_load_dword v11, v[6:7], off offset:4
	s_ashr_i32 s3, s10, 31
	s_mov_b32 s2, s10
	v_lshl_add_u64 v[8:9], s[2:3], 0, v[4:5]
	v_lshl_add_u64 v[8:9], v[8:9], 2, s[6:7]
	v_mov_b32_e32 v12, 0
	s_mov_b32 s9, 0
	s_mov_b64 s[12:13], 0
	s_mov_b32 s16, 0
	s_branch .LBB470_11
.LBB470_10:                             ;   in Loop: Header=BB470_11 Depth=2
	s_or_b64 exec, exec, s[14:15]
	s_add_i32 s17, s16, 1
	s_cmp_gt_u32 s16, 10
	s_cselect_b64 s[2:3], -1, 0
	s_xor_b64 s[14:15], vcc, -1
	s_or_b64 s[2:3], s[14:15], s[2:3]
	s_add_i32 s9, s9, 32
	s_and_b64 s[2:3], exec, s[2:3]
	v_add_u32_e32 v12, 4, v12
	s_or_b64 s[12:13], s[2:3], s[12:13]
	s_mov_b32 s16, s17
	s_andn2_b64 exec, exec, s[12:13]
	s_cbranch_execz .LBB470_13
.LBB470_11:                             ;   Parent Loop BB470_5 Depth=1
                                        ; =>  This Inner Loop Header: Depth=2
	s_and_b32 s2, s16, 1
	s_and_b32 s3, s9, 0x1c0
	s_or_b32 s2, s2, s3
	v_or_b32_e32 v13, s2, v10
	s_waitcnt vmcnt(0)
	v_cmp_ne_u32_e32 vcc, v11, v13
	v_cmp_eq_u32_e64 s[2:3], v11, v13
	s_and_saveexec_b64 s[14:15], s[2:3]
	s_cbranch_execz .LBB470_10
; %bb.12:                               ;   in Loop: Header=BB470_11 Depth=2
	scratch_load_dword v13, v12, off
	s_waitcnt vmcnt(0)
	v_add_f32_e32 v1, v1, v13
	global_store_dword v[8:9], v11, off offset:4
	s_branch .LBB470_10
.LBB470_13:                             ;   in Loop: Header=BB470_5 Depth=1
	s_or_b64 exec, exec, s[12:13]
	global_load_dword v11, v[6:7], off offset:8
	v_mov_b32_e32 v12, 0
	s_mov_b32 s9, 0
	s_mov_b64 s[12:13], 0
	s_mov_b32 s16, 0
	s_branch .LBB470_15
.LBB470_14:                             ;   in Loop: Header=BB470_15 Depth=2
	s_or_b64 exec, exec, s[14:15]
	s_add_i32 s17, s16, 1
	s_cmp_gt_u32 s16, 10
	s_cselect_b64 s[2:3], -1, 0
	s_xor_b64 s[14:15], vcc, -1
	s_or_b64 s[2:3], s[14:15], s[2:3]
	s_add_i32 s9, s9, 32
	s_and_b64 s[2:3], exec, s[2:3]
	v_add_u32_e32 v12, 4, v12
	s_or_b64 s[12:13], s[2:3], s[12:13]
	s_mov_b32 s16, s17
	s_andn2_b64 exec, exec, s[12:13]
	s_cbranch_execz .LBB470_17
.LBB470_15:                             ;   Parent Loop BB470_5 Depth=1
                                        ; =>  This Inner Loop Header: Depth=2
	s_and_b32 s2, s16, 1
	s_and_b32 s3, s9, 0x1c0
	s_or_b32 s2, s2, s3
	v_or_b32_e32 v13, s2, v10
	s_waitcnt vmcnt(0)
	v_cmp_ne_u32_e32 vcc, v11, v13
	v_cmp_eq_u32_e64 s[2:3], v11, v13
	s_and_saveexec_b64 s[14:15], s[2:3]
	s_cbranch_execz .LBB470_14
; %bb.16:                               ;   in Loop: Header=BB470_15 Depth=2
	scratch_load_dword v13, v12, off
	s_waitcnt vmcnt(0)
	v_add_f32_e32 v1, v1, v13
	global_store_dword v[8:9], v11, off offset:8
	s_branch .LBB470_14
.LBB470_17:                             ;   in Loop: Header=BB470_5 Depth=1
	s_or_b64 exec, exec, s[12:13]
	global_load_dword v6, v[6:7], off offset:12
	v_mov_b32_e32 v7, 0
	s_mov_b32 s9, 0
	s_mov_b64 s[12:13], 0
	s_mov_b32 s16, 0
	s_branch .LBB470_19
.LBB470_18:                             ;   in Loop: Header=BB470_19 Depth=2
	s_or_b64 exec, exec, s[14:15]
	s_add_i32 s17, s16, 1
	s_cmp_gt_u32 s16, 10
	s_cselect_b64 s[2:3], -1, 0
	s_xor_b64 s[14:15], vcc, -1
	s_or_b64 s[2:3], s[14:15], s[2:3]
	s_add_i32 s9, s9, 32
	s_and_b64 s[2:3], exec, s[2:3]
	v_add_u32_e32 v7, 4, v7
	s_or_b64 s[12:13], s[2:3], s[12:13]
	s_mov_b32 s16, s17
	s_andn2_b64 exec, exec, s[12:13]
	s_cbranch_execz .LBB470_4
.LBB470_19:                             ;   Parent Loop BB470_5 Depth=1
                                        ; =>  This Inner Loop Header: Depth=2
	s_and_b32 s2, s16, 1
	s_and_b32 s3, s9, 0x1c0
	s_or_b32 s2, s2, s3
	v_or_b32_e32 v11, s2, v10
	s_waitcnt vmcnt(0)
	v_cmp_ne_u32_e32 vcc, v6, v11
	v_cmp_eq_u32_e64 s[2:3], v6, v11
	s_and_saveexec_b64 s[14:15], s[2:3]
	s_cbranch_execz .LBB470_18
; %bb.20:                               ;   in Loop: Header=BB470_19 Depth=2
	scratch_load_dword v11, v7, off
	s_waitcnt vmcnt(0)
	v_add_f32_e32 v1, v1, v11
	global_store_dword v[8:9], v6, off offset:12
	s_branch .LBB470_18
.LBB470_21:
	v_mov_b32_e32 v1, 0
.LBB470_22:
	s_and_b32 s14, s33, 3
	s_cmp_eq_u32 s14, 0
	s_mov_b32 s9, 0
	s_cbranch_scc1 .LBB470_29
; %bb.23:
	s_mov_b32 s15, s9
	s_branch .LBB470_25
.LBB470_24:                             ;   in Loop: Header=BB470_25 Depth=1
	s_or_b64 exec, exec, s[10:11]
	s_add_i32 s8, s8, 1
	s_add_i32 s15, s15, 1
	s_cmp_lg_u32 s15, s14
	s_cbranch_scc0 .LBB470_29
.LBB470_25:                             ; =>This Loop Header: Depth=1
                                        ;     Child Loop BB470_27 Depth 2
	v_lshl_add_u64 v[6:7], s[8:9], 2, v[2:3]
	global_load_dword v5, v[6:7], off
	v_add_u32_e32 v6, s8, v4
	v_ashrrev_i32_e32 v7, 31, v6
	s_waitcnt lgkmcnt(0)
	v_lshl_add_u64 v[6:7], v[6:7], 2, s[6:7]
	v_mov_b32_e32 v8, 0
	s_mov_b32 s16, 0
	s_mov_b64 s[10:11], 0
	s_mov_b32 s17, 0
	s_branch .LBB470_27
.LBB470_26:                             ;   in Loop: Header=BB470_27 Depth=2
	s_or_b64 exec, exec, s[12:13]
	s_add_i32 s18, s17, 1
	s_cmp_gt_u32 s17, 10
	s_cselect_b64 s[2:3], -1, 0
	s_xor_b64 s[12:13], vcc, -1
	s_or_b64 s[2:3], s[12:13], s[2:3]
	s_add_i32 s16, s16, 32
	s_and_b64 s[2:3], exec, s[2:3]
	v_add_u32_e32 v8, 4, v8
	s_or_b64 s[10:11], s[2:3], s[10:11]
	s_mov_b32 s17, s18
	s_andn2_b64 exec, exec, s[10:11]
	s_cbranch_execz .LBB470_24
.LBB470_27:                             ;   Parent Loop BB470_25 Depth=1
                                        ; =>  This Inner Loop Header: Depth=2
	s_and_b32 s2, s17, 1
	s_and_b32 s3, s16, 0x1c0
	s_or_b32 s2, s2, s3
	v_or_b32_e32 v9, s2, v10
	s_waitcnt vmcnt(0)
	v_cmp_ne_u32_e32 vcc, v5, v9
	v_cmp_eq_u32_e64 s[2:3], v5, v9
	s_and_saveexec_b64 s[12:13], s[2:3]
	s_cbranch_execz .LBB470_26
; %bb.28:                               ;   in Loop: Header=BB470_27 Depth=2
	scratch_load_dword v9, v8, off
	s_waitcnt vmcnt(0)
	v_add_f32_e32 v1, v1, v9
	global_store_dword v[6:7], v5, off
	s_branch .LBB470_26
.LBB470_29:
	s_waitcnt lgkmcnt(0)
	s_load_dword s6, s[0:1], 0x3c
	s_waitcnt lgkmcnt(0)
	s_bitcmp1_b32 s6, 0
	s_cselect_b64 s[2:3], -1, 0
	s_bitcmp0_b32 s6, 0
	s_cbranch_scc0 .LBB470_32
; %bb.30:
	s_load_dwordx2 s[6:7], s[0:1], 0x40
	s_andn2_b64 vcc, exec, s[2:3]
	s_waitcnt lgkmcnt(0)
	v_cvt_f32_f64_e32 v4, s[6:7]
	s_cbranch_vccz .LBB470_33
.LBB470_31:
	s_andn2_b64 vcc, exec, s[4:5]
	s_cbranch_vccz .LBB470_34
	s_branch .LBB470_60
.LBB470_32:
	v_mbcnt_lo_u32_b32 v4, -1, 0
	v_mbcnt_hi_u32_b32 v4, -1, v4
	v_and_b32_e32 v5, 0x60, v4
	v_add_u32_e32 v5, 32, v5
	v_xor_b32_e32 v6, 16, v4
	v_cmp_lt_i32_e32 vcc, v6, v5
	v_xor_b32_e32 v7, 8, v4
	s_nop 0
	v_cndmask_b32_e32 v6, v4, v6, vcc
	v_lshlrev_b32_e32 v6, 2, v6
	ds_bpermute_b32 v6, v6, v1
	v_cmp_lt_i32_e32 vcc, v7, v5
	s_waitcnt lgkmcnt(0)
	v_add_f32_e32 v1, v1, v6
	v_cndmask_b32_e32 v6, v4, v7, vcc
	v_lshlrev_b32_e32 v6, 2, v6
	ds_bpermute_b32 v6, v6, v1
	v_xor_b32_e32 v7, 4, v4
	v_cmp_lt_i32_e32 vcc, v7, v5
	s_waitcnt lgkmcnt(0)
	v_add_f32_e32 v1, v1, v6
	v_cndmask_b32_e32 v6, v4, v7, vcc
	v_lshlrev_b32_e32 v6, 2, v6
	ds_bpermute_b32 v6, v6, v1
	v_xor_b32_e32 v7, 2, v4
	;; [unrolled: 7-line block ×3, first 2 shown]
	v_cmp_lt_i32_e32 vcc, v7, v5
	s_waitcnt lgkmcnt(0)
	v_add_f32_e32 v1, v1, v6
	v_cndmask_b32_e32 v4, v4, v7, vcc
	v_lshlrev_b32_e32 v4, 2, v4
	ds_bpermute_b32 v4, v4, v1
	s_waitcnt lgkmcnt(0)
	v_add_f32_e32 v1, v1, v4
	s_load_dwordx2 s[6:7], s[0:1], 0x40
	s_andn2_b64 vcc, exec, s[2:3]
	s_waitcnt lgkmcnt(0)
	v_cvt_f32_f64_e32 v4, s[6:7]
	s_cbranch_vccnz .LBB470_31
.LBB470_33:
	v_cmp_lt_f32_e32 vcc, 0, v1
	s_nop 1
	v_cndmask_b32_e32 v1, 1.0, v1, vcc
	v_div_scale_f32 v5, s[2:3], v1, v1, v4
	v_rcp_f32_e32 v6, v5
	s_nop 0
	v_fma_f32 v7, -v5, v6, 1.0
	v_fmac_f32_e32 v6, v7, v6
	v_div_scale_f32 v7, vcc, v4, v1, v4
	v_mul_f32_e32 v8, v7, v6
	v_fma_f32 v9, -v5, v8, v7
	v_fmac_f32_e32 v8, v9, v6
	v_fma_f32 v5, -v5, v8, v7
	v_div_fmas_f32 v5, v5, v6, v8
	v_div_fixup_f32 v4, v5, v1, v4
	s_andn2_b64 vcc, exec, s[4:5]
	s_cbranch_vccnz .LBB470_60
.LBB470_34:
	s_load_dwordx2 s[20:21], s[0:1], 0x10
	v_mov_b32_e32 v1, 0
	v_or_b32_e32 v5, 4, v1
	v_or_b32_e32 v6, 8, v1
	v_or_b32_e32 v7, 12, v1
	v_add_u32_e32 v8, 16, v1
	v_add_u32_e32 v9, 20, v1
	;; [unrolled: 1-line block ×8, first 2 shown]
	v_or_b32_e32 v17, 1, v10
	v_or_b32_e32 v18, 64, v10
	;; [unrolled: 1-line block ×11, first 2 shown]
	s_branch .LBB470_36
.LBB470_35:                             ;   in Loop: Header=BB470_36 Depth=1
	s_or_b64 exec, exec, s[0:1]
	s_add_i32 s33, s33, -1
	v_add_u32_e32 v0, 1, v0
	s_cmp_eq_u32 s33, 0
	v_lshl_add_u64 v[2:3], v[2:3], 0, 4
	s_cbranch_scc1 .LBB470_60
.LBB470_36:                             ; =>This Inner Loop Header: Depth=1
	global_load_dword v28, v[2:3], off
	v_mov_b32_e32 v1, 0
	s_waitcnt vmcnt(0)
	v_cmp_eq_u32_e32 vcc, v28, v10
	v_cmp_ne_u32_e64 s[0:1], v28, v10
	s_and_saveexec_b64 s[22:23], s[0:1]
	s_cbranch_execz .LBB470_58
; %bb.37:                               ;   in Loop: Header=BB470_36 Depth=1
	v_cmp_eq_u32_e64 s[0:1], v28, v17
	v_cmp_ne_u32_e64 s[2:3], v28, v17
	v_mov_b32_e32 v1, v5
	s_and_saveexec_b64 s[24:25], s[2:3]
	s_cbranch_execz .LBB470_57
; %bb.38:                               ;   in Loop: Header=BB470_36 Depth=1
	v_cmp_eq_u32_e64 s[2:3], v28, v18
	v_cmp_ne_u32_e64 s[4:5], v28, v18
	v_mov_b32_e32 v1, v6
	s_and_saveexec_b64 s[26:27], s[4:5]
	s_cbranch_execz .LBB470_56
; %bb.39:                               ;   in Loop: Header=BB470_36 Depth=1
	v_cmp_eq_u32_e64 s[4:5], v28, v19
	v_cmp_ne_u32_e64 s[6:7], v28, v19
	v_mov_b32_e32 v1, v7
	s_and_saveexec_b64 s[28:29], s[6:7]
	s_cbranch_execz .LBB470_55
; %bb.40:                               ;   in Loop: Header=BB470_36 Depth=1
	v_cmp_eq_u32_e64 s[6:7], v28, v20
	v_cmp_ne_u32_e64 s[8:9], v28, v20
	v_mov_b32_e32 v1, v8
	s_and_saveexec_b64 s[30:31], s[8:9]
	s_cbranch_execz .LBB470_54
; %bb.41:                               ;   in Loop: Header=BB470_36 Depth=1
	v_cmp_eq_u32_e64 s[8:9], v28, v21
	v_cmp_ne_u32_e64 s[10:11], v28, v21
	v_mov_b32_e32 v1, v9
	s_and_saveexec_b64 s[34:35], s[10:11]
	s_cbranch_execz .LBB470_53
; %bb.42:                               ;   in Loop: Header=BB470_36 Depth=1
	v_cmp_eq_u32_e64 s[10:11], v28, v22
	v_cmp_ne_u32_e64 s[12:13], v28, v22
	v_mov_b32_e32 v1, v11
	s_and_saveexec_b64 s[36:37], s[12:13]
	s_cbranch_execz .LBB470_52
; %bb.43:                               ;   in Loop: Header=BB470_36 Depth=1
	v_cmp_eq_u32_e64 s[12:13], v28, v23
	v_cmp_ne_u32_e64 s[14:15], v28, v23
	v_mov_b32_e32 v1, v12
	s_and_saveexec_b64 s[38:39], s[14:15]
	s_cbranch_execz .LBB470_51
; %bb.44:                               ;   in Loop: Header=BB470_36 Depth=1
	v_cmp_eq_u32_e64 s[14:15], v28, v24
	v_cmp_ne_u32_e64 s[16:17], v28, v24
	v_mov_b32_e32 v1, v13
	s_and_saveexec_b64 s[40:41], s[16:17]
	s_cbranch_execz .LBB470_50
; %bb.45:                               ;   in Loop: Header=BB470_36 Depth=1
	v_cmp_eq_u32_e64 s[16:17], v28, v25
	v_cmp_ne_u32_e64 s[18:19], v28, v25
	v_mov_b32_e32 v1, v14
	s_and_saveexec_b64 s[42:43], s[18:19]
	s_cbranch_execz .LBB470_49
; %bb.46:                               ;   in Loop: Header=BB470_36 Depth=1
	v_cmp_eq_u32_e64 s[44:45], v28, v26
	v_cmp_ne_u32_e64 s[18:19], v28, v26
	v_mov_b32_e32 v1, v15
	s_and_saveexec_b64 s[46:47], s[18:19]
	s_xor_b64 s[46:47], exec, s[46:47]
; %bb.47:                               ;   in Loop: Header=BB470_36 Depth=1
	v_cmp_eq_u32_e64 s[18:19], v28, v27
	s_andn2_b64 s[44:45], s[44:45], exec
	s_and_b64 s[18:19], s[18:19], exec
	s_or_b64 s[44:45], s[44:45], s[18:19]
	v_mov_b32_e32 v1, v16
; %bb.48:                               ;   in Loop: Header=BB470_36 Depth=1
	s_or_b64 exec, exec, s[46:47]
	s_andn2_b64 s[16:17], s[16:17], exec
	s_and_b64 s[18:19], s[44:45], exec
	s_or_b64 s[16:17], s[16:17], s[18:19]
.LBB470_49:                             ;   in Loop: Header=BB470_36 Depth=1
	s_or_b64 exec, exec, s[42:43]
	s_andn2_b64 s[14:15], s[14:15], exec
	s_and_b64 s[16:17], s[16:17], exec
	s_or_b64 s[14:15], s[14:15], s[16:17]
.LBB470_50:                             ;   in Loop: Header=BB470_36 Depth=1
	s_or_b64 exec, exec, s[40:41]
	s_andn2_b64 s[12:13], s[12:13], exec
	s_and_b64 s[14:15], s[14:15], exec
	s_or_b64 s[12:13], s[12:13], s[14:15]
.LBB470_51:                             ;   in Loop: Header=BB470_36 Depth=1
	s_or_b64 exec, exec, s[38:39]
	s_andn2_b64 s[10:11], s[10:11], exec
	s_and_b64 s[12:13], s[12:13], exec
	s_or_b64 s[10:11], s[10:11], s[12:13]
.LBB470_52:                             ;   in Loop: Header=BB470_36 Depth=1
	s_or_b64 exec, exec, s[36:37]
	s_andn2_b64 s[8:9], s[8:9], exec
	s_and_b64 s[10:11], s[10:11], exec
	s_or_b64 s[8:9], s[8:9], s[10:11]
.LBB470_53:                             ;   in Loop: Header=BB470_36 Depth=1
	s_or_b64 exec, exec, s[34:35]
	s_andn2_b64 s[6:7], s[6:7], exec
	s_and_b64 s[8:9], s[8:9], exec
	s_or_b64 s[6:7], s[6:7], s[8:9]
.LBB470_54:                             ;   in Loop: Header=BB470_36 Depth=1
	s_or_b64 exec, exec, s[30:31]
	s_andn2_b64 s[4:5], s[4:5], exec
	s_and_b64 s[6:7], s[6:7], exec
	s_or_b64 s[4:5], s[4:5], s[6:7]
.LBB470_55:                             ;   in Loop: Header=BB470_36 Depth=1
	s_or_b64 exec, exec, s[28:29]
	s_andn2_b64 s[2:3], s[2:3], exec
	s_and_b64 s[4:5], s[4:5], exec
	s_or_b64 s[2:3], s[2:3], s[4:5]
.LBB470_56:                             ;   in Loop: Header=BB470_36 Depth=1
	s_or_b64 exec, exec, s[26:27]
	s_andn2_b64 s[0:1], s[0:1], exec
	s_and_b64 s[2:3], s[2:3], exec
	s_or_b64 s[0:1], s[0:1], s[2:3]
.LBB470_57:                             ;   in Loop: Header=BB470_36 Depth=1
	s_or_b64 exec, exec, s[24:25]
	s_andn2_b64 s[2:3], vcc, exec
	s_and_b64 s[0:1], s[0:1], exec
	s_or_b64 vcc, s[2:3], s[0:1]
.LBB470_58:                             ;   in Loop: Header=BB470_36 Depth=1
	s_or_b64 exec, exec, s[22:23]
	s_and_saveexec_b64 s[0:1], vcc
	s_cbranch_execz .LBB470_35
; %bb.59:                               ;   in Loop: Header=BB470_36 Depth=1
	scratch_load_dword v28, v1, off
	v_ashrrev_i32_e32 v1, 31, v0
	s_waitcnt vmcnt(0)
	v_mul_f32_e32 v30, v4, v28
	s_waitcnt lgkmcnt(0)
	v_lshl_add_u64 v[28:29], v[0:1], 2, s[20:21]
	global_store_dword v[28:29], v30, off
	s_branch .LBB470_35
.LBB470_60:
	s_endpgm
	.section	.rodata,"a",@progbits
	.p2align	6, 0x0
	.amdhsa_kernel _ZN4vllm3moe22topkGatingSoftplusSqrtILi12ELi384ELi4ELi4ELi32ELb1Ej14__hip_bfloat16EEvPKT6_PKbPfiPT5_PiiiibdPKfPKS9_SF_
		.amdhsa_group_segment_fixed_size 0
		.amdhsa_private_segment_fixed_size 64
		.amdhsa_kernarg_size 96
		.amdhsa_user_sgpr_count 2
		.amdhsa_user_sgpr_dispatch_ptr 0
		.amdhsa_user_sgpr_queue_ptr 0
		.amdhsa_user_sgpr_kernarg_segment_ptr 1
		.amdhsa_user_sgpr_dispatch_id 0
		.amdhsa_user_sgpr_kernarg_preload_length 0
		.amdhsa_user_sgpr_kernarg_preload_offset 0
		.amdhsa_user_sgpr_private_segment_size 0
		.amdhsa_uses_dynamic_stack 0
		.amdhsa_enable_private_segment 1
		.amdhsa_system_sgpr_workgroup_id_x 1
		.amdhsa_system_sgpr_workgroup_id_y 0
		.amdhsa_system_sgpr_workgroup_id_z 0
		.amdhsa_system_sgpr_workgroup_info 0
		.amdhsa_system_vgpr_workitem_id 1
		.amdhsa_next_free_vgpr 33
		.amdhsa_next_free_sgpr 48
		.amdhsa_accum_offset 36
		.amdhsa_reserve_vcc 1
		.amdhsa_float_round_mode_32 0
		.amdhsa_float_round_mode_16_64 0
		.amdhsa_float_denorm_mode_32 3
		.amdhsa_float_denorm_mode_16_64 3
		.amdhsa_dx10_clamp 1
		.amdhsa_ieee_mode 1
		.amdhsa_fp16_overflow 0
		.amdhsa_tg_split 0
		.amdhsa_exception_fp_ieee_invalid_op 0
		.amdhsa_exception_fp_denorm_src 0
		.amdhsa_exception_fp_ieee_div_zero 0
		.amdhsa_exception_fp_ieee_overflow 0
		.amdhsa_exception_fp_ieee_underflow 0
		.amdhsa_exception_fp_ieee_inexact 0
		.amdhsa_exception_int_div_zero 0
	.end_amdhsa_kernel
	.section	.text._ZN4vllm3moe22topkGatingSoftplusSqrtILi12ELi384ELi4ELi4ELi32ELb1Ej14__hip_bfloat16EEvPKT6_PKbPfiPT5_PiiiibdPKfPKS9_SF_,"axG",@progbits,_ZN4vllm3moe22topkGatingSoftplusSqrtILi12ELi384ELi4ELi4ELi32ELb1Ej14__hip_bfloat16EEvPKT6_PKbPfiPT5_PiiiibdPKfPKS9_SF_,comdat
.Lfunc_end470:
	.size	_ZN4vllm3moe22topkGatingSoftplusSqrtILi12ELi384ELi4ELi4ELi32ELb1Ej14__hip_bfloat16EEvPKT6_PKbPfiPT5_PiiiibdPKfPKS9_SF_, .Lfunc_end470-_ZN4vllm3moe22topkGatingSoftplusSqrtILi12ELi384ELi4ELi4ELi32ELb1Ej14__hip_bfloat16EEvPKT6_PKbPfiPT5_PiiiibdPKfPKS9_SF_
                                        ; -- End function
	.section	.AMDGPU.csdata,"",@progbits
; Kernel info:
; codeLenInByte = 5096
; NumSgprs: 54
; NumVgprs: 33
; NumAgprs: 0
; TotalNumVgprs: 33
; ScratchSize: 64
; MemoryBound: 0
; FloatMode: 240
; IeeeMode: 1
; LDSByteSize: 0 bytes/workgroup (compile time only)
; SGPRBlocks: 6
; VGPRBlocks: 4
; NumSGPRsForWavesPerEU: 54
; NumVGPRsForWavesPerEU: 33
; AccumOffset: 36
; Occupancy: 8
; WaveLimiterHint : 1
; COMPUTE_PGM_RSRC2:SCRATCH_EN: 1
; COMPUTE_PGM_RSRC2:USER_SGPR: 2
; COMPUTE_PGM_RSRC2:TRAP_HANDLER: 0
; COMPUTE_PGM_RSRC2:TGID_X_EN: 1
; COMPUTE_PGM_RSRC2:TGID_Y_EN: 0
; COMPUTE_PGM_RSRC2:TGID_Z_EN: 0
; COMPUTE_PGM_RSRC2:TIDIG_COMP_CNT: 1
; COMPUTE_PGM_RSRC3_GFX90A:ACCUM_OFFSET: 8
; COMPUTE_PGM_RSRC3_GFX90A:TG_SPLIT: 0
	.section	.text._ZN4vllm3moe22topkGatingSoftplusSqrtILi12ELi384ELi4ELi4ELi32ELb0Ej14__hip_bfloat16EEvPKT6_PKbPfiPT5_PiiiibdPKfPKS9_SF_,"axG",@progbits,_ZN4vllm3moe22topkGatingSoftplusSqrtILi12ELi384ELi4ELi4ELi32ELb0Ej14__hip_bfloat16EEvPKT6_PKbPfiPT5_PiiiibdPKfPKS9_SF_,comdat
	.protected	_ZN4vllm3moe22topkGatingSoftplusSqrtILi12ELi384ELi4ELi4ELi32ELb0Ej14__hip_bfloat16EEvPKT6_PKbPfiPT5_PiiiibdPKfPKS9_SF_ ; -- Begin function _ZN4vllm3moe22topkGatingSoftplusSqrtILi12ELi384ELi4ELi4ELi32ELb0Ej14__hip_bfloat16EEvPKT6_PKbPfiPT5_PiiiibdPKfPKS9_SF_
	.globl	_ZN4vllm3moe22topkGatingSoftplusSqrtILi12ELi384ELi4ELi4ELi32ELb0Ej14__hip_bfloat16EEvPKT6_PKbPfiPT5_PiiiibdPKfPKS9_SF_
	.p2align	8
	.type	_ZN4vllm3moe22topkGatingSoftplusSqrtILi12ELi384ELi4ELi4ELi32ELb0Ej14__hip_bfloat16EEvPKT6_PKbPfiPT5_PiiiibdPKfPKS9_SF_,@function
_ZN4vllm3moe22topkGatingSoftplusSqrtILi12ELi384ELi4ELi4ELi32ELb0Ej14__hip_bfloat16EEvPKT6_PKbPfiPT5_PiiiibdPKfPKS9_SF_: ; @_ZN4vllm3moe22topkGatingSoftplusSqrtILi12ELi384ELi4ELi4ELi32ELb0Ej14__hip_bfloat16EEvPKT6_PKbPfiPT5_PiiiibdPKfPKS9_SF_
; %bb.0:
	s_load_dword s33, s[0:1], 0x18
	v_and_b32_e32 v1, 0x3ff, v0
	s_lshl_b32 s2, s2, 2
	v_lshrrev_b32_e32 v2, 5, v1
	v_bfe_u32 v0, v0, 10, 10
	v_add3_u32 v12, s2, v0, v2
	s_waitcnt lgkmcnt(0)
	v_cmp_gt_i32_e32 vcc, s33, v12
	s_and_saveexec_b64 s[2:3], vcc
	s_cbranch_execz .LBB471_73
; %bb.1:
	s_load_dwordx4 s[4:7], s[0:1], 0x0
	s_load_dwordx2 s[34:35], s[0:1], 0x10
	s_waitcnt lgkmcnt(0)
	s_cmp_eq_u64 s[6:7], 0
	s_cbranch_scc1 .LBB471_3
; %bb.2:
	v_ashrrev_i32_e32 v13, 31, v12
	v_lshl_add_u64 v[2:3], s[6:7], 0, v[12:13]
	global_load_ubyte v0, v[2:3], off
	s_waitcnt vmcnt(0)
	v_and_b32_e32 v0, 1, v0
	v_cmp_eq_u32_e32 vcc, 1, v0
	s_xor_b64 s[2:3], vcc, -1
	s_orn2_b64 s[44:45], s[2:3], exec
	s_branch .LBB471_4
.LBB471_3:
	s_mov_b64 s[44:45], -1
.LBB471_4:
	s_movk_i32 s2, 0x180
	v_mul_lo_u32 v4, v12, s2
	v_mov_b32_e32 v2, s4
	v_mov_b32_e32 v3, s5
	v_ashrrev_i32_e32 v5, 31, v4
	v_and_b32_e32 v13, 31, v1
	v_lshl_add_u64 v[2:3], v[4:5], 1, v[2:3]
	v_mov_b32_e32 v1, 0
	v_lshlrev_b32_e32 v0, 2, v13
	v_lshl_add_u64 v[0:1], v[2:3], 0, v[0:1]
	global_load_dword v2, v[0:1], off
	global_load_dword v3, v[0:1], off offset:128
	global_load_dword v5, v[0:1], off offset:256
	global_load_dword v7, v[0:1], off offset:384
	global_load_dword v9, v[0:1], off offset:512
	global_load_dword v11, v[0:1], off offset:640
	s_mov_b32 s12, 0x800000
	v_mov_b32_e32 v4, 0x4f800000
	s_mov_b32 s9, 0x3f317217
	s_mov_b32 s10, 0x7f800000
	v_mov_b32_e32 v6, 0x41b17218
	s_mov_b32 s8, 0x41a00000
	s_mov_b32 s11, 0xf800000
	s_load_dwordx4 s[28:31], s[0:1], 0x40
	v_lshlrev_b32_e32 v16, 1, v13
	v_lshlrev_b32_e32 v14, 2, v16
	s_waitcnt lgkmcnt(0)
	s_cmp_lg_u64 s[30:31], 0
	s_cselect_b64 s[6:7], -1, 0
	s_and_b64 s[2:3], exec, s[6:7]
	s_waitcnt vmcnt(5)
	v_lshlrev_b32_e32 v0, 16, v2
	v_mul_f32_e32 v1, 0x3fb8aa3b, v0
	v_exp_f32_e32 v8, v1
	v_mov_b32_e32 v1, 0x260
	v_add_f32_e32 v8, 1.0, v8
	v_cmp_gt_f32_e32 vcc, s12, v8
	s_nop 1
	v_cndmask_b32_e32 v10, 1.0, v4, vcc
	v_mul_f32_e32 v8, v8, v10
	v_log_f32_e32 v8, v8
	v_cndmask_b32_e32 v10, 0, v6, vcc
	v_mul_f32_e32 v15, 0x3f317217, v8
	v_fma_f32 v15, v8, s9, -v15
	v_fmac_f32_e32 v15, 0x3377d1cf, v8
	v_fmac_f32_e32 v15, 0x3f317217, v8
	v_cmp_lt_f32_e64 vcc, |v8|, s10
	s_nop 1
	v_cndmask_b32_e32 v8, v8, v15, vcc
	v_sub_f32_e32 v8, v8, v10
	v_cmp_lt_f32_e32 vcc, s8, v0
	s_nop 1
	v_cndmask_b32_e32 v0, v8, v0, vcc
	v_mul_f32_e32 v8, 0x4f800000, v0
	v_cmp_gt_f32_e32 vcc, s11, v0
	s_nop 1
	v_cndmask_b32_e32 v0, v0, v8, vcc
	v_sqrt_f32_e32 v8, v0
	s_nop 0
	v_add_u32_e32 v10, -1, v8
	v_add_u32_e32 v15, 1, v8
	v_fma_f32 v17, -v10, v8, v0
	v_fma_f32 v18, -v15, v8, v0
	v_cmp_ge_f32_e64 s[4:5], 0, v17
	s_nop 1
	v_cndmask_b32_e64 v8, v8, v10, s[4:5]
	v_cmp_lt_f32_e64 s[4:5], 0, v18
	s_nop 1
	v_cndmask_b32_e64 v8, v8, v15, s[4:5]
	v_mul_f32_e32 v10, 0x37800000, v8
	v_cndmask_b32_e32 v8, v8, v10, vcc
	v_cmp_class_f32_e32 vcc, v0, v1
	s_nop 1
	v_cndmask_b32_e32 v0, v8, v0, vcc
	s_mov_b64 vcc, s[2:3]
	s_cbranch_vccz .LBB471_6
; %bb.5:
	global_load_dword v8, v14, s[30:31]
	s_waitcnt vmcnt(0)
	v_add_f32_e32 v0, v0, v8
.LBB471_6:
	v_and_b32_e32 v2, 0xffff0000, v2
	v_mul_f32_e32 v8, 0x3fb8aa3b, v2
	v_exp_f32_e32 v8, v8
	s_nop 0
	v_add_f32_e32 v8, 1.0, v8
	v_cmp_gt_f32_e32 vcc, s12, v8
	s_nop 1
	v_cndmask_b32_e32 v4, 1.0, v4, vcc
	v_mul_f32_e32 v4, v8, v4
	v_log_f32_e32 v4, v4
	v_cndmask_b32_e32 v6, 0, v6, vcc
	v_mul_f32_e32 v8, 0x3f317217, v4
	v_fma_f32 v8, v4, s9, -v8
	v_fmac_f32_e32 v8, 0x3377d1cf, v4
	v_fmac_f32_e32 v8, 0x3f317217, v4
	v_cmp_lt_f32_e64 vcc, |v4|, s10
	s_nop 1
	v_cndmask_b32_e32 v4, v4, v8, vcc
	v_sub_f32_e32 v4, v4, v6
	v_cmp_lt_f32_e32 vcc, s8, v2
	s_nop 1
	v_cndmask_b32_e32 v2, v4, v2, vcc
	v_mul_f32_e32 v4, 0x4f800000, v2
	v_cmp_gt_f32_e32 vcc, s11, v2
	s_nop 1
	v_cndmask_b32_e32 v2, v2, v4, vcc
	v_sqrt_f32_e32 v4, v2
	v_cmp_class_f32_e64 s[4:5], v2, v1
	v_add_u32_e32 v6, -1, v4
	v_add_u32_e32 v8, 1, v4
	v_fma_f32 v10, -v6, v4, v2
	v_fma_f32 v15, -v8, v4, v2
	v_cmp_ge_f32_e64 s[2:3], 0, v10
	s_nop 1
	v_cndmask_b32_e64 v4, v4, v6, s[2:3]
	v_cmp_lt_f32_e64 s[2:3], 0, v15
	s_nop 1
	v_cndmask_b32_e64 v4, v4, v8, s[2:3]
	v_mul_f32_e32 v6, 0x37800000, v4
	v_cndmask_b32_e32 v4, v4, v6, vcc
	v_cndmask_b32_e64 v6, 0, 1, s[6:7]
	v_cmp_ne_u32_e64 s[2:3], 1, v6
	s_andn2_b64 vcc, exec, s[6:7]
	v_cndmask_b32_e64 v1, v4, v2, s[4:5]
	s_cbranch_vccnz .LBB471_8
; %bb.7:
	global_load_dword v2, v14, s[30:31] offset:4
	s_waitcnt vmcnt(0)
	v_add_f32_e32 v1, v1, v2
.LBB471_8:
	s_waitcnt vmcnt(4)
	v_lshlrev_b32_e32 v2, 16, v3
	v_mul_f32_e32 v4, 0x3fb8aa3b, v2
	v_exp_f32_e32 v4, v4
	s_mov_b32 s10, 0x800000
	v_mov_b32_e32 v6, 0x4f800000
	s_mov_b32 s7, 0x3f317217
	v_add_f32_e32 v4, 1.0, v4
	v_cmp_gt_f32_e32 vcc, s10, v4
	s_mov_b32 s8, 0x7f800000
	s_mov_b32 s6, 0x41a00000
	v_cndmask_b32_e32 v8, 1.0, v6, vcc
	v_mul_f32_e32 v4, v4, v8
	v_log_f32_e32 v4, v4
	s_mov_b32 s9, 0xf800000
	v_mul_f32_e32 v8, 0x3f317217, v4
	v_fma_f32 v8, v4, s7, -v8
	v_fmac_f32_e32 v8, 0x3377d1cf, v4
	v_fmac_f32_e32 v8, 0x3f317217, v4
	v_cmp_lt_f32_e64 s[4:5], |v4|, s8
	s_nop 1
	v_cndmask_b32_e64 v4, v4, v8, s[4:5]
	v_mov_b32_e32 v8, 0x41b17218
	v_cndmask_b32_e32 v10, 0, v8, vcc
	v_sub_f32_e32 v4, v4, v10
	v_cmp_lt_f32_e32 vcc, s6, v2
	s_nop 1
	v_cndmask_b32_e32 v2, v4, v2, vcc
	v_mul_f32_e32 v4, 0x4f800000, v2
	v_cmp_gt_f32_e32 vcc, s9, v2
	s_nop 1
	v_cndmask_b32_e32 v2, v2, v4, vcc
	v_sqrt_f32_e32 v4, v2
	s_nop 0
	v_add_u32_e32 v10, -1, v4
	v_fma_f32 v15, -v10, v4, v2
	v_cmp_ge_f32_e64 s[4:5], 0, v15
	v_add_u32_e32 v15, 1, v4
	s_nop 0
	v_cndmask_b32_e64 v10, v4, v10, s[4:5]
	v_fma_f32 v4, -v15, v4, v2
	v_cmp_lt_f32_e64 s[4:5], 0, v4
	s_nop 1
	v_cndmask_b32_e64 v4, v10, v15, s[4:5]
	v_mul_f32_e32 v10, 0x37800000, v4
	v_cndmask_b32_e32 v10, v4, v10, vcc
	v_mov_b32_e32 v4, 0x260
	v_cmp_class_f32_e64 s[4:5], v2, v4
	s_and_b64 vcc, exec, s[2:3]
	s_nop 0
	v_cndmask_b32_e64 v2, v10, v2, s[4:5]
	s_cbranch_vccnz .LBB471_10
; %bb.9:
	global_load_dword v10, v14, s[30:31] offset:256
	s_waitcnt vmcnt(0)
	v_add_f32_e32 v2, v2, v10
.LBB471_10:
	v_and_b32_e32 v3, 0xffff0000, v3
	v_mul_f32_e32 v10, 0x3fb8aa3b, v3
	v_exp_f32_e32 v10, v10
	s_nop 0
	v_add_f32_e32 v10, 1.0, v10
	v_cmp_gt_f32_e32 vcc, s10, v10
	s_nop 1
	v_cndmask_b32_e32 v6, 1.0, v6, vcc
	v_mul_f32_e32 v6, v10, v6
	v_log_f32_e32 v6, v6
	v_cndmask_b32_e32 v8, 0, v8, vcc
	v_mul_f32_e32 v10, 0x3f317217, v6
	v_fma_f32 v10, v6, s7, -v10
	v_fmac_f32_e32 v10, 0x3377d1cf, v6
	v_fmac_f32_e32 v10, 0x3f317217, v6
	v_cmp_lt_f32_e64 vcc, |v6|, s8
	s_nop 1
	v_cndmask_b32_e32 v6, v6, v10, vcc
	v_sub_f32_e32 v6, v6, v8
	v_cmp_lt_f32_e32 vcc, s6, v3
	s_nop 1
	v_cndmask_b32_e32 v3, v6, v3, vcc
	v_mul_f32_e32 v6, 0x4f800000, v3
	v_cmp_gt_f32_e32 vcc, s9, v3
	s_nop 1
	v_cndmask_b32_e32 v3, v3, v6, vcc
	v_sqrt_f32_e32 v6, v3
	s_nop 0
	v_add_u32_e32 v8, -1, v6
	v_add_u32_e32 v10, 1, v6
	v_fma_f32 v15, -v8, v6, v3
	v_fma_f32 v17, -v10, v6, v3
	v_cmp_ge_f32_e64 s[4:5], 0, v15
	s_nop 1
	v_cndmask_b32_e64 v6, v6, v8, s[4:5]
	v_cmp_lt_f32_e64 s[4:5], 0, v17
	s_nop 1
	v_cndmask_b32_e64 v6, v6, v10, s[4:5]
	v_mul_f32_e32 v8, 0x37800000, v6
	v_cndmask_b32_e32 v6, v6, v8, vcc
	v_cmp_class_f32_e64 s[4:5], v3, v4
	s_and_b64 vcc, exec, s[2:3]
	s_nop 0
	v_cndmask_b32_e64 v3, v6, v3, s[4:5]
	s_cbranch_vccnz .LBB471_12
; %bb.11:
	global_load_dword v4, v14, s[30:31] offset:260
	s_waitcnt vmcnt(0)
	v_add_f32_e32 v3, v3, v4
.LBB471_12:
	s_waitcnt vmcnt(3)
	v_lshlrev_b32_e32 v4, 16, v5
	v_mul_f32_e32 v6, 0x3fb8aa3b, v4
	v_exp_f32_e32 v6, v6
	v_mov_b32_e32 v8, 0x4f800000
	v_add_f32_e32 v6, 1.0, v6
	v_cmp_gt_f32_e32 vcc, s10, v6
	s_nop 1
	v_cndmask_b32_e32 v10, 1.0, v8, vcc
	v_mul_f32_e32 v6, v6, v10
	v_log_f32_e32 v6, v6
	s_nop 0
	v_mul_f32_e32 v10, 0x3f317217, v6
	v_fma_f32 v10, v6, s7, -v10
	v_fmac_f32_e32 v10, 0x3377d1cf, v6
	v_fmac_f32_e32 v10, 0x3f317217, v6
	v_cmp_lt_f32_e64 s[4:5], |v6|, s8
	s_nop 1
	v_cndmask_b32_e64 v6, v6, v10, s[4:5]
	v_mov_b32_e32 v10, 0x41b17218
	v_cndmask_b32_e32 v15, 0, v10, vcc
	v_sub_f32_e32 v6, v6, v15
	v_cmp_lt_f32_e32 vcc, s6, v4
	s_nop 1
	v_cndmask_b32_e32 v4, v6, v4, vcc
	v_mul_f32_e32 v6, 0x4f800000, v4
	v_cmp_gt_f32_e32 vcc, s9, v4
	s_nop 1
	v_cndmask_b32_e32 v4, v4, v6, vcc
	v_sqrt_f32_e32 v6, v4
	s_nop 0
	v_add_u32_e32 v15, -1, v6
	v_fma_f32 v17, -v15, v6, v4
	v_cmp_ge_f32_e64 s[4:5], 0, v17
	v_add_u32_e32 v17, 1, v6
	s_nop 0
	v_cndmask_b32_e64 v15, v6, v15, s[4:5]
	v_fma_f32 v6, -v17, v6, v4
	v_cmp_lt_f32_e64 s[4:5], 0, v6
	s_nop 1
	v_cndmask_b32_e64 v6, v15, v17, s[4:5]
	v_mul_f32_e32 v15, 0x37800000, v6
	v_cndmask_b32_e32 v15, v6, v15, vcc
	v_mov_b32_e32 v6, 0x260
	v_cmp_class_f32_e64 s[4:5], v4, v6
	s_and_b64 vcc, exec, s[2:3]
	s_nop 0
	v_cndmask_b32_e64 v4, v15, v4, s[4:5]
	s_cbranch_vccnz .LBB471_14
; %bb.13:
	global_load_dword v15, v14, s[30:31] offset:512
	s_waitcnt vmcnt(0)
	v_add_f32_e32 v4, v4, v15
.LBB471_14:
	v_and_b32_e32 v5, 0xffff0000, v5
	v_mul_f32_e32 v15, 0x3fb8aa3b, v5
	v_exp_f32_e32 v15, v15
	s_nop 0
	v_add_f32_e32 v15, 1.0, v15
	v_cmp_gt_f32_e32 vcc, s10, v15
	s_nop 1
	v_cndmask_b32_e32 v8, 1.0, v8, vcc
	v_mul_f32_e32 v8, v15, v8
	v_log_f32_e32 v8, v8
	v_cndmask_b32_e32 v10, 0, v10, vcc
	v_mul_f32_e32 v15, 0x3f317217, v8
	v_fma_f32 v15, v8, s7, -v15
	v_fmac_f32_e32 v15, 0x3377d1cf, v8
	v_fmac_f32_e32 v15, 0x3f317217, v8
	v_cmp_lt_f32_e64 vcc, |v8|, s8
	s_nop 1
	v_cndmask_b32_e32 v8, v8, v15, vcc
	v_sub_f32_e32 v8, v8, v10
	v_cmp_lt_f32_e32 vcc, s6, v5
	s_nop 1
	v_cndmask_b32_e32 v5, v8, v5, vcc
	v_mul_f32_e32 v8, 0x4f800000, v5
	v_cmp_gt_f32_e32 vcc, s9, v5
	s_nop 1
	v_cndmask_b32_e32 v5, v5, v8, vcc
	v_sqrt_f32_e32 v8, v5
	s_nop 0
	v_add_u32_e32 v10, -1, v8
	v_add_u32_e32 v15, 1, v8
	v_fma_f32 v17, -v10, v8, v5
	v_fma_f32 v18, -v15, v8, v5
	v_cmp_ge_f32_e64 s[4:5], 0, v17
	s_nop 1
	v_cndmask_b32_e64 v8, v8, v10, s[4:5]
	v_cmp_lt_f32_e64 s[4:5], 0, v18
	s_nop 1
	v_cndmask_b32_e64 v8, v8, v15, s[4:5]
	v_mul_f32_e32 v10, 0x37800000, v8
	v_cndmask_b32_e32 v8, v8, v10, vcc
	v_cmp_class_f32_e64 s[4:5], v5, v6
	s_and_b64 vcc, exec, s[2:3]
	s_nop 0
	v_cndmask_b32_e64 v5, v8, v5, s[4:5]
	s_cbranch_vccnz .LBB471_16
; %bb.15:
	global_load_dword v6, v14, s[30:31] offset:516
	s_waitcnt vmcnt(0)
	v_add_f32_e32 v5, v5, v6
.LBB471_16:
	s_waitcnt vmcnt(2)
	v_lshlrev_b32_e32 v6, 16, v7
	v_mul_f32_e32 v8, 0x3fb8aa3b, v6
	v_exp_f32_e32 v8, v8
	v_mov_b32_e32 v10, 0x4f800000
	v_add_f32_e32 v8, 1.0, v8
	v_cmp_gt_f32_e32 vcc, s10, v8
	s_nop 1
	v_cndmask_b32_e32 v15, 1.0, v10, vcc
	v_mul_f32_e32 v8, v8, v15
	v_log_f32_e32 v8, v8
	s_nop 0
	v_mul_f32_e32 v15, 0x3f317217, v8
	v_fma_f32 v15, v8, s7, -v15
	v_fmac_f32_e32 v15, 0x3377d1cf, v8
	v_fmac_f32_e32 v15, 0x3f317217, v8
	v_cmp_lt_f32_e64 s[4:5], |v8|, s8
	s_nop 1
	v_cndmask_b32_e64 v8, v8, v15, s[4:5]
	v_mov_b32_e32 v15, 0x41b17218
	v_cndmask_b32_e32 v17, 0, v15, vcc
	v_sub_f32_e32 v8, v8, v17
	v_cmp_lt_f32_e32 vcc, s6, v6
	s_nop 1
	v_cndmask_b32_e32 v6, v8, v6, vcc
	v_mul_f32_e32 v8, 0x4f800000, v6
	v_cmp_gt_f32_e32 vcc, s9, v6
	s_nop 1
	v_cndmask_b32_e32 v6, v6, v8, vcc
	v_sqrt_f32_e32 v8, v6
	s_nop 0
	v_add_u32_e32 v17, -1, v8
	v_fma_f32 v18, -v17, v8, v6
	v_cmp_ge_f32_e64 s[4:5], 0, v18
	v_add_u32_e32 v18, 1, v8
	s_nop 0
	v_cndmask_b32_e64 v17, v8, v17, s[4:5]
	v_fma_f32 v8, -v18, v8, v6
	v_cmp_lt_f32_e64 s[4:5], 0, v8
	s_nop 1
	v_cndmask_b32_e64 v8, v17, v18, s[4:5]
	v_mul_f32_e32 v17, 0x37800000, v8
	v_cndmask_b32_e32 v17, v8, v17, vcc
	v_mov_b32_e32 v8, 0x260
	v_cmp_class_f32_e64 s[4:5], v6, v8
	s_and_b64 vcc, exec, s[2:3]
	s_nop 0
	v_cndmask_b32_e64 v6, v17, v6, s[4:5]
	s_cbranch_vccnz .LBB471_18
; %bb.17:
	global_load_dword v17, v14, s[30:31] offset:768
	s_waitcnt vmcnt(0)
	v_add_f32_e32 v6, v6, v17
.LBB471_18:
	v_and_b32_e32 v7, 0xffff0000, v7
	v_mul_f32_e32 v17, 0x3fb8aa3b, v7
	v_exp_f32_e32 v17, v17
	s_nop 0
	v_add_f32_e32 v17, 1.0, v17
	v_cmp_gt_f32_e32 vcc, s10, v17
	s_nop 1
	v_cndmask_b32_e32 v10, 1.0, v10, vcc
	v_mul_f32_e32 v10, v17, v10
	v_log_f32_e32 v10, v10
	v_cndmask_b32_e32 v15, 0, v15, vcc
	v_mul_f32_e32 v17, 0x3f317217, v10
	v_fma_f32 v17, v10, s7, -v17
	v_fmac_f32_e32 v17, 0x3377d1cf, v10
	v_fmac_f32_e32 v17, 0x3f317217, v10
	v_cmp_lt_f32_e64 vcc, |v10|, s8
	s_nop 1
	v_cndmask_b32_e32 v10, v10, v17, vcc
	v_sub_f32_e32 v10, v10, v15
	v_cmp_lt_f32_e32 vcc, s6, v7
	s_nop 1
	v_cndmask_b32_e32 v7, v10, v7, vcc
	v_mul_f32_e32 v10, 0x4f800000, v7
	v_cmp_gt_f32_e32 vcc, s9, v7
	s_nop 1
	v_cndmask_b32_e32 v7, v7, v10, vcc
	v_sqrt_f32_e32 v10, v7
	s_nop 0
	v_add_u32_e32 v15, -1, v10
	v_add_u32_e32 v17, 1, v10
	v_fma_f32 v18, -v15, v10, v7
	v_fma_f32 v19, -v17, v10, v7
	v_cmp_ge_f32_e64 s[4:5], 0, v18
	s_nop 1
	v_cndmask_b32_e64 v10, v10, v15, s[4:5]
	v_cmp_lt_f32_e64 s[4:5], 0, v19
	s_nop 1
	v_cndmask_b32_e64 v10, v10, v17, s[4:5]
	v_mul_f32_e32 v15, 0x37800000, v10
	v_cndmask_b32_e32 v10, v10, v15, vcc
	v_cmp_class_f32_e64 s[4:5], v7, v8
	s_and_b64 vcc, exec, s[2:3]
	s_nop 0
	v_cndmask_b32_e64 v7, v10, v7, s[4:5]
	s_cbranch_vccnz .LBB471_20
; %bb.19:
	global_load_dword v8, v14, s[30:31] offset:772
	s_waitcnt vmcnt(0)
	v_add_f32_e32 v7, v7, v8
.LBB471_20:
	s_waitcnt vmcnt(1)
	v_lshlrev_b32_e32 v8, 16, v9
	v_mul_f32_e32 v10, 0x3fb8aa3b, v8
	v_exp_f32_e32 v10, v10
	v_mov_b32_e32 v15, 0x4f800000
	v_add_f32_e32 v10, 1.0, v10
	v_cmp_gt_f32_e32 vcc, s10, v10
	s_nop 1
	v_cndmask_b32_e32 v17, 1.0, v15, vcc
	v_mul_f32_e32 v10, v10, v17
	v_log_f32_e32 v10, v10
	s_nop 0
	v_mul_f32_e32 v17, 0x3f317217, v10
	v_fma_f32 v17, v10, s7, -v17
	v_fmac_f32_e32 v17, 0x3377d1cf, v10
	v_fmac_f32_e32 v17, 0x3f317217, v10
	v_cmp_lt_f32_e64 s[4:5], |v10|, s8
	s_nop 1
	v_cndmask_b32_e64 v10, v10, v17, s[4:5]
	v_mov_b32_e32 v17, 0x41b17218
	v_cndmask_b32_e32 v18, 0, v17, vcc
	v_sub_f32_e32 v10, v10, v18
	v_cmp_lt_f32_e32 vcc, s6, v8
	s_nop 1
	v_cndmask_b32_e32 v8, v10, v8, vcc
	v_mul_f32_e32 v10, 0x4f800000, v8
	v_cmp_gt_f32_e32 vcc, s9, v8
	s_nop 1
	v_cndmask_b32_e32 v8, v8, v10, vcc
	v_sqrt_f32_e32 v10, v8
	s_nop 0
	v_add_u32_e32 v18, -1, v10
	v_fma_f32 v19, -v18, v10, v8
	v_cmp_ge_f32_e64 s[4:5], 0, v19
	v_add_u32_e32 v19, 1, v10
	s_nop 0
	v_cndmask_b32_e64 v18, v10, v18, s[4:5]
	v_fma_f32 v10, -v19, v10, v8
	v_cmp_lt_f32_e64 s[4:5], 0, v10
	s_nop 1
	v_cndmask_b32_e64 v10, v18, v19, s[4:5]
	v_mul_f32_e32 v18, 0x37800000, v10
	v_cndmask_b32_e32 v18, v10, v18, vcc
	v_mov_b32_e32 v10, 0x260
	v_cmp_class_f32_e64 s[4:5], v8, v10
	s_and_b64 vcc, exec, s[2:3]
	s_nop 0
	v_cndmask_b32_e64 v8, v18, v8, s[4:5]
	s_cbranch_vccnz .LBB471_22
; %bb.21:
	global_load_dword v18, v14, s[30:31] offset:1024
	s_waitcnt vmcnt(0)
	v_add_f32_e32 v8, v8, v18
.LBB471_22:
	v_and_b32_e32 v9, 0xffff0000, v9
	v_mul_f32_e32 v18, 0x3fb8aa3b, v9
	v_exp_f32_e32 v18, v18
	s_nop 0
	v_add_f32_e32 v18, 1.0, v18
	v_cmp_gt_f32_e32 vcc, s10, v18
	s_nop 1
	v_cndmask_b32_e32 v15, 1.0, v15, vcc
	v_mul_f32_e32 v15, v18, v15
	v_log_f32_e32 v15, v15
	v_cndmask_b32_e32 v17, 0, v17, vcc
	v_mul_f32_e32 v18, 0x3f317217, v15
	v_fma_f32 v18, v15, s7, -v18
	v_fmac_f32_e32 v18, 0x3377d1cf, v15
	v_fmac_f32_e32 v18, 0x3f317217, v15
	v_cmp_lt_f32_e64 vcc, |v15|, s8
	s_nop 1
	v_cndmask_b32_e32 v15, v15, v18, vcc
	v_sub_f32_e32 v15, v15, v17
	v_cmp_lt_f32_e32 vcc, s6, v9
	s_nop 1
	v_cndmask_b32_e32 v9, v15, v9, vcc
	v_mul_f32_e32 v15, 0x4f800000, v9
	v_cmp_gt_f32_e32 vcc, s9, v9
	s_nop 1
	v_cndmask_b32_e32 v9, v9, v15, vcc
	v_sqrt_f32_e32 v15, v9
	s_nop 0
	v_add_u32_e32 v17, -1, v15
	v_add_u32_e32 v18, 1, v15
	v_fma_f32 v19, -v17, v15, v9
	v_fma_f32 v20, -v18, v15, v9
	v_cmp_ge_f32_e64 s[4:5], 0, v19
	s_nop 1
	v_cndmask_b32_e64 v15, v15, v17, s[4:5]
	v_cmp_lt_f32_e64 s[4:5], 0, v20
	s_nop 1
	v_cndmask_b32_e64 v15, v15, v18, s[4:5]
	v_mul_f32_e32 v17, 0x37800000, v15
	v_cndmask_b32_e32 v15, v15, v17, vcc
	v_cmp_class_f32_e64 s[4:5], v9, v10
	s_and_b64 vcc, exec, s[2:3]
	s_nop 0
	v_cndmask_b32_e64 v9, v15, v9, s[4:5]
	s_cbranch_vccnz .LBB471_24
; %bb.23:
	global_load_dword v10, v14, s[30:31] offset:1028
	s_waitcnt vmcnt(0)
	v_add_f32_e32 v9, v9, v10
.LBB471_24:
	s_waitcnt vmcnt(0)
	v_lshlrev_b32_e32 v10, 16, v11
	v_mul_f32_e32 v15, 0x3fb8aa3b, v10
	v_exp_f32_e32 v15, v15
	v_mov_b32_e32 v17, 0x4f800000
	v_add_f32_e32 v15, 1.0, v15
	v_cmp_gt_f32_e32 vcc, s10, v15
	s_nop 1
	v_cndmask_b32_e32 v18, 1.0, v17, vcc
	v_mul_f32_e32 v15, v15, v18
	v_log_f32_e32 v15, v15
	s_nop 0
	v_mul_f32_e32 v18, 0x3f317217, v15
	v_fma_f32 v18, v15, s7, -v18
	v_fmac_f32_e32 v18, 0x3377d1cf, v15
	v_fmac_f32_e32 v18, 0x3f317217, v15
	v_cmp_lt_f32_e64 s[4:5], |v15|, s8
	s_nop 1
	v_cndmask_b32_e64 v15, v15, v18, s[4:5]
	v_mov_b32_e32 v18, 0x41b17218
	v_cndmask_b32_e32 v19, 0, v18, vcc
	v_sub_f32_e32 v15, v15, v19
	v_cmp_lt_f32_e32 vcc, s6, v10
	s_nop 1
	v_cndmask_b32_e32 v10, v15, v10, vcc
	v_mul_f32_e32 v15, 0x4f800000, v10
	v_cmp_gt_f32_e32 vcc, s9, v10
	s_nop 1
	v_cndmask_b32_e32 v10, v10, v15, vcc
	v_sqrt_f32_e32 v15, v10
	s_nop 0
	v_add_u32_e32 v19, -1, v15
	v_fma_f32 v20, -v19, v15, v10
	v_cmp_ge_f32_e64 s[4:5], 0, v20
	v_add_u32_e32 v20, 1, v15
	s_nop 0
	v_cndmask_b32_e64 v19, v15, v19, s[4:5]
	v_fma_f32 v15, -v20, v15, v10
	v_cmp_lt_f32_e64 s[4:5], 0, v15
	s_nop 1
	v_cndmask_b32_e64 v15, v19, v20, s[4:5]
	v_mul_f32_e32 v19, 0x37800000, v15
	v_cndmask_b32_e32 v19, v15, v19, vcc
	v_mov_b32_e32 v15, 0x260
	v_cmp_class_f32_e64 s[4:5], v10, v15
	s_and_b64 vcc, exec, s[2:3]
	s_nop 0
	v_cndmask_b32_e64 v10, v19, v10, s[4:5]
	s_cbranch_vccnz .LBB471_26
; %bb.25:
	global_load_dword v19, v14, s[30:31] offset:1280
	s_waitcnt vmcnt(0)
	v_add_f32_e32 v10, v10, v19
.LBB471_26:
	v_and_b32_e32 v11, 0xffff0000, v11
	v_mul_f32_e32 v19, 0x3fb8aa3b, v11
	v_exp_f32_e32 v19, v19
	s_nop 0
	v_add_f32_e32 v19, 1.0, v19
	v_cmp_gt_f32_e32 vcc, s10, v19
	s_nop 1
	v_cndmask_b32_e32 v17, 1.0, v17, vcc
	v_mul_f32_e32 v17, v19, v17
	v_log_f32_e32 v17, v17
	v_cndmask_b32_e32 v18, 0, v18, vcc
	v_mul_f32_e32 v19, 0x3f317217, v17
	v_fma_f32 v19, v17, s7, -v19
	v_fmac_f32_e32 v19, 0x3377d1cf, v17
	v_fmac_f32_e32 v19, 0x3f317217, v17
	v_cmp_lt_f32_e64 vcc, |v17|, s8
	s_nop 1
	v_cndmask_b32_e32 v17, v17, v19, vcc
	v_sub_f32_e32 v17, v17, v18
	v_cmp_lt_f32_e32 vcc, s6, v11
	s_nop 1
	v_cndmask_b32_e32 v11, v17, v11, vcc
	v_mul_f32_e32 v17, 0x4f800000, v11
	v_cmp_gt_f32_e32 vcc, s9, v11
	s_nop 1
	v_cndmask_b32_e32 v11, v11, v17, vcc
	v_sqrt_f32_e32 v17, v11
	s_nop 0
	v_add_u32_e32 v18, -1, v17
	v_add_u32_e32 v19, 1, v17
	v_fma_f32 v20, -v18, v17, v11
	v_fma_f32 v21, -v19, v17, v11
	v_cmp_ge_f32_e64 s[4:5], 0, v20
	s_nop 1
	v_cndmask_b32_e64 v17, v17, v18, s[4:5]
	v_cmp_lt_f32_e64 s[4:5], 0, v21
	s_nop 1
	v_cndmask_b32_e64 v17, v17, v19, s[4:5]
	v_mul_f32_e32 v18, 0x37800000, v17
	v_cndmask_b32_e32 v17, v17, v18, vcc
	v_cmp_class_f32_e64 s[4:5], v11, v15
	s_and_b64 vcc, exec, s[2:3]
	s_nop 0
	v_cndmask_b32_e64 v11, v17, v11, s[4:5]
	s_cbranch_vccnz .LBB471_28
; %bb.27:
	global_load_dword v14, v14, s[30:31] offset:1284
	s_waitcnt vmcnt(0)
	v_add_f32_e32 v11, v11, v14
.LBB471_28:
	s_load_dwordx4 s[36:39], s[0:1], 0x30
	s_mov_b32 s50, 0
	v_cmp_eq_u32_e64 s[6:7], 0, v13
	s_waitcnt lgkmcnt(0)
	s_bitcmp1_b32 s39, 0
	s_cselect_b64 s[4:5], -1, 0
	s_cmp_gt_i32 s36, 0
	s_cselect_b64 s[46:47], -1, 0
	s_and_b64 vcc, exec, s[46:47]
	s_cbranch_vccz .LBB471_59
; %bb.29:
	v_mbcnt_lo_u32_b32 v14, -1, 0
	v_mbcnt_hi_u32_b32 v14, -1, v14
	v_and_b32_e32 v15, 0x60, v14
	v_add_u32_e32 v15, 32, v15
	v_xor_b32_e32 v17, 16, v14
	v_cmp_lt_i32_e32 vcc, v17, v15
	s_load_dwordx4 s[40:43], s[0:1], 0x20
	v_mul_lo_u32 v18, v12, s36
	v_cndmask_b32_e32 v17, v14, v17, vcc
	v_lshlrev_b32_e32 v19, 2, v17
	v_xor_b32_e32 v17, 8, v14
	v_cmp_lt_i32_e32 vcc, v17, v15
	v_mov_b32_e32 v24, 0x41
	v_mov_b32_e32 v25, 0x80
	v_cndmask_b32_e32 v17, v14, v17, vcc
	v_lshlrev_b32_e32 v20, 2, v17
	v_xor_b32_e32 v17, 4, v14
	v_cmp_lt_i32_e32 vcc, v17, v15
	v_mov_b32_e32 v26, 0x81
	v_mov_b32_e32 v27, 0xc0
	;; [unrolled: 6-line block ×4, first 2 shown]
	v_cndmask_b32_e32 v14, v14, v17, vcc
	v_lshlrev_b32_e32 v23, 2, v14
	v_mov_b32_e32 v17, 0
	v_mov_b32_e32 v32, 0x141
	;; [unrolled: 1-line block ×5, first 2 shown]
	s_branch .LBB471_32
.LBB471_30:                             ;   in Loop: Header=BB471_32 Depth=1
	s_or_b64 exec, exec, s[48:49]
.LBB471_31:                             ;   in Loop: Header=BB471_32 Depth=1
	s_cmp_eq_u32 s36, s50
	v_add_u32_e32 v35, s33, v35
	s_cbranch_scc1 .LBB471_60
.LBB471_32:                             ; =>This Inner Loop Header: Depth=1
	v_cmp_gt_f32_e32 vcc, v1, v0
	s_nop 1
	v_cndmask_b32_e32 v15, v0, v1, vcc
	v_cndmask_b32_e64 v14, 0, 1, vcc
	v_cmp_gt_f32_e32 vcc, v2, v15
	s_nop 1
	v_cndmask_b32_e32 v15, v15, v2, vcc
	v_cndmask_b32_e64 v14, v14, 64, vcc
	v_cmp_gt_f32_e32 vcc, v3, v15
	s_nop 1
	v_cndmask_b32_e32 v15, v15, v3, vcc
	v_cndmask_b32_e32 v14, v14, v24, vcc
	v_cmp_gt_f32_e32 vcc, v4, v15
	s_nop 1
	v_cndmask_b32_e32 v15, v15, v4, vcc
	v_cndmask_b32_e32 v14, v14, v25, vcc
	v_cmp_gt_f32_e32 vcc, v5, v15
	s_nop 1
	v_cndmask_b32_e32 v15, v15, v5, vcc
	v_cndmask_b32_e32 v14, v14, v26, vcc
	v_cmp_gt_f32_e32 vcc, v6, v15
	s_nop 1
	v_cndmask_b32_e32 v15, v15, v6, vcc
	v_cndmask_b32_e32 v14, v14, v27, vcc
	v_cmp_gt_f32_e32 vcc, v7, v15
	s_nop 1
	v_cndmask_b32_e32 v15, v15, v7, vcc
	v_cndmask_b32_e32 v14, v14, v28, vcc
	v_cmp_gt_f32_e32 vcc, v8, v15
	s_nop 1
	v_cndmask_b32_e32 v15, v15, v8, vcc
	v_cndmask_b32_e32 v14, v14, v29, vcc
	v_cmp_gt_f32_e32 vcc, v9, v15
	s_nop 1
	v_cndmask_b32_e32 v15, v15, v9, vcc
	v_cndmask_b32_e32 v14, v14, v30, vcc
	v_cmp_gt_f32_e32 vcc, v10, v15
	s_nop 1
	v_cndmask_b32_e32 v15, v15, v10, vcc
	v_cndmask_b32_e32 v14, v14, v31, vcc
	v_cmp_gt_f32_e32 vcc, v11, v15
	s_nop 1
	v_cndmask_b32_e32 v14, v14, v32, vcc
	v_cndmask_b32_e32 v36, v15, v11, vcc
	ds_bpermute_b32 v15, v19, v36
	v_or_b32_e32 v14, v16, v14
	s_waitcnt lgkmcnt(0)
	ds_bpermute_b32 v37, v19, v14
	s_waitcnt lgkmcnt(0)
	v_cmp_lt_f32_e64 s[8:9], v36, v15
	v_cmp_nlt_f32_e32 vcc, v36, v15
	s_and_saveexec_b64 s[10:11], vcc
; %bb.33:                               ;   in Loop: Header=BB471_32 Depth=1
	v_cmp_eq_f32_e32 vcc, v36, v15
	v_cmp_lt_i32_e64 s[0:1], v37, v14
	s_and_b64 s[0:1], vcc, s[0:1]
	s_andn2_b64 s[8:9], s[8:9], exec
	s_and_b64 s[0:1], s[0:1], exec
	s_or_b64 s[8:9], s[8:9], s[0:1]
; %bb.34:                               ;   in Loop: Header=BB471_32 Depth=1
	s_or_b64 exec, exec, s[10:11]
	s_and_saveexec_b64 s[0:1], s[8:9]
; %bb.35:                               ;   in Loop: Header=BB471_32 Depth=1
	v_mov_b32_e32 v36, v15
	v_mov_b32_e32 v14, v37
; %bb.36:                               ;   in Loop: Header=BB471_32 Depth=1
	s_or_b64 exec, exec, s[0:1]
	ds_bpermute_b32 v15, v20, v36
	ds_bpermute_b32 v37, v20, v14
	s_waitcnt lgkmcnt(1)
	v_cmp_lt_f32_e64 s[8:9], v36, v15
	v_cmp_nlt_f32_e32 vcc, v36, v15
	s_and_saveexec_b64 s[10:11], vcc
	s_cbranch_execz .LBB471_38
; %bb.37:                               ;   in Loop: Header=BB471_32 Depth=1
	v_cmp_eq_f32_e32 vcc, v36, v15
	s_waitcnt lgkmcnt(0)
	v_cmp_lt_i32_e64 s[0:1], v37, v14
	s_and_b64 s[0:1], vcc, s[0:1]
	s_andn2_b64 s[8:9], s[8:9], exec
	s_and_b64 s[0:1], s[0:1], exec
	s_or_b64 s[8:9], s[8:9], s[0:1]
.LBB471_38:                             ;   in Loop: Header=BB471_32 Depth=1
	s_or_b64 exec, exec, s[10:11]
	s_and_saveexec_b64 s[0:1], s[8:9]
	s_cbranch_execz .LBB471_40
; %bb.39:                               ;   in Loop: Header=BB471_32 Depth=1
	v_mov_b32_e32 v36, v15
	s_waitcnt lgkmcnt(0)
	v_mov_b32_e32 v14, v37
.LBB471_40:                             ;   in Loop: Header=BB471_32 Depth=1
	s_or_b64 exec, exec, s[0:1]
	ds_bpermute_b32 v15, v21, v36
	s_waitcnt lgkmcnt(1)
	ds_bpermute_b32 v37, v21, v14
	s_waitcnt lgkmcnt(1)
	v_cmp_lt_f32_e64 s[8:9], v36, v15
	v_cmp_nlt_f32_e32 vcc, v36, v15
	s_and_saveexec_b64 s[10:11], vcc
	s_cbranch_execz .LBB471_42
; %bb.41:                               ;   in Loop: Header=BB471_32 Depth=1
	v_cmp_eq_f32_e32 vcc, v36, v15
	s_waitcnt lgkmcnt(0)
	v_cmp_lt_i32_e64 s[0:1], v37, v14
	s_and_b64 s[0:1], vcc, s[0:1]
	s_andn2_b64 s[8:9], s[8:9], exec
	s_and_b64 s[0:1], s[0:1], exec
	s_or_b64 s[8:9], s[8:9], s[0:1]
.LBB471_42:                             ;   in Loop: Header=BB471_32 Depth=1
	s_or_b64 exec, exec, s[10:11]
	s_and_saveexec_b64 s[0:1], s[8:9]
	s_cbranch_execz .LBB471_44
; %bb.43:                               ;   in Loop: Header=BB471_32 Depth=1
	v_mov_b32_e32 v36, v15
	s_waitcnt lgkmcnt(0)
	v_mov_b32_e32 v14, v37
.LBB471_44:                             ;   in Loop: Header=BB471_32 Depth=1
	s_or_b64 exec, exec, s[0:1]
	ds_bpermute_b32 v15, v22, v36
	s_waitcnt lgkmcnt(1)
	;; [unrolled: 26-line block ×3, first 2 shown]
	ds_bpermute_b32 v37, v23, v14
	s_waitcnt lgkmcnt(1)
	v_cmp_lt_f32_e64 s[8:9], v36, v15
	v_cmp_nlt_f32_e32 vcc, v36, v15
	s_and_saveexec_b64 s[10:11], vcc
	s_cbranch_execnz .LBB471_52
; %bb.49:                               ;   in Loop: Header=BB471_32 Depth=1
	s_or_b64 exec, exec, s[10:11]
	s_and_saveexec_b64 s[0:1], s[8:9]
	s_cbranch_execnz .LBB471_53
.LBB471_50:                             ;   in Loop: Header=BB471_32 Depth=1
	s_or_b64 exec, exec, s[0:1]
	s_and_saveexec_b64 s[8:9], s[6:7]
	s_cbranch_execnz .LBB471_54
.LBB471_51:                             ;   in Loop: Header=BB471_32 Depth=1
	s_or_b64 exec, exec, s[8:9]
	s_add_i32 s50, s50, 1
	s_cmp_ge_i32 s50, s36
	s_cbranch_scc1 .LBB471_31
	s_branch .LBB471_57
.LBB471_52:                             ;   in Loop: Header=BB471_32 Depth=1
	v_cmp_eq_f32_e32 vcc, v36, v15
	s_waitcnt lgkmcnt(0)
	v_cmp_lt_i32_e64 s[0:1], v37, v14
	s_and_b64 s[0:1], vcc, s[0:1]
	s_andn2_b64 s[8:9], s[8:9], exec
	s_and_b64 s[0:1], s[0:1], exec
	s_or_b64 s[8:9], s[8:9], s[0:1]
	s_or_b64 exec, exec, s[10:11]
	s_and_saveexec_b64 s[0:1], s[8:9]
	s_cbranch_execz .LBB471_50
.LBB471_53:                             ;   in Loop: Header=BB471_32 Depth=1
	s_waitcnt lgkmcnt(0)
	v_mov_b32_e32 v14, v37
	v_mov_b32_e32 v36, v15
	s_or_b64 exec, exec, s[0:1]
	s_and_saveexec_b64 s[8:9], s[6:7]
	s_cbranch_execz .LBB471_51
.LBB471_54:                             ;   in Loop: Header=BB471_32 Depth=1
	s_and_b64 vcc, exec, s[2:3]
	s_cbranch_vccnz .LBB471_56
; %bb.55:                               ;   in Loop: Header=BB471_32 Depth=1
	v_ashrrev_i32_e32 v15, 31, v14
	v_lshl_add_u64 v[38:39], v[14:15], 2, s[30:31]
	global_load_dword v15, v[38:39], off
	s_waitcnt vmcnt(0)
	v_sub_f32_e32 v36, v36, v15
.LBB471_56:                             ;   in Loop: Header=BB471_32 Depth=1
	v_add_u32_e32 v38, s50, v18
	v_cmp_le_i32_e32 vcc, s37, v14
	v_cmp_gt_i32_e64 s[0:1], s38, v14
	v_ashrrev_i32_e32 v39, 31, v38
	s_and_b64 s[0:1], vcc, s[0:1]
	v_lshlrev_b64 v[38:39], 2, v[38:39]
	v_lshl_add_u64 v[40:41], s[34:35], 0, v[38:39]
	v_subrev_u32_e32 v15, s37, v14
	s_and_b64 vcc, s[44:45], s[0:1]
	global_store_dword v[40:41], v36, off
	v_cndmask_b32_e32 v15, v33, v15, vcc
	v_lshl_add_u64 v[40:41], s[40:41], 0, v[38:39]
	global_store_dword v[40:41], v15, off
	v_add_f32_e32 v15, v17, v36
	v_lshl_add_u64 v[38:39], s[42:43], 0, v[38:39]
	v_cndmask_b32_e64 v17, v17, v15, s[4:5]
	global_store_dword v[38:39], v35, off
	s_or_b64 exec, exec, s[8:9]
	s_add_i32 s50, s50, 1
	s_cmp_ge_i32 s50, s36
	s_cbranch_scc1 .LBB471_31
.LBB471_57:                             ;   in Loop: Header=BB471_32 Depth=1
	v_lshrrev_b32_e32 v15, 31, v14
	v_add_u32_e32 v36, v14, v15
	v_ashrrev_i32_e32 v15, 1, v36
	v_ashrrev_i32_e32 v36, 31, v36
	v_lshrrev_b32_e32 v36, 27, v36
	v_add_u32_e32 v36, v15, v36
	v_and_b32_e32 v36, 0xffffffe0, v36
	v_sub_u32_e32 v36, v15, v36
	v_cmp_eq_u32_e32 vcc, v13, v36
	s_and_saveexec_b64 s[48:49], vcc
	s_cbranch_execz .LBB471_30
; %bb.58:                               ;   in Loop: Header=BB471_32 Depth=1
	v_ashrrev_i32_e32 v36, 31, v14
	v_lshrrev_b32_e32 v36, 26, v36
	v_add_u32_e32 v36, v14, v36
	v_lshlrev_b32_e32 v15, 1, v15
	v_sub_u32_e32 v14, v14, v15
	v_ashrrev_i32_e32 v15, 6, v36
	v_lshl_add_u32 v14, v15, 1, v14
	v_cmp_ne_u32_e32 vcc, 10, v14
	v_cmp_ne_u32_e64 s[0:1], 9, v14
	v_cmp_ne_u32_e64 s[8:9], 8, v14
	v_cmp_ne_u32_e64 s[10:11], 7, v14
	v_cmp_ne_u32_e64 s[12:13], 6, v14
	v_cmp_ne_u32_e64 s[14:15], 5, v14
	v_cmp_ne_u32_e64 s[16:17], 4, v14
	v_cmp_ne_u32_e64 s[18:19], 3, v14
	v_cmp_ne_u32_e64 s[20:21], 2, v14
	v_cmp_ne_u32_e64 s[22:23], 1, v14
	v_cmp_ne_u32_e64 s[24:25], 0, v14
	v_cmp_ne_u32_e64 s[26:27], 11, v14
	v_cndmask_b32_e32 v10, v34, v10, vcc
	v_cndmask_b32_e64 v9, v34, v9, s[0:1]
	v_cndmask_b32_e64 v11, v34, v11, s[26:27]
	;; [unrolled: 1-line block ×11, first 2 shown]
	s_branch .LBB471_30
.LBB471_59:
	v_mov_b32_e32 v17, 0
.LBB471_60:
	v_cmp_eq_u32_e32 vcc, 0, v13
	s_and_b64 exec, exec, vcc
	s_cbranch_execz .LBB471_73
; %bb.61:
	s_andn2_b64 vcc, exec, s[4:5]
	v_cvt_f32_f64_e32 v0, s[28:29]
	s_cbranch_vccnz .LBB471_63
; %bb.62:
	v_cmp_lt_f32_e32 vcc, 0, v17
	s_nop 1
	v_cndmask_b32_e32 v1, 1.0, v17, vcc
	v_div_scale_f32 v2, s[0:1], v1, v1, v0
	v_rcp_f32_e32 v3, v2
	s_nop 0
	v_fma_f32 v4, -v2, v3, 1.0
	v_fmac_f32_e32 v3, v4, v3
	v_div_scale_f32 v4, vcc, v0, v1, v0
	v_mul_f32_e32 v5, v4, v3
	v_fma_f32 v6, -v2, v5, v4
	v_fmac_f32_e32 v5, v6, v3
	v_fma_f32 v2, -v2, v5, v4
	v_div_fmas_f32 v2, v2, v3, v5
	v_div_fixup_f32 v0, v2, v1, v0
.LBB471_63:
	s_andn2_b64 vcc, exec, s[46:47]
	s_cbranch_vccnz .LBB471_73
; %bb.64:
	v_mul_lo_u32 v2, v12, s36
	s_cmp_gt_u32 s36, 3
	v_ashrrev_i32_e32 v3, 31, v2
	s_cbranch_scc0 .LBB471_68
; %bb.65:
	s_and_b32 s0, s36, 0x7ffffffc
	v_lshl_add_u64 v[4:5], v[2:3], 2, s[34:35]
	v_mov_b32_e32 v1, v0
	v_lshl_add_u64 v[4:5], v[4:5], 0, 8
	s_mov_b32 s1, s0
.LBB471_66:                             ; =>This Inner Loop Header: Depth=1
	global_load_dwordx4 v[6:9], v[4:5], off offset:-8
	s_add_i32 s1, s1, -4
	s_cmp_lg_u32 s1, 0
	s_waitcnt vmcnt(0)
	v_pk_mul_f32 v[6:7], v[0:1], v[6:7]
	v_pk_mul_f32 v[8:9], v[0:1], v[8:9]
	global_store_dwordx4 v[4:5], v[6:9], off offset:-8
	v_lshl_add_u64 v[4:5], v[4:5], 0, 16
	s_cbranch_scc1 .LBB471_66
; %bb.67:
	s_cmp_lg_u32 s0, s36
	s_cselect_b64 s[2:3], -1, 0
	s_branch .LBB471_70
.LBB471_68:
	s_mov_b64 s[2:3], 0
                                        ; implicit-def: $sgpr0
	s_cbranch_execz .LBB471_70
; %bb.69:
	s_mov_b64 s[2:3], -1
	s_mov_b32 s0, 0
.LBB471_70:
	s_andn2_b64 vcc, exec, s[2:3]
	s_cbranch_vccnz .LBB471_73
; %bb.71:
	s_mov_b32 s1, 0
	v_lshl_add_u64 v[2:3], v[2:3], 0, s[0:1]
	s_sub_i32 s2, s36, s0
	v_lshl_add_u64 v[2:3], v[2:3], 2, s[34:35]
.LBB471_72:                             ; =>This Inner Loop Header: Depth=1
	global_load_dword v1, v[2:3], off
	s_add_i32 s2, s2, -1
	s_cmp_lg_u32 s2, 0
	s_waitcnt vmcnt(0)
	v_mul_f32_e32 v1, v0, v1
	global_store_dword v[2:3], v1, off
	v_lshl_add_u64 v[2:3], v[2:3], 0, 4
	s_cbranch_scc1 .LBB471_72
.LBB471_73:
	s_endpgm
	.section	.rodata,"a",@progbits
	.p2align	6, 0x0
	.amdhsa_kernel _ZN4vllm3moe22topkGatingSoftplusSqrtILi12ELi384ELi4ELi4ELi32ELb0Ej14__hip_bfloat16EEvPKT6_PKbPfiPT5_PiiiibdPKfPKS9_SF_
		.amdhsa_group_segment_fixed_size 0
		.amdhsa_private_segment_fixed_size 0
		.amdhsa_kernarg_size 96
		.amdhsa_user_sgpr_count 2
		.amdhsa_user_sgpr_dispatch_ptr 0
		.amdhsa_user_sgpr_queue_ptr 0
		.amdhsa_user_sgpr_kernarg_segment_ptr 1
		.amdhsa_user_sgpr_dispatch_id 0
		.amdhsa_user_sgpr_kernarg_preload_length 0
		.amdhsa_user_sgpr_kernarg_preload_offset 0
		.amdhsa_user_sgpr_private_segment_size 0
		.amdhsa_uses_dynamic_stack 0
		.amdhsa_enable_private_segment 0
		.amdhsa_system_sgpr_workgroup_id_x 1
		.amdhsa_system_sgpr_workgroup_id_y 0
		.amdhsa_system_sgpr_workgroup_id_z 0
		.amdhsa_system_sgpr_workgroup_info 0
		.amdhsa_system_vgpr_workitem_id 1
		.amdhsa_next_free_vgpr 42
		.amdhsa_next_free_sgpr 51
		.amdhsa_accum_offset 44
		.amdhsa_reserve_vcc 1
		.amdhsa_float_round_mode_32 0
		.amdhsa_float_round_mode_16_64 0
		.amdhsa_float_denorm_mode_32 3
		.amdhsa_float_denorm_mode_16_64 3
		.amdhsa_dx10_clamp 1
		.amdhsa_ieee_mode 1
		.amdhsa_fp16_overflow 0
		.amdhsa_tg_split 0
		.amdhsa_exception_fp_ieee_invalid_op 0
		.amdhsa_exception_fp_denorm_src 0
		.amdhsa_exception_fp_ieee_div_zero 0
		.amdhsa_exception_fp_ieee_overflow 0
		.amdhsa_exception_fp_ieee_underflow 0
		.amdhsa_exception_fp_ieee_inexact 0
		.amdhsa_exception_int_div_zero 0
	.end_amdhsa_kernel
	.section	.text._ZN4vllm3moe22topkGatingSoftplusSqrtILi12ELi384ELi4ELi4ELi32ELb0Ej14__hip_bfloat16EEvPKT6_PKbPfiPT5_PiiiibdPKfPKS9_SF_,"axG",@progbits,_ZN4vllm3moe22topkGatingSoftplusSqrtILi12ELi384ELi4ELi4ELi32ELb0Ej14__hip_bfloat16EEvPKT6_PKbPfiPT5_PiiiibdPKfPKS9_SF_,comdat
.Lfunc_end471:
	.size	_ZN4vllm3moe22topkGatingSoftplusSqrtILi12ELi384ELi4ELi4ELi32ELb0Ej14__hip_bfloat16EEvPKT6_PKbPfiPT5_PiiiibdPKfPKS9_SF_, .Lfunc_end471-_ZN4vllm3moe22topkGatingSoftplusSqrtILi12ELi384ELi4ELi4ELi32ELb0Ej14__hip_bfloat16EEvPKT6_PKbPfiPT5_PiiiibdPKfPKS9_SF_
                                        ; -- End function
	.section	.AMDGPU.csdata,"",@progbits
; Kernel info:
; codeLenInByte = 5456
; NumSgprs: 57
; NumVgprs: 42
; NumAgprs: 0
; TotalNumVgprs: 42
; ScratchSize: 0
; MemoryBound: 0
; FloatMode: 240
; IeeeMode: 1
; LDSByteSize: 0 bytes/workgroup (compile time only)
; SGPRBlocks: 7
; VGPRBlocks: 5
; NumSGPRsForWavesPerEU: 57
; NumVGPRsForWavesPerEU: 42
; AccumOffset: 44
; Occupancy: 8
; WaveLimiterHint : 1
; COMPUTE_PGM_RSRC2:SCRATCH_EN: 0
; COMPUTE_PGM_RSRC2:USER_SGPR: 2
; COMPUTE_PGM_RSRC2:TRAP_HANDLER: 0
; COMPUTE_PGM_RSRC2:TGID_X_EN: 1
; COMPUTE_PGM_RSRC2:TGID_Y_EN: 0
; COMPUTE_PGM_RSRC2:TGID_Z_EN: 0
; COMPUTE_PGM_RSRC2:TIDIG_COMP_CNT: 1
; COMPUTE_PGM_RSRC3_GFX90A:ACCUM_OFFSET: 10
; COMPUTE_PGM_RSRC3_GFX90A:TG_SPLIT: 0
	.section	.text._ZN4vllm3moe22topkGatingSoftplusSqrtILi7ELi448ELi4ELi2ELi64ELb1Ej14__hip_bfloat16EEvPKT6_PKbPfiPT5_PiiiibdPKfPKS9_SF_,"axG",@progbits,_ZN4vllm3moe22topkGatingSoftplusSqrtILi7ELi448ELi4ELi2ELi64ELb1Ej14__hip_bfloat16EEvPKT6_PKbPfiPT5_PiiiibdPKfPKS9_SF_,comdat
	.protected	_ZN4vllm3moe22topkGatingSoftplusSqrtILi7ELi448ELi4ELi2ELi64ELb1Ej14__hip_bfloat16EEvPKT6_PKbPfiPT5_PiiiibdPKfPKS9_SF_ ; -- Begin function _ZN4vllm3moe22topkGatingSoftplusSqrtILi7ELi448ELi4ELi2ELi64ELb1Ej14__hip_bfloat16EEvPKT6_PKbPfiPT5_PiiiibdPKfPKS9_SF_
	.globl	_ZN4vllm3moe22topkGatingSoftplusSqrtILi7ELi448ELi4ELi2ELi64ELb1Ej14__hip_bfloat16EEvPKT6_PKbPfiPT5_PiiiibdPKfPKS9_SF_
	.p2align	8
	.type	_ZN4vllm3moe22topkGatingSoftplusSqrtILi7ELi448ELi4ELi2ELi64ELb1Ej14__hip_bfloat16EEvPKT6_PKbPfiPT5_PiiiibdPKfPKS9_SF_,@function
_ZN4vllm3moe22topkGatingSoftplusSqrtILi7ELi448ELi4ELi2ELi64ELb1Ej14__hip_bfloat16EEvPKT6_PKbPfiPT5_PiiiibdPKfPKS9_SF_: ; @_ZN4vllm3moe22topkGatingSoftplusSqrtILi7ELi448ELi4ELi2ELi64ELb1Ej14__hip_bfloat16EEvPKT6_PKbPfiPT5_PiiiibdPKfPKS9_SF_
; %bb.0:
	s_load_dword s3, s[0:1], 0x18
	v_and_b32_e32 v1, 0x3ff, v0
	s_lshl_b32 s2, s2, 2
	v_lshrrev_b32_e32 v2, 6, v1
	v_bfe_u32 v0, v0, 10, 10
	v_add3_u32 v0, s2, v0, v2
	s_waitcnt lgkmcnt(0)
	v_cmp_gt_i32_e32 vcc, s3, v0
	s_and_saveexec_b64 s[2:3], vcc
	s_cbranch_execz .LBB472_32
; %bb.1:
	s_load_dwordx2 s[2:3], s[0:1], 0x0
	s_load_dword s28, s[0:1], 0x30
	s_movk_i32 s4, 0x1c0
	v_mul_lo_u32 v2, v0, s4
	v_ashrrev_i32_e32 v3, 31, v2
	v_and_b32_e32 v10, 63, v1
	s_waitcnt lgkmcnt(0)
	v_lshl_add_u64 v[4:5], v[2:3], 1, s[2:3]
	v_lshlrev_b32_e32 v2, 1, v10
	v_mov_b32_e32 v3, 0
	v_lshl_add_u64 v[4:5], v[4:5], 0, v[2:3]
	global_load_ushort v2, v[4:5], off offset:128
	global_load_ushort v8, v[4:5], off
	global_load_ushort v9, v[4:5], off offset:384
	global_load_ushort v11, v[4:5], off offset:256
	s_load_dwordx4 s[8:11], s[0:1], 0x50
	v_ashrrev_i32_e32 v1, 31, v0
	s_mov_b32 s17, 0x800000
	v_mov_b32_e32 v16, 0x4f800000
	s_mov_b32 s16, 0x3f317217
	s_waitcnt lgkmcnt(0)
	v_mov_b32_e32 v6, s8
	v_mov_b32_e32 v7, s9
	v_lshl_add_u64 v[6:7], v[0:1], 2, v[6:7]
	global_load_ushort v1, v[4:5], off offset:768
	global_load_dword v12, v[6:7], off
	global_load_ushort v14, v[4:5], off offset:512
	global_load_ushort v15, v[4:5], off offset:640
	s_mov_b32 s15, 0x7f800000
	v_mov_b32_e32 v17, 0x41b17218
	s_mov_b32 s13, 0x41a00000
	s_mov_b32 s14, 0xf800000
	v_mov_b32_e32 v18, 0x260
	s_cmp_gt_i32 s28, 0
	s_mov_b32 s12, 0
	v_mul_lo_u32 v0, v0, s28
	s_waitcnt vmcnt(7)
	v_lshlrev_b32_e32 v13, 16, v2
	s_waitcnt vmcnt(6)
	v_lshlrev_b32_e32 v8, 16, v8
	v_mul_f32_e32 v2, 0x3fb8aa3b, v8
	v_mul_f32_e32 v5, 0x3fb8aa3b, v13
	v_exp_f32_e32 v4, v2
	v_exp_f32_e32 v5, v5
	s_waitcnt vmcnt(5)
	v_lshlrev_b32_e32 v9, 16, v9
	s_waitcnt vmcnt(4)
	v_lshlrev_b32_e32 v19, 16, v11
	v_mul_f32_e32 v6, 0x3fb8aa3b, v19
	v_mul_f32_e32 v7, 0x3fb8aa3b, v9
	v_pk_add_f32 v[4:5], v[4:5], 1.0 op_sel_hi:[1,0]
	v_exp_f32_e32 v6, v6
	v_exp_f32_e32 v7, v7
	v_cmp_gt_f32_e32 vcc, s17, v5
	v_cmp_gt_f32_e64 s[2:3], s17, v4
	s_waitcnt vmcnt(2)
	v_mul_lo_u32 v2, v12, s28
	v_cndmask_b32_e32 v11, 1.0, v16, vcc
	v_cndmask_b32_e64 v12, 1.0, v16, s[2:3]
	v_mul_f32_e32 v5, v5, v11
	v_mul_f32_e32 v4, v4, v12
	v_log_f32_e32 v5, v5
	v_pk_add_f32 v[6:7], v[6:7], 1.0 op_sel_hi:[1,0]
	v_log_f32_e32 v4, v4
	v_cmp_gt_f32_e64 s[4:5], s17, v7
	v_cmp_gt_f32_e64 s[6:7], s17, v6
	v_cndmask_b32_e32 v11, 0, v17, vcc
	v_cndmask_b32_e64 v20, 1.0, v16, s[4:5]
	v_cndmask_b32_e64 v21, 1.0, v16, s[6:7]
	v_mul_f32_e32 v7, v7, v20
	v_mul_f32_e32 v20, 0x3f317217, v5
	;; [unrolled: 1-line block ×4, first 2 shown]
	v_fma_f32 v20, v5, s16, -v20
	v_fma_f32 v21, v4, s16, -v21
	v_fmac_f32_e32 v20, 0x3377d1cf, v5
	v_fmac_f32_e32 v21, 0x3377d1cf, v4
	;; [unrolled: 1-line block ×3, first 2 shown]
	v_cmp_lt_f32_e64 vcc, |v5|, s15
	v_fmac_f32_e32 v21, 0x3f317217, v4
	v_cndmask_b32_e64 v12, 0, v17, s[2:3]
	v_cndmask_b32_e32 v5, v5, v20, vcc
	v_cmp_lt_f32_e64 vcc, |v4|, s15
	v_sub_f32_e32 v5, v5, v11
	v_log_f32_e32 v7, v7
	v_cndmask_b32_e32 v4, v4, v21, vcc
	v_sub_f32_e32 v4, v4, v12
	v_cmp_lt_f32_e32 vcc, s13, v8
	v_mul_f32_e32 v22, 0x3f317217, v7
	v_log_f32_e32 v6, v6
	v_cndmask_b32_e32 v4, v4, v8, vcc
	v_cmp_lt_f32_e32 vcc, s13, v13
	v_mul_f32_e32 v11, 0x4f800000, v4
	v_cmp_gt_f32_e64 s[2:3], s14, v4
	v_cndmask_b32_e32 v5, v5, v13, vcc
	v_mul_f32_e32 v8, 0x4f800000, v5
	v_cmp_gt_f32_e32 vcc, s14, v5
	v_cndmask_b32_e64 v4, v4, v11, s[2:3]
	v_sqrt_f32_e32 v11, v4
	v_cndmask_b32_e32 v5, v5, v8, vcc
	v_sqrt_f32_e32 v8, v5
	v_fma_f32 v22, v7, s16, -v22
	v_add_u32_e32 v20, -1, v11
	v_fma_f32 v25, -v20, v11, v4
	v_add_u32_e32 v12, -1, v8
	v_fma_f32 v23, -v12, v8, v5
	v_add_u32_e32 v13, 1, v8
	v_cmp_ge_f32_e64 s[8:9], 0, v23
	v_add_u32_e32 v21, 1, v11
	v_fma_f32 v24, -v13, v8, v5
	v_cndmask_b32_e64 v8, v8, v12, s[8:9]
	v_cmp_ge_f32_e64 s[8:9], 0, v25
	v_fma_f32 v26, -v21, v11, v4
	v_fmac_f32_e32 v22, 0x3377d1cf, v7
	v_cndmask_b32_e64 v11, v11, v20, s[8:9]
	v_cmp_lt_f32_e64 s[8:9], 0, v24
	v_fmac_f32_e32 v22, 0x3f317217, v7
	s_waitcnt vmcnt(0)
	v_lshlrev_b32_e32 v15, 16, v15
	v_cndmask_b32_e64 v8, v8, v13, s[8:9]
	v_cmp_lt_f32_e64 s[8:9], 0, v26
	v_mul_f32_e32 v12, 0x37800000, v8
	v_cndmask_b32_e32 v8, v8, v12, vcc
	v_cndmask_b32_e64 v11, v11, v21, s[8:9]
	v_mul_f32_e32 v13, 0x37800000, v11
	v_cmp_class_f32_e32 vcc, v5, v18
	v_cndmask_b32_e64 v12, v11, v13, s[2:3]
	v_cmp_lt_f32_e64 s[2:3], s13, v19
	v_cndmask_b32_e32 v11, v8, v5, vcc
	v_cmp_class_f32_e32 vcc, v4, v18
	v_cndmask_b32_e64 v5, 0, v17, s[4:5]
	v_lshlrev_b32_e32 v1, 16, v1
	v_cndmask_b32_e32 v12, v12, v4, vcc
	v_cmp_lt_f32_e64 vcc, |v7|, s15
	s_nop 1
	v_cndmask_b32_e32 v4, v7, v22, vcc
	v_sub_f32_e32 v4, v4, v5
	v_mul_f32_e32 v5, 0x3f317217, v6
	v_fma_f32 v5, v6, s16, -v5
	v_fmac_f32_e32 v5, 0x3377d1cf, v6
	v_fmac_f32_e32 v5, 0x3f317217, v6
	v_cmp_lt_f32_e64 vcc, |v6|, s15
	s_nop 1
	v_cndmask_b32_e32 v5, v6, v5, vcc
	v_cmp_lt_f32_e32 vcc, s13, v9
	v_cndmask_b32_e64 v6, 0, v17, s[6:7]
	v_sub_f32_e32 v5, v5, v6
	v_cndmask_b32_e32 v4, v4, v9, vcc
	v_mul_f32_e32 v7, 0x4f800000, v4
	v_cmp_gt_f32_e32 vcc, s14, v4
	v_cndmask_b32_e64 v5, v5, v19, s[2:3]
	v_lshlrev_b32_e32 v19, 16, v14
	v_cndmask_b32_e32 v4, v4, v7, vcc
	v_sqrt_f32_e32 v7, v4
	s_nop 0
	v_add_u32_e32 v6, -1, v7
	v_fma_f32 v8, -v6, v7, v4
	v_cmp_ge_f32_e64 s[2:3], 0, v8
	v_add_u32_e32 v8, 1, v7
	s_nop 0
	v_cndmask_b32_e64 v6, v7, v6, s[2:3]
	v_fma_f32 v7, -v8, v7, v4
	v_cmp_lt_f32_e64 s[2:3], 0, v7
	s_nop 1
	v_cndmask_b32_e64 v6, v6, v8, s[2:3]
	v_mul_f32_e32 v8, 0x4f800000, v5
	v_cmp_gt_f32_e64 s[2:3], s14, v5
	v_mul_f32_e32 v7, 0x37800000, v6
	v_cndmask_b32_e32 v6, v6, v7, vcc
	v_cndmask_b32_e64 v8, v5, v8, s[2:3]
	v_sqrt_f32_e32 v5, v8
	v_cmp_class_f32_e32 vcc, v4, v18
	v_add_u32_e32 v7, 1, v5
	s_nop 0
	v_cndmask_b32_e32 v13, v6, v4, vcc
	v_add_u32_e32 v4, -1, v5
	v_fma_f32 v6, -v4, v5, v8
	v_cmp_ge_f32_e32 vcc, 0, v6
	v_fma_f32 v9, -v7, v5, v8
	s_nop 0
	v_cndmask_b32_e32 v6, v5, v4, vcc
	v_mul_f32_e32 v4, 0x3fb8aa3b, v19
	v_mul_f32_e32 v5, 0x3fb8aa3b, v15
	v_exp_f32_e32 v4, v4
	v_exp_f32_e32 v5, v5
	v_cmp_lt_f32_e32 vcc, 0, v9
	v_pk_add_f32 v[4:5], v[4:5], 1.0 op_sel_hi:[1,0]
	s_nop 0
	v_cndmask_b32_e32 v6, v6, v7, vcc
	v_cmp_gt_f32_e32 vcc, s17, v5
	v_mul_f32_e32 v7, 0x37800000, v6
	v_cndmask_b32_e64 v6, v6, v7, s[2:3]
	v_cndmask_b32_e32 v9, 1.0, v16, vcc
	v_mul_f32_e32 v5, v5, v9
	v_log_f32_e32 v5, v5
	v_cmp_class_f32_e64 s[2:3], v8, v18
	v_cmp_lt_f32_e64 s[4:5], |v5|, s15
	s_nop 0
	v_cndmask_b32_e64 v14, v6, v8, s[2:3]
	v_cmp_gt_f32_e64 s[2:3], s17, v4
	v_mul_f32_e32 v6, 0x3f317217, v5
	v_fma_f32 v6, v5, s16, -v6
	v_cndmask_b32_e64 v7, 1.0, v16, s[2:3]
	v_mul_f32_e32 v4, v4, v7
	v_log_f32_e32 v4, v4
	v_fmac_f32_e32 v6, 0x3377d1cf, v5
	v_fmac_f32_e32 v6, 0x3f317217, v5
	v_cndmask_b32_e64 v5, v5, v6, s[4:5]
	v_cndmask_b32_e32 v6, 0, v17, vcc
	v_sub_f32_e32 v5, v5, v6
	v_mul_f32_e32 v6, 0x3f317217, v4
	v_fma_f32 v6, v4, s16, -v6
	v_fmac_f32_e32 v6, 0x3377d1cf, v4
	v_fmac_f32_e32 v6, 0x3f317217, v4
	v_cmp_lt_f32_e64 vcc, |v4|, s15
	s_nop 1
	v_cndmask_b32_e32 v4, v4, v6, vcc
	v_cmp_lt_f32_e32 vcc, s13, v15
	v_cndmask_b32_e64 v6, 0, v17, s[2:3]
	v_sub_f32_e32 v4, v4, v6
	v_cndmask_b32_e32 v5, v5, v15, vcc
	v_mul_f32_e32 v7, 0x4f800000, v5
	v_cmp_gt_f32_e32 vcc, s14, v5
	v_cmp_lt_f32_e64 s[2:3], s13, v19
	s_nop 0
	v_cndmask_b32_e32 v5, v5, v7, vcc
	v_sqrt_f32_e32 v7, v5
	v_cndmask_b32_e64 v4, v4, v19, s[2:3]
	v_add_u32_e32 v6, -1, v7
	v_fma_f32 v8, -v6, v7, v5
	v_cmp_ge_f32_e64 s[2:3], 0, v8
	v_add_u32_e32 v8, 1, v7
	s_nop 0
	v_cndmask_b32_e64 v6, v7, v6, s[2:3]
	v_fma_f32 v7, -v8, v7, v5
	v_cmp_lt_f32_e64 s[2:3], 0, v7
	s_nop 1
	v_cndmask_b32_e64 v6, v6, v8, s[2:3]
	v_mul_f32_e32 v8, 0x4f800000, v4
	v_cmp_gt_f32_e64 s[2:3], s14, v4
	v_mul_f32_e32 v7, 0x37800000, v6
	v_cndmask_b32_e32 v6, v6, v7, vcc
	v_cndmask_b32_e64 v4, v4, v8, s[2:3]
	v_sqrt_f32_e32 v8, v4
	v_mul_f32_e32 v7, 0x3fb8aa3b, v1
	v_exp_f32_e32 v7, v7
	v_cmp_class_f32_e32 vcc, v5, v18
	v_add_f32_e32 v7, 1.0, v7
	s_nop 0
	v_cndmask_b32_e32 v15, v6, v5, vcc
	v_add_u32_e32 v5, -1, v8
	v_fma_f32 v6, -v5, v8, v4
	v_cmp_ge_f32_e32 vcc, 0, v6
	v_add_u32_e32 v6, 1, v8
	s_nop 0
	v_cndmask_b32_e32 v5, v8, v5, vcc
	v_cmp_gt_f32_e32 vcc, s17, v7
	v_fma_f32 v8, -v6, v8, v4
	v_cmp_lt_f32_e64 s[4:5], 0, v8
	v_cndmask_b32_e32 v9, 1.0, v16, vcc
	v_mul_f32_e32 v7, v7, v9
	v_log_f32_e32 v7, v7
	v_cndmask_b32_e64 v5, v5, v6, s[4:5]
	v_mul_f32_e32 v6, 0x37800000, v5
	v_cndmask_b32_e64 v5, v5, v6, s[2:3]
	v_mul_f32_e32 v8, 0x3f317217, v7
	v_fma_f32 v8, v7, s16, -v8
	v_fmac_f32_e32 v8, 0x3377d1cf, v7
	v_fmac_f32_e32 v8, 0x3f317217, v7
	v_cmp_lt_f32_e64 s[4:5], |v7|, s15
	v_cmp_class_f32_e64 s[2:3], v4, v18
	s_nop 0
	v_cndmask_b32_e64 v7, v7, v8, s[4:5]
	v_cndmask_b32_e32 v8, 0, v17, vcc
	v_sub_f32_e32 v7, v7, v8
	v_cmp_lt_f32_e32 vcc, s13, v1
	v_cndmask_b32_e64 v16, v5, v4, s[2:3]
	s_cselect_b64 s[4:5], -1, 0
	v_cndmask_b32_e32 v1, v7, v1, vcc
	v_mul_f32_e32 v7, 0x4f800000, v1
	v_cmp_gt_f32_e32 vcc, s14, v1
	s_cmp_lt_i32 s28, 1
	s_nop 0
	v_cndmask_b32_e32 v1, v1, v7, vcc
	v_sqrt_f32_e32 v7, v1
	s_nop 0
	v_add_u32_e32 v4, -1, v7
	v_fma_f32 v5, -v4, v7, v1
	v_cmp_ge_f32_e64 s[2:3], 0, v5
	v_add_u32_e32 v5, 1, v7
	v_fma_f32 v6, -v5, v7, v1
	v_cndmask_b32_e64 v4, v7, v4, s[2:3]
	v_cmp_lt_f32_e64 s[2:3], 0, v6
	s_nop 1
	v_cndmask_b32_e64 v4, v4, v5, s[2:3]
	v_mul_f32_e32 v5, 0x37800000, v4
	v_cndmask_b32_e32 v4, v4, v5, vcc
	v_cmp_class_f32_e32 vcc, v1, v18
	s_nop 1
	v_cndmask_b32_e32 v17, v4, v1, vcc
	v_lshl_add_u64 v[4:5], v[2:3], 2, s[10:11]
	s_cbranch_scc1 .LBB472_29
; %bb.2:
	s_load_dwordx2 s[6:7], s[0:1], 0x20
	s_cmp_lt_u32 s28, 4
	s_cbranch_scc1 .LBB472_21
; %bb.3:
	s_mov_b32 s9, 0
	s_and_b32 s12, s28, 0x7ffffffc
	v_ashrrev_i32_e32 v1, 31, v0
	v_mov_b32_e32 v3, 0
	s_mov_b32 s8, s9
	s_branch .LBB472_5
.LBB472_4:                              ;   in Loop: Header=BB472_5 Depth=1
	s_or_b64 exec, exec, s[10:11]
	s_add_i32 s8, s8, 4
	s_cmp_eq_u32 s8, s12
	s_cbranch_scc1 .LBB472_22
.LBB472_5:                              ; =>This Loop Header: Depth=1
                                        ;     Child Loop BB472_7 Depth 2
                                        ;     Child Loop BB472_11 Depth 2
                                        ;     Child Loop BB472_15 Depth 2
                                        ;     Child Loop BB472_19 Depth 2
	v_lshl_add_u64 v[6:7], s[8:9], 2, v[4:5]
	global_load_dword v2, v[6:7], off
	v_add_u32_e32 v8, s8, v0
	v_ashrrev_i32_e32 v9, 31, v8
	s_waitcnt lgkmcnt(0)
	v_lshl_add_u64 v[8:9], v[8:9], 2, s[6:7]
	s_mov_b64 s[10:11], 0
	v_mov_b32_e32 v18, v10
	s_mov_b64 s[14:15], 0
	s_waitcnt vmcnt(0)
	s_branch .LBB472_7
.LBB472_6:                              ;   in Loop: Header=BB472_7 Depth=2
	s_or_b64 exec, exec, s[16:17]
	s_cmp_gt_u32 s14, 5
	s_cselect_b64 s[2:3], -1, 0
	s_xor_b64 s[16:17], vcc, -1
	s_or_b64 s[2:3], s[16:17], s[2:3]
	s_add_u32 s14, s14, 1
	s_addc_u32 s15, s15, 0
	s_and_b64 s[2:3], exec, s[2:3]
	s_or_b64 s[10:11], s[2:3], s[10:11]
	v_add_u32_e32 v18, 64, v18
	s_andn2_b64 exec, exec, s[10:11]
	s_cbranch_execz .LBB472_9
.LBB472_7:                              ;   Parent Loop BB472_5 Depth=1
                                        ; =>  This Inner Loop Header: Depth=2
	v_cmp_ne_u32_e32 vcc, v2, v18
	v_cmp_eq_u32_e64 s[2:3], v2, v18
	s_and_saveexec_b64 s[16:17], s[2:3]
	s_cbranch_execz .LBB472_6
; %bb.8:                                ;   in Loop: Header=BB472_7 Depth=2
	s_cmp_eq_u32 s14, 1
	s_cselect_b64 s[2:3], -1, 0
	s_cmp_eq_u32 s14, 2
	v_cndmask_b32_e64 v19, v12, v11, s[2:3]
	s_cselect_b64 s[2:3], -1, 0
	s_cmp_eq_u32 s14, 3
	v_cndmask_b32_e64 v19, v19, v14, s[2:3]
	;; [unrolled: 3-line block ×5, first 2 shown]
	s_cselect_b64 s[2:3], -1, 0
	v_cndmask_b32_e64 v19, v19, v17, s[2:3]
	v_add_f32_e32 v3, v3, v19
	global_store_dword v[8:9], v2, off
	s_branch .LBB472_6
.LBB472_9:                              ;   in Loop: Header=BB472_5 Depth=1
	s_or_b64 exec, exec, s[10:11]
	global_load_dword v2, v[6:7], off offset:4
	s_ashr_i32 s3, s8, 31
	s_mov_b32 s2, s8
	v_lshl_add_u64 v[8:9], s[2:3], 0, v[0:1]
	v_lshl_add_u64 v[8:9], v[8:9], 2, s[6:7]
	s_mov_b64 s[10:11], 0
	v_mov_b32_e32 v18, v10
	s_mov_b64 s[14:15], 0
	s_waitcnt vmcnt(0)
	s_branch .LBB472_11
.LBB472_10:                             ;   in Loop: Header=BB472_11 Depth=2
	s_or_b64 exec, exec, s[16:17]
	s_cmp_gt_u32 s14, 5
	s_cselect_b64 s[2:3], -1, 0
	s_xor_b64 s[16:17], vcc, -1
	s_or_b64 s[2:3], s[16:17], s[2:3]
	s_add_u32 s14, s14, 1
	s_addc_u32 s15, s15, 0
	s_and_b64 s[2:3], exec, s[2:3]
	s_or_b64 s[10:11], s[2:3], s[10:11]
	v_add_u32_e32 v18, 64, v18
	s_andn2_b64 exec, exec, s[10:11]
	s_cbranch_execz .LBB472_13
.LBB472_11:                             ;   Parent Loop BB472_5 Depth=1
                                        ; =>  This Inner Loop Header: Depth=2
	v_cmp_ne_u32_e32 vcc, v2, v18
	v_cmp_eq_u32_e64 s[2:3], v2, v18
	s_and_saveexec_b64 s[16:17], s[2:3]
	s_cbranch_execz .LBB472_10
; %bb.12:                               ;   in Loop: Header=BB472_11 Depth=2
	s_cmp_eq_u32 s14, 1
	s_cselect_b64 s[2:3], -1, 0
	s_cmp_eq_u32 s14, 2
	v_cndmask_b32_e64 v19, v12, v11, s[2:3]
	s_cselect_b64 s[2:3], -1, 0
	s_cmp_eq_u32 s14, 3
	v_cndmask_b32_e64 v19, v19, v14, s[2:3]
	;; [unrolled: 3-line block ×5, first 2 shown]
	s_cselect_b64 s[2:3], -1, 0
	v_cndmask_b32_e64 v19, v19, v17, s[2:3]
	v_add_f32_e32 v3, v3, v19
	global_store_dword v[8:9], v2, off offset:4
	s_branch .LBB472_10
.LBB472_13:                             ;   in Loop: Header=BB472_5 Depth=1
	s_or_b64 exec, exec, s[10:11]
	global_load_dword v2, v[6:7], off offset:8
	s_mov_b64 s[10:11], 0
	v_mov_b32_e32 v18, v10
	s_mov_b64 s[14:15], 0
	s_waitcnt vmcnt(0)
	s_branch .LBB472_15
.LBB472_14:                             ;   in Loop: Header=BB472_15 Depth=2
	s_or_b64 exec, exec, s[16:17]
	s_cmp_gt_u32 s14, 5
	s_cselect_b64 s[2:3], -1, 0
	s_xor_b64 s[16:17], vcc, -1
	s_or_b64 s[2:3], s[16:17], s[2:3]
	s_add_u32 s14, s14, 1
	s_addc_u32 s15, s15, 0
	s_and_b64 s[2:3], exec, s[2:3]
	s_or_b64 s[10:11], s[2:3], s[10:11]
	v_add_u32_e32 v18, 64, v18
	s_andn2_b64 exec, exec, s[10:11]
	s_cbranch_execz .LBB472_17
.LBB472_15:                             ;   Parent Loop BB472_5 Depth=1
                                        ; =>  This Inner Loop Header: Depth=2
	v_cmp_ne_u32_e32 vcc, v2, v18
	v_cmp_eq_u32_e64 s[2:3], v2, v18
	s_and_saveexec_b64 s[16:17], s[2:3]
	s_cbranch_execz .LBB472_14
; %bb.16:                               ;   in Loop: Header=BB472_15 Depth=2
	s_cmp_eq_u32 s14, 1
	s_cselect_b64 s[2:3], -1, 0
	s_cmp_eq_u32 s14, 2
	v_cndmask_b32_e64 v19, v12, v11, s[2:3]
	s_cselect_b64 s[2:3], -1, 0
	s_cmp_eq_u32 s14, 3
	v_cndmask_b32_e64 v19, v19, v14, s[2:3]
	;; [unrolled: 3-line block ×5, first 2 shown]
	s_cselect_b64 s[2:3], -1, 0
	v_cndmask_b32_e64 v19, v19, v17, s[2:3]
	v_add_f32_e32 v3, v3, v19
	global_store_dword v[8:9], v2, off offset:8
	s_branch .LBB472_14
.LBB472_17:                             ;   in Loop: Header=BB472_5 Depth=1
	s_or_b64 exec, exec, s[10:11]
	global_load_dword v2, v[6:7], off offset:12
	s_mov_b64 s[10:11], 0
	v_mov_b32_e32 v6, v10
	s_mov_b64 s[14:15], 0
	s_waitcnt vmcnt(0)
	s_branch .LBB472_19
.LBB472_18:                             ;   in Loop: Header=BB472_19 Depth=2
	s_or_b64 exec, exec, s[16:17]
	s_cmp_gt_u32 s14, 5
	s_cselect_b64 s[2:3], -1, 0
	s_xor_b64 s[16:17], vcc, -1
	s_or_b64 s[2:3], s[16:17], s[2:3]
	s_add_u32 s14, s14, 1
	s_addc_u32 s15, s15, 0
	s_and_b64 s[2:3], exec, s[2:3]
	s_or_b64 s[10:11], s[2:3], s[10:11]
	v_add_u32_e32 v6, 64, v6
	s_andn2_b64 exec, exec, s[10:11]
	s_cbranch_execz .LBB472_4
.LBB472_19:                             ;   Parent Loop BB472_5 Depth=1
                                        ; =>  This Inner Loop Header: Depth=2
	v_cmp_ne_u32_e32 vcc, v2, v6
	v_cmp_eq_u32_e64 s[2:3], v2, v6
	s_and_saveexec_b64 s[16:17], s[2:3]
	s_cbranch_execz .LBB472_18
; %bb.20:                               ;   in Loop: Header=BB472_19 Depth=2
	s_cmp_eq_u32 s14, 1
	s_cselect_b64 s[2:3], -1, 0
	s_cmp_eq_u32 s14, 2
	v_cndmask_b32_e64 v7, v12, v11, s[2:3]
	s_cselect_b64 s[2:3], -1, 0
	s_cmp_eq_u32 s14, 3
	v_cndmask_b32_e64 v7, v7, v14, s[2:3]
	;; [unrolled: 3-line block ×5, first 2 shown]
	s_cselect_b64 s[2:3], -1, 0
	v_cndmask_b32_e64 v7, v7, v17, s[2:3]
	v_add_f32_e32 v3, v3, v7
	global_store_dword v[8:9], v2, off offset:12
	s_branch .LBB472_18
.LBB472_21:
	v_mov_b32_e32 v3, 0
.LBB472_22:
	s_and_b32 s16, s28, 3
	s_cmp_eq_u32 s16, 0
	s_mov_b32 s13, 0
	s_cbranch_scc1 .LBB472_29
; %bb.23:
	s_mov_b32 s17, s13
	s_branch .LBB472_25
.LBB472_24:                             ;   in Loop: Header=BB472_25 Depth=1
	s_or_b64 exec, exec, s[8:9]
	s_add_i32 s12, s12, 1
	s_add_i32 s17, s17, 1
	s_cmp_lg_u32 s17, s16
	s_cbranch_scc0 .LBB472_29
.LBB472_25:                             ; =>This Loop Header: Depth=1
                                        ;     Child Loop BB472_27 Depth 2
	v_lshl_add_u64 v[6:7], s[12:13], 2, v[4:5]
	global_load_dword v1, v[6:7], off
	v_add_u32_e32 v6, s12, v0
	v_ashrrev_i32_e32 v7, 31, v6
	s_waitcnt lgkmcnt(0)
	v_lshl_add_u64 v[6:7], v[6:7], 2, s[6:7]
	s_mov_b64 s[8:9], 0
	v_mov_b32_e32 v2, v10
	s_mov_b64 s[10:11], 0
	s_waitcnt vmcnt(0)
	s_branch .LBB472_27
.LBB472_26:                             ;   in Loop: Header=BB472_27 Depth=2
	s_or_b64 exec, exec, s[14:15]
	s_cmp_gt_u32 s10, 5
	s_cselect_b64 s[2:3], -1, 0
	s_xor_b64 s[14:15], vcc, -1
	s_or_b64 s[2:3], s[14:15], s[2:3]
	s_add_u32 s10, s10, 1
	s_addc_u32 s11, s11, 0
	s_and_b64 s[2:3], exec, s[2:3]
	s_or_b64 s[8:9], s[2:3], s[8:9]
	v_add_u32_e32 v2, 64, v2
	s_andn2_b64 exec, exec, s[8:9]
	s_cbranch_execz .LBB472_24
.LBB472_27:                             ;   Parent Loop BB472_25 Depth=1
                                        ; =>  This Inner Loop Header: Depth=2
	v_cmp_ne_u32_e32 vcc, v1, v2
	v_cmp_eq_u32_e64 s[2:3], v1, v2
	s_and_saveexec_b64 s[14:15], s[2:3]
	s_cbranch_execz .LBB472_26
; %bb.28:                               ;   in Loop: Header=BB472_27 Depth=2
	s_cmp_eq_u32 s10, 1
	s_cselect_b64 s[2:3], -1, 0
	s_cmp_eq_u32 s10, 2
	v_cndmask_b32_e64 v8, v12, v11, s[2:3]
	s_cselect_b64 s[2:3], -1, 0
	s_cmp_eq_u32 s10, 3
	v_cndmask_b32_e64 v8, v8, v14, s[2:3]
	;; [unrolled: 3-line block ×5, first 2 shown]
	s_cselect_b64 s[2:3], -1, 0
	v_cndmask_b32_e64 v8, v8, v17, s[2:3]
	v_add_f32_e32 v3, v3, v8
	global_store_dword v[6:7], v1, off
	s_branch .LBB472_26
.LBB472_29:
	s_waitcnt lgkmcnt(0)
	s_load_dword s6, s[0:1], 0x3c
	s_waitcnt lgkmcnt(0)
	s_bitcmp1_b32 s6, 0
	s_cselect_b64 s[2:3], -1, 0
	s_bitcmp0_b32 s6, 0
	s_cbranch_scc0 .LBB472_33
; %bb.30:
	s_load_dwordx2 s[6:7], s[0:1], 0x40
	s_andn2_b64 vcc, exec, s[2:3]
	s_waitcnt lgkmcnt(0)
	v_cvt_f32_f64_e32 v18, s[6:7]
	s_cbranch_vccz .LBB472_34
.LBB472_31:
	s_andn2_b64 vcc, exec, s[4:5]
	s_cbranch_vccz .LBB472_35
.LBB472_32:
	s_endpgm
.LBB472_33:
	v_mbcnt_lo_u32_b32 v1, -1, 0
	v_mbcnt_hi_u32_b32 v1, -1, v1
	v_and_b32_e32 v2, 64, v1
	v_add_u32_e32 v2, 64, v2
	v_xor_b32_e32 v6, 32, v1
	v_cmp_lt_i32_e32 vcc, v6, v2
	v_xor_b32_e32 v7, 16, v1
	s_nop 0
	v_cndmask_b32_e32 v6, v1, v6, vcc
	v_lshlrev_b32_e32 v6, 2, v6
	ds_bpermute_b32 v6, v6, v3
	v_cmp_lt_i32_e32 vcc, v7, v2
	s_waitcnt lgkmcnt(0)
	v_add_f32_e32 v3, v3, v6
	v_cndmask_b32_e32 v6, v1, v7, vcc
	v_lshlrev_b32_e32 v6, 2, v6
	ds_bpermute_b32 v6, v6, v3
	v_xor_b32_e32 v7, 8, v1
	v_cmp_lt_i32_e32 vcc, v7, v2
	s_waitcnt lgkmcnt(0)
	v_add_f32_e32 v3, v3, v6
	v_cndmask_b32_e32 v6, v1, v7, vcc
	v_lshlrev_b32_e32 v6, 2, v6
	ds_bpermute_b32 v6, v6, v3
	v_xor_b32_e32 v7, 4, v1
	;; [unrolled: 7-line block ×4, first 2 shown]
	v_cmp_lt_i32_e32 vcc, v7, v2
	s_waitcnt lgkmcnt(0)
	v_add_f32_e32 v3, v3, v6
	v_cndmask_b32_e32 v1, v1, v7, vcc
	v_lshlrev_b32_e32 v1, 2, v1
	ds_bpermute_b32 v1, v1, v3
	s_waitcnt lgkmcnt(0)
	v_add_f32_e32 v3, v3, v1
	s_load_dwordx2 s[6:7], s[0:1], 0x40
	s_andn2_b64 vcc, exec, s[2:3]
	s_waitcnt lgkmcnt(0)
	v_cvt_f32_f64_e32 v18, s[6:7]
	s_cbranch_vccnz .LBB472_31
.LBB472_34:
	v_cmp_lt_f32_e32 vcc, 0, v3
	s_nop 1
	v_cndmask_b32_e32 v1, 1.0, v3, vcc
	v_div_scale_f32 v2, s[2:3], v1, v1, v18
	v_rcp_f32_e32 v3, v2
	s_nop 0
	v_fma_f32 v6, -v2, v3, 1.0
	v_fmac_f32_e32 v3, v6, v3
	v_div_scale_f32 v6, vcc, v18, v1, v18
	v_mul_f32_e32 v7, v6, v3
	v_fma_f32 v8, -v2, v7, v6
	v_fmac_f32_e32 v7, v8, v3
	v_fma_f32 v2, -v2, v7, v6
	v_div_fmas_f32 v2, v2, v3, v7
	v_div_fixup_f32 v18, v2, v1, v18
	s_andn2_b64 vcc, exec, s[4:5]
	s_cbranch_vccnz .LBB472_32
.LBB472_35:
	s_load_dwordx2 s[10:11], s[0:1], 0x10
	v_or_b32_e32 v24, 64, v10
	v_or_b32_e32 v23, 0x80, v10
	;; [unrolled: 1-line block ×6, first 2 shown]
	s_cmp_eq_u32 s28, 1
	s_mov_b32 s12, 0
	s_cbranch_scc1 .LBB472_66
; %bb.36:
	v_ashrrev_i32_e32 v1, 31, v0
	s_waitcnt lgkmcnt(0)
	v_lshl_add_u64 v[2:3], v[0:1], 2, s[10:11]
	s_and_b32 s12, s28, 0x7ffffffe
	v_lshl_add_u64 v[2:3], v[2:3], 0, 4
	v_lshl_add_u64 v[6:7], v[4:5], 0, 4
	s_mov_b32 s13, 0
	s_branch .LBB472_38
.LBB472_37:                             ;   in Loop: Header=BB472_38 Depth=1
	s_or_b64 exec, exec, s[0:1]
	s_add_i32 s13, s13, 2
	v_lshl_add_u64 v[2:3], v[2:3], 0, 8
	s_cmp_lg_u32 s12, s13
	v_lshl_add_u64 v[6:7], v[6:7], 0, 8
	s_cbranch_scc0 .LBB472_66
.LBB472_38:                             ; =>This Inner Loop Header: Depth=1
	global_load_dword v1, v[6:7], off offset:-4
	v_mov_b64_e32 v[8:9], 0
	s_waitcnt vmcnt(0)
	v_cmp_eq_u32_e32 vcc, v1, v10
	v_cmp_ne_u32_e64 s[0:1], v1, v10
	s_and_saveexec_b64 s[14:15], s[0:1]
	s_cbranch_execz .LBB472_50
; %bb.39:                               ;   in Loop: Header=BB472_38 Depth=1
	v_cmp_eq_u32_e64 s[0:1], v1, v24
	v_cmp_ne_u32_e64 s[2:3], v1, v24
	v_mov_b64_e32 v[8:9], 1
	s_and_saveexec_b64 s[16:17], s[2:3]
	s_cbranch_execz .LBB472_49
; %bb.40:                               ;   in Loop: Header=BB472_38 Depth=1
	v_cmp_eq_u32_e64 s[2:3], v1, v23
	v_cmp_ne_u32_e64 s[4:5], v1, v23
	v_mov_b64_e32 v[8:9], 2
	;; [unrolled: 6-line block ×5, first 2 shown]
	s_and_saveexec_b64 s[26:27], s[8:9]
	s_xor_b64 s[26:27], exec, s[26:27]
; %bb.44:                               ;   in Loop: Header=BB472_38 Depth=1
	v_cmp_eq_u32_e64 s[8:9], v1, v19
	s_andn2_b64 s[24:25], s[24:25], exec
	s_and_b64 s[8:9], s[8:9], exec
	v_mov_b64_e32 v[8:9], 6
	s_or_b64 s[24:25], s[24:25], s[8:9]
; %bb.45:                               ;   in Loop: Header=BB472_38 Depth=1
	s_or_b64 exec, exec, s[26:27]
	s_andn2_b64 s[6:7], s[6:7], exec
	s_and_b64 s[8:9], s[24:25], exec
	s_or_b64 s[6:7], s[6:7], s[8:9]
.LBB472_46:                             ;   in Loop: Header=BB472_38 Depth=1
	s_or_b64 exec, exec, s[22:23]
	s_andn2_b64 s[4:5], s[4:5], exec
	s_and_b64 s[6:7], s[6:7], exec
	s_or_b64 s[4:5], s[4:5], s[6:7]
.LBB472_47:                             ;   in Loop: Header=BB472_38 Depth=1
	s_or_b64 exec, exec, s[20:21]
	s_andn2_b64 s[2:3], s[2:3], exec
	s_and_b64 s[4:5], s[4:5], exec
	s_or_b64 s[2:3], s[2:3], s[4:5]
.LBB472_48:                             ;   in Loop: Header=BB472_38 Depth=1
	s_or_b64 exec, exec, s[18:19]
	s_andn2_b64 s[0:1], s[0:1], exec
	s_and_b64 s[2:3], s[2:3], exec
	s_or_b64 s[0:1], s[0:1], s[2:3]
.LBB472_49:                             ;   in Loop: Header=BB472_38 Depth=1
	s_or_b64 exec, exec, s[16:17]
	s_andn2_b64 s[2:3], vcc, exec
	s_and_b64 s[0:1], s[0:1], exec
	s_or_b64 vcc, s[2:3], s[0:1]
.LBB472_50:                             ;   in Loop: Header=BB472_38 Depth=1
	s_or_b64 exec, exec, s[14:15]
	s_and_saveexec_b64 s[0:1], vcc
	s_cbranch_execz .LBB472_52
; %bb.51:                               ;   in Loop: Header=BB472_38 Depth=1
	v_cmp_eq_u32_e32 vcc, 1, v8
	v_add_u32_e32 v26, s13, v0
	v_ashrrev_i32_e32 v27, 31, v26
	v_cndmask_b32_e32 v1, v12, v11, vcc
	v_cmp_eq_u32_e32 vcc, 2, v8
	s_nop 1
	v_cndmask_b32_e32 v1, v1, v14, vcc
	v_cmp_eq_u32_e32 vcc, 3, v8
	s_nop 1
	;; [unrolled: 3-line block ×4, first 2 shown]
	v_cndmask_b32_e32 v1, v1, v15, vcc
	v_cmp_eq_u32_e32 vcc, 6, v8
	v_lshl_add_u64 v[8:9], v[26:27], 2, s[10:11]
	s_nop 0
	v_cndmask_b32_e32 v1, v1, v17, vcc
	v_mul_f32_e32 v1, v18, v1
	global_store_dword v[8:9], v1, off
.LBB472_52:                             ;   in Loop: Header=BB472_38 Depth=1
	s_or_b64 exec, exec, s[0:1]
	global_load_dword v1, v[6:7], off
	v_mov_b64_e32 v[8:9], 0
	s_waitcnt vmcnt(0)
	v_cmp_eq_u32_e64 s[6:7], v1, v10
	v_cmp_ne_u32_e32 vcc, v1, v10
	s_and_saveexec_b64 s[8:9], vcc
	s_cbranch_execz .LBB472_64
; %bb.53:                               ;   in Loop: Header=BB472_38 Depth=1
	v_cmp_eq_u32_e32 vcc, v1, v24
	v_cmp_ne_u32_e64 s[0:1], v1, v24
	v_mov_b64_e32 v[8:9], 1
	s_and_saveexec_b64 s[14:15], s[0:1]
	s_cbranch_execz .LBB472_63
; %bb.54:                               ;   in Loop: Header=BB472_38 Depth=1
	v_cmp_eq_u32_e64 s[0:1], v1, v23
	v_cmp_ne_u32_e64 s[2:3], v1, v23
	v_mov_b64_e32 v[8:9], 2
	s_and_saveexec_b64 s[16:17], s[2:3]
	s_cbranch_execz .LBB472_62
; %bb.55:                               ;   in Loop: Header=BB472_38 Depth=1
	v_cmp_eq_u32_e64 s[2:3], v1, v22
	;; [unrolled: 6-line block ×4, first 2 shown]
	v_cmp_ne_u32_e64 s[4:5], v1, v20
	v_mov_b64_e32 v[8:9], 5
	s_and_saveexec_b64 s[26:27], s[4:5]
; %bb.58:                               ;   in Loop: Header=BB472_38 Depth=1
	v_cmp_eq_u32_e64 s[4:5], v1, v19
	s_andn2_b64 s[24:25], s[24:25], exec
	s_and_b64 s[4:5], s[4:5], exec
	v_mov_b64_e32 v[8:9], 6
	s_or_b64 s[24:25], s[24:25], s[4:5]
; %bb.59:                               ;   in Loop: Header=BB472_38 Depth=1
	s_or_b64 exec, exec, s[26:27]
	s_andn2_b64 s[4:5], s[20:21], exec
	s_and_b64 s[20:21], s[24:25], exec
	s_or_b64 s[20:21], s[4:5], s[20:21]
.LBB472_60:                             ;   in Loop: Header=BB472_38 Depth=1
	s_or_b64 exec, exec, s[22:23]
	s_andn2_b64 s[2:3], s[2:3], exec
	s_and_b64 s[4:5], s[20:21], exec
	s_or_b64 s[2:3], s[2:3], s[4:5]
.LBB472_61:                             ;   in Loop: Header=BB472_38 Depth=1
	s_or_b64 exec, exec, s[18:19]
	s_andn2_b64 s[0:1], s[0:1], exec
	s_and_b64 s[2:3], s[2:3], exec
	s_or_b64 s[0:1], s[0:1], s[2:3]
.LBB472_62:                             ;   in Loop: Header=BB472_38 Depth=1
	s_or_b64 exec, exec, s[16:17]
	s_andn2_b64 s[2:3], vcc, exec
	s_and_b64 s[0:1], s[0:1], exec
	s_or_b64 vcc, s[2:3], s[0:1]
.LBB472_63:                             ;   in Loop: Header=BB472_38 Depth=1
	s_or_b64 exec, exec, s[14:15]
	s_andn2_b64 s[0:1], s[6:7], exec
	s_and_b64 s[2:3], vcc, exec
	s_or_b64 s[6:7], s[0:1], s[2:3]
.LBB472_64:                             ;   in Loop: Header=BB472_38 Depth=1
	s_or_b64 exec, exec, s[8:9]
	s_and_saveexec_b64 s[0:1], s[6:7]
	s_cbranch_execz .LBB472_37
; %bb.65:                               ;   in Loop: Header=BB472_38 Depth=1
	v_cmp_eq_u32_e32 vcc, 1, v8
	s_nop 1
	v_cndmask_b32_e32 v1, v12, v11, vcc
	v_cmp_eq_u32_e32 vcc, 2, v8
	s_nop 1
	v_cndmask_b32_e32 v1, v1, v14, vcc
	;; [unrolled: 3-line block ×6, first 2 shown]
	v_mul_f32_e32 v1, v18, v1
	global_store_dword v[2:3], v1, off
	s_branch .LBB472_37
.LBB472_66:
	s_bitcmp0_b32 s28, 0
	s_mov_b32 s13, 0
	s_cbranch_scc1 .LBB472_32
; %bb.67:
	v_lshl_add_u64 v[2:3], s[12:13], 2, v[4:5]
	global_load_dword v1, v[2:3], off
	v_mov_b64_e32 v[2:3], 0
	s_waitcnt vmcnt(0)
	v_cmp_eq_u32_e64 s[6:7], v1, v10
	v_cmp_ne_u32_e32 vcc, v1, v10
	s_and_saveexec_b64 s[8:9], vcc
	s_cbranch_execz .LBB472_79
; %bb.68:
	v_cmp_eq_u32_e32 vcc, v1, v24
	v_cmp_ne_u32_e64 s[0:1], v1, v24
	v_mov_b64_e32 v[2:3], 1
	s_and_saveexec_b64 s[14:15], s[0:1]
	s_cbranch_execz .LBB472_78
; %bb.69:
	v_cmp_eq_u32_e64 s[0:1], v1, v23
	v_cmp_ne_u32_e64 s[2:3], v1, v23
	v_mov_b64_e32 v[2:3], 2
	s_and_saveexec_b64 s[16:17], s[2:3]
	s_cbranch_execz .LBB472_77
; %bb.70:
	v_cmp_eq_u32_e64 s[2:3], v1, v22
	;; [unrolled: 6-line block ×4, first 2 shown]
	v_cmp_ne_u32_e64 s[4:5], v1, v20
	v_mov_b64_e32 v[2:3], 5
	s_and_saveexec_b64 s[26:27], s[4:5]
; %bb.73:
	v_cmp_eq_u32_e64 s[4:5], v1, v19
	s_andn2_b64 s[24:25], s[24:25], exec
	s_and_b64 s[4:5], s[4:5], exec
	v_mov_b64_e32 v[2:3], 6
	s_or_b64 s[24:25], s[24:25], s[4:5]
; %bb.74:
	s_or_b64 exec, exec, s[26:27]
	s_andn2_b64 s[4:5], s[20:21], exec
	s_and_b64 s[20:21], s[24:25], exec
	s_or_b64 s[20:21], s[4:5], s[20:21]
.LBB472_75:
	s_or_b64 exec, exec, s[22:23]
	s_andn2_b64 s[2:3], s[2:3], exec
	s_and_b64 s[4:5], s[20:21], exec
	s_or_b64 s[2:3], s[2:3], s[4:5]
.LBB472_76:
	s_or_b64 exec, exec, s[18:19]
	s_andn2_b64 s[0:1], s[0:1], exec
	s_and_b64 s[2:3], s[2:3], exec
	s_or_b64 s[0:1], s[0:1], s[2:3]
.LBB472_77:
	s_or_b64 exec, exec, s[16:17]
	s_andn2_b64 s[2:3], vcc, exec
	s_and_b64 s[0:1], s[0:1], exec
	s_or_b64 vcc, s[2:3], s[0:1]
.LBB472_78:
	s_or_b64 exec, exec, s[14:15]
	s_andn2_b64 s[0:1], s[6:7], exec
	s_and_b64 s[2:3], vcc, exec
	s_or_b64 s[6:7], s[0:1], s[2:3]
.LBB472_79:
	s_or_b64 exec, exec, s[8:9]
	s_and_b64 exec, exec, s[6:7]
	s_cbranch_execz .LBB472_32
; %bb.80:
	v_cmp_eq_u32_e32 vcc, 1, v2
	v_add_u32_e32 v0, s12, v0
	s_nop 0
	v_cndmask_b32_e32 v1, v12, v11, vcc
	v_cmp_eq_u32_e32 vcc, 2, v2
	s_nop 1
	v_cndmask_b32_e32 v1, v1, v14, vcc
	v_cmp_eq_u32_e32 vcc, 3, v2
	;; [unrolled: 3-line block ×5, first 2 shown]
	s_nop 1
	v_cndmask_b32_e32 v1, v1, v17, vcc
	v_mul_f32_e32 v2, v18, v1
	v_ashrrev_i32_e32 v1, 31, v0
	s_waitcnt lgkmcnt(0)
	v_lshl_add_u64 v[0:1], v[0:1], 2, s[10:11]
	global_store_dword v[0:1], v2, off
	s_endpgm
	.section	.rodata,"a",@progbits
	.p2align	6, 0x0
	.amdhsa_kernel _ZN4vllm3moe22topkGatingSoftplusSqrtILi7ELi448ELi4ELi2ELi64ELb1Ej14__hip_bfloat16EEvPKT6_PKbPfiPT5_PiiiibdPKfPKS9_SF_
		.amdhsa_group_segment_fixed_size 0
		.amdhsa_private_segment_fixed_size 0
		.amdhsa_kernarg_size 96
		.amdhsa_user_sgpr_count 2
		.amdhsa_user_sgpr_dispatch_ptr 0
		.amdhsa_user_sgpr_queue_ptr 0
		.amdhsa_user_sgpr_kernarg_segment_ptr 1
		.amdhsa_user_sgpr_dispatch_id 0
		.amdhsa_user_sgpr_kernarg_preload_length 0
		.amdhsa_user_sgpr_kernarg_preload_offset 0
		.amdhsa_user_sgpr_private_segment_size 0
		.amdhsa_uses_dynamic_stack 0
		.amdhsa_enable_private_segment 0
		.amdhsa_system_sgpr_workgroup_id_x 1
		.amdhsa_system_sgpr_workgroup_id_y 0
		.amdhsa_system_sgpr_workgroup_id_z 0
		.amdhsa_system_sgpr_workgroup_info 0
		.amdhsa_system_vgpr_workitem_id 1
		.amdhsa_next_free_vgpr 28
		.amdhsa_next_free_sgpr 29
		.amdhsa_accum_offset 28
		.amdhsa_reserve_vcc 1
		.amdhsa_float_round_mode_32 0
		.amdhsa_float_round_mode_16_64 0
		.amdhsa_float_denorm_mode_32 3
		.amdhsa_float_denorm_mode_16_64 3
		.amdhsa_dx10_clamp 1
		.amdhsa_ieee_mode 1
		.amdhsa_fp16_overflow 0
		.amdhsa_tg_split 0
		.amdhsa_exception_fp_ieee_invalid_op 0
		.amdhsa_exception_fp_denorm_src 0
		.amdhsa_exception_fp_ieee_div_zero 0
		.amdhsa_exception_fp_ieee_overflow 0
		.amdhsa_exception_fp_ieee_underflow 0
		.amdhsa_exception_fp_ieee_inexact 0
		.amdhsa_exception_int_div_zero 0
	.end_amdhsa_kernel
	.section	.text._ZN4vllm3moe22topkGatingSoftplusSqrtILi7ELi448ELi4ELi2ELi64ELb1Ej14__hip_bfloat16EEvPKT6_PKbPfiPT5_PiiiibdPKfPKS9_SF_,"axG",@progbits,_ZN4vllm3moe22topkGatingSoftplusSqrtILi7ELi448ELi4ELi2ELi64ELb1Ej14__hip_bfloat16EEvPKT6_PKbPfiPT5_PiiiibdPKfPKS9_SF_,comdat
.Lfunc_end472:
	.size	_ZN4vllm3moe22topkGatingSoftplusSqrtILi7ELi448ELi4ELi2ELi64ELb1Ej14__hip_bfloat16EEvPKT6_PKbPfiPT5_PiiiibdPKfPKS9_SF_, .Lfunc_end472-_ZN4vllm3moe22topkGatingSoftplusSqrtILi7ELi448ELi4ELi2ELi64ELb1Ej14__hip_bfloat16EEvPKT6_PKbPfiPT5_PiiiibdPKfPKS9_SF_
                                        ; -- End function
	.section	.AMDGPU.csdata,"",@progbits
; Kernel info:
; codeLenInByte = 4840
; NumSgprs: 35
; NumVgprs: 28
; NumAgprs: 0
; TotalNumVgprs: 28
; ScratchSize: 0
; MemoryBound: 0
; FloatMode: 240
; IeeeMode: 1
; LDSByteSize: 0 bytes/workgroup (compile time only)
; SGPRBlocks: 4
; VGPRBlocks: 3
; NumSGPRsForWavesPerEU: 35
; NumVGPRsForWavesPerEU: 28
; AccumOffset: 28
; Occupancy: 8
; WaveLimiterHint : 1
; COMPUTE_PGM_RSRC2:SCRATCH_EN: 0
; COMPUTE_PGM_RSRC2:USER_SGPR: 2
; COMPUTE_PGM_RSRC2:TRAP_HANDLER: 0
; COMPUTE_PGM_RSRC2:TGID_X_EN: 1
; COMPUTE_PGM_RSRC2:TGID_Y_EN: 0
; COMPUTE_PGM_RSRC2:TGID_Z_EN: 0
; COMPUTE_PGM_RSRC2:TIDIG_COMP_CNT: 1
; COMPUTE_PGM_RSRC3_GFX90A:ACCUM_OFFSET: 6
; COMPUTE_PGM_RSRC3_GFX90A:TG_SPLIT: 0
	.section	.text._ZN4vllm3moe22topkGatingSoftplusSqrtILi7ELi448ELi4ELi2ELi64ELb0Ej14__hip_bfloat16EEvPKT6_PKbPfiPT5_PiiiibdPKfPKS9_SF_,"axG",@progbits,_ZN4vllm3moe22topkGatingSoftplusSqrtILi7ELi448ELi4ELi2ELi64ELb0Ej14__hip_bfloat16EEvPKT6_PKbPfiPT5_PiiiibdPKfPKS9_SF_,comdat
	.protected	_ZN4vllm3moe22topkGatingSoftplusSqrtILi7ELi448ELi4ELi2ELi64ELb0Ej14__hip_bfloat16EEvPKT6_PKbPfiPT5_PiiiibdPKfPKS9_SF_ ; -- Begin function _ZN4vllm3moe22topkGatingSoftplusSqrtILi7ELi448ELi4ELi2ELi64ELb0Ej14__hip_bfloat16EEvPKT6_PKbPfiPT5_PiiiibdPKfPKS9_SF_
	.globl	_ZN4vllm3moe22topkGatingSoftplusSqrtILi7ELi448ELi4ELi2ELi64ELb0Ej14__hip_bfloat16EEvPKT6_PKbPfiPT5_PiiiibdPKfPKS9_SF_
	.p2align	8
	.type	_ZN4vllm3moe22topkGatingSoftplusSqrtILi7ELi448ELi4ELi2ELi64ELb0Ej14__hip_bfloat16EEvPKT6_PKbPfiPT5_PiiiibdPKfPKS9_SF_,@function
_ZN4vllm3moe22topkGatingSoftplusSqrtILi7ELi448ELi4ELi2ELi64ELb0Ej14__hip_bfloat16EEvPKT6_PKbPfiPT5_PiiiibdPKfPKS9_SF_: ; @_ZN4vllm3moe22topkGatingSoftplusSqrtILi7ELi448ELi4ELi2ELi64ELb0Ej14__hip_bfloat16EEvPKT6_PKbPfiPT5_PiiiibdPKfPKS9_SF_
; %bb.0:
	s_load_dword s30, s[0:1], 0x18
	v_and_b32_e32 v1, 0x3ff, v0
	s_lshl_b32 s2, s2, 2
	v_lshrrev_b32_e32 v2, 6, v1
	v_bfe_u32 v0, v0, 10, 10
	v_add3_u32 v8, s2, v0, v2
	s_waitcnt lgkmcnt(0)
	v_cmp_gt_i32_e32 vcc, s30, v8
	s_and_saveexec_b64 s[2:3], vcc
	s_cbranch_execz .LBB473_63
; %bb.1:
	s_load_dwordx4 s[4:7], s[0:1], 0x0
	s_load_dwordx2 s[20:21], s[0:1], 0x10
	s_waitcnt lgkmcnt(0)
	s_cmp_eq_u64 s[6:7], 0
	s_cbranch_scc1 .LBB473_3
; %bb.2:
	v_ashrrev_i32_e32 v9, 31, v8
	v_lshl_add_u64 v[2:3], s[6:7], 0, v[8:9]
	global_load_ubyte v0, v[2:3], off
	s_waitcnt vmcnt(0)
	v_and_b32_e32 v0, 1, v0
	v_cmp_eq_u32_e32 vcc, 1, v0
	s_xor_b64 s[2:3], vcc, -1
	s_orn2_b64 s[22:23], s[2:3], exec
	s_branch .LBB473_4
.LBB473_3:
	s_mov_b64 s[22:23], -1
.LBB473_4:
	s_movk_i32 s2, 0x1c0
	v_mul_lo_u32 v4, v8, s2
	v_mov_b32_e32 v2, s4
	v_mov_b32_e32 v3, s5
	v_ashrrev_i32_e32 v5, 31, v4
	v_and_b32_e32 v10, 63, v1
	v_lshl_add_u64 v[2:3], v[4:5], 1, v[2:3]
	v_mov_b32_e32 v1, 0
	v_lshlrev_b32_e32 v0, 1, v10
	v_lshl_add_u64 v[12:13], v[2:3], 0, v[0:1]
	global_load_ushort v0, v[12:13], off
	global_load_ushort v1, v[12:13], off offset:128
	global_load_ushort v2, v[12:13], off offset:256
	;; [unrolled: 1-line block ×6, first 2 shown]
	s_mov_b32 s16, 0x800000
	v_mov_b32_e32 v11, 0x4f800000
	s_mov_b32 s13, 0x3f317217
	s_mov_b32 s14, 0x7f800000
	v_mov_b32_e32 v12, 0x41b17218
	s_mov_b32 s12, 0x41a00000
	s_mov_b32 s15, 0xf800000
	s_load_dwordx4 s[8:11], s[0:1], 0x40
	s_waitcnt lgkmcnt(0)
	s_cmp_lg_u64 s[10:11], 0
	s_cselect_b64 s[6:7], -1, 0
	s_and_b64 s[2:3], exec, s[6:7]
	s_waitcnt vmcnt(6)
	v_lshlrev_b32_e32 v0, 16, v0
	v_mul_f32_e32 v7, 0x3fb8aa3b, v0
	v_exp_f32_e32 v7, v7
	s_nop 0
	v_add_f32_e32 v7, 1.0, v7
	v_cmp_gt_f32_e32 vcc, s16, v7
	s_nop 1
	v_cndmask_b32_e32 v9, 1.0, v11, vcc
	v_mul_f32_e32 v7, v7, v9
	v_log_f32_e32 v13, v7
	v_cndmask_b32_e32 v14, 0, v12, vcc
	v_mov_b32_e32 v9, 0x260
	v_lshlrev_b32_e32 v7, 2, v10
	v_mul_f32_e32 v15, 0x3f317217, v13
	v_fma_f32 v15, v13, s13, -v15
	v_fmac_f32_e32 v15, 0x3377d1cf, v13
	v_fmac_f32_e32 v15, 0x3f317217, v13
	v_cmp_lt_f32_e64 vcc, |v13|, s14
	s_nop 1
	v_cndmask_b32_e32 v13, v13, v15, vcc
	v_sub_f32_e32 v13, v13, v14
	v_cmp_lt_f32_e32 vcc, s12, v0
	s_nop 1
	v_cndmask_b32_e32 v0, v13, v0, vcc
	v_mul_f32_e32 v13, 0x4f800000, v0
	v_cmp_gt_f32_e32 vcc, s15, v0
	s_nop 1
	v_cndmask_b32_e32 v0, v0, v13, vcc
	v_sqrt_f32_e32 v13, v0
	s_nop 0
	v_add_u32_e32 v14, -1, v13
	v_add_u32_e32 v15, 1, v13
	v_fma_f32 v16, -v14, v13, v0
	v_fma_f32 v17, -v15, v13, v0
	v_cmp_ge_f32_e64 s[4:5], 0, v16
	s_nop 1
	v_cndmask_b32_e64 v13, v13, v14, s[4:5]
	v_cmp_lt_f32_e64 s[4:5], 0, v17
	s_nop 1
	v_cndmask_b32_e64 v13, v13, v15, s[4:5]
	v_mul_f32_e32 v14, 0x37800000, v13
	v_cndmask_b32_e32 v13, v13, v14, vcc
	v_cmp_class_f32_e32 vcc, v0, v9
	s_nop 1
	v_cndmask_b32_e32 v0, v13, v0, vcc
	s_mov_b64 vcc, s[2:3]
	s_cbranch_vccz .LBB473_6
; %bb.5:
	global_load_dword v13, v7, s[10:11]
	s_waitcnt vmcnt(0)
	v_add_f32_e32 v0, v0, v13
.LBB473_6:
	s_waitcnt vmcnt(5)
	v_lshlrev_b32_e32 v1, 16, v1
	v_mul_f32_e32 v13, 0x3fb8aa3b, v1
	v_exp_f32_e32 v13, v13
	s_nop 0
	v_add_f32_e32 v13, 1.0, v13
	v_cmp_gt_f32_e32 vcc, s16, v13
	s_nop 1
	v_cndmask_b32_e32 v11, 1.0, v11, vcc
	v_mul_f32_e32 v11, v13, v11
	v_log_f32_e32 v11, v11
	v_cndmask_b32_e32 v12, 0, v12, vcc
	v_mul_f32_e32 v13, 0x3f317217, v11
	v_fma_f32 v13, v11, s13, -v13
	v_fmac_f32_e32 v13, 0x3377d1cf, v11
	v_fmac_f32_e32 v13, 0x3f317217, v11
	v_cmp_lt_f32_e64 vcc, |v11|, s14
	s_nop 1
	v_cndmask_b32_e32 v11, v11, v13, vcc
	v_sub_f32_e32 v11, v11, v12
	v_cmp_lt_f32_e32 vcc, s12, v1
	s_nop 1
	v_cndmask_b32_e32 v1, v11, v1, vcc
	v_mul_f32_e32 v11, 0x4f800000, v1
	v_cmp_gt_f32_e32 vcc, s15, v1
	s_nop 1
	v_cndmask_b32_e32 v1, v1, v11, vcc
	v_sqrt_f32_e32 v11, v1
	v_cmp_class_f32_e64 s[4:5], v1, v9
	v_add_u32_e32 v12, -1, v11
	v_add_u32_e32 v13, 1, v11
	v_fma_f32 v14, -v12, v11, v1
	v_fma_f32 v15, -v13, v11, v1
	v_cmp_ge_f32_e64 s[2:3], 0, v14
	s_nop 1
	v_cndmask_b32_e64 v11, v11, v12, s[2:3]
	v_cmp_lt_f32_e64 s[2:3], 0, v15
	s_nop 1
	v_cndmask_b32_e64 v11, v11, v13, s[2:3]
	v_mul_f32_e32 v12, 0x37800000, v11
	v_cndmask_b32_e32 v11, v11, v12, vcc
	v_cndmask_b32_e64 v12, 0, 1, s[6:7]
	v_cmp_ne_u32_e64 s[2:3], 1, v12
	s_andn2_b64 vcc, exec, s[6:7]
	v_cndmask_b32_e64 v1, v11, v1, s[4:5]
	s_cbranch_vccnz .LBB473_8
; %bb.7:
	global_load_dword v9, v7, s[10:11] offset:256
	s_waitcnt vmcnt(0)
	v_add_f32_e32 v1, v1, v9
.LBB473_8:
	s_waitcnt vmcnt(4)
	v_lshlrev_b32_e32 v2, 16, v2
	v_mul_f32_e32 v9, 0x3fb8aa3b, v2
	v_exp_f32_e32 v9, v9
	s_mov_b32 s14, 0x800000
	v_mov_b32_e32 v11, 0x4f800000
	s_mov_b32 s7, 0x3f317217
	v_add_f32_e32 v9, 1.0, v9
	v_cmp_gt_f32_e32 vcc, s14, v9
	s_mov_b32 s12, 0x7f800000
	s_mov_b32 s6, 0x41a00000
	v_cndmask_b32_e32 v12, 1.0, v11, vcc
	v_mul_f32_e32 v9, v9, v12
	v_log_f32_e32 v9, v9
	s_mov_b32 s13, 0xf800000
	v_mul_f32_e32 v12, 0x3f317217, v9
	v_fma_f32 v12, v9, s7, -v12
	v_fmac_f32_e32 v12, 0x3377d1cf, v9
	v_fmac_f32_e32 v12, 0x3f317217, v9
	v_cmp_lt_f32_e64 s[4:5], |v9|, s12
	s_nop 1
	v_cndmask_b32_e64 v9, v9, v12, s[4:5]
	v_mov_b32_e32 v12, 0x41b17218
	v_cndmask_b32_e32 v13, 0, v12, vcc
	v_sub_f32_e32 v9, v9, v13
	v_cmp_lt_f32_e32 vcc, s6, v2
	s_nop 1
	v_cndmask_b32_e32 v2, v9, v2, vcc
	v_mul_f32_e32 v9, 0x4f800000, v2
	v_cmp_gt_f32_e32 vcc, s13, v2
	s_nop 1
	v_cndmask_b32_e32 v2, v2, v9, vcc
	v_sqrt_f32_e32 v9, v2
	s_nop 0
	v_add_u32_e32 v13, -1, v9
	v_fma_f32 v14, -v13, v9, v2
	v_cmp_ge_f32_e64 s[4:5], 0, v14
	v_add_u32_e32 v14, 1, v9
	s_nop 0
	v_cndmask_b32_e64 v13, v9, v13, s[4:5]
	v_fma_f32 v9, -v14, v9, v2
	v_cmp_lt_f32_e64 s[4:5], 0, v9
	s_nop 1
	v_cndmask_b32_e64 v9, v13, v14, s[4:5]
	v_mul_f32_e32 v13, 0x37800000, v9
	v_cndmask_b32_e32 v13, v9, v13, vcc
	v_mov_b32_e32 v9, 0x260
	v_cmp_class_f32_e64 s[4:5], v2, v9
	s_and_b64 vcc, exec, s[2:3]
	s_nop 0
	v_cndmask_b32_e64 v2, v13, v2, s[4:5]
	s_cbranch_vccnz .LBB473_10
; %bb.9:
	global_load_dword v13, v7, s[10:11] offset:512
	s_waitcnt vmcnt(0)
	v_add_f32_e32 v2, v2, v13
.LBB473_10:
	s_waitcnt vmcnt(3)
	v_lshlrev_b32_e32 v3, 16, v3
	v_mul_f32_e32 v13, 0x3fb8aa3b, v3
	v_exp_f32_e32 v13, v13
	s_nop 0
	v_add_f32_e32 v13, 1.0, v13
	v_cmp_gt_f32_e32 vcc, s14, v13
	s_nop 1
	v_cndmask_b32_e32 v11, 1.0, v11, vcc
	v_mul_f32_e32 v11, v13, v11
	v_log_f32_e32 v11, v11
	v_cndmask_b32_e32 v12, 0, v12, vcc
	v_mul_f32_e32 v13, 0x3f317217, v11
	v_fma_f32 v13, v11, s7, -v13
	v_fmac_f32_e32 v13, 0x3377d1cf, v11
	v_fmac_f32_e32 v13, 0x3f317217, v11
	v_cmp_lt_f32_e64 vcc, |v11|, s12
	s_nop 1
	v_cndmask_b32_e32 v11, v11, v13, vcc
	v_sub_f32_e32 v11, v11, v12
	v_cmp_lt_f32_e32 vcc, s6, v3
	s_nop 1
	v_cndmask_b32_e32 v3, v11, v3, vcc
	v_mul_f32_e32 v11, 0x4f800000, v3
	v_cmp_gt_f32_e32 vcc, s13, v3
	s_nop 1
	v_cndmask_b32_e32 v3, v3, v11, vcc
	v_sqrt_f32_e32 v11, v3
	s_nop 0
	v_add_u32_e32 v12, -1, v11
	v_add_u32_e32 v13, 1, v11
	v_fma_f32 v14, -v12, v11, v3
	v_fma_f32 v15, -v13, v11, v3
	v_cmp_ge_f32_e64 s[4:5], 0, v14
	s_nop 1
	v_cndmask_b32_e64 v11, v11, v12, s[4:5]
	v_cmp_lt_f32_e64 s[4:5], 0, v15
	s_nop 1
	v_cndmask_b32_e64 v11, v11, v13, s[4:5]
	v_mul_f32_e32 v12, 0x37800000, v11
	v_cndmask_b32_e32 v11, v11, v12, vcc
	v_cmp_class_f32_e64 s[4:5], v3, v9
	s_and_b64 vcc, exec, s[2:3]
	s_nop 0
	v_cndmask_b32_e64 v3, v11, v3, s[4:5]
	s_cbranch_vccnz .LBB473_12
; %bb.11:
	global_load_dword v9, v7, s[10:11] offset:768
	s_waitcnt vmcnt(0)
	v_add_f32_e32 v3, v3, v9
.LBB473_12:
	s_waitcnt vmcnt(2)
	v_lshlrev_b32_e32 v4, 16, v4
	v_mul_f32_e32 v9, 0x3fb8aa3b, v4
	v_exp_f32_e32 v9, v9
	v_mov_b32_e32 v11, 0x4f800000
	v_add_f32_e32 v9, 1.0, v9
	v_cmp_gt_f32_e32 vcc, s14, v9
	s_nop 1
	v_cndmask_b32_e32 v12, 1.0, v11, vcc
	v_mul_f32_e32 v9, v9, v12
	v_log_f32_e32 v9, v9
	s_nop 0
	v_mul_f32_e32 v12, 0x3f317217, v9
	v_fma_f32 v12, v9, s7, -v12
	v_fmac_f32_e32 v12, 0x3377d1cf, v9
	v_fmac_f32_e32 v12, 0x3f317217, v9
	v_cmp_lt_f32_e64 s[4:5], |v9|, s12
	s_nop 1
	v_cndmask_b32_e64 v9, v9, v12, s[4:5]
	v_mov_b32_e32 v12, 0x41b17218
	v_cndmask_b32_e32 v13, 0, v12, vcc
	v_sub_f32_e32 v9, v9, v13
	v_cmp_lt_f32_e32 vcc, s6, v4
	s_nop 1
	v_cndmask_b32_e32 v4, v9, v4, vcc
	v_mul_f32_e32 v9, 0x4f800000, v4
	v_cmp_gt_f32_e32 vcc, s13, v4
	s_nop 1
	v_cndmask_b32_e32 v4, v4, v9, vcc
	v_sqrt_f32_e32 v9, v4
	s_nop 0
	v_add_u32_e32 v13, -1, v9
	v_fma_f32 v14, -v13, v9, v4
	v_cmp_ge_f32_e64 s[4:5], 0, v14
	v_add_u32_e32 v14, 1, v9
	s_nop 0
	v_cndmask_b32_e64 v13, v9, v13, s[4:5]
	v_fma_f32 v9, -v14, v9, v4
	v_cmp_lt_f32_e64 s[4:5], 0, v9
	s_nop 1
	v_cndmask_b32_e64 v9, v13, v14, s[4:5]
	v_mul_f32_e32 v13, 0x37800000, v9
	v_cndmask_b32_e32 v13, v9, v13, vcc
	v_mov_b32_e32 v9, 0x260
	v_cmp_class_f32_e64 s[4:5], v4, v9
	s_and_b64 vcc, exec, s[2:3]
	s_nop 0
	v_cndmask_b32_e64 v4, v13, v4, s[4:5]
	s_cbranch_vccnz .LBB473_14
; %bb.13:
	global_load_dword v13, v7, s[10:11] offset:1024
	s_waitcnt vmcnt(0)
	v_add_f32_e32 v4, v4, v13
.LBB473_14:
	s_waitcnt vmcnt(1)
	v_lshlrev_b32_e32 v5, 16, v5
	v_mul_f32_e32 v13, 0x3fb8aa3b, v5
	v_exp_f32_e32 v13, v13
	s_nop 0
	v_add_f32_e32 v13, 1.0, v13
	v_cmp_gt_f32_e32 vcc, s14, v13
	s_nop 1
	v_cndmask_b32_e32 v11, 1.0, v11, vcc
	v_mul_f32_e32 v11, v13, v11
	v_log_f32_e32 v11, v11
	v_cndmask_b32_e32 v12, 0, v12, vcc
	v_mul_f32_e32 v13, 0x3f317217, v11
	v_fma_f32 v13, v11, s7, -v13
	v_fmac_f32_e32 v13, 0x3377d1cf, v11
	v_fmac_f32_e32 v13, 0x3f317217, v11
	v_cmp_lt_f32_e64 vcc, |v11|, s12
	s_nop 1
	v_cndmask_b32_e32 v11, v11, v13, vcc
	v_sub_f32_e32 v11, v11, v12
	v_cmp_lt_f32_e32 vcc, s6, v5
	s_nop 1
	v_cndmask_b32_e32 v5, v11, v5, vcc
	v_mul_f32_e32 v11, 0x4f800000, v5
	v_cmp_gt_f32_e32 vcc, s13, v5
	s_nop 1
	v_cndmask_b32_e32 v5, v5, v11, vcc
	v_sqrt_f32_e32 v11, v5
	s_nop 0
	v_add_u32_e32 v12, -1, v11
	v_add_u32_e32 v13, 1, v11
	v_fma_f32 v14, -v12, v11, v5
	v_fma_f32 v15, -v13, v11, v5
	v_cmp_ge_f32_e64 s[4:5], 0, v14
	s_nop 1
	v_cndmask_b32_e64 v11, v11, v12, s[4:5]
	v_cmp_lt_f32_e64 s[4:5], 0, v15
	s_nop 1
	v_cndmask_b32_e64 v11, v11, v13, s[4:5]
	v_mul_f32_e32 v12, 0x37800000, v11
	v_cndmask_b32_e32 v11, v11, v12, vcc
	v_cmp_class_f32_e64 s[4:5], v5, v9
	s_and_b64 vcc, exec, s[2:3]
	s_nop 0
	v_cndmask_b32_e64 v5, v11, v5, s[4:5]
	s_cbranch_vccnz .LBB473_16
; %bb.15:
	global_load_dword v9, v7, s[10:11] offset:1280
	s_waitcnt vmcnt(0)
	v_add_f32_e32 v5, v5, v9
.LBB473_16:
	s_waitcnt vmcnt(0)
	v_lshlrev_b32_e32 v6, 16, v6
	v_mul_f32_e32 v9, 0x3fb8aa3b, v6
	v_exp_f32_e32 v9, v9
	s_mov_b32 s4, 0x800000
	v_mov_b32_e32 v11, 0x4f800000
	s_mov_b32 s5, 0x7f800000
	v_add_f32_e32 v9, 1.0, v9
	v_cmp_gt_f32_e32 vcc, s4, v9
	s_mov_b32 s4, 0x3f317217
	s_nop 0
	v_cndmask_b32_e32 v11, 1.0, v11, vcc
	v_mul_f32_e32 v9, v9, v11
	v_log_f32_e32 v9, v9
	s_nop 0
	v_mul_f32_e32 v11, 0x3f317217, v9
	v_fma_f32 v11, v9, s4, -v11
	v_fmamk_f32 v11, v9, 0x3377d1cf, v11
	v_fmac_f32_e32 v11, 0x3f317217, v9
	v_cmp_lt_f32_e64 s[4:5], |v9|, s5
	s_nop 1
	v_cndmask_b32_e64 v9, v9, v11, s[4:5]
	v_mov_b32_e32 v11, 0x41b17218
	v_cndmask_b32_e32 v11, 0, v11, vcc
	v_sub_f32_e32 v9, v9, v11
	v_cmp_lt_f32_e32 vcc, s6, v6
	s_mov_b32 s4, 0xf800000
	s_nop 0
	v_cndmask_b32_e32 v6, v9, v6, vcc
	v_mul_f32_e32 v9, 0x4f800000, v6
	v_cmp_gt_f32_e32 vcc, s4, v6
	s_nop 1
	v_cndmask_b32_e32 v6, v6, v9, vcc
	v_sqrt_f32_e32 v9, v6
	s_nop 0
	v_add_u32_e32 v11, -1, v9
	v_fma_f32 v12, -v11, v9, v6
	v_cmp_ge_f32_e64 s[4:5], 0, v12
	v_add_u32_e32 v12, 1, v9
	s_nop 0
	v_cndmask_b32_e64 v11, v9, v11, s[4:5]
	v_fma_f32 v9, -v12, v9, v6
	v_cmp_lt_f32_e64 s[4:5], 0, v9
	s_nop 1
	v_cndmask_b32_e64 v9, v11, v12, s[4:5]
	v_mul_f32_e32 v11, 0x37800000, v9
	v_cndmask_b32_e32 v9, v9, v11, vcc
	v_mov_b32_e32 v11, 0x260
	v_cmp_class_f32_e64 s[4:5], v6, v11
	s_and_b64 vcc, exec, s[2:3]
	s_nop 0
	v_cndmask_b32_e64 v6, v9, v6, s[4:5]
	s_cbranch_vccnz .LBB473_18
; %bb.17:
	global_load_dword v7, v7, s[10:11] offset:1536
	s_waitcnt vmcnt(0)
	v_add_f32_e32 v6, v6, v7
.LBB473_18:
	s_load_dwordx4 s[12:15], s[0:1], 0x30
	v_cmp_eq_u32_e64 s[6:7], 0, v10
	s_waitcnt lgkmcnt(0)
	s_bitcmp1_b32 s15, 0
	s_cselect_b64 s[4:5], -1, 0
	s_cmp_gt_i32 s12, 0
	s_cselect_b64 s[24:25], -1, 0
	s_and_b64 vcc, exec, s[24:25]
	s_cbranch_vccz .LBB473_49
; %bb.19:
	v_mbcnt_lo_u32_b32 v7, -1, 0
	v_mbcnt_hi_u32_b32 v12, -1, v7
	v_and_b32_e32 v7, 64, v12
	v_add_u32_e32 v13, 64, v7
	v_xor_b32_e32 v14, 32, v12
	v_cmp_lt_i32_e32 vcc, v14, v13
	s_load_dwordx4 s[16:19], s[0:1], 0x20
	s_mov_b32 s15, 0
	v_cndmask_b32_e32 v14, v12, v14, vcc
	v_lshlrev_b32_e32 v19, 2, v14
	v_xor_b32_e32 v14, 16, v12
	v_cmp_lt_i32_e32 vcc, v14, v13
	v_mul_lo_u32 v7, v8, s12
	v_or_b32_e32 v9, 64, v10
	v_cndmask_b32_e32 v14, v12, v14, vcc
	v_lshlrev_b32_e32 v20, 2, v14
	v_xor_b32_e32 v14, 8, v12
	v_cmp_lt_i32_e32 vcc, v14, v13
	v_or_b32_e32 v11, 0x80, v10
	v_or_b32_e32 v15, 0xc0, v10
	v_cndmask_b32_e32 v14, v12, v14, vcc
	v_lshlrev_b32_e32 v21, 2, v14
	v_xor_b32_e32 v14, 4, v12
	v_cmp_lt_i32_e32 vcc, v14, v13
	v_or_b32_e32 v16, 0x100, v10
	;; [unrolled: 6-line block ×3, first 2 shown]
	v_mov_b32_e32 v25, 0x1c0
	v_cndmask_b32_e32 v14, v12, v14, vcc
	v_lshlrev_b32_e32 v23, 2, v14
	v_xor_b32_e32 v14, 1, v12
	v_cmp_lt_i32_e32 vcc, v14, v13
	v_mov_b32_e32 v26, 0xc61c4000
	v_mov_b32_e32 v27, v8
	v_cndmask_b32_e32 v12, v12, v14, vcc
	v_lshlrev_b32_e32 v24, 2, v12
	v_mov_b32_e32 v14, 0
	s_branch .LBB473_22
.LBB473_20:                             ;   in Loop: Header=BB473_22 Depth=1
	v_add_u32_e32 v30, s15, v7
	v_cmp_le_i32_e32 vcc, s13, v12
	v_cmp_gt_i32_e64 s[0:1], s14, v12
	v_ashrrev_i32_e32 v31, 31, v30
	s_and_b64 s[0:1], vcc, s[0:1]
	v_lshlrev_b64 v[30:31], 2, v[30:31]
	v_lshl_add_u64 v[32:33], s[20:21], 0, v[30:31]
	v_subrev_u32_e32 v13, s13, v12
	s_and_b64 vcc, s[22:23], s[0:1]
	global_store_dword v[32:33], v28, off
	v_cndmask_b32_e32 v13, v25, v13, vcc
	v_lshl_add_u64 v[32:33], s[16:17], 0, v[30:31]
	global_store_dword v[32:33], v13, off
	v_add_f32_e32 v13, v14, v28
	v_lshl_add_u64 v[30:31], s[18:19], 0, v[30:31]
	v_cndmask_b32_e64 v14, v14, v13, s[4:5]
	global_store_dword v[30:31], v27, off
.LBB473_21:                             ;   in Loop: Header=BB473_22 Depth=1
	s_or_b64 exec, exec, s[26:27]
	v_ashrrev_i32_e32 v13, 31, v12
	v_lshrrev_b32_e32 v13, 26, v13
	v_add_u32_e32 v13, v12, v13
	v_ashrrev_i32_e32 v28, 6, v13
	v_and_b32_e32 v13, 0xffffffc0, v13
	v_sub_u32_e32 v12, v12, v13
	v_cmp_ne_u32_e64 s[0:1], 0, v28
	v_cmp_eq_u32_e32 vcc, v10, v12
	s_add_i32 s15, s15, 1
	v_cndmask_b32_e64 v12, v26, v0, s[0:1]
	v_cmp_ne_u32_e64 s[0:1], 1, v28
	s_cmp_lt_i32 s15, s12
	s_cselect_b64 s[26:27], -1, 0
	v_cndmask_b32_e64 v13, v26, v1, s[0:1]
	v_cmp_ne_u32_e64 s[0:1], 2, v28
	s_and_b64 vcc, s[26:27], vcc
	v_cndmask_b32_e32 v1, v1, v13, vcc
	s_waitcnt lgkmcnt(0)
	v_cndmask_b32_e64 v29, v26, v2, s[0:1]
	v_cmp_ne_u32_e64 s[0:1], 3, v28
	v_cndmask_b32_e32 v2, v2, v29, vcc
	v_cndmask_b32_e32 v0, v0, v12, vcc
	v_cndmask_b32_e64 v30, v26, v3, s[0:1]
	v_cmp_ne_u32_e64 s[0:1], 4, v28
	v_cndmask_b32_e32 v3, v3, v30, vcc
	s_cmp_eq_u32 s12, s15
	v_cndmask_b32_e64 v31, v26, v4, s[0:1]
	v_cmp_ne_u32_e64 s[0:1], 5, v28
	v_cndmask_b32_e32 v4, v4, v31, vcc
	v_add_u32_e32 v27, s30, v27
	v_cndmask_b32_e64 v32, v26, v5, s[0:1]
	v_cmp_ne_u32_e64 s[0:1], 6, v28
	v_cndmask_b32_e32 v5, v5, v32, vcc
	s_nop 0
	v_cndmask_b32_e64 v28, v26, v6, s[0:1]
	v_cndmask_b32_e32 v6, v6, v28, vcc
	s_cbranch_scc1 .LBB473_50
.LBB473_22:                             ; =>This Inner Loop Header: Depth=1
	v_cmp_gt_f32_e32 vcc, v1, v0
	s_nop 1
	v_cndmask_b32_e32 v13, v0, v1, vcc
	v_cndmask_b32_e32 v12, v10, v9, vcc
	v_cmp_gt_f32_e32 vcc, v2, v13
	s_nop 1
	v_cndmask_b32_e32 v13, v13, v2, vcc
	v_cndmask_b32_e32 v12, v12, v11, vcc
	v_cmp_gt_f32_e32 vcc, v3, v13
	s_nop 1
	v_cndmask_b32_e32 v13, v13, v3, vcc
	v_cndmask_b32_e32 v12, v12, v15, vcc
	v_cmp_gt_f32_e32 vcc, v4, v13
	s_nop 1
	v_cndmask_b32_e32 v13, v13, v4, vcc
	v_cndmask_b32_e32 v12, v12, v16, vcc
	v_cmp_gt_f32_e32 vcc, v5, v13
	s_nop 1
	v_cndmask_b32_e32 v13, v13, v5, vcc
	v_cndmask_b32_e32 v12, v12, v17, vcc
	v_cmp_gt_f32_e32 vcc, v6, v13
	s_nop 1
	v_cndmask_b32_e32 v28, v13, v6, vcc
	v_cndmask_b32_e32 v12, v12, v18, vcc
	ds_bpermute_b32 v13, v19, v28
	ds_bpermute_b32 v29, v19, v12
	s_waitcnt lgkmcnt(0)
	v_cmp_lt_f32_e64 s[26:27], v28, v13
	v_cmp_nlt_f32_e32 vcc, v28, v13
	s_and_saveexec_b64 s[28:29], vcc
; %bb.23:                               ;   in Loop: Header=BB473_22 Depth=1
	v_cmp_eq_f32_e32 vcc, v28, v13
	v_cmp_lt_i32_e64 s[0:1], v29, v12
	s_and_b64 s[0:1], vcc, s[0:1]
	s_andn2_b64 s[26:27], s[26:27], exec
	s_and_b64 s[0:1], s[0:1], exec
	s_or_b64 s[26:27], s[26:27], s[0:1]
; %bb.24:                               ;   in Loop: Header=BB473_22 Depth=1
	s_or_b64 exec, exec, s[28:29]
	s_and_saveexec_b64 s[0:1], s[26:27]
; %bb.25:                               ;   in Loop: Header=BB473_22 Depth=1
	v_mov_b32_e32 v28, v13
	v_mov_b32_e32 v12, v29
; %bb.26:                               ;   in Loop: Header=BB473_22 Depth=1
	s_or_b64 exec, exec, s[0:1]
	ds_bpermute_b32 v13, v20, v28
	ds_bpermute_b32 v29, v20, v12
	s_waitcnt lgkmcnt(1)
	v_cmp_lt_f32_e64 s[26:27], v28, v13
	v_cmp_nlt_f32_e32 vcc, v28, v13
	s_and_saveexec_b64 s[28:29], vcc
	s_cbranch_execz .LBB473_28
; %bb.27:                               ;   in Loop: Header=BB473_22 Depth=1
	v_cmp_eq_f32_e32 vcc, v28, v13
	s_waitcnt lgkmcnt(0)
	v_cmp_lt_i32_e64 s[0:1], v29, v12
	s_and_b64 s[0:1], vcc, s[0:1]
	s_andn2_b64 s[26:27], s[26:27], exec
	s_and_b64 s[0:1], s[0:1], exec
	s_or_b64 s[26:27], s[26:27], s[0:1]
.LBB473_28:                             ;   in Loop: Header=BB473_22 Depth=1
	s_or_b64 exec, exec, s[28:29]
	s_and_saveexec_b64 s[0:1], s[26:27]
	s_cbranch_execz .LBB473_30
; %bb.29:                               ;   in Loop: Header=BB473_22 Depth=1
	v_mov_b32_e32 v28, v13
	s_waitcnt lgkmcnt(0)
	v_mov_b32_e32 v12, v29
.LBB473_30:                             ;   in Loop: Header=BB473_22 Depth=1
	s_or_b64 exec, exec, s[0:1]
	ds_bpermute_b32 v13, v21, v28
	s_waitcnt lgkmcnt(1)
	ds_bpermute_b32 v29, v21, v12
	s_waitcnt lgkmcnt(1)
	v_cmp_lt_f32_e64 s[26:27], v28, v13
	v_cmp_nlt_f32_e32 vcc, v28, v13
	s_and_saveexec_b64 s[28:29], vcc
	s_cbranch_execz .LBB473_32
; %bb.31:                               ;   in Loop: Header=BB473_22 Depth=1
	v_cmp_eq_f32_e32 vcc, v28, v13
	s_waitcnt lgkmcnt(0)
	v_cmp_lt_i32_e64 s[0:1], v29, v12
	s_and_b64 s[0:1], vcc, s[0:1]
	s_andn2_b64 s[26:27], s[26:27], exec
	s_and_b64 s[0:1], s[0:1], exec
	s_or_b64 s[26:27], s[26:27], s[0:1]
.LBB473_32:                             ;   in Loop: Header=BB473_22 Depth=1
	s_or_b64 exec, exec, s[28:29]
	s_and_saveexec_b64 s[0:1], s[26:27]
	s_cbranch_execz .LBB473_34
; %bb.33:                               ;   in Loop: Header=BB473_22 Depth=1
	v_mov_b32_e32 v28, v13
	s_waitcnt lgkmcnt(0)
	v_mov_b32_e32 v12, v29
.LBB473_34:                             ;   in Loop: Header=BB473_22 Depth=1
	s_or_b64 exec, exec, s[0:1]
	ds_bpermute_b32 v13, v22, v28
	s_waitcnt lgkmcnt(1)
	;; [unrolled: 26-line block ×4, first 2 shown]
	ds_bpermute_b32 v29, v24, v12
	s_waitcnt lgkmcnt(1)
	v_cmp_lt_f32_e64 s[26:27], v28, v13
	v_cmp_nlt_f32_e32 vcc, v28, v13
	s_and_saveexec_b64 s[28:29], vcc
	s_cbranch_execnz .LBB473_45
; %bb.43:                               ;   in Loop: Header=BB473_22 Depth=1
	s_or_b64 exec, exec, s[28:29]
	s_and_saveexec_b64 s[0:1], s[26:27]
	s_cbranch_execnz .LBB473_46
.LBB473_44:                             ;   in Loop: Header=BB473_22 Depth=1
	s_or_b64 exec, exec, s[0:1]
	s_and_saveexec_b64 s[26:27], s[6:7]
	s_cbranch_execz .LBB473_21
	s_branch .LBB473_47
.LBB473_45:                             ;   in Loop: Header=BB473_22 Depth=1
	v_cmp_eq_f32_e32 vcc, v28, v13
	s_waitcnt lgkmcnt(0)
	v_cmp_lt_i32_e64 s[0:1], v29, v12
	s_and_b64 s[0:1], vcc, s[0:1]
	s_andn2_b64 s[26:27], s[26:27], exec
	s_and_b64 s[0:1], s[0:1], exec
	s_or_b64 s[26:27], s[26:27], s[0:1]
	s_or_b64 exec, exec, s[28:29]
	s_and_saveexec_b64 s[0:1], s[26:27]
	s_cbranch_execz .LBB473_44
.LBB473_46:                             ;   in Loop: Header=BB473_22 Depth=1
	s_waitcnt lgkmcnt(0)
	v_mov_b32_e32 v12, v29
	v_mov_b32_e32 v28, v13
	s_or_b64 exec, exec, s[0:1]
	s_and_saveexec_b64 s[26:27], s[6:7]
	s_cbranch_execz .LBB473_21
.LBB473_47:                             ;   in Loop: Header=BB473_22 Depth=1
	s_and_b64 vcc, exec, s[2:3]
	s_cbranch_vccnz .LBB473_20
; %bb.48:                               ;   in Loop: Header=BB473_22 Depth=1
	v_ashrrev_i32_e32 v13, 31, v12
	v_lshl_add_u64 v[30:31], v[12:13], 2, s[10:11]
	global_load_dword v13, v[30:31], off
	s_waitcnt vmcnt(0)
	v_sub_f32_e32 v28, v28, v13
	s_branch .LBB473_20
.LBB473_49:
	v_mov_b32_e32 v14, 0
.LBB473_50:
	v_cmp_eq_u32_e32 vcc, 0, v10
	s_and_b64 exec, exec, vcc
	s_cbranch_execz .LBB473_63
; %bb.51:
	s_andn2_b64 vcc, exec, s[4:5]
	v_cvt_f32_f64_e32 v0, s[8:9]
	s_cbranch_vccnz .LBB473_53
; %bb.52:
	v_cmp_lt_f32_e32 vcc, 0, v14
	s_nop 1
	v_cndmask_b32_e32 v1, 1.0, v14, vcc
	v_div_scale_f32 v2, s[0:1], v1, v1, v0
	v_rcp_f32_e32 v3, v2
	s_nop 0
	v_fma_f32 v4, -v2, v3, 1.0
	v_fmac_f32_e32 v3, v4, v3
	v_div_scale_f32 v4, vcc, v0, v1, v0
	v_mul_f32_e32 v5, v4, v3
	v_fma_f32 v6, -v2, v5, v4
	v_fmac_f32_e32 v5, v6, v3
	v_fma_f32 v2, -v2, v5, v4
	v_div_fmas_f32 v2, v2, v3, v5
	v_div_fixup_f32 v0, v2, v1, v0
.LBB473_53:
	s_andn2_b64 vcc, exec, s[24:25]
	s_cbranch_vccnz .LBB473_63
; %bb.54:
	v_mul_lo_u32 v2, v8, s12
	s_cmp_gt_u32 s12, 3
	v_ashrrev_i32_e32 v3, 31, v2
	s_cbranch_scc0 .LBB473_58
; %bb.55:
	s_and_b32 s0, s12, 0x7ffffffc
	v_lshl_add_u64 v[4:5], v[2:3], 2, s[20:21]
	v_mov_b32_e32 v1, v0
	v_lshl_add_u64 v[4:5], v[4:5], 0, 8
	s_mov_b32 s1, s0
.LBB473_56:                             ; =>This Inner Loop Header: Depth=1
	global_load_dwordx4 v[6:9], v[4:5], off offset:-8
	s_add_i32 s1, s1, -4
	s_cmp_lg_u32 s1, 0
	s_waitcnt vmcnt(0)
	v_pk_mul_f32 v[6:7], v[0:1], v[6:7]
	v_pk_mul_f32 v[8:9], v[0:1], v[8:9]
	global_store_dwordx4 v[4:5], v[6:9], off offset:-8
	v_lshl_add_u64 v[4:5], v[4:5], 0, 16
	s_cbranch_scc1 .LBB473_56
; %bb.57:
	s_cmp_lg_u32 s0, s12
	s_cselect_b64 s[2:3], -1, 0
	s_branch .LBB473_60
.LBB473_58:
	s_mov_b64 s[2:3], 0
                                        ; implicit-def: $sgpr0
	s_cbranch_execz .LBB473_60
; %bb.59:
	s_mov_b64 s[2:3], -1
	s_mov_b32 s0, 0
.LBB473_60:
	s_andn2_b64 vcc, exec, s[2:3]
	s_cbranch_vccnz .LBB473_63
; %bb.61:
	s_mov_b32 s1, 0
	v_lshl_add_u64 v[2:3], v[2:3], 0, s[0:1]
	s_sub_i32 s2, s12, s0
	v_lshl_add_u64 v[2:3], v[2:3], 2, s[20:21]
.LBB473_62:                             ; =>This Inner Loop Header: Depth=1
	global_load_dword v1, v[2:3], off
	s_add_i32 s2, s2, -1
	s_cmp_lg_u32 s2, 0
	s_waitcnt vmcnt(0)
	v_mul_f32_e32 v1, v0, v1
	global_store_dword v[2:3], v1, off
	v_lshl_add_u64 v[2:3], v[2:3], 0, 4
	s_cbranch_scc1 .LBB473_62
.LBB473_63:
	s_endpgm
	.section	.rodata,"a",@progbits
	.p2align	6, 0x0
	.amdhsa_kernel _ZN4vllm3moe22topkGatingSoftplusSqrtILi7ELi448ELi4ELi2ELi64ELb0Ej14__hip_bfloat16EEvPKT6_PKbPfiPT5_PiiiibdPKfPKS9_SF_
		.amdhsa_group_segment_fixed_size 0
		.amdhsa_private_segment_fixed_size 0
		.amdhsa_kernarg_size 96
		.amdhsa_user_sgpr_count 2
		.amdhsa_user_sgpr_dispatch_ptr 0
		.amdhsa_user_sgpr_queue_ptr 0
		.amdhsa_user_sgpr_kernarg_segment_ptr 1
		.amdhsa_user_sgpr_dispatch_id 0
		.amdhsa_user_sgpr_kernarg_preload_length 0
		.amdhsa_user_sgpr_kernarg_preload_offset 0
		.amdhsa_user_sgpr_private_segment_size 0
		.amdhsa_uses_dynamic_stack 0
		.amdhsa_enable_private_segment 0
		.amdhsa_system_sgpr_workgroup_id_x 1
		.amdhsa_system_sgpr_workgroup_id_y 0
		.amdhsa_system_sgpr_workgroup_id_z 0
		.amdhsa_system_sgpr_workgroup_info 0
		.amdhsa_system_vgpr_workitem_id 1
		.amdhsa_next_free_vgpr 34
		.amdhsa_next_free_sgpr 31
		.amdhsa_accum_offset 36
		.amdhsa_reserve_vcc 1
		.amdhsa_float_round_mode_32 0
		.amdhsa_float_round_mode_16_64 0
		.amdhsa_float_denorm_mode_32 3
		.amdhsa_float_denorm_mode_16_64 3
		.amdhsa_dx10_clamp 1
		.amdhsa_ieee_mode 1
		.amdhsa_fp16_overflow 0
		.amdhsa_tg_split 0
		.amdhsa_exception_fp_ieee_invalid_op 0
		.amdhsa_exception_fp_denorm_src 0
		.amdhsa_exception_fp_ieee_div_zero 0
		.amdhsa_exception_fp_ieee_overflow 0
		.amdhsa_exception_fp_ieee_underflow 0
		.amdhsa_exception_fp_ieee_inexact 0
		.amdhsa_exception_int_div_zero 0
	.end_amdhsa_kernel
	.section	.text._ZN4vllm3moe22topkGatingSoftplusSqrtILi7ELi448ELi4ELi2ELi64ELb0Ej14__hip_bfloat16EEvPKT6_PKbPfiPT5_PiiiibdPKfPKS9_SF_,"axG",@progbits,_ZN4vllm3moe22topkGatingSoftplusSqrtILi7ELi448ELi4ELi2ELi64ELb0Ej14__hip_bfloat16EEvPKT6_PKbPfiPT5_PiiiibdPKfPKS9_SF_,comdat
.Lfunc_end473:
	.size	_ZN4vllm3moe22topkGatingSoftplusSqrtILi7ELi448ELi4ELi2ELi64ELb0Ej14__hip_bfloat16EEvPKT6_PKbPfiPT5_PiiiibdPKfPKS9_SF_, .Lfunc_end473-_ZN4vllm3moe22topkGatingSoftplusSqrtILi7ELi448ELi4ELi2ELi64ELb0Ej14__hip_bfloat16EEvPKT6_PKbPfiPT5_PiiiibdPKfPKS9_SF_
                                        ; -- End function
	.section	.AMDGPU.csdata,"",@progbits
; Kernel info:
; codeLenInByte = 4012
; NumSgprs: 37
; NumVgprs: 34
; NumAgprs: 0
; TotalNumVgprs: 34
; ScratchSize: 0
; MemoryBound: 0
; FloatMode: 240
; IeeeMode: 1
; LDSByteSize: 0 bytes/workgroup (compile time only)
; SGPRBlocks: 4
; VGPRBlocks: 4
; NumSGPRsForWavesPerEU: 37
; NumVGPRsForWavesPerEU: 34
; AccumOffset: 36
; Occupancy: 8
; WaveLimiterHint : 1
; COMPUTE_PGM_RSRC2:SCRATCH_EN: 0
; COMPUTE_PGM_RSRC2:USER_SGPR: 2
; COMPUTE_PGM_RSRC2:TRAP_HANDLER: 0
; COMPUTE_PGM_RSRC2:TGID_X_EN: 1
; COMPUTE_PGM_RSRC2:TGID_Y_EN: 0
; COMPUTE_PGM_RSRC2:TGID_Z_EN: 0
; COMPUTE_PGM_RSRC2:TIDIG_COMP_CNT: 1
; COMPUTE_PGM_RSRC3_GFX90A:ACCUM_OFFSET: 8
; COMPUTE_PGM_RSRC3_GFX90A:TG_SPLIT: 0
	.section	.text._ZN4vllm3moe22topkGatingSoftplusSqrtILi14ELi448ELi4ELi2ELi32ELb1Ej14__hip_bfloat16EEvPKT6_PKbPfiPT5_PiiiibdPKfPKS9_SF_,"axG",@progbits,_ZN4vllm3moe22topkGatingSoftplusSqrtILi14ELi448ELi4ELi2ELi32ELb1Ej14__hip_bfloat16EEvPKT6_PKbPfiPT5_PiiiibdPKfPKS9_SF_,comdat
	.protected	_ZN4vllm3moe22topkGatingSoftplusSqrtILi14ELi448ELi4ELi2ELi32ELb1Ej14__hip_bfloat16EEvPKT6_PKbPfiPT5_PiiiibdPKfPKS9_SF_ ; -- Begin function _ZN4vllm3moe22topkGatingSoftplusSqrtILi14ELi448ELi4ELi2ELi32ELb1Ej14__hip_bfloat16EEvPKT6_PKbPfiPT5_PiiiibdPKfPKS9_SF_
	.globl	_ZN4vllm3moe22topkGatingSoftplusSqrtILi14ELi448ELi4ELi2ELi32ELb1Ej14__hip_bfloat16EEvPKT6_PKbPfiPT5_PiiiibdPKfPKS9_SF_
	.p2align	8
	.type	_ZN4vllm3moe22topkGatingSoftplusSqrtILi14ELi448ELi4ELi2ELi32ELb1Ej14__hip_bfloat16EEvPKT6_PKbPfiPT5_PiiiibdPKfPKS9_SF_,@function
_ZN4vllm3moe22topkGatingSoftplusSqrtILi14ELi448ELi4ELi2ELi32ELb1Ej14__hip_bfloat16EEvPKT6_PKbPfiPT5_PiiiibdPKfPKS9_SF_: ; @_ZN4vllm3moe22topkGatingSoftplusSqrtILi14ELi448ELi4ELi2ELi32ELb1Ej14__hip_bfloat16EEvPKT6_PKbPfiPT5_PiiiibdPKfPKS9_SF_
; %bb.0:
	s_load_dword s3, s[0:1], 0x18
	v_and_b32_e32 v1, 0x3ff, v0
	s_lshl_b32 s2, s2, 2
	v_lshrrev_b32_e32 v2, 5, v1
	v_bfe_u32 v0, v0, 10, 10
	v_add3_u32 v16, s2, v0, v2
	s_waitcnt lgkmcnt(0)
	v_cmp_gt_i32_e32 vcc, s3, v16
	s_and_saveexec_b64 s[2:3], vcc
	s_cbranch_execz .LBB474_64
; %bb.1:
	s_load_dwordx2 s[2:3], s[0:1], 0x0
	s_load_dword s33, s[0:1], 0x30
	s_movk_i32 s4, 0x1c0
	v_mul_lo_u32 v2, v16, s4
	v_ashrrev_i32_e32 v3, 31, v2
	v_and_b32_e32 v24, 31, v1
	s_waitcnt lgkmcnt(0)
	v_lshl_add_u64 v[2:3], v[2:3], 1, s[2:3]
	v_lshlrev_b32_e32 v14, 1, v24
	v_mov_b32_e32 v15, 0
	v_lshl_add_u64 v[8:9], v[2:3], 0, v[14:15]
	s_load_dwordx4 s[4:7], s[0:1], 0x50
	global_load_ushort v2, v[8:9], off offset:64
	global_load_ushort v3, v[8:9], off
	global_load_ushort v4, v[8:9], off offset:192
	global_load_ushort v5, v[8:9], off offset:128
	v_ashrrev_i32_e32 v17, 31, v16
	s_mov_b32 s15, 0x800000
	s_mov_b32 s14, 0x3f317217
	s_waitcnt lgkmcnt(0)
	v_mov_b32_e32 v0, s4
	v_mov_b32_e32 v1, s5
	v_lshl_add_u64 v[0:1], v[16:17], 2, v[0:1]
	global_load_dword v6, v[0:1], off
	global_load_ushort v7, v[8:9], off offset:256
	global_load_ushort v10, v[8:9], off offset:320
	;; [unrolled: 1-line block ×4, first 2 shown]
	v_mov_b32_e32 v17, 0x4f800000
	s_mov_b32 s13, 0x7f800000
	v_mov_b32_e32 v13, 0x41b17218
	s_mov_b32 s12, 0x41a00000
	s_mov_b32 s11, 0xf800000
	v_mov_b32_e32 v18, s6
	v_mov_b32_e32 v19, s7
	;; [unrolled: 1-line block ×3, first 2 shown]
	s_cmp_gt_i32 s33, 0
	s_mov_b32 s10, 0
	s_waitcnt vmcnt(8)
	v_lshlrev_b32_e32 v21, 16, v2
	s_waitcnt vmcnt(7)
	v_lshlrev_b32_e32 v22, 16, v3
	v_mul_f32_e32 v0, 0x3fb8aa3b, v22
	v_mul_f32_e32 v1, 0x3fb8aa3b, v21
	v_exp_f32_e32 v0, v0
	v_exp_f32_e32 v1, v1
	s_waitcnt vmcnt(6)
	v_lshlrev_b32_e32 v4, 16, v4
	s_waitcnt vmcnt(5)
	v_lshlrev_b32_e32 v5, 16, v5
	v_mul_f32_e32 v2, 0x3fb8aa3b, v5
	v_mul_f32_e32 v3, 0x3fb8aa3b, v4
	v_pk_add_f32 v[0:1], v[0:1], 1.0 op_sel_hi:[1,0]
	v_exp_f32_e32 v2, v2
	v_exp_f32_e32 v3, v3
	v_cmp_gt_f32_e32 vcc, s15, v1
	s_waitcnt vmcnt(4)
	v_mul_lo_u32 v14, v6, s33
	v_cmp_gt_f32_e64 s[2:3], s15, v0
	v_cndmask_b32_e32 v6, 1.0, v17, vcc
	v_mul_f32_e32 v1, v1, v6
	v_cndmask_b32_e64 v23, 1.0, v17, s[2:3]
	v_mul_f32_e32 v0, v0, v23
	v_log_f32_e32 v1, v1
	v_pk_add_f32 v[2:3], v[2:3], 1.0 op_sel_hi:[1,0]
	v_log_f32_e32 v0, v0
	v_cmp_gt_f32_e64 s[4:5], s15, v3
	v_cndmask_b32_e32 v6, 0, v13, vcc
	v_cmp_lt_f32_e64 vcc, |v1|, s13
	v_cndmask_b32_e64 v25, 1.0, v17, s[4:5]
	v_mul_f32_e32 v3, v3, v25
	v_mul_f32_e32 v25, 0x3f317217, v1
	;; [unrolled: 1-line block ×3, first 2 shown]
	v_fma_f32 v25, v1, s14, -v25
	v_fma_f32 v27, v0, s14, -v27
	v_fmac_f32_e32 v25, 0x3377d1cf, v1
	v_fmac_f32_e32 v27, 0x3377d1cf, v0
	;; [unrolled: 1-line block ×4, first 2 shown]
	v_cndmask_b32_e32 v1, v1, v25, vcc
	v_cmp_lt_f32_e64 vcc, |v0|, s13
	v_cndmask_b32_e64 v23, 0, v13, s[2:3]
	v_sub_f32_e32 v1, v1, v6
	v_cndmask_b32_e32 v0, v0, v27, vcc
	v_sub_f32_e32 v0, v0, v23
	v_cmp_lt_f32_e32 vcc, s12, v22
	v_log_f32_e32 v3, v3
	v_cmp_gt_f32_e64 s[6:7], s15, v2
	v_cndmask_b32_e32 v0, v0, v22, vcc
	v_cmp_lt_f32_e32 vcc, s12, v21
	v_cmp_gt_f32_e64 s[2:3], s11, v0
	v_cndmask_b32_e64 v26, 1.0, v17, s[6:7]
	v_cndmask_b32_e32 v1, v1, v21, vcc
	v_mul_f32_e32 v6, 0x4f800000, v1
	v_cmp_gt_f32_e32 vcc, s11, v1
	v_mul_f32_e32 v21, 0x4f800000, v0
	v_cndmask_b32_e64 v0, v0, v21, s[2:3]
	v_cndmask_b32_e32 v1, v1, v6, vcc
	v_sqrt_f32_e32 v6, v1
	v_sqrt_f32_e32 v21, v0
	v_mul_f32_e32 v28, 0x3f317217, v3
	v_mul_f32_e32 v2, v2, v26
	v_add_u32_e32 v22, -1, v6
	v_add_u32_e32 v25, -1, v21
	v_fma_f32 v29, -v22, v6, v1
	v_add_u32_e32 v23, 1, v6
	v_fma_f32 v31, -v25, v21, v0
	v_cmp_ge_f32_e64 s[8:9], 0, v29
	v_add_u32_e32 v27, 1, v21
	v_fma_f32 v30, -v23, v6, v1
	v_cndmask_b32_e64 v6, v6, v22, s[8:9]
	v_cmp_ge_f32_e64 s[8:9], 0, v31
	v_fma_f32 v32, -v27, v21, v0
	v_fma_f32 v28, v3, s14, -v28
	v_cndmask_b32_e64 v21, v21, v25, s[8:9]
	v_cmp_lt_f32_e64 s[8:9], 0, v30
	v_log_f32_e32 v2, v2
	v_fmac_f32_e32 v28, 0x3377d1cf, v3
	v_cndmask_b32_e64 v6, v6, v23, s[8:9]
	v_cmp_lt_f32_e64 s[8:9], 0, v32
	v_mul_f32_e32 v22, 0x37800000, v6
	v_cndmask_b32_e32 v6, v6, v22, vcc
	v_cndmask_b32_e64 v21, v21, v27, s[8:9]
	v_mul_f32_e32 v23, 0x37800000, v21
	v_cmp_class_f32_e32 vcc, v1, v12
	v_cndmask_b32_e64 v21, v21, v23, s[2:3]
	v_fmac_f32_e32 v28, 0x3f317217, v3
	v_cndmask_b32_e32 v1, v6, v1, vcc
	v_cmp_class_f32_e32 vcc, v0, v12
	v_cndmask_b32_e64 v6, 0, v13, s[4:5]
	v_cmp_lt_f32_e64 s[2:3], s12, v5
	v_cndmask_b32_e32 v0, v21, v0, vcc
	v_cmp_lt_f32_e64 vcc, |v3|, s13
	s_waitcnt vmcnt(2)
	v_lshlrev_b32_e32 v10, 16, v10
	v_lshlrev_b32_e32 v7, 16, v7
	v_cndmask_b32_e32 v3, v3, v28, vcc
	v_sub_f32_e32 v3, v3, v6
	v_mul_f32_e32 v6, 0x3f317217, v2
	v_fma_f32 v6, v2, s14, -v6
	v_fmac_f32_e32 v6, 0x3377d1cf, v2
	v_fmac_f32_e32 v6, 0x3f317217, v2
	v_cmp_lt_f32_e64 vcc, |v2|, s13
	s_waitcnt vmcnt(0)
	v_lshlrev_b32_e32 v20, 16, v20
	v_lshlrev_b32_e32 v11, 16, v11
	v_cndmask_b32_e32 v2, v2, v6, vcc
	v_cmp_lt_f32_e32 vcc, s12, v4
	v_cndmask_b32_e64 v6, 0, v13, s[6:7]
	v_sub_f32_e32 v2, v2, v6
	v_cndmask_b32_e32 v3, v3, v4, vcc
	v_mul_f32_e32 v4, 0x4f800000, v3
	v_cmp_gt_f32_e32 vcc, s11, v3
	v_cndmask_b32_e64 v2, v2, v5, s[2:3]
	v_lshl_add_u64 v[18:19], v[14:15], 2, v[18:19]
	v_cndmask_b32_e32 v3, v3, v4, vcc
	v_sqrt_f32_e32 v4, v3
	v_mul_lo_u32 v14, v16, s33
	v_add_u32_e32 v5, -1, v4
	v_fma_f32 v6, -v5, v4, v3
	v_cmp_ge_f32_e64 s[2:3], 0, v6
	v_add_u32_e32 v6, 1, v4
	s_nop 0
	v_cndmask_b32_e64 v5, v4, v5, s[2:3]
	v_fma_f32 v4, -v6, v4, v3
	v_cmp_lt_f32_e64 s[2:3], 0, v4
	s_nop 1
	v_cndmask_b32_e64 v4, v5, v6, s[2:3]
	v_mul_f32_e32 v6, 0x4f800000, v2
	v_cmp_gt_f32_e64 s[2:3], s11, v2
	v_mul_f32_e32 v5, 0x37800000, v4
	v_cndmask_b32_e32 v4, v4, v5, vcc
	v_cndmask_b32_e64 v2, v2, v6, s[2:3]
	v_sqrt_f32_e32 v6, v2
	v_cmp_class_f32_e32 vcc, v3, v12
	v_add_u32_e32 v22, 1, v6
	s_nop 0
	v_cndmask_b32_e32 v3, v4, v3, vcc
	v_add_u32_e32 v4, -1, v6
	v_fma_f32 v5, -v4, v6, v2
	v_cmp_ge_f32_e32 vcc, 0, v5
	v_mul_f32_e32 v5, 0x3fb8aa3b, v10
	v_exp_f32_e32 v5, v5
	v_cndmask_b32_e32 v21, v6, v4, vcc
	v_mul_f32_e32 v4, 0x3fb8aa3b, v7
	v_exp_f32_e32 v4, v4
	v_fma_f32 v6, -v22, v6, v2
	v_cmp_lt_f32_e32 vcc, 0, v6
	v_pk_add_f32 v[4:5], v[4:5], 1.0 op_sel_hi:[1,0]
	s_nop 0
	v_cndmask_b32_e32 v6, v21, v22, vcc
	v_cmp_gt_f32_e32 vcc, s15, v5
	v_mul_f32_e32 v21, 0x37800000, v6
	v_cndmask_b32_e64 v6, v6, v21, s[2:3]
	v_cndmask_b32_e32 v22, 1.0, v17, vcc
	v_mul_f32_e32 v5, v5, v22
	v_log_f32_e32 v5, v5
	v_cmp_class_f32_e64 s[2:3], v2, v12
	v_cmp_lt_f32_e64 s[4:5], |v5|, s13
	s_nop 0
	v_cndmask_b32_e64 v2, v6, v2, s[2:3]
	v_cmp_gt_f32_e64 s[2:3], s15, v4
	v_mul_f32_e32 v6, 0x3f317217, v5
	v_fma_f32 v6, v5, s14, -v6
	v_cndmask_b32_e64 v21, 1.0, v17, s[2:3]
	v_mul_f32_e32 v4, v4, v21
	v_log_f32_e32 v4, v4
	v_fmac_f32_e32 v6, 0x3377d1cf, v5
	v_fmac_f32_e32 v6, 0x3f317217, v5
	v_cndmask_b32_e64 v5, v5, v6, s[4:5]
	v_cndmask_b32_e32 v6, 0, v13, vcc
	v_sub_f32_e32 v5, v5, v6
	v_mul_f32_e32 v6, 0x3f317217, v4
	v_fma_f32 v6, v4, s14, -v6
	v_fmac_f32_e32 v6, 0x3377d1cf, v4
	v_fmac_f32_e32 v6, 0x3f317217, v4
	v_cmp_lt_f32_e64 vcc, |v4|, s13
	s_nop 1
	v_cndmask_b32_e32 v4, v4, v6, vcc
	v_cmp_lt_f32_e32 vcc, s12, v10
	v_cndmask_b32_e64 v6, 0, v13, s[2:3]
	v_sub_f32_e32 v4, v4, v6
	v_cndmask_b32_e32 v5, v5, v10, vcc
	v_mul_f32_e32 v10, 0x4f800000, v5
	v_cmp_gt_f32_e32 vcc, s11, v5
	v_cmp_lt_f32_e64 s[2:3], s12, v7
	s_nop 0
	v_cndmask_b32_e32 v5, v5, v10, vcc
	v_sqrt_f32_e32 v10, v5
	v_cndmask_b32_e64 v4, v4, v7, s[2:3]
	v_add_u32_e32 v6, -1, v10
	v_fma_f32 v7, -v6, v10, v5
	v_cmp_ge_f32_e64 s[2:3], 0, v7
	v_add_u32_e32 v7, 1, v10
	s_nop 0
	v_cndmask_b32_e64 v6, v10, v6, s[2:3]
	v_fma_f32 v10, -v7, v10, v5
	v_cmp_lt_f32_e64 s[2:3], 0, v10
	global_load_ushort v10, v[8:9], off offset:512
	global_load_ushort v21, v[8:9], off offset:576
	v_cndmask_b32_e64 v6, v6, v7, s[2:3]
	v_mul_f32_e32 v7, 0x37800000, v6
	v_cndmask_b32_e32 v6, v6, v7, vcc
	v_mul_f32_e32 v7, 0x4f800000, v4
	v_cmp_gt_f32_e32 vcc, s11, v4
	v_cmp_class_f32_e64 s[2:3], v5, v12
	s_waitcnt vmcnt(1)
	v_lshlrev_b32_e32 v10, 16, v10
	v_cndmask_b32_e32 v4, v4, v7, vcc
	v_sqrt_f32_e32 v7, v4
	v_cndmask_b32_e64 v5, v6, v5, s[2:3]
	s_waitcnt vmcnt(0)
	v_lshlrev_b32_e32 v21, 16, v21
	v_add_u32_e32 v6, -1, v7
	v_fma_f32 v22, -v6, v7, v4
	v_cmp_ge_f32_e64 s[2:3], 0, v22
	v_add_u32_e32 v23, 1, v7
	v_fma_f32 v25, -v23, v7, v4
	v_cndmask_b32_e64 v22, v7, v6, s[2:3]
	v_mul_f32_e32 v6, 0x3fb8aa3b, v11
	v_mul_f32_e32 v7, 0x3fb8aa3b, v20
	v_exp_f32_e32 v6, v6
	v_exp_f32_e32 v7, v7
	v_cmp_lt_f32_e64 s[2:3], 0, v25
	v_pk_add_f32 v[6:7], v[6:7], 1.0 op_sel_hi:[1,0]
	s_nop 0
	v_cndmask_b32_e64 v22, v22, v23, s[2:3]
	v_cmp_gt_f32_e64 s[2:3], s15, v7
	v_mul_f32_e32 v23, 0x37800000, v22
	v_cndmask_b32_e32 v22, v22, v23, vcc
	v_cndmask_b32_e64 v25, 1.0, v17, s[2:3]
	v_mul_f32_e32 v7, v7, v25
	v_log_f32_e32 v7, v7
	v_cmp_class_f32_e32 vcc, v4, v12
	v_cmp_lt_f32_e64 s[4:5], |v7|, s13
	s_nop 0
	v_cndmask_b32_e32 v4, v22, v4, vcc
	v_cmp_gt_f32_e32 vcc, s15, v6
	v_mul_f32_e32 v22, 0x3f317217, v7
	v_fma_f32 v22, v7, s14, -v22
	v_cndmask_b32_e32 v23, 1.0, v17, vcc
	v_mul_f32_e32 v6, v6, v23
	v_log_f32_e32 v6, v6
	v_fmac_f32_e32 v22, 0x3377d1cf, v7
	v_fmac_f32_e32 v22, 0x3f317217, v7
	v_cndmask_b32_e64 v7, v7, v22, s[4:5]
	v_cndmask_b32_e64 v22, 0, v13, s[2:3]
	v_sub_f32_e32 v7, v7, v22
	v_mul_f32_e32 v22, 0x3f317217, v6
	v_fma_f32 v22, v6, s14, -v22
	v_fmac_f32_e32 v22, 0x3377d1cf, v6
	v_fmac_f32_e32 v22, 0x3f317217, v6
	v_cmp_lt_f32_e64 s[2:3], |v6|, s13
	s_nop 1
	v_cndmask_b32_e64 v6, v6, v22, s[2:3]
	v_cndmask_b32_e32 v22, 0, v13, vcc
	v_cmp_lt_f32_e32 vcc, s12, v20
	v_sub_f32_e32 v6, v6, v22
	s_nop 0
	v_cndmask_b32_e32 v7, v7, v20, vcc
	v_mul_f32_e32 v20, 0x4f800000, v7
	v_cmp_gt_f32_e64 s[2:3], s11, v7
	v_cmp_lt_f32_e32 vcc, s12, v11
	s_nop 0
	v_cndmask_b32_e64 v7, v7, v20, s[2:3]
	v_sqrt_f32_e32 v20, v7
	v_cndmask_b32_e32 v6, v6, v11, vcc
	v_add_u32_e32 v11, -1, v20
	v_fma_f32 v22, -v11, v20, v7
	v_cmp_ge_f32_e32 vcc, 0, v22
	v_add_u32_e32 v22, 1, v20
	s_nop 0
	v_cndmask_b32_e32 v11, v20, v11, vcc
	v_fma_f32 v20, -v22, v20, v7
	v_cmp_lt_f32_e32 vcc, 0, v20
	s_nop 1
	v_cndmask_b32_e32 v11, v11, v22, vcc
	v_mul_f32_e32 v22, 0x4f800000, v6
	v_cmp_gt_f32_e32 vcc, s11, v6
	v_mul_f32_e32 v20, 0x37800000, v11
	v_cndmask_b32_e64 v11, v11, v20, s[2:3]
	v_cndmask_b32_e32 v6, v6, v22, vcc
	global_load_ushort v22, v[8:9], off offset:640
	global_load_ushort v23, v[8:9], off offset:704
	v_sqrt_f32_e32 v25, v6
	v_cmp_class_f32_e64 s[2:3], v7, v12
	global_load_ushort v26, v[8:9], off offset:768
	global_load_ushort v27, v[8:9], off offset:832
	v_mul_f32_e32 v8, 0x3fb8aa3b, v10
	v_mul_f32_e32 v9, 0x3fb8aa3b, v21
	v_cndmask_b32_e64 v7, v11, v7, s[2:3]
	v_add_u32_e32 v11, -1, v25
	v_exp_f32_e32 v8, v8
	v_exp_f32_e32 v9, v9
	v_fma_f32 v20, -v11, v25, v6
	v_cmp_ge_f32_e64 s[2:3], 0, v20
	v_add_u32_e32 v20, 1, v25
	v_pk_add_f32 v[8:9], v[8:9], 1.0 op_sel_hi:[1,0]
	v_cndmask_b32_e64 v11, v25, v11, s[2:3]
	v_fma_f32 v25, -v20, v25, v6
	v_cmp_lt_f32_e64 s[2:3], 0, v25
	s_waitcnt vmcnt(3)
	v_lshlrev_b32_e32 v22, 16, v22
	v_cndmask_b32_e64 v11, v11, v20, s[2:3]
	v_cmp_gt_f32_e64 s[2:3], s15, v9
	v_mul_f32_e32 v20, 0x37800000, v11
	v_cndmask_b32_e32 v11, v11, v20, vcc
	v_cndmask_b32_e64 v25, 1.0, v17, s[2:3]
	v_mul_f32_e32 v9, v9, v25
	v_log_f32_e32 v9, v9
	v_cmp_class_f32_e32 vcc, v6, v12
	s_waitcnt vmcnt(2)
	v_lshlrev_b32_e32 v23, 16, v23
	s_waitcnt vmcnt(0)
	v_lshlrev_b32_e32 v27, 16, v27
	v_cndmask_b32_e32 v6, v11, v6, vcc
	v_cmp_gt_f32_e32 vcc, s15, v8
	v_mul_f32_e32 v11, 0x3f317217, v9
	v_fma_f32 v11, v9, s14, -v11
	v_cndmask_b32_e32 v20, 1.0, v17, vcc
	v_mul_f32_e32 v8, v8, v20
	v_log_f32_e32 v8, v8
	v_fmac_f32_e32 v11, 0x3377d1cf, v9
	v_fmac_f32_e32 v11, 0x3f317217, v9
	v_cmp_lt_f32_e64 s[4:5], |v9|, s13
	v_lshlrev_b32_e32 v26, 16, v26
	s_nop 0
	v_cndmask_b32_e64 v9, v9, v11, s[4:5]
	v_cndmask_b32_e64 v11, 0, v13, s[2:3]
	v_sub_f32_e32 v9, v9, v11
	v_mul_f32_e32 v11, 0x3f317217, v8
	v_fma_f32 v11, v8, s14, -v11
	v_fmac_f32_e32 v11, 0x3377d1cf, v8
	v_fmac_f32_e32 v11, 0x3f317217, v8
	v_cmp_lt_f32_e64 s[2:3], |v8|, s13
	s_nop 1
	v_cndmask_b32_e64 v8, v8, v11, s[2:3]
	v_cndmask_b32_e32 v11, 0, v13, vcc
	v_cmp_lt_f32_e32 vcc, s12, v21
	v_sub_f32_e32 v8, v8, v11
	v_cmp_lt_f32_e64 s[2:3], s12, v10
	v_cndmask_b32_e32 v9, v9, v21, vcc
	v_mul_f32_e32 v20, 0x4f800000, v9
	v_cmp_gt_f32_e32 vcc, s11, v9
	v_cndmask_b32_e64 v8, v8, v10, s[2:3]
	s_nop 0
	v_cndmask_b32_e32 v9, v9, v20, vcc
	v_sqrt_f32_e32 v20, v9
	s_nop 0
	v_add_u32_e32 v10, -1, v20
	v_fma_f32 v11, -v10, v20, v9
	v_cmp_ge_f32_e64 s[2:3], 0, v11
	v_add_u32_e32 v11, 1, v20
	s_nop 0
	v_cndmask_b32_e64 v10, v20, v10, s[2:3]
	v_fma_f32 v20, -v11, v20, v9
	v_cmp_lt_f32_e64 s[2:3], 0, v20
	v_mul_f32_e32 v20, 0x4f800000, v8
	s_nop 0
	v_cndmask_b32_e64 v10, v10, v11, s[2:3]
	v_cmp_gt_f32_e64 s[2:3], s11, v8
	v_mul_f32_e32 v11, 0x37800000, v10
	v_cndmask_b32_e32 v10, v10, v11, vcc
	v_cndmask_b32_e64 v8, v8, v20, s[2:3]
	v_sqrt_f32_e32 v20, v8
	v_cmp_class_f32_e32 vcc, v9, v12
	v_add_u32_e32 v25, 1, v20
	s_nop 0
	v_cndmask_b32_e32 v9, v10, v9, vcc
	v_add_u32_e32 v10, -1, v20
	v_fma_f32 v11, -v10, v20, v8
	v_cmp_ge_f32_e32 vcc, 0, v11
	v_mul_f32_e32 v11, 0x3fb8aa3b, v23
	v_exp_f32_e32 v11, v11
	v_cndmask_b32_e32 v21, v20, v10, vcc
	v_mul_f32_e32 v10, 0x3fb8aa3b, v22
	v_exp_f32_e32 v10, v10
	v_fma_f32 v20, -v25, v20, v8
	v_cmp_lt_f32_e32 vcc, 0, v20
	v_pk_add_f32 v[10:11], v[10:11], 1.0 op_sel_hi:[1,0]
	s_nop 0
	v_cndmask_b32_e32 v20, v21, v25, vcc
	v_cmp_gt_f32_e32 vcc, s15, v11
	v_mul_f32_e32 v21, 0x37800000, v20
	v_cndmask_b32_e64 v20, v20, v21, s[2:3]
	v_cndmask_b32_e32 v25, 1.0, v17, vcc
	v_mul_f32_e32 v11, v11, v25
	v_log_f32_e32 v11, v11
	v_cmp_class_f32_e64 s[2:3], v8, v12
	v_cmp_lt_f32_e64 s[4:5], |v11|, s13
	s_nop 0
	v_cndmask_b32_e64 v8, v20, v8, s[2:3]
	v_cmp_gt_f32_e64 s[2:3], s15, v10
	v_mul_f32_e32 v20, 0x3f317217, v11
	v_fma_f32 v20, v11, s14, -v20
	v_cndmask_b32_e64 v21, 1.0, v17, s[2:3]
	v_mul_f32_e32 v10, v10, v21
	v_log_f32_e32 v10, v10
	v_fmac_f32_e32 v20, 0x3377d1cf, v11
	v_fmac_f32_e32 v20, 0x3f317217, v11
	v_cndmask_b32_e64 v11, v11, v20, s[4:5]
	v_cndmask_b32_e32 v20, 0, v13, vcc
	v_sub_f32_e32 v11, v11, v20
	v_mul_f32_e32 v20, 0x3f317217, v10
	v_fma_f32 v20, v10, s14, -v20
	v_fmac_f32_e32 v20, 0x3377d1cf, v10
	v_fmac_f32_e32 v20, 0x3f317217, v10
	v_cmp_lt_f32_e64 vcc, |v10|, s13
	s_nop 1
	v_cndmask_b32_e32 v10, v10, v20, vcc
	v_cmp_lt_f32_e32 vcc, s12, v23
	v_cndmask_b32_e64 v20, 0, v13, s[2:3]
	v_sub_f32_e32 v10, v10, v20
	v_cndmask_b32_e32 v11, v11, v23, vcc
	v_mul_f32_e32 v21, 0x4f800000, v11
	v_cmp_gt_f32_e32 vcc, s11, v11
	v_cmp_lt_f32_e64 s[2:3], s12, v22
	s_nop 0
	v_cndmask_b32_e32 v11, v11, v21, vcc
	v_sqrt_f32_e32 v21, v11
	v_cndmask_b32_e64 v10, v10, v22, s[2:3]
	v_add_u32_e32 v20, -1, v21
	v_fma_f32 v22, -v20, v21, v11
	v_cmp_ge_f32_e64 s[2:3], 0, v22
	v_add_u32_e32 v22, 1, v21
	s_nop 0
	v_cndmask_b32_e64 v20, v21, v20, s[2:3]
	v_fma_f32 v21, -v22, v21, v11
	v_cmp_lt_f32_e64 s[2:3], 0, v21
	s_nop 1
	v_cndmask_b32_e64 v20, v20, v22, s[2:3]
	v_mul_f32_e32 v22, 0x4f800000, v10
	v_cmp_gt_f32_e64 s[2:3], s11, v10
	v_mul_f32_e32 v21, 0x37800000, v20
	v_cndmask_b32_e32 v20, v20, v21, vcc
	v_cndmask_b32_e64 v10, v10, v22, s[2:3]
	v_sqrt_f32_e32 v22, v10
	v_cmp_class_f32_e32 vcc, v11, v12
	v_add_u32_e32 v25, 1, v22
	s_nop 0
	v_cndmask_b32_e32 v11, v20, v11, vcc
	v_add_u32_e32 v20, -1, v22
	v_fma_f32 v21, -v20, v22, v10
	v_cmp_ge_f32_e32 vcc, 0, v21
	v_mul_f32_e32 v21, 0x3fb8aa3b, v27
	v_exp_f32_e32 v21, v21
	v_cndmask_b32_e32 v23, v22, v20, vcc
	v_mul_f32_e32 v20, 0x3fb8aa3b, v26
	v_exp_f32_e32 v20, v20
	v_fma_f32 v22, -v25, v22, v10
	v_cmp_lt_f32_e32 vcc, 0, v22
	v_pk_add_f32 v[20:21], v[20:21], 1.0 op_sel_hi:[1,0]
	s_nop 0
	v_cndmask_b32_e32 v22, v23, v25, vcc
	v_cmp_gt_f32_e32 vcc, s15, v21
	v_mul_f32_e32 v23, 0x37800000, v22
	v_cndmask_b32_e64 v22, v22, v23, s[2:3]
	v_cndmask_b32_e32 v25, 1.0, v17, vcc
	v_mul_f32_e32 v21, v21, v25
	v_log_f32_e32 v21, v21
	v_cmp_class_f32_e64 s[2:3], v10, v12
	v_cmp_lt_f32_e64 s[4:5], |v21|, s13
	s_nop 0
	v_cndmask_b32_e64 v10, v22, v10, s[2:3]
	v_cmp_gt_f32_e64 s[2:3], s15, v20
	v_mul_f32_e32 v22, 0x3f317217, v21
	v_fma_f32 v22, v21, s14, -v22
	v_cndmask_b32_e64 v17, 1.0, v17, s[2:3]
	v_mul_f32_e32 v17, v20, v17
	v_log_f32_e32 v17, v17
	v_fmac_f32_e32 v22, 0x3377d1cf, v21
	v_fmac_f32_e32 v22, 0x3f317217, v21
	v_cndmask_b32_e64 v20, v21, v22, s[4:5]
	v_cndmask_b32_e32 v21, 0, v13, vcc
	v_sub_f32_e32 v20, v20, v21
	v_mul_f32_e32 v21, 0x3f317217, v17
	v_fma_f32 v21, v17, s14, -v21
	v_fmac_f32_e32 v21, 0x3377d1cf, v17
	v_fmac_f32_e32 v21, 0x3f317217, v17
	v_cmp_lt_f32_e64 vcc, |v17|, s13
	v_cndmask_b32_e64 v13, 0, v13, s[2:3]
	v_cmp_lt_f32_e64 s[2:3], s12, v26
	v_cndmask_b32_e32 v17, v17, v21, vcc
	v_cmp_lt_f32_e32 vcc, s12, v27
	v_sub_f32_e32 v13, v17, v13
	v_cndmask_b32_e64 v13, v13, v26, s[2:3]
	v_cndmask_b32_e32 v20, v20, v27, vcc
	v_mul_f32_e32 v21, 0x4f800000, v20
	v_cmp_gt_f32_e32 vcc, s11, v20
	s_cselect_b64 s[4:5], -1, 0
	s_cmp_lt_i32 s33, 1
	v_cndmask_b32_e32 v20, v20, v21, vcc
	v_sqrt_f32_e32 v21, v20
	s_nop 0
	v_add_u32_e32 v17, -1, v21
	v_fma_f32 v22, -v17, v21, v20
	v_cmp_ge_f32_e64 s[2:3], 0, v22
	v_add_u32_e32 v22, 1, v21
	s_nop 0
	v_cndmask_b32_e64 v17, v21, v17, s[2:3]
	v_fma_f32 v21, -v22, v21, v20
	v_cmp_lt_f32_e64 s[2:3], 0, v21
	s_nop 1
	v_cndmask_b32_e64 v17, v17, v22, s[2:3]
	v_mul_f32_e32 v22, 0x4f800000, v13
	v_cmp_gt_f32_e64 s[2:3], s11, v13
	v_mul_f32_e32 v21, 0x37800000, v17
	s_nop 0
	v_cndmask_b32_e64 v22, v13, v22, s[2:3]
	v_sqrt_f32_e32 v23, v22
	v_cndmask_b32_e32 v13, v17, v21, vcc
	v_cmp_class_f32_e32 vcc, v20, v12
	v_add_u32_e32 v17, -1, v23
	s_nop 0
	v_cndmask_b32_e32 v13, v13, v20, vcc
	v_fma_f32 v20, -v17, v23, v22
	v_cmp_ge_f32_e32 vcc, 0, v20
	v_add_u32_e32 v20, 1, v23
	v_fma_f32 v21, -v20, v23, v22
	v_cndmask_b32_e32 v17, v23, v17, vcc
	v_cmp_lt_f32_e32 vcc, 0, v21
	s_nop 1
	v_cndmask_b32_e32 v17, v17, v20, vcc
	v_mul_f32_e32 v20, 0x37800000, v17
	v_cndmask_b32_e64 v17, v17, v20, s[2:3]
	v_cmp_class_f32_e32 vcc, v22, v12
	s_nop 1
	v_cndmask_b32_e32 v12, v17, v22, vcc
	s_cbranch_scc1 .LBB474_29
; %bb.2:
	s_load_dwordx2 s[6:7], s[0:1], 0x20
	s_cmp_lt_u32 s33, 4
	v_mul_lo_u32 v16, v16, s33
	s_cbranch_scc1 .LBB474_21
; %bb.3:
	s_mov_b32 s9, 0
	s_and_b32 s10, s33, 0x7ffffffc
	v_ashrrev_i32_e32 v17, 31, v16
	v_mov_b32_e32 v15, 0
	s_mov_b32 s8, s9
	s_branch .LBB474_5
.LBB474_4:                              ;   in Loop: Header=BB474_5 Depth=1
	s_or_b64 exec, exec, s[12:13]
	s_add_i32 s8, s8, 4
	s_cmp_eq_u32 s8, s10
	s_cbranch_scc1 .LBB474_22
.LBB474_5:                              ; =>This Loop Header: Depth=1
                                        ;     Child Loop BB474_7 Depth 2
                                        ;     Child Loop BB474_11 Depth 2
	;; [unrolled: 1-line block ×4, first 2 shown]
	v_lshl_add_u64 v[20:21], s[8:9], 2, v[18:19]
	global_load_dword v25, v[20:21], off
	v_add_u32_e32 v22, s8, v16
	v_ashrrev_i32_e32 v23, 31, v22
	s_waitcnt lgkmcnt(0)
	v_lshl_add_u64 v[22:23], v[22:23], 2, s[6:7]
	s_mov_b64 s[12:13], 0
	v_mov_b32_e32 v26, v24
	s_mov_b64 s[14:15], 0
	s_waitcnt vmcnt(0)
	s_branch .LBB474_7
.LBB474_6:                              ;   in Loop: Header=BB474_7 Depth=2
	s_or_b64 exec, exec, s[16:17]
	s_cmp_gt_u32 s14, 12
	s_cselect_b64 s[2:3], -1, 0
	s_xor_b64 s[16:17], vcc, -1
	s_or_b64 s[2:3], s[16:17], s[2:3]
	s_add_u32 s14, s14, 1
	s_addc_u32 s15, s15, 0
	s_and_b64 s[2:3], exec, s[2:3]
	s_or_b64 s[12:13], s[2:3], s[12:13]
	v_add_u32_e32 v26, 32, v26
	s_andn2_b64 exec, exec, s[12:13]
	s_cbranch_execz .LBB474_9
.LBB474_7:                              ;   Parent Loop BB474_5 Depth=1
                                        ; =>  This Inner Loop Header: Depth=2
	v_cmp_ne_u32_e32 vcc, v25, v26
	v_cmp_eq_u32_e64 s[2:3], v25, v26
	s_and_saveexec_b64 s[16:17], s[2:3]
	s_cbranch_execz .LBB474_6
; %bb.8:                                ;   in Loop: Header=BB474_7 Depth=2
	s_set_gpr_idx_on s14, gpr_idx(SRC0)
	v_mov_b32_e32 v27, v0
	s_set_gpr_idx_off
	v_add_f32_e32 v15, v15, v27
	global_store_dword v[22:23], v25, off
	s_branch .LBB474_6
.LBB474_9:                              ;   in Loop: Header=BB474_5 Depth=1
	s_or_b64 exec, exec, s[12:13]
	global_load_dword v25, v[20:21], off offset:4
	s_ashr_i32 s3, s8, 31
	s_mov_b32 s2, s8
	v_lshl_add_u64 v[22:23], s[2:3], 0, v[16:17]
	v_lshl_add_u64 v[22:23], v[22:23], 2, s[6:7]
	s_mov_b64 s[12:13], 0
	v_mov_b32_e32 v26, v24
	s_mov_b64 s[14:15], 0
	s_waitcnt vmcnt(0)
	s_branch .LBB474_11
.LBB474_10:                             ;   in Loop: Header=BB474_11 Depth=2
	s_or_b64 exec, exec, s[16:17]
	s_cmp_gt_u32 s14, 12
	s_cselect_b64 s[2:3], -1, 0
	s_xor_b64 s[16:17], vcc, -1
	s_or_b64 s[2:3], s[16:17], s[2:3]
	s_add_u32 s14, s14, 1
	s_addc_u32 s15, s15, 0
	s_and_b64 s[2:3], exec, s[2:3]
	s_or_b64 s[12:13], s[2:3], s[12:13]
	v_add_u32_e32 v26, 32, v26
	s_andn2_b64 exec, exec, s[12:13]
	s_cbranch_execz .LBB474_13
.LBB474_11:                             ;   Parent Loop BB474_5 Depth=1
                                        ; =>  This Inner Loop Header: Depth=2
	v_cmp_ne_u32_e32 vcc, v25, v26
	v_cmp_eq_u32_e64 s[2:3], v25, v26
	s_and_saveexec_b64 s[16:17], s[2:3]
	s_cbranch_execz .LBB474_10
; %bb.12:                               ;   in Loop: Header=BB474_11 Depth=2
	s_set_gpr_idx_on s14, gpr_idx(SRC0)
	v_mov_b32_e32 v27, v0
	s_set_gpr_idx_off
	v_add_f32_e32 v15, v15, v27
	global_store_dword v[22:23], v25, off offset:4
	s_branch .LBB474_10
.LBB474_13:                             ;   in Loop: Header=BB474_5 Depth=1
	s_or_b64 exec, exec, s[12:13]
	global_load_dword v25, v[20:21], off offset:8
	s_mov_b64 s[12:13], 0
	v_mov_b32_e32 v26, v24
	s_mov_b64 s[14:15], 0
	s_waitcnt vmcnt(0)
	s_branch .LBB474_15
.LBB474_14:                             ;   in Loop: Header=BB474_15 Depth=2
	s_or_b64 exec, exec, s[16:17]
	s_cmp_gt_u32 s14, 12
	s_cselect_b64 s[2:3], -1, 0
	s_xor_b64 s[16:17], vcc, -1
	s_or_b64 s[2:3], s[16:17], s[2:3]
	s_add_u32 s14, s14, 1
	s_addc_u32 s15, s15, 0
	s_and_b64 s[2:3], exec, s[2:3]
	s_or_b64 s[12:13], s[2:3], s[12:13]
	v_add_u32_e32 v26, 32, v26
	s_andn2_b64 exec, exec, s[12:13]
	s_cbranch_execz .LBB474_17
.LBB474_15:                             ;   Parent Loop BB474_5 Depth=1
                                        ; =>  This Inner Loop Header: Depth=2
	v_cmp_ne_u32_e32 vcc, v25, v26
	v_cmp_eq_u32_e64 s[2:3], v25, v26
	s_and_saveexec_b64 s[16:17], s[2:3]
	s_cbranch_execz .LBB474_14
; %bb.16:                               ;   in Loop: Header=BB474_15 Depth=2
	s_set_gpr_idx_on s14, gpr_idx(SRC0)
	v_mov_b32_e32 v27, v0
	s_set_gpr_idx_off
	v_add_f32_e32 v15, v15, v27
	global_store_dword v[22:23], v25, off offset:8
	s_branch .LBB474_14
.LBB474_17:                             ;   in Loop: Header=BB474_5 Depth=1
	s_or_b64 exec, exec, s[12:13]
	global_load_dword v20, v[20:21], off offset:12
	s_mov_b64 s[12:13], 0
	v_mov_b32_e32 v21, v24
	s_mov_b64 s[14:15], 0
	s_waitcnt vmcnt(0)
	s_branch .LBB474_19
.LBB474_18:                             ;   in Loop: Header=BB474_19 Depth=2
	s_or_b64 exec, exec, s[16:17]
	s_cmp_gt_u32 s14, 12
	s_cselect_b64 s[2:3], -1, 0
	s_xor_b64 s[16:17], vcc, -1
	s_or_b64 s[2:3], s[16:17], s[2:3]
	s_add_u32 s14, s14, 1
	s_addc_u32 s15, s15, 0
	s_and_b64 s[2:3], exec, s[2:3]
	s_or_b64 s[12:13], s[2:3], s[12:13]
	v_add_u32_e32 v21, 32, v21
	s_andn2_b64 exec, exec, s[12:13]
	s_cbranch_execz .LBB474_4
.LBB474_19:                             ;   Parent Loop BB474_5 Depth=1
                                        ; =>  This Inner Loop Header: Depth=2
	v_cmp_ne_u32_e32 vcc, v20, v21
	v_cmp_eq_u32_e64 s[2:3], v20, v21
	s_and_saveexec_b64 s[16:17], s[2:3]
	s_cbranch_execz .LBB474_18
; %bb.20:                               ;   in Loop: Header=BB474_19 Depth=2
	s_set_gpr_idx_on s14, gpr_idx(SRC0)
	v_mov_b32_e32 v25, v0
	s_set_gpr_idx_off
	v_add_f32_e32 v15, v15, v25
	global_store_dword v[22:23], v20, off offset:12
	s_branch .LBB474_18
.LBB474_21:
	v_mov_b32_e32 v15, 0
.LBB474_22:
	s_and_b32 s16, s33, 3
	s_cmp_eq_u32 s16, 0
	s_mov_b32 s11, 0
	s_cbranch_scc1 .LBB474_29
; %bb.23:
	s_mov_b32 s17, s11
	s_branch .LBB474_25
.LBB474_24:                             ;   in Loop: Header=BB474_25 Depth=1
	s_or_b64 exec, exec, s[8:9]
	s_add_i32 s10, s10, 1
	s_add_i32 s17, s17, 1
	s_cmp_lg_u32 s17, s16
	s_cbranch_scc0 .LBB474_29
.LBB474_25:                             ; =>This Loop Header: Depth=1
                                        ;     Child Loop BB474_27 Depth 2
	v_lshl_add_u64 v[20:21], s[10:11], 2, v[18:19]
	global_load_dword v17, v[20:21], off
	v_add_u32_e32 v20, s10, v16
	v_ashrrev_i32_e32 v21, 31, v20
	s_waitcnt lgkmcnt(0)
	v_lshl_add_u64 v[20:21], v[20:21], 2, s[6:7]
	s_mov_b64 s[8:9], 0
	v_mov_b32_e32 v22, v24
	s_mov_b64 s[12:13], 0
	s_waitcnt vmcnt(0)
	s_branch .LBB474_27
.LBB474_26:                             ;   in Loop: Header=BB474_27 Depth=2
	s_or_b64 exec, exec, s[14:15]
	s_cmp_gt_u32 s12, 12
	s_cselect_b64 s[2:3], -1, 0
	s_xor_b64 s[14:15], vcc, -1
	s_or_b64 s[2:3], s[14:15], s[2:3]
	s_add_u32 s12, s12, 1
	s_addc_u32 s13, s13, 0
	s_and_b64 s[2:3], exec, s[2:3]
	s_or_b64 s[8:9], s[2:3], s[8:9]
	v_add_u32_e32 v22, 32, v22
	s_andn2_b64 exec, exec, s[8:9]
	s_cbranch_execz .LBB474_24
.LBB474_27:                             ;   Parent Loop BB474_25 Depth=1
                                        ; =>  This Inner Loop Header: Depth=2
	v_cmp_ne_u32_e32 vcc, v17, v22
	v_cmp_eq_u32_e64 s[2:3], v17, v22
	s_and_saveexec_b64 s[14:15], s[2:3]
	s_cbranch_execz .LBB474_26
; %bb.28:                               ;   in Loop: Header=BB474_27 Depth=2
	s_set_gpr_idx_on s12, gpr_idx(SRC0)
	v_mov_b32_e32 v23, v0
	s_set_gpr_idx_off
	v_add_f32_e32 v15, v15, v23
	global_store_dword v[20:21], v17, off
	s_branch .LBB474_26
.LBB474_29:
	s_waitcnt lgkmcnt(0)
	s_load_dword s6, s[0:1], 0x3c
	s_waitcnt lgkmcnt(0)
	s_bitcmp1_b32 s6, 0
	s_cselect_b64 s[2:3], -1, 0
	s_bitcmp0_b32 s6, 0
	s_cbranch_scc0 .LBB474_32
; %bb.30:
	s_load_dwordx2 s[6:7], s[0:1], 0x40
	s_andn2_b64 vcc, exec, s[2:3]
	s_waitcnt lgkmcnt(0)
	v_cvt_f32_f64_e32 v20, s[6:7]
	s_cbranch_vccz .LBB474_33
.LBB474_31:
	s_andn2_b64 vcc, exec, s[4:5]
	s_cbranch_vccz .LBB474_34
	s_branch .LBB474_64
.LBB474_32:
	v_mbcnt_lo_u32_b32 v16, -1, 0
	v_mbcnt_hi_u32_b32 v16, -1, v16
	v_and_b32_e32 v17, 0x60, v16
	v_add_u32_e32 v17, 32, v17
	v_xor_b32_e32 v20, 16, v16
	v_cmp_lt_i32_e32 vcc, v20, v17
	v_xor_b32_e32 v21, 8, v16
	s_nop 0
	v_cndmask_b32_e32 v20, v16, v20, vcc
	v_lshlrev_b32_e32 v20, 2, v20
	ds_bpermute_b32 v20, v20, v15
	v_cmp_lt_i32_e32 vcc, v21, v17
	s_waitcnt lgkmcnt(0)
	v_add_f32_e32 v15, v15, v20
	v_cndmask_b32_e32 v20, v16, v21, vcc
	v_lshlrev_b32_e32 v20, 2, v20
	ds_bpermute_b32 v20, v20, v15
	v_xor_b32_e32 v21, 4, v16
	v_cmp_lt_i32_e32 vcc, v21, v17
	s_waitcnt lgkmcnt(0)
	v_add_f32_e32 v15, v15, v20
	v_cndmask_b32_e32 v20, v16, v21, vcc
	v_lshlrev_b32_e32 v20, 2, v20
	ds_bpermute_b32 v20, v20, v15
	v_xor_b32_e32 v21, 2, v16
	;; [unrolled: 7-line block ×3, first 2 shown]
	v_cmp_lt_i32_e32 vcc, v21, v17
	s_waitcnt lgkmcnt(0)
	v_add_f32_e32 v15, v15, v20
	v_cndmask_b32_e32 v16, v16, v21, vcc
	v_lshlrev_b32_e32 v16, 2, v16
	ds_bpermute_b32 v16, v16, v15
	s_waitcnt lgkmcnt(0)
	v_add_f32_e32 v15, v15, v16
	s_load_dwordx2 s[6:7], s[0:1], 0x40
	s_andn2_b64 vcc, exec, s[2:3]
	s_waitcnt lgkmcnt(0)
	v_cvt_f32_f64_e32 v20, s[6:7]
	s_cbranch_vccnz .LBB474_31
.LBB474_33:
	v_cmp_lt_f32_e32 vcc, 0, v15
	s_nop 1
	v_cndmask_b32_e32 v15, 1.0, v15, vcc
	v_div_scale_f32 v16, s[2:3], v15, v15, v20
	v_rcp_f32_e32 v17, v16
	s_nop 0
	v_fma_f32 v21, -v16, v17, 1.0
	v_fmac_f32_e32 v17, v21, v17
	v_div_scale_f32 v21, vcc, v20, v15, v20
	v_mul_f32_e32 v22, v21, v17
	v_fma_f32 v23, -v16, v22, v21
	v_fmac_f32_e32 v22, v23, v17
	v_fma_f32 v16, -v16, v22, v21
	v_div_fmas_f32 v16, v16, v17, v22
	v_div_fixup_f32 v20, v16, v15, v20
	s_andn2_b64 vcc, exec, s[4:5]
	s_cbranch_vccnz .LBB474_64
.LBB474_34:
	s_load_dwordx2 s[24:25], s[0:1], 0x10
	v_or_b32_e32 v21, 32, v24
	v_or_b32_e32 v22, 64, v24
	;; [unrolled: 1-line block ×13, first 2 shown]
	s_branch .LBB474_36
.LBB474_35:                             ;   in Loop: Header=BB474_36 Depth=1
	s_or_b64 exec, exec, s[0:1]
	s_add_i32 s33, s33, -1
	v_add_u32_e32 v14, 1, v14
	s_cmp_lg_u32 s33, 0
	v_lshl_add_u64 v[18:19], v[18:19], 0, 4
	s_cbranch_scc0 .LBB474_64
.LBB474_36:                             ; =>This Inner Loop Header: Depth=1
	global_load_dword v15, v[18:19], off
	v_mov_b64_e32 v[16:17], 0
	s_waitcnt vmcnt(0)
	v_cmp_eq_u32_e32 vcc, v15, v24
	v_cmp_ne_u32_e64 s[0:1], v15, v24
	s_and_saveexec_b64 s[26:27], s[0:1]
	s_cbranch_execz .LBB474_62
; %bb.37:                               ;   in Loop: Header=BB474_36 Depth=1
	v_cmp_eq_u32_e64 s[0:1], v15, v21
	v_cmp_ne_u32_e64 s[2:3], v15, v21
	v_mov_b64_e32 v[16:17], 1
	s_and_saveexec_b64 s[28:29], s[2:3]
	s_cbranch_execz .LBB474_61
; %bb.38:                               ;   in Loop: Header=BB474_36 Depth=1
	v_cmp_eq_u32_e64 s[2:3], v15, v22
	v_cmp_ne_u32_e64 s[4:5], v15, v22
	v_mov_b64_e32 v[16:17], 2
	;; [unrolled: 6-line block ×12, first 2 shown]
	s_and_saveexec_b64 s[54:55], s[22:23]
	s_xor_b64 s[54:55], exec, s[54:55]
; %bb.49:                               ;   in Loop: Header=BB474_36 Depth=1
	v_cmp_eq_u32_e64 s[22:23], v15, v34
	s_andn2_b64 s[52:53], s[52:53], exec
	s_and_b64 s[22:23], s[22:23], exec
	v_mov_b64_e32 v[16:17], 13
	s_or_b64 s[52:53], s[52:53], s[22:23]
; %bb.50:                               ;   in Loop: Header=BB474_36 Depth=1
	s_or_b64 exec, exec, s[54:55]
	s_andn2_b64 s[20:21], s[20:21], exec
	s_and_b64 s[22:23], s[52:53], exec
	s_or_b64 s[20:21], s[20:21], s[22:23]
.LBB474_51:                             ;   in Loop: Header=BB474_36 Depth=1
	s_or_b64 exec, exec, s[50:51]
	s_andn2_b64 s[18:19], s[18:19], exec
	s_and_b64 s[20:21], s[20:21], exec
	s_or_b64 s[18:19], s[18:19], s[20:21]
.LBB474_52:                             ;   in Loop: Header=BB474_36 Depth=1
	s_or_b64 exec, exec, s[48:49]
	s_andn2_b64 s[16:17], s[16:17], exec
	s_and_b64 s[18:19], s[18:19], exec
	s_or_b64 s[16:17], s[16:17], s[18:19]
.LBB474_53:                             ;   in Loop: Header=BB474_36 Depth=1
	s_or_b64 exec, exec, s[46:47]
	s_andn2_b64 s[14:15], s[14:15], exec
	s_and_b64 s[16:17], s[16:17], exec
	s_or_b64 s[14:15], s[14:15], s[16:17]
.LBB474_54:                             ;   in Loop: Header=BB474_36 Depth=1
	s_or_b64 exec, exec, s[44:45]
	s_andn2_b64 s[12:13], s[12:13], exec
	s_and_b64 s[14:15], s[14:15], exec
	s_or_b64 s[12:13], s[12:13], s[14:15]
.LBB474_55:                             ;   in Loop: Header=BB474_36 Depth=1
	s_or_b64 exec, exec, s[42:43]
	s_andn2_b64 s[10:11], s[10:11], exec
	s_and_b64 s[12:13], s[12:13], exec
	s_or_b64 s[10:11], s[10:11], s[12:13]
.LBB474_56:                             ;   in Loop: Header=BB474_36 Depth=1
	s_or_b64 exec, exec, s[40:41]
	s_andn2_b64 s[8:9], s[8:9], exec
	s_and_b64 s[10:11], s[10:11], exec
	s_or_b64 s[8:9], s[8:9], s[10:11]
.LBB474_57:                             ;   in Loop: Header=BB474_36 Depth=1
	s_or_b64 exec, exec, s[38:39]
	s_andn2_b64 s[6:7], s[6:7], exec
	s_and_b64 s[8:9], s[8:9], exec
	s_or_b64 s[6:7], s[6:7], s[8:9]
.LBB474_58:                             ;   in Loop: Header=BB474_36 Depth=1
	s_or_b64 exec, exec, s[36:37]
	s_andn2_b64 s[4:5], s[4:5], exec
	s_and_b64 s[6:7], s[6:7], exec
	s_or_b64 s[4:5], s[4:5], s[6:7]
.LBB474_59:                             ;   in Loop: Header=BB474_36 Depth=1
	s_or_b64 exec, exec, s[34:35]
	s_andn2_b64 s[2:3], s[2:3], exec
	s_and_b64 s[4:5], s[4:5], exec
	s_or_b64 s[2:3], s[2:3], s[4:5]
.LBB474_60:                             ;   in Loop: Header=BB474_36 Depth=1
	s_or_b64 exec, exec, s[30:31]
	s_andn2_b64 s[0:1], s[0:1], exec
	s_and_b64 s[2:3], s[2:3], exec
	s_or_b64 s[0:1], s[0:1], s[2:3]
.LBB474_61:                             ;   in Loop: Header=BB474_36 Depth=1
	s_or_b64 exec, exec, s[28:29]
	s_andn2_b64 s[2:3], vcc, exec
	s_and_b64 s[0:1], s[0:1], exec
	s_or_b64 vcc, s[2:3], s[0:1]
.LBB474_62:                             ;   in Loop: Header=BB474_36 Depth=1
	s_or_b64 exec, exec, s[26:27]
	s_and_saveexec_b64 s[0:1], vcc
	s_cbranch_execz .LBB474_35
; %bb.63:                               ;   in Loop: Header=BB474_36 Depth=1
	v_cmp_eq_u32_e32 vcc, 1, v16
	s_nop 1
	v_cndmask_b32_e32 v15, v0, v1, vcc
	v_cmp_eq_u32_e32 vcc, 2, v16
	s_nop 1
	v_cndmask_b32_e32 v15, v15, v2, vcc
	;; [unrolled: 3-line block ×13, first 2 shown]
	v_mul_f32_e32 v35, v20, v15
	v_ashrrev_i32_e32 v15, 31, v14
	s_waitcnt lgkmcnt(0)
	v_lshl_add_u64 v[16:17], v[14:15], 2, s[24:25]
	global_store_dword v[16:17], v35, off
	s_branch .LBB474_35
.LBB474_64:
	s_endpgm
	.section	.rodata,"a",@progbits
	.p2align	6, 0x0
	.amdhsa_kernel _ZN4vllm3moe22topkGatingSoftplusSqrtILi14ELi448ELi4ELi2ELi32ELb1Ej14__hip_bfloat16EEvPKT6_PKbPfiPT5_PiiiibdPKfPKS9_SF_
		.amdhsa_group_segment_fixed_size 0
		.amdhsa_private_segment_fixed_size 0
		.amdhsa_kernarg_size 96
		.amdhsa_user_sgpr_count 2
		.amdhsa_user_sgpr_dispatch_ptr 0
		.amdhsa_user_sgpr_queue_ptr 0
		.amdhsa_user_sgpr_kernarg_segment_ptr 1
		.amdhsa_user_sgpr_dispatch_id 0
		.amdhsa_user_sgpr_kernarg_preload_length 0
		.amdhsa_user_sgpr_kernarg_preload_offset 0
		.amdhsa_user_sgpr_private_segment_size 0
		.amdhsa_uses_dynamic_stack 0
		.amdhsa_enable_private_segment 0
		.amdhsa_system_sgpr_workgroup_id_x 1
		.amdhsa_system_sgpr_workgroup_id_y 0
		.amdhsa_system_sgpr_workgroup_id_z 0
		.amdhsa_system_sgpr_workgroup_info 0
		.amdhsa_system_vgpr_workitem_id 1
		.amdhsa_next_free_vgpr 36
		.amdhsa_next_free_sgpr 56
		.amdhsa_accum_offset 36
		.amdhsa_reserve_vcc 1
		.amdhsa_float_round_mode_32 0
		.amdhsa_float_round_mode_16_64 0
		.amdhsa_float_denorm_mode_32 3
		.amdhsa_float_denorm_mode_16_64 3
		.amdhsa_dx10_clamp 1
		.amdhsa_ieee_mode 1
		.amdhsa_fp16_overflow 0
		.amdhsa_tg_split 0
		.amdhsa_exception_fp_ieee_invalid_op 0
		.amdhsa_exception_fp_denorm_src 0
		.amdhsa_exception_fp_ieee_div_zero 0
		.amdhsa_exception_fp_ieee_overflow 0
		.amdhsa_exception_fp_ieee_underflow 0
		.amdhsa_exception_fp_ieee_inexact 0
		.amdhsa_exception_int_div_zero 0
	.end_amdhsa_kernel
	.section	.text._ZN4vllm3moe22topkGatingSoftplusSqrtILi14ELi448ELi4ELi2ELi32ELb1Ej14__hip_bfloat16EEvPKT6_PKbPfiPT5_PiiiibdPKfPKS9_SF_,"axG",@progbits,_ZN4vllm3moe22topkGatingSoftplusSqrtILi14ELi448ELi4ELi2ELi32ELb1Ej14__hip_bfloat16EEvPKT6_PKbPfiPT5_PiiiibdPKfPKS9_SF_,comdat
.Lfunc_end474:
	.size	_ZN4vllm3moe22topkGatingSoftplusSqrtILi14ELi448ELi4ELi2ELi32ELb1Ej14__hip_bfloat16EEvPKT6_PKbPfiPT5_PiiiibdPKfPKS9_SF_, .Lfunc_end474-_ZN4vllm3moe22topkGatingSoftplusSqrtILi14ELi448ELi4ELi2ELi32ELb1Ej14__hip_bfloat16EEvPKT6_PKbPfiPT5_PiiiibdPKfPKS9_SF_
                                        ; -- End function
	.section	.AMDGPU.csdata,"",@progbits
; Kernel info:
; codeLenInByte = 5608
; NumSgprs: 62
; NumVgprs: 36
; NumAgprs: 0
; TotalNumVgprs: 36
; ScratchSize: 0
; MemoryBound: 0
; FloatMode: 240
; IeeeMode: 1
; LDSByteSize: 0 bytes/workgroup (compile time only)
; SGPRBlocks: 7
; VGPRBlocks: 4
; NumSGPRsForWavesPerEU: 62
; NumVGPRsForWavesPerEU: 36
; AccumOffset: 36
; Occupancy: 8
; WaveLimiterHint : 1
; COMPUTE_PGM_RSRC2:SCRATCH_EN: 0
; COMPUTE_PGM_RSRC2:USER_SGPR: 2
; COMPUTE_PGM_RSRC2:TRAP_HANDLER: 0
; COMPUTE_PGM_RSRC2:TGID_X_EN: 1
; COMPUTE_PGM_RSRC2:TGID_Y_EN: 0
; COMPUTE_PGM_RSRC2:TGID_Z_EN: 0
; COMPUTE_PGM_RSRC2:TIDIG_COMP_CNT: 1
; COMPUTE_PGM_RSRC3_GFX90A:ACCUM_OFFSET: 8
; COMPUTE_PGM_RSRC3_GFX90A:TG_SPLIT: 0
	.section	.text._ZN4vllm3moe22topkGatingSoftplusSqrtILi14ELi448ELi4ELi2ELi32ELb0Ej14__hip_bfloat16EEvPKT6_PKbPfiPT5_PiiiibdPKfPKS9_SF_,"axG",@progbits,_ZN4vllm3moe22topkGatingSoftplusSqrtILi14ELi448ELi4ELi2ELi32ELb0Ej14__hip_bfloat16EEvPKT6_PKbPfiPT5_PiiiibdPKfPKS9_SF_,comdat
	.protected	_ZN4vllm3moe22topkGatingSoftplusSqrtILi14ELi448ELi4ELi2ELi32ELb0Ej14__hip_bfloat16EEvPKT6_PKbPfiPT5_PiiiibdPKfPKS9_SF_ ; -- Begin function _ZN4vllm3moe22topkGatingSoftplusSqrtILi14ELi448ELi4ELi2ELi32ELb0Ej14__hip_bfloat16EEvPKT6_PKbPfiPT5_PiiiibdPKfPKS9_SF_
	.globl	_ZN4vllm3moe22topkGatingSoftplusSqrtILi14ELi448ELi4ELi2ELi32ELb0Ej14__hip_bfloat16EEvPKT6_PKbPfiPT5_PiiiibdPKfPKS9_SF_
	.p2align	8
	.type	_ZN4vllm3moe22topkGatingSoftplusSqrtILi14ELi448ELi4ELi2ELi32ELb0Ej14__hip_bfloat16EEvPKT6_PKbPfiPT5_PiiiibdPKfPKS9_SF_,@function
_ZN4vllm3moe22topkGatingSoftplusSqrtILi14ELi448ELi4ELi2ELi32ELb0Ej14__hip_bfloat16EEvPKT6_PKbPfiPT5_PiiiibdPKfPKS9_SF_: ; @_ZN4vllm3moe22topkGatingSoftplusSqrtILi14ELi448ELi4ELi2ELi32ELb0Ej14__hip_bfloat16EEvPKT6_PKbPfiPT5_PiiiibdPKfPKS9_SF_
; %bb.0:
	s_load_dword s30, s[0:1], 0x18
	v_and_b32_e32 v1, 0x3ff, v0
	s_lshl_b32 s2, s2, 2
	v_lshrrev_b32_e32 v2, 5, v1
	v_bfe_u32 v0, v0, 10, 10
	v_add3_u32 v14, s2, v0, v2
	s_waitcnt lgkmcnt(0)
	v_cmp_gt_i32_e32 vcc, s30, v14
	s_and_saveexec_b64 s[2:3], vcc
	s_cbranch_execz .LBB475_73
; %bb.1:
	s_load_dwordx4 s[4:7], s[0:1], 0x0
	s_load_dwordx2 s[20:21], s[0:1], 0x10
	s_waitcnt lgkmcnt(0)
	s_cmp_eq_u64 s[6:7], 0
	s_cbranch_scc1 .LBB475_3
; %bb.2:
	v_ashrrev_i32_e32 v15, 31, v14
	v_lshl_add_u64 v[2:3], s[6:7], 0, v[14:15]
	global_load_ubyte v0, v[2:3], off
	s_waitcnt vmcnt(0)
	v_and_b32_e32 v0, 1, v0
	v_cmp_eq_u32_e32 vcc, 1, v0
	s_xor_b64 s[2:3], vcc, -1
	s_orn2_b64 s[22:23], s[2:3], exec
	s_branch .LBB475_4
.LBB475_3:
	s_mov_b64 s[22:23], -1
.LBB475_4:
	s_movk_i32 s2, 0x1c0
	v_mul_lo_u32 v4, v14, s2
	v_mov_b32_e32 v2, s4
	v_mov_b32_e32 v3, s5
	v_ashrrev_i32_e32 v5, 31, v4
	v_and_b32_e32 v16, 31, v1
	v_lshl_add_u64 v[2:3], v[4:5], 1, v[2:3]
	v_mov_b32_e32 v1, 0
	v_lshlrev_b32_e32 v0, 1, v16
	v_lshl_add_u64 v[18:19], v[2:3], 0, v[0:1]
	global_load_ushort v0, v[18:19], off
	global_load_ushort v1, v[18:19], off offset:64
	global_load_ushort v2, v[18:19], off offset:128
	;; [unrolled: 1-line block ×13, first 2 shown]
	s_mov_b32 s16, 0x800000
	v_mov_b32_e32 v18, 0x4f800000
	s_mov_b32 s13, 0x3f317217
	s_mov_b32 s14, 0x7f800000
	v_mov_b32_e32 v19, 0x41b17218
	s_mov_b32 s12, 0x41a00000
	s_mov_b32 s15, 0xf800000
	s_load_dwordx4 s[8:11], s[0:1], 0x40
	s_waitcnt lgkmcnt(0)
	s_cmp_lg_u64 s[10:11], 0
	s_cselect_b64 s[6:7], -1, 0
	s_and_b64 s[2:3], exec, s[6:7]
	s_waitcnt vmcnt(13)
	v_lshlrev_b32_e32 v0, 16, v0
	v_mul_f32_e32 v15, 0x3fb8aa3b, v0
	v_exp_f32_e32 v15, v15
	s_nop 0
	v_add_f32_e32 v15, 1.0, v15
	v_cmp_gt_f32_e32 vcc, s16, v15
	s_nop 1
	v_cndmask_b32_e32 v17, 1.0, v18, vcc
	v_mul_f32_e32 v15, v15, v17
	v_log_f32_e32 v20, v15
	v_cndmask_b32_e32 v21, 0, v19, vcc
	v_mov_b32_e32 v17, 0x260
	v_lshlrev_b32_e32 v15, 2, v16
	v_mul_f32_e32 v22, 0x3f317217, v20
	v_fma_f32 v22, v20, s13, -v22
	v_fmac_f32_e32 v22, 0x3377d1cf, v20
	v_fmac_f32_e32 v22, 0x3f317217, v20
	v_cmp_lt_f32_e64 vcc, |v20|, s14
	s_nop 1
	v_cndmask_b32_e32 v20, v20, v22, vcc
	v_sub_f32_e32 v20, v20, v21
	v_cmp_lt_f32_e32 vcc, s12, v0
	s_nop 1
	v_cndmask_b32_e32 v0, v20, v0, vcc
	v_mul_f32_e32 v20, 0x4f800000, v0
	v_cmp_gt_f32_e32 vcc, s15, v0
	s_nop 1
	v_cndmask_b32_e32 v0, v0, v20, vcc
	v_sqrt_f32_e32 v20, v0
	s_nop 0
	v_add_u32_e32 v21, -1, v20
	v_add_u32_e32 v22, 1, v20
	v_fma_f32 v23, -v21, v20, v0
	v_fma_f32 v24, -v22, v20, v0
	v_cmp_ge_f32_e64 s[4:5], 0, v23
	s_nop 1
	v_cndmask_b32_e64 v20, v20, v21, s[4:5]
	v_cmp_lt_f32_e64 s[4:5], 0, v24
	s_nop 1
	v_cndmask_b32_e64 v20, v20, v22, s[4:5]
	v_mul_f32_e32 v21, 0x37800000, v20
	v_cndmask_b32_e32 v20, v20, v21, vcc
	v_cmp_class_f32_e32 vcc, v0, v17
	s_nop 1
	v_cndmask_b32_e32 v0, v20, v0, vcc
	s_mov_b64 vcc, s[2:3]
	s_cbranch_vccz .LBB475_6
; %bb.5:
	global_load_dword v20, v15, s[10:11]
	s_waitcnt vmcnt(0)
	v_add_f32_e32 v0, v0, v20
.LBB475_6:
	s_waitcnt vmcnt(12)
	v_lshlrev_b32_e32 v1, 16, v1
	v_mul_f32_e32 v20, 0x3fb8aa3b, v1
	v_exp_f32_e32 v20, v20
	s_nop 0
	v_add_f32_e32 v20, 1.0, v20
	v_cmp_gt_f32_e32 vcc, s16, v20
	s_nop 1
	v_cndmask_b32_e32 v18, 1.0, v18, vcc
	v_mul_f32_e32 v18, v20, v18
	v_log_f32_e32 v18, v18
	v_cndmask_b32_e32 v19, 0, v19, vcc
	v_mul_f32_e32 v20, 0x3f317217, v18
	v_fma_f32 v20, v18, s13, -v20
	v_fmac_f32_e32 v20, 0x3377d1cf, v18
	v_fmac_f32_e32 v20, 0x3f317217, v18
	v_cmp_lt_f32_e64 vcc, |v18|, s14
	s_nop 1
	v_cndmask_b32_e32 v18, v18, v20, vcc
	v_sub_f32_e32 v18, v18, v19
	v_cmp_lt_f32_e32 vcc, s12, v1
	s_nop 1
	v_cndmask_b32_e32 v1, v18, v1, vcc
	v_mul_f32_e32 v18, 0x4f800000, v1
	v_cmp_gt_f32_e32 vcc, s15, v1
	s_nop 1
	v_cndmask_b32_e32 v1, v1, v18, vcc
	v_sqrt_f32_e32 v18, v1
	v_cmp_class_f32_e64 s[4:5], v1, v17
	v_add_u32_e32 v19, -1, v18
	v_add_u32_e32 v20, 1, v18
	v_fma_f32 v21, -v19, v18, v1
	v_fma_f32 v22, -v20, v18, v1
	v_cmp_ge_f32_e64 s[2:3], 0, v21
	s_nop 1
	v_cndmask_b32_e64 v18, v18, v19, s[2:3]
	v_cmp_lt_f32_e64 s[2:3], 0, v22
	s_nop 1
	v_cndmask_b32_e64 v18, v18, v20, s[2:3]
	v_mul_f32_e32 v19, 0x37800000, v18
	v_cndmask_b32_e32 v18, v18, v19, vcc
	v_cndmask_b32_e64 v19, 0, 1, s[6:7]
	v_cmp_ne_u32_e64 s[2:3], 1, v19
	s_andn2_b64 vcc, exec, s[6:7]
	v_cndmask_b32_e64 v1, v18, v1, s[4:5]
	s_cbranch_vccnz .LBB475_8
; %bb.7:
	global_load_dword v17, v15, s[10:11] offset:128
	s_waitcnt vmcnt(0)
	v_add_f32_e32 v1, v1, v17
.LBB475_8:
	s_waitcnt vmcnt(11)
	v_lshlrev_b32_e32 v2, 16, v2
	v_mul_f32_e32 v17, 0x3fb8aa3b, v2
	v_exp_f32_e32 v17, v17
	s_mov_b32 s14, 0x800000
	v_mov_b32_e32 v18, 0x4f800000
	s_mov_b32 s7, 0x3f317217
	v_add_f32_e32 v17, 1.0, v17
	v_cmp_gt_f32_e32 vcc, s14, v17
	s_mov_b32 s12, 0x7f800000
	s_mov_b32 s6, 0x41a00000
	v_cndmask_b32_e32 v19, 1.0, v18, vcc
	v_mul_f32_e32 v17, v17, v19
	v_log_f32_e32 v17, v17
	s_mov_b32 s13, 0xf800000
	v_mul_f32_e32 v19, 0x3f317217, v17
	v_fma_f32 v19, v17, s7, -v19
	v_fmac_f32_e32 v19, 0x3377d1cf, v17
	v_fmac_f32_e32 v19, 0x3f317217, v17
	v_cmp_lt_f32_e64 s[4:5], |v17|, s12
	s_nop 1
	v_cndmask_b32_e64 v17, v17, v19, s[4:5]
	v_mov_b32_e32 v19, 0x41b17218
	v_cndmask_b32_e32 v20, 0, v19, vcc
	v_sub_f32_e32 v17, v17, v20
	v_cmp_lt_f32_e32 vcc, s6, v2
	s_nop 1
	v_cndmask_b32_e32 v2, v17, v2, vcc
	v_mul_f32_e32 v17, 0x4f800000, v2
	v_cmp_gt_f32_e32 vcc, s13, v2
	s_nop 1
	v_cndmask_b32_e32 v2, v2, v17, vcc
	v_sqrt_f32_e32 v17, v2
	s_nop 0
	v_add_u32_e32 v20, -1, v17
	v_fma_f32 v21, -v20, v17, v2
	v_cmp_ge_f32_e64 s[4:5], 0, v21
	v_add_u32_e32 v21, 1, v17
	s_nop 0
	v_cndmask_b32_e64 v20, v17, v20, s[4:5]
	v_fma_f32 v17, -v21, v17, v2
	v_cmp_lt_f32_e64 s[4:5], 0, v17
	s_nop 1
	v_cndmask_b32_e64 v17, v20, v21, s[4:5]
	v_mul_f32_e32 v20, 0x37800000, v17
	v_cndmask_b32_e32 v20, v17, v20, vcc
	v_mov_b32_e32 v17, 0x260
	v_cmp_class_f32_e64 s[4:5], v2, v17
	s_and_b64 vcc, exec, s[2:3]
	s_nop 0
	v_cndmask_b32_e64 v2, v20, v2, s[4:5]
	s_cbranch_vccnz .LBB475_10
; %bb.9:
	global_load_dword v20, v15, s[10:11] offset:256
	s_waitcnt vmcnt(0)
	v_add_f32_e32 v2, v2, v20
.LBB475_10:
	s_waitcnt vmcnt(10)
	v_lshlrev_b32_e32 v3, 16, v3
	v_mul_f32_e32 v20, 0x3fb8aa3b, v3
	v_exp_f32_e32 v20, v20
	s_nop 0
	v_add_f32_e32 v20, 1.0, v20
	v_cmp_gt_f32_e32 vcc, s14, v20
	s_nop 1
	v_cndmask_b32_e32 v18, 1.0, v18, vcc
	v_mul_f32_e32 v18, v20, v18
	v_log_f32_e32 v18, v18
	v_cndmask_b32_e32 v19, 0, v19, vcc
	v_mul_f32_e32 v20, 0x3f317217, v18
	v_fma_f32 v20, v18, s7, -v20
	v_fmac_f32_e32 v20, 0x3377d1cf, v18
	v_fmac_f32_e32 v20, 0x3f317217, v18
	v_cmp_lt_f32_e64 vcc, |v18|, s12
	s_nop 1
	v_cndmask_b32_e32 v18, v18, v20, vcc
	v_sub_f32_e32 v18, v18, v19
	v_cmp_lt_f32_e32 vcc, s6, v3
	s_nop 1
	v_cndmask_b32_e32 v3, v18, v3, vcc
	v_mul_f32_e32 v18, 0x4f800000, v3
	v_cmp_gt_f32_e32 vcc, s13, v3
	s_nop 1
	v_cndmask_b32_e32 v3, v3, v18, vcc
	v_sqrt_f32_e32 v18, v3
	s_nop 0
	v_add_u32_e32 v19, -1, v18
	v_add_u32_e32 v20, 1, v18
	v_fma_f32 v21, -v19, v18, v3
	v_fma_f32 v22, -v20, v18, v3
	v_cmp_ge_f32_e64 s[4:5], 0, v21
	s_nop 1
	v_cndmask_b32_e64 v18, v18, v19, s[4:5]
	v_cmp_lt_f32_e64 s[4:5], 0, v22
	s_nop 1
	v_cndmask_b32_e64 v18, v18, v20, s[4:5]
	v_mul_f32_e32 v19, 0x37800000, v18
	v_cndmask_b32_e32 v18, v18, v19, vcc
	v_cmp_class_f32_e64 s[4:5], v3, v17
	s_and_b64 vcc, exec, s[2:3]
	s_nop 0
	v_cndmask_b32_e64 v3, v18, v3, s[4:5]
	s_cbranch_vccnz .LBB475_12
; %bb.11:
	global_load_dword v17, v15, s[10:11] offset:384
	s_waitcnt vmcnt(0)
	v_add_f32_e32 v3, v3, v17
.LBB475_12:
	s_waitcnt vmcnt(9)
	v_lshlrev_b32_e32 v4, 16, v4
	v_mul_f32_e32 v17, 0x3fb8aa3b, v4
	v_exp_f32_e32 v17, v17
	v_mov_b32_e32 v18, 0x4f800000
	v_add_f32_e32 v17, 1.0, v17
	v_cmp_gt_f32_e32 vcc, s14, v17
	s_nop 1
	v_cndmask_b32_e32 v19, 1.0, v18, vcc
	v_mul_f32_e32 v17, v17, v19
	v_log_f32_e32 v17, v17
	s_nop 0
	v_mul_f32_e32 v19, 0x3f317217, v17
	v_fma_f32 v19, v17, s7, -v19
	v_fmac_f32_e32 v19, 0x3377d1cf, v17
	v_fmac_f32_e32 v19, 0x3f317217, v17
	v_cmp_lt_f32_e64 s[4:5], |v17|, s12
	s_nop 1
	v_cndmask_b32_e64 v17, v17, v19, s[4:5]
	v_mov_b32_e32 v19, 0x41b17218
	v_cndmask_b32_e32 v20, 0, v19, vcc
	v_sub_f32_e32 v17, v17, v20
	v_cmp_lt_f32_e32 vcc, s6, v4
	s_nop 1
	v_cndmask_b32_e32 v4, v17, v4, vcc
	v_mul_f32_e32 v17, 0x4f800000, v4
	v_cmp_gt_f32_e32 vcc, s13, v4
	s_nop 1
	v_cndmask_b32_e32 v4, v4, v17, vcc
	v_sqrt_f32_e32 v17, v4
	s_nop 0
	v_add_u32_e32 v20, -1, v17
	v_fma_f32 v21, -v20, v17, v4
	v_cmp_ge_f32_e64 s[4:5], 0, v21
	v_add_u32_e32 v21, 1, v17
	s_nop 0
	v_cndmask_b32_e64 v20, v17, v20, s[4:5]
	v_fma_f32 v17, -v21, v17, v4
	v_cmp_lt_f32_e64 s[4:5], 0, v17
	s_nop 1
	v_cndmask_b32_e64 v17, v20, v21, s[4:5]
	v_mul_f32_e32 v20, 0x37800000, v17
	v_cndmask_b32_e32 v20, v17, v20, vcc
	v_mov_b32_e32 v17, 0x260
	v_cmp_class_f32_e64 s[4:5], v4, v17
	s_and_b64 vcc, exec, s[2:3]
	s_nop 0
	v_cndmask_b32_e64 v4, v20, v4, s[4:5]
	s_cbranch_vccnz .LBB475_14
; %bb.13:
	global_load_dword v20, v15, s[10:11] offset:512
	s_waitcnt vmcnt(0)
	v_add_f32_e32 v4, v4, v20
.LBB475_14:
	s_waitcnt vmcnt(8)
	v_lshlrev_b32_e32 v5, 16, v5
	v_mul_f32_e32 v20, 0x3fb8aa3b, v5
	v_exp_f32_e32 v20, v20
	s_nop 0
	v_add_f32_e32 v20, 1.0, v20
	v_cmp_gt_f32_e32 vcc, s14, v20
	s_nop 1
	v_cndmask_b32_e32 v18, 1.0, v18, vcc
	v_mul_f32_e32 v18, v20, v18
	v_log_f32_e32 v18, v18
	v_cndmask_b32_e32 v19, 0, v19, vcc
	v_mul_f32_e32 v20, 0x3f317217, v18
	v_fma_f32 v20, v18, s7, -v20
	v_fmac_f32_e32 v20, 0x3377d1cf, v18
	v_fmac_f32_e32 v20, 0x3f317217, v18
	v_cmp_lt_f32_e64 vcc, |v18|, s12
	s_nop 1
	v_cndmask_b32_e32 v18, v18, v20, vcc
	v_sub_f32_e32 v18, v18, v19
	v_cmp_lt_f32_e32 vcc, s6, v5
	s_nop 1
	v_cndmask_b32_e32 v5, v18, v5, vcc
	v_mul_f32_e32 v18, 0x4f800000, v5
	v_cmp_gt_f32_e32 vcc, s13, v5
	s_nop 1
	v_cndmask_b32_e32 v5, v5, v18, vcc
	v_sqrt_f32_e32 v18, v5
	s_nop 0
	v_add_u32_e32 v19, -1, v18
	v_add_u32_e32 v20, 1, v18
	v_fma_f32 v21, -v19, v18, v5
	v_fma_f32 v22, -v20, v18, v5
	v_cmp_ge_f32_e64 s[4:5], 0, v21
	s_nop 1
	v_cndmask_b32_e64 v18, v18, v19, s[4:5]
	v_cmp_lt_f32_e64 s[4:5], 0, v22
	s_nop 1
	v_cndmask_b32_e64 v18, v18, v20, s[4:5]
	v_mul_f32_e32 v19, 0x37800000, v18
	v_cndmask_b32_e32 v18, v18, v19, vcc
	v_cmp_class_f32_e64 s[4:5], v5, v17
	s_and_b64 vcc, exec, s[2:3]
	s_nop 0
	v_cndmask_b32_e64 v5, v18, v5, s[4:5]
	s_cbranch_vccnz .LBB475_16
; %bb.15:
	global_load_dword v17, v15, s[10:11] offset:640
	s_waitcnt vmcnt(0)
	v_add_f32_e32 v5, v5, v17
.LBB475_16:
	s_waitcnt vmcnt(7)
	v_lshlrev_b32_e32 v6, 16, v6
	v_mul_f32_e32 v17, 0x3fb8aa3b, v6
	v_exp_f32_e32 v17, v17
	v_mov_b32_e32 v18, 0x4f800000
	v_add_f32_e32 v17, 1.0, v17
	v_cmp_gt_f32_e32 vcc, s14, v17
	s_nop 1
	v_cndmask_b32_e32 v19, 1.0, v18, vcc
	v_mul_f32_e32 v17, v17, v19
	v_log_f32_e32 v17, v17
	s_nop 0
	v_mul_f32_e32 v19, 0x3f317217, v17
	v_fma_f32 v19, v17, s7, -v19
	v_fmac_f32_e32 v19, 0x3377d1cf, v17
	v_fmac_f32_e32 v19, 0x3f317217, v17
	v_cmp_lt_f32_e64 s[4:5], |v17|, s12
	s_nop 1
	v_cndmask_b32_e64 v17, v17, v19, s[4:5]
	v_mov_b32_e32 v19, 0x41b17218
	v_cndmask_b32_e32 v20, 0, v19, vcc
	v_sub_f32_e32 v17, v17, v20
	v_cmp_lt_f32_e32 vcc, s6, v6
	s_nop 1
	v_cndmask_b32_e32 v6, v17, v6, vcc
	v_mul_f32_e32 v17, 0x4f800000, v6
	v_cmp_gt_f32_e32 vcc, s13, v6
	s_nop 1
	v_cndmask_b32_e32 v6, v6, v17, vcc
	v_sqrt_f32_e32 v17, v6
	s_nop 0
	v_add_u32_e32 v20, -1, v17
	v_fma_f32 v21, -v20, v17, v6
	v_cmp_ge_f32_e64 s[4:5], 0, v21
	v_add_u32_e32 v21, 1, v17
	s_nop 0
	v_cndmask_b32_e64 v20, v17, v20, s[4:5]
	v_fma_f32 v17, -v21, v17, v6
	v_cmp_lt_f32_e64 s[4:5], 0, v17
	s_nop 1
	v_cndmask_b32_e64 v17, v20, v21, s[4:5]
	v_mul_f32_e32 v20, 0x37800000, v17
	v_cndmask_b32_e32 v20, v17, v20, vcc
	v_mov_b32_e32 v17, 0x260
	v_cmp_class_f32_e64 s[4:5], v6, v17
	s_and_b64 vcc, exec, s[2:3]
	s_nop 0
	v_cndmask_b32_e64 v6, v20, v6, s[4:5]
	s_cbranch_vccnz .LBB475_18
; %bb.17:
	global_load_dword v20, v15, s[10:11] offset:768
	s_waitcnt vmcnt(0)
	v_add_f32_e32 v6, v6, v20
.LBB475_18:
	s_waitcnt vmcnt(6)
	v_lshlrev_b32_e32 v7, 16, v7
	v_mul_f32_e32 v20, 0x3fb8aa3b, v7
	v_exp_f32_e32 v20, v20
	s_nop 0
	v_add_f32_e32 v20, 1.0, v20
	v_cmp_gt_f32_e32 vcc, s14, v20
	s_nop 1
	v_cndmask_b32_e32 v18, 1.0, v18, vcc
	v_mul_f32_e32 v18, v20, v18
	v_log_f32_e32 v18, v18
	v_cndmask_b32_e32 v19, 0, v19, vcc
	v_mul_f32_e32 v20, 0x3f317217, v18
	v_fma_f32 v20, v18, s7, -v20
	v_fmac_f32_e32 v20, 0x3377d1cf, v18
	v_fmac_f32_e32 v20, 0x3f317217, v18
	v_cmp_lt_f32_e64 vcc, |v18|, s12
	s_nop 1
	v_cndmask_b32_e32 v18, v18, v20, vcc
	v_sub_f32_e32 v18, v18, v19
	v_cmp_lt_f32_e32 vcc, s6, v7
	s_nop 1
	v_cndmask_b32_e32 v7, v18, v7, vcc
	v_mul_f32_e32 v18, 0x4f800000, v7
	v_cmp_gt_f32_e32 vcc, s13, v7
	s_nop 1
	v_cndmask_b32_e32 v7, v7, v18, vcc
	v_sqrt_f32_e32 v18, v7
	s_nop 0
	v_add_u32_e32 v19, -1, v18
	v_add_u32_e32 v20, 1, v18
	v_fma_f32 v21, -v19, v18, v7
	v_fma_f32 v22, -v20, v18, v7
	v_cmp_ge_f32_e64 s[4:5], 0, v21
	s_nop 1
	v_cndmask_b32_e64 v18, v18, v19, s[4:5]
	v_cmp_lt_f32_e64 s[4:5], 0, v22
	s_nop 1
	v_cndmask_b32_e64 v18, v18, v20, s[4:5]
	v_mul_f32_e32 v19, 0x37800000, v18
	v_cndmask_b32_e32 v18, v18, v19, vcc
	v_cmp_class_f32_e64 s[4:5], v7, v17
	s_and_b64 vcc, exec, s[2:3]
	s_nop 0
	v_cndmask_b32_e64 v7, v18, v7, s[4:5]
	s_cbranch_vccnz .LBB475_20
; %bb.19:
	global_load_dword v17, v15, s[10:11] offset:896
	s_waitcnt vmcnt(0)
	v_add_f32_e32 v7, v7, v17
.LBB475_20:
	s_waitcnt vmcnt(5)
	v_lshlrev_b32_e32 v8, 16, v8
	v_mul_f32_e32 v17, 0x3fb8aa3b, v8
	v_exp_f32_e32 v17, v17
	v_mov_b32_e32 v18, 0x4f800000
	v_add_f32_e32 v17, 1.0, v17
	v_cmp_gt_f32_e32 vcc, s14, v17
	s_nop 1
	v_cndmask_b32_e32 v19, 1.0, v18, vcc
	v_mul_f32_e32 v17, v17, v19
	v_log_f32_e32 v17, v17
	s_nop 0
	v_mul_f32_e32 v19, 0x3f317217, v17
	v_fma_f32 v19, v17, s7, -v19
	v_fmac_f32_e32 v19, 0x3377d1cf, v17
	v_fmac_f32_e32 v19, 0x3f317217, v17
	v_cmp_lt_f32_e64 s[4:5], |v17|, s12
	s_nop 1
	v_cndmask_b32_e64 v17, v17, v19, s[4:5]
	v_mov_b32_e32 v19, 0x41b17218
	v_cndmask_b32_e32 v20, 0, v19, vcc
	v_sub_f32_e32 v17, v17, v20
	v_cmp_lt_f32_e32 vcc, s6, v8
	s_nop 1
	v_cndmask_b32_e32 v8, v17, v8, vcc
	v_mul_f32_e32 v17, 0x4f800000, v8
	v_cmp_gt_f32_e32 vcc, s13, v8
	s_nop 1
	v_cndmask_b32_e32 v8, v8, v17, vcc
	v_sqrt_f32_e32 v17, v8
	s_nop 0
	v_add_u32_e32 v20, -1, v17
	v_fma_f32 v21, -v20, v17, v8
	v_cmp_ge_f32_e64 s[4:5], 0, v21
	v_add_u32_e32 v21, 1, v17
	s_nop 0
	v_cndmask_b32_e64 v20, v17, v20, s[4:5]
	v_fma_f32 v17, -v21, v17, v8
	v_cmp_lt_f32_e64 s[4:5], 0, v17
	s_nop 1
	v_cndmask_b32_e64 v17, v20, v21, s[4:5]
	v_mul_f32_e32 v20, 0x37800000, v17
	v_cndmask_b32_e32 v20, v17, v20, vcc
	v_mov_b32_e32 v17, 0x260
	v_cmp_class_f32_e64 s[4:5], v8, v17
	s_and_b64 vcc, exec, s[2:3]
	s_nop 0
	v_cndmask_b32_e64 v8, v20, v8, s[4:5]
	s_cbranch_vccnz .LBB475_22
; %bb.21:
	global_load_dword v20, v15, s[10:11] offset:1024
	s_waitcnt vmcnt(0)
	v_add_f32_e32 v8, v8, v20
.LBB475_22:
	s_waitcnt vmcnt(4)
	v_lshlrev_b32_e32 v9, 16, v9
	v_mul_f32_e32 v20, 0x3fb8aa3b, v9
	v_exp_f32_e32 v20, v20
	s_nop 0
	v_add_f32_e32 v20, 1.0, v20
	v_cmp_gt_f32_e32 vcc, s14, v20
	s_nop 1
	v_cndmask_b32_e32 v18, 1.0, v18, vcc
	v_mul_f32_e32 v18, v20, v18
	v_log_f32_e32 v18, v18
	v_cndmask_b32_e32 v19, 0, v19, vcc
	v_mul_f32_e32 v20, 0x3f317217, v18
	v_fma_f32 v20, v18, s7, -v20
	v_fmac_f32_e32 v20, 0x3377d1cf, v18
	v_fmac_f32_e32 v20, 0x3f317217, v18
	v_cmp_lt_f32_e64 vcc, |v18|, s12
	s_nop 1
	v_cndmask_b32_e32 v18, v18, v20, vcc
	v_sub_f32_e32 v18, v18, v19
	v_cmp_lt_f32_e32 vcc, s6, v9
	s_nop 1
	v_cndmask_b32_e32 v9, v18, v9, vcc
	v_mul_f32_e32 v18, 0x4f800000, v9
	v_cmp_gt_f32_e32 vcc, s13, v9
	s_nop 1
	v_cndmask_b32_e32 v9, v9, v18, vcc
	v_sqrt_f32_e32 v18, v9
	s_nop 0
	v_add_u32_e32 v19, -1, v18
	v_add_u32_e32 v20, 1, v18
	v_fma_f32 v21, -v19, v18, v9
	v_fma_f32 v22, -v20, v18, v9
	v_cmp_ge_f32_e64 s[4:5], 0, v21
	s_nop 1
	v_cndmask_b32_e64 v18, v18, v19, s[4:5]
	v_cmp_lt_f32_e64 s[4:5], 0, v22
	s_nop 1
	v_cndmask_b32_e64 v18, v18, v20, s[4:5]
	v_mul_f32_e32 v19, 0x37800000, v18
	v_cndmask_b32_e32 v18, v18, v19, vcc
	v_cmp_class_f32_e64 s[4:5], v9, v17
	s_and_b64 vcc, exec, s[2:3]
	s_nop 0
	v_cndmask_b32_e64 v9, v18, v9, s[4:5]
	s_cbranch_vccnz .LBB475_24
; %bb.23:
	global_load_dword v17, v15, s[10:11] offset:1152
	s_waitcnt vmcnt(0)
	v_add_f32_e32 v9, v9, v17
.LBB475_24:
	s_waitcnt vmcnt(3)
	v_lshlrev_b32_e32 v10, 16, v10
	v_mul_f32_e32 v17, 0x3fb8aa3b, v10
	v_exp_f32_e32 v17, v17
	v_mov_b32_e32 v18, 0x4f800000
	v_add_f32_e32 v17, 1.0, v17
	v_cmp_gt_f32_e32 vcc, s14, v17
	s_nop 1
	v_cndmask_b32_e32 v19, 1.0, v18, vcc
	v_mul_f32_e32 v17, v17, v19
	v_log_f32_e32 v17, v17
	s_nop 0
	v_mul_f32_e32 v19, 0x3f317217, v17
	v_fma_f32 v19, v17, s7, -v19
	v_fmac_f32_e32 v19, 0x3377d1cf, v17
	v_fmac_f32_e32 v19, 0x3f317217, v17
	v_cmp_lt_f32_e64 s[4:5], |v17|, s12
	s_nop 1
	v_cndmask_b32_e64 v17, v17, v19, s[4:5]
	v_mov_b32_e32 v19, 0x41b17218
	v_cndmask_b32_e32 v20, 0, v19, vcc
	v_sub_f32_e32 v17, v17, v20
	v_cmp_lt_f32_e32 vcc, s6, v10
	s_nop 1
	v_cndmask_b32_e32 v10, v17, v10, vcc
	v_mul_f32_e32 v17, 0x4f800000, v10
	v_cmp_gt_f32_e32 vcc, s13, v10
	s_nop 1
	v_cndmask_b32_e32 v10, v10, v17, vcc
	v_sqrt_f32_e32 v17, v10
	s_nop 0
	v_add_u32_e32 v20, -1, v17
	v_fma_f32 v21, -v20, v17, v10
	v_cmp_ge_f32_e64 s[4:5], 0, v21
	v_add_u32_e32 v21, 1, v17
	s_nop 0
	v_cndmask_b32_e64 v20, v17, v20, s[4:5]
	v_fma_f32 v17, -v21, v17, v10
	v_cmp_lt_f32_e64 s[4:5], 0, v17
	s_nop 1
	v_cndmask_b32_e64 v17, v20, v21, s[4:5]
	v_mul_f32_e32 v20, 0x37800000, v17
	v_cndmask_b32_e32 v20, v17, v20, vcc
	v_mov_b32_e32 v17, 0x260
	v_cmp_class_f32_e64 s[4:5], v10, v17
	s_and_b64 vcc, exec, s[2:3]
	s_nop 0
	v_cndmask_b32_e64 v10, v20, v10, s[4:5]
	s_cbranch_vccnz .LBB475_26
; %bb.25:
	global_load_dword v20, v15, s[10:11] offset:1280
	s_waitcnt vmcnt(0)
	v_add_f32_e32 v10, v10, v20
.LBB475_26:
	s_waitcnt vmcnt(2)
	v_lshlrev_b32_e32 v11, 16, v11
	v_mul_f32_e32 v20, 0x3fb8aa3b, v11
	v_exp_f32_e32 v20, v20
	s_nop 0
	v_add_f32_e32 v20, 1.0, v20
	v_cmp_gt_f32_e32 vcc, s14, v20
	s_nop 1
	v_cndmask_b32_e32 v18, 1.0, v18, vcc
	v_mul_f32_e32 v18, v20, v18
	v_log_f32_e32 v18, v18
	v_cndmask_b32_e32 v19, 0, v19, vcc
	v_mul_f32_e32 v20, 0x3f317217, v18
	v_fma_f32 v20, v18, s7, -v20
	v_fmac_f32_e32 v20, 0x3377d1cf, v18
	v_fmac_f32_e32 v20, 0x3f317217, v18
	v_cmp_lt_f32_e64 vcc, |v18|, s12
	s_nop 1
	v_cndmask_b32_e32 v18, v18, v20, vcc
	v_sub_f32_e32 v18, v18, v19
	v_cmp_lt_f32_e32 vcc, s6, v11
	s_nop 1
	v_cndmask_b32_e32 v11, v18, v11, vcc
	v_mul_f32_e32 v18, 0x4f800000, v11
	v_cmp_gt_f32_e32 vcc, s13, v11
	s_nop 1
	v_cndmask_b32_e32 v11, v11, v18, vcc
	v_sqrt_f32_e32 v18, v11
	s_nop 0
	v_add_u32_e32 v19, -1, v18
	v_add_u32_e32 v20, 1, v18
	v_fma_f32 v21, -v19, v18, v11
	v_fma_f32 v22, -v20, v18, v11
	v_cmp_ge_f32_e64 s[4:5], 0, v21
	s_nop 1
	v_cndmask_b32_e64 v18, v18, v19, s[4:5]
	v_cmp_lt_f32_e64 s[4:5], 0, v22
	s_nop 1
	v_cndmask_b32_e64 v18, v18, v20, s[4:5]
	v_mul_f32_e32 v19, 0x37800000, v18
	v_cndmask_b32_e32 v18, v18, v19, vcc
	v_cmp_class_f32_e64 s[4:5], v11, v17
	s_and_b64 vcc, exec, s[2:3]
	s_nop 0
	v_cndmask_b32_e64 v11, v18, v11, s[4:5]
	s_cbranch_vccnz .LBB475_28
; %bb.27:
	global_load_dword v17, v15, s[10:11] offset:1408
	s_waitcnt vmcnt(0)
	v_add_f32_e32 v11, v11, v17
.LBB475_28:
	s_waitcnt vmcnt(1)
	v_lshlrev_b32_e32 v12, 16, v12
	v_mul_f32_e32 v17, 0x3fb8aa3b, v12
	v_exp_f32_e32 v17, v17
	v_mov_b32_e32 v18, 0x4f800000
	v_add_f32_e32 v17, 1.0, v17
	v_cmp_gt_f32_e32 vcc, s14, v17
	s_nop 1
	v_cndmask_b32_e32 v19, 1.0, v18, vcc
	v_mul_f32_e32 v17, v17, v19
	v_log_f32_e32 v17, v17
	s_nop 0
	v_mul_f32_e32 v19, 0x3f317217, v17
	v_fma_f32 v19, v17, s7, -v19
	v_fmac_f32_e32 v19, 0x3377d1cf, v17
	v_fmac_f32_e32 v19, 0x3f317217, v17
	v_cmp_lt_f32_e64 s[4:5], |v17|, s12
	s_nop 1
	v_cndmask_b32_e64 v17, v17, v19, s[4:5]
	v_mov_b32_e32 v19, 0x41b17218
	v_cndmask_b32_e32 v20, 0, v19, vcc
	v_sub_f32_e32 v17, v17, v20
	v_cmp_lt_f32_e32 vcc, s6, v12
	s_nop 1
	v_cndmask_b32_e32 v12, v17, v12, vcc
	v_mul_f32_e32 v17, 0x4f800000, v12
	v_cmp_gt_f32_e32 vcc, s13, v12
	s_nop 1
	v_cndmask_b32_e32 v12, v12, v17, vcc
	v_sqrt_f32_e32 v17, v12
	s_nop 0
	v_add_u32_e32 v20, -1, v17
	v_fma_f32 v21, -v20, v17, v12
	v_cmp_ge_f32_e64 s[4:5], 0, v21
	v_add_u32_e32 v21, 1, v17
	s_nop 0
	v_cndmask_b32_e64 v20, v17, v20, s[4:5]
	v_fma_f32 v17, -v21, v17, v12
	v_cmp_lt_f32_e64 s[4:5], 0, v17
	s_nop 1
	v_cndmask_b32_e64 v17, v20, v21, s[4:5]
	v_mul_f32_e32 v20, 0x37800000, v17
	v_cndmask_b32_e32 v20, v17, v20, vcc
	v_mov_b32_e32 v17, 0x260
	v_cmp_class_f32_e64 s[4:5], v12, v17
	s_and_b64 vcc, exec, s[2:3]
	s_nop 0
	v_cndmask_b32_e64 v12, v20, v12, s[4:5]
	s_cbranch_vccnz .LBB475_30
; %bb.29:
	global_load_dword v20, v15, s[10:11] offset:1536
	s_waitcnt vmcnt(0)
	v_add_f32_e32 v12, v12, v20
.LBB475_30:
	s_waitcnt vmcnt(0)
	v_lshlrev_b32_e32 v13, 16, v13
	v_mul_f32_e32 v20, 0x3fb8aa3b, v13
	v_exp_f32_e32 v20, v20
	s_nop 0
	v_add_f32_e32 v20, 1.0, v20
	v_cmp_gt_f32_e32 vcc, s14, v20
	s_nop 1
	v_cndmask_b32_e32 v18, 1.0, v18, vcc
	v_mul_f32_e32 v18, v20, v18
	v_log_f32_e32 v18, v18
	v_cndmask_b32_e32 v19, 0, v19, vcc
	v_mul_f32_e32 v20, 0x3f317217, v18
	v_fma_f32 v20, v18, s7, -v20
	v_fmac_f32_e32 v20, 0x3377d1cf, v18
	v_fmac_f32_e32 v20, 0x3f317217, v18
	v_cmp_lt_f32_e64 vcc, |v18|, s12
	s_nop 1
	v_cndmask_b32_e32 v18, v18, v20, vcc
	v_sub_f32_e32 v18, v18, v19
	v_cmp_lt_f32_e32 vcc, s6, v13
	s_nop 1
	v_cndmask_b32_e32 v13, v18, v13, vcc
	v_mul_f32_e32 v18, 0x4f800000, v13
	v_cmp_gt_f32_e32 vcc, s13, v13
	s_nop 1
	v_cndmask_b32_e32 v13, v13, v18, vcc
	v_sqrt_f32_e32 v18, v13
	s_nop 0
	v_add_u32_e32 v19, -1, v18
	v_add_u32_e32 v20, 1, v18
	v_fma_f32 v21, -v19, v18, v13
	v_fma_f32 v22, -v20, v18, v13
	v_cmp_ge_f32_e64 s[4:5], 0, v21
	s_nop 1
	v_cndmask_b32_e64 v18, v18, v19, s[4:5]
	v_cmp_lt_f32_e64 s[4:5], 0, v22
	s_nop 1
	v_cndmask_b32_e64 v18, v18, v20, s[4:5]
	v_mul_f32_e32 v19, 0x37800000, v18
	v_cndmask_b32_e32 v18, v18, v19, vcc
	v_cmp_class_f32_e64 s[4:5], v13, v17
	s_and_b64 vcc, exec, s[2:3]
	s_nop 0
	v_cndmask_b32_e64 v13, v18, v13, s[4:5]
	s_cbranch_vccnz .LBB475_32
; %bb.31:
	global_load_dword v15, v15, s[10:11] offset:1664
	s_waitcnt vmcnt(0)
	v_add_f32_e32 v13, v13, v15
.LBB475_32:
	s_load_dwordx4 s[12:15], s[0:1], 0x30
	s_mov_b32 s31, 0
	v_cmp_eq_u32_e64 s[6:7], 0, v16
	s_waitcnt lgkmcnt(0)
	s_bitcmp1_b32 s15, 0
	s_cselect_b64 s[4:5], -1, 0
	s_cmp_gt_i32 s12, 0
	s_cselect_b64 s[24:25], -1, 0
	s_and_b64 vcc, exec, s[24:25]
	s_cbranch_vccz .LBB475_59
; %bb.33:
	v_mbcnt_lo_u32_b32 v15, -1, 0
	v_mbcnt_hi_u32_b32 v18, -1, v15
	v_and_b32_e32 v15, 0x60, v18
	v_add_u32_e32 v19, 32, v15
	v_xor_b32_e32 v24, 16, v18
	v_cmp_lt_i32_e32 vcc, v24, v19
	s_load_dwordx4 s[16:19], s[0:1], 0x20
	v_mul_lo_u32 v15, v14, s12
	v_cndmask_b32_e32 v24, v18, v24, vcc
	v_lshlrev_b32_e32 v33, 2, v24
	v_xor_b32_e32 v24, 8, v18
	v_cmp_lt_i32_e32 vcc, v24, v19
	v_or_b32_e32 v17, 32, v16
	v_or_b32_e32 v20, 64, v16
	v_cndmask_b32_e32 v24, v18, v24, vcc
	v_lshlrev_b32_e32 v34, 2, v24
	v_xor_b32_e32 v24, 4, v18
	v_cmp_lt_i32_e32 vcc, v24, v19
	v_or_b32_e32 v21, 0x60, v16
	v_or_b32_e32 v22, 0x80, v16
	;; [unrolled: 6-line block ×4, first 2 shown]
	v_cndmask_b32_e32 v18, v18, v24, vcc
	v_or_b32_e32 v28, 0x120, v16
	v_or_b32_e32 v29, 0x140, v16
	;; [unrolled: 1-line block ×5, first 2 shown]
	v_lshlrev_b32_e32 v37, 2, v18
	v_mov_b32_e32 v24, 0
	v_mov_b32_e32 v38, 0x1c0
	;; [unrolled: 1-line block ×4, first 2 shown]
	s_branch .LBB475_36
.LBB475_34:                             ;   in Loop: Header=BB475_36 Depth=1
	s_waitcnt lgkmcnt(0)
	v_add_u32_e32 v42, s31, v15
	v_cmp_le_i32_e32 vcc, s13, v18
	v_cmp_gt_i32_e64 s[0:1], s14, v18
	v_ashrrev_i32_e32 v43, 31, v42
	s_and_b64 s[0:1], vcc, s[0:1]
	v_lshlrev_b64 v[42:43], 2, v[42:43]
	v_lshl_add_u64 v[44:45], s[20:21], 0, v[42:43]
	v_subrev_u32_e32 v19, s13, v18
	s_and_b64 vcc, s[22:23], s[0:1]
	global_store_dword v[44:45], v41, off
	v_cndmask_b32_e32 v19, v38, v19, vcc
	v_lshl_add_u64 v[44:45], s[16:17], 0, v[42:43]
	global_store_dword v[44:45], v19, off
	v_add_f32_e32 v19, v24, v41
	v_lshl_add_u64 v[42:43], s[18:19], 0, v[42:43]
	v_cndmask_b32_e64 v24, v24, v19, s[4:5]
	global_store_dword v[42:43], v40, off
.LBB475_35:                             ;   in Loop: Header=BB475_36 Depth=1
	s_or_b64 exec, exec, s[26:27]
	v_ashrrev_i32_e32 v19, 31, v18
	v_lshrrev_b32_e32 v19, 27, v19
	v_add_u32_e32 v19, v18, v19
	v_and_b32_e32 v41, 0xffffffe0, v19
	v_sub_u32_e32 v18, v18, v41
	s_add_i32 s31, s31, 1
	v_cmp_eq_u32_e32 vcc, v16, v18
	s_cmp_lt_i32 s31, s12
	v_ashrrev_i32_e32 v18, 5, v19
	s_cselect_b64 s[26:27], -1, 0
	v_cmp_ne_u32_e64 s[0:1], 13, v18
	s_and_b64 vcc, s[26:27], vcc
	s_cmp_eq_u32 s12, s31
	v_cndmask_b32_e64 v19, v39, v13, s[0:1]
	v_cmp_ne_u32_e64 s[0:1], 12, v18
	v_cndmask_b32_e32 v13, v13, v19, vcc
	v_add_u32_e32 v40, s30, v40
	v_cndmask_b32_e64 v19, v39, v12, s[0:1]
	v_cmp_ne_u32_e64 s[0:1], 11, v18
	v_cndmask_b32_e32 v12, v12, v19, vcc
	s_nop 0
	v_cndmask_b32_e64 v19, v39, v11, s[0:1]
	v_cmp_ne_u32_e64 s[0:1], 10, v18
	v_cndmask_b32_e32 v11, v11, v19, vcc
	s_nop 0
	;; [unrolled: 4-line block ×12, first 2 shown]
	v_cndmask_b32_e64 v18, v39, v0, s[0:1]
	v_cndmask_b32_e32 v0, v0, v18, vcc
	s_cbranch_scc1 .LBB475_60
.LBB475_36:                             ; =>This Inner Loop Header: Depth=1
	v_cmp_gt_f32_e32 vcc, v1, v0
	s_nop 1
	v_cndmask_b32_e32 v19, v0, v1, vcc
	v_cndmask_b32_e32 v18, v16, v17, vcc
	v_cmp_gt_f32_e32 vcc, v2, v19
	s_nop 1
	v_cndmask_b32_e32 v19, v19, v2, vcc
	v_cndmask_b32_e32 v18, v18, v20, vcc
	;; [unrolled: 4-line block ×13, first 2 shown]
	ds_bpermute_b32 v19, v33, v41
	s_waitcnt lgkmcnt(0)
	ds_bpermute_b32 v42, v33, v18
	s_waitcnt lgkmcnt(0)
	v_cmp_lt_f32_e64 s[26:27], v41, v19
	v_cmp_nlt_f32_e32 vcc, v41, v19
	s_and_saveexec_b64 s[28:29], vcc
; %bb.37:                               ;   in Loop: Header=BB475_36 Depth=1
	v_cmp_eq_f32_e32 vcc, v41, v19
	v_cmp_lt_i32_e64 s[0:1], v42, v18
	s_and_b64 s[0:1], vcc, s[0:1]
	s_andn2_b64 s[26:27], s[26:27], exec
	s_and_b64 s[0:1], s[0:1], exec
	s_or_b64 s[26:27], s[26:27], s[0:1]
; %bb.38:                               ;   in Loop: Header=BB475_36 Depth=1
	s_or_b64 exec, exec, s[28:29]
	s_and_saveexec_b64 s[0:1], s[26:27]
; %bb.39:                               ;   in Loop: Header=BB475_36 Depth=1
	v_mov_b32_e32 v41, v19
	v_mov_b32_e32 v18, v42
; %bb.40:                               ;   in Loop: Header=BB475_36 Depth=1
	s_or_b64 exec, exec, s[0:1]
	ds_bpermute_b32 v19, v34, v41
	ds_bpermute_b32 v42, v34, v18
	s_waitcnt lgkmcnt(1)
	v_cmp_lt_f32_e64 s[26:27], v41, v19
	v_cmp_nlt_f32_e32 vcc, v41, v19
	s_and_saveexec_b64 s[28:29], vcc
	s_cbranch_execz .LBB475_42
; %bb.41:                               ;   in Loop: Header=BB475_36 Depth=1
	v_cmp_eq_f32_e32 vcc, v41, v19
	s_waitcnt lgkmcnt(0)
	v_cmp_lt_i32_e64 s[0:1], v42, v18
	s_and_b64 s[0:1], vcc, s[0:1]
	s_andn2_b64 s[26:27], s[26:27], exec
	s_and_b64 s[0:1], s[0:1], exec
	s_or_b64 s[26:27], s[26:27], s[0:1]
.LBB475_42:                             ;   in Loop: Header=BB475_36 Depth=1
	s_or_b64 exec, exec, s[28:29]
	s_and_saveexec_b64 s[0:1], s[26:27]
	s_cbranch_execz .LBB475_44
; %bb.43:                               ;   in Loop: Header=BB475_36 Depth=1
	v_mov_b32_e32 v41, v19
	s_waitcnt lgkmcnt(0)
	v_mov_b32_e32 v18, v42
.LBB475_44:                             ;   in Loop: Header=BB475_36 Depth=1
	s_or_b64 exec, exec, s[0:1]
	ds_bpermute_b32 v19, v35, v41
	s_waitcnt lgkmcnt(1)
	ds_bpermute_b32 v42, v35, v18
	s_waitcnt lgkmcnt(1)
	v_cmp_lt_f32_e64 s[26:27], v41, v19
	v_cmp_nlt_f32_e32 vcc, v41, v19
	s_and_saveexec_b64 s[28:29], vcc
	s_cbranch_execz .LBB475_46
; %bb.45:                               ;   in Loop: Header=BB475_36 Depth=1
	v_cmp_eq_f32_e32 vcc, v41, v19
	s_waitcnt lgkmcnt(0)
	v_cmp_lt_i32_e64 s[0:1], v42, v18
	s_and_b64 s[0:1], vcc, s[0:1]
	s_andn2_b64 s[26:27], s[26:27], exec
	s_and_b64 s[0:1], s[0:1], exec
	s_or_b64 s[26:27], s[26:27], s[0:1]
.LBB475_46:                             ;   in Loop: Header=BB475_36 Depth=1
	s_or_b64 exec, exec, s[28:29]
	s_and_saveexec_b64 s[0:1], s[26:27]
	s_cbranch_execz .LBB475_48
; %bb.47:                               ;   in Loop: Header=BB475_36 Depth=1
	v_mov_b32_e32 v41, v19
	s_waitcnt lgkmcnt(0)
	v_mov_b32_e32 v18, v42
.LBB475_48:                             ;   in Loop: Header=BB475_36 Depth=1
	s_or_b64 exec, exec, s[0:1]
	ds_bpermute_b32 v19, v36, v41
	s_waitcnt lgkmcnt(1)
	;; [unrolled: 26-line block ×3, first 2 shown]
	ds_bpermute_b32 v42, v37, v18
	s_waitcnt lgkmcnt(1)
	v_cmp_lt_f32_e64 s[26:27], v41, v19
	v_cmp_nlt_f32_e32 vcc, v41, v19
	s_and_saveexec_b64 s[28:29], vcc
	s_cbranch_execnz .LBB475_55
; %bb.53:                               ;   in Loop: Header=BB475_36 Depth=1
	s_or_b64 exec, exec, s[28:29]
	s_and_saveexec_b64 s[0:1], s[26:27]
	s_cbranch_execnz .LBB475_56
.LBB475_54:                             ;   in Loop: Header=BB475_36 Depth=1
	s_or_b64 exec, exec, s[0:1]
	s_and_saveexec_b64 s[26:27], s[6:7]
	s_cbranch_execz .LBB475_35
	s_branch .LBB475_57
.LBB475_55:                             ;   in Loop: Header=BB475_36 Depth=1
	v_cmp_eq_f32_e32 vcc, v41, v19
	s_waitcnt lgkmcnt(0)
	v_cmp_lt_i32_e64 s[0:1], v42, v18
	s_and_b64 s[0:1], vcc, s[0:1]
	s_andn2_b64 s[26:27], s[26:27], exec
	s_and_b64 s[0:1], s[0:1], exec
	s_or_b64 s[26:27], s[26:27], s[0:1]
	s_or_b64 exec, exec, s[28:29]
	s_and_saveexec_b64 s[0:1], s[26:27]
	s_cbranch_execz .LBB475_54
.LBB475_56:                             ;   in Loop: Header=BB475_36 Depth=1
	s_waitcnt lgkmcnt(0)
	v_mov_b32_e32 v18, v42
	v_mov_b32_e32 v41, v19
	s_or_b64 exec, exec, s[0:1]
	s_and_saveexec_b64 s[26:27], s[6:7]
	s_cbranch_execz .LBB475_35
.LBB475_57:                             ;   in Loop: Header=BB475_36 Depth=1
	s_and_b64 vcc, exec, s[2:3]
	s_cbranch_vccnz .LBB475_34
; %bb.58:                               ;   in Loop: Header=BB475_36 Depth=1
	v_ashrrev_i32_e32 v19, 31, v18
	s_waitcnt lgkmcnt(0)
	v_lshl_add_u64 v[42:43], v[18:19], 2, s[10:11]
	global_load_dword v19, v[42:43], off
	s_waitcnt vmcnt(0)
	v_sub_f32_e32 v41, v41, v19
	s_branch .LBB475_34
.LBB475_59:
	v_mov_b32_e32 v24, 0
.LBB475_60:
	v_cmp_eq_u32_e32 vcc, 0, v16
	s_and_b64 exec, exec, vcc
	s_cbranch_execz .LBB475_73
; %bb.61:
	s_andn2_b64 vcc, exec, s[4:5]
	v_cvt_f32_f64_e32 v0, s[8:9]
	s_cbranch_vccnz .LBB475_63
; %bb.62:
	v_cmp_lt_f32_e32 vcc, 0, v24
	s_nop 1
	v_cndmask_b32_e32 v1, 1.0, v24, vcc
	v_div_scale_f32 v2, s[0:1], v1, v1, v0
	v_rcp_f32_e32 v3, v2
	s_nop 0
	v_fma_f32 v4, -v2, v3, 1.0
	v_fmac_f32_e32 v3, v4, v3
	v_div_scale_f32 v4, vcc, v0, v1, v0
	v_mul_f32_e32 v5, v4, v3
	v_fma_f32 v6, -v2, v5, v4
	v_fmac_f32_e32 v5, v6, v3
	v_fma_f32 v2, -v2, v5, v4
	v_div_fmas_f32 v2, v2, v3, v5
	v_div_fixup_f32 v0, v2, v1, v0
.LBB475_63:
	s_andn2_b64 vcc, exec, s[24:25]
	s_cbranch_vccnz .LBB475_73
; %bb.64:
	v_mul_lo_u32 v2, v14, s12
	s_cmp_gt_u32 s12, 3
	v_ashrrev_i32_e32 v3, 31, v2
	s_cbranch_scc0 .LBB475_68
; %bb.65:
	s_and_b32 s0, s12, 0x7ffffffc
	v_lshl_add_u64 v[4:5], v[2:3], 2, s[20:21]
	v_mov_b32_e32 v1, v0
	v_lshl_add_u64 v[4:5], v[4:5], 0, 8
	s_mov_b32 s1, s0
.LBB475_66:                             ; =>This Inner Loop Header: Depth=1
	global_load_dwordx4 v[6:9], v[4:5], off offset:-8
	s_add_i32 s1, s1, -4
	s_cmp_lg_u32 s1, 0
	s_waitcnt vmcnt(0)
	v_pk_mul_f32 v[6:7], v[0:1], v[6:7]
	v_pk_mul_f32 v[8:9], v[0:1], v[8:9]
	global_store_dwordx4 v[4:5], v[6:9], off offset:-8
	v_lshl_add_u64 v[4:5], v[4:5], 0, 16
	s_cbranch_scc1 .LBB475_66
; %bb.67:
	s_cmp_lg_u32 s0, s12
	s_cselect_b64 s[2:3], -1, 0
	s_branch .LBB475_70
.LBB475_68:
	s_mov_b64 s[2:3], 0
                                        ; implicit-def: $sgpr0
	s_cbranch_execz .LBB475_70
; %bb.69:
	s_mov_b64 s[2:3], -1
	s_mov_b32 s0, 0
.LBB475_70:
	s_andn2_b64 vcc, exec, s[2:3]
	s_cbranch_vccnz .LBB475_73
; %bb.71:
	s_mov_b32 s1, 0
	v_lshl_add_u64 v[2:3], v[2:3], 0, s[0:1]
	s_sub_i32 s2, s12, s0
	v_lshl_add_u64 v[2:3], v[2:3], 2, s[20:21]
.LBB475_72:                             ; =>This Inner Loop Header: Depth=1
	global_load_dword v1, v[2:3], off
	s_add_i32 s2, s2, -1
	s_cmp_lg_u32 s2, 0
	s_waitcnt vmcnt(0)
	v_mul_f32_e32 v1, v0, v1
	global_store_dword v[2:3], v1, off
	v_lshl_add_u64 v[2:3], v[2:3], 0, 4
	s_cbranch_scc1 .LBB475_72
.LBB475_73:
	s_endpgm
	.section	.rodata,"a",@progbits
	.p2align	6, 0x0
	.amdhsa_kernel _ZN4vllm3moe22topkGatingSoftplusSqrtILi14ELi448ELi4ELi2ELi32ELb0Ej14__hip_bfloat16EEvPKT6_PKbPfiPT5_PiiiibdPKfPKS9_SF_
		.amdhsa_group_segment_fixed_size 0
		.amdhsa_private_segment_fixed_size 0
		.amdhsa_kernarg_size 96
		.amdhsa_user_sgpr_count 2
		.amdhsa_user_sgpr_dispatch_ptr 0
		.amdhsa_user_sgpr_queue_ptr 0
		.amdhsa_user_sgpr_kernarg_segment_ptr 1
		.amdhsa_user_sgpr_dispatch_id 0
		.amdhsa_user_sgpr_kernarg_preload_length 0
		.amdhsa_user_sgpr_kernarg_preload_offset 0
		.amdhsa_user_sgpr_private_segment_size 0
		.amdhsa_uses_dynamic_stack 0
		.amdhsa_enable_private_segment 0
		.amdhsa_system_sgpr_workgroup_id_x 1
		.amdhsa_system_sgpr_workgroup_id_y 0
		.amdhsa_system_sgpr_workgroup_id_z 0
		.amdhsa_system_sgpr_workgroup_info 0
		.amdhsa_system_vgpr_workitem_id 1
		.amdhsa_next_free_vgpr 46
		.amdhsa_next_free_sgpr 32
		.amdhsa_accum_offset 48
		.amdhsa_reserve_vcc 1
		.amdhsa_float_round_mode_32 0
		.amdhsa_float_round_mode_16_64 0
		.amdhsa_float_denorm_mode_32 3
		.amdhsa_float_denorm_mode_16_64 3
		.amdhsa_dx10_clamp 1
		.amdhsa_ieee_mode 1
		.amdhsa_fp16_overflow 0
		.amdhsa_tg_split 0
		.amdhsa_exception_fp_ieee_invalid_op 0
		.amdhsa_exception_fp_denorm_src 0
		.amdhsa_exception_fp_ieee_div_zero 0
		.amdhsa_exception_fp_ieee_overflow 0
		.amdhsa_exception_fp_ieee_underflow 0
		.amdhsa_exception_fp_ieee_inexact 0
		.amdhsa_exception_int_div_zero 0
	.end_amdhsa_kernel
	.section	.text._ZN4vllm3moe22topkGatingSoftplusSqrtILi14ELi448ELi4ELi2ELi32ELb0Ej14__hip_bfloat16EEvPKT6_PKbPfiPT5_PiiiibdPKfPKS9_SF_,"axG",@progbits,_ZN4vllm3moe22topkGatingSoftplusSqrtILi14ELi448ELi4ELi2ELi32ELb0Ej14__hip_bfloat16EEvPKT6_PKbPfiPT5_PiiiibdPKfPKS9_SF_,comdat
.Lfunc_end475:
	.size	_ZN4vllm3moe22topkGatingSoftplusSqrtILi14ELi448ELi4ELi2ELi32ELb0Ej14__hip_bfloat16EEvPKT6_PKbPfiPT5_PiiiibdPKfPKS9_SF_, .Lfunc_end475-_ZN4vllm3moe22topkGatingSoftplusSqrtILi14ELi448ELi4ELi2ELi32ELb0Ej14__hip_bfloat16EEvPKT6_PKbPfiPT5_PiiiibdPKfPKS9_SF_
                                        ; -- End function
	.section	.AMDGPU.csdata,"",@progbits
; Kernel info:
; codeLenInByte = 6208
; NumSgprs: 38
; NumVgprs: 46
; NumAgprs: 0
; TotalNumVgprs: 46
; ScratchSize: 0
; MemoryBound: 0
; FloatMode: 240
; IeeeMode: 1
; LDSByteSize: 0 bytes/workgroup (compile time only)
; SGPRBlocks: 4
; VGPRBlocks: 5
; NumSGPRsForWavesPerEU: 38
; NumVGPRsForWavesPerEU: 46
; AccumOffset: 48
; Occupancy: 8
; WaveLimiterHint : 0
; COMPUTE_PGM_RSRC2:SCRATCH_EN: 0
; COMPUTE_PGM_RSRC2:USER_SGPR: 2
; COMPUTE_PGM_RSRC2:TRAP_HANDLER: 0
; COMPUTE_PGM_RSRC2:TGID_X_EN: 1
; COMPUTE_PGM_RSRC2:TGID_Y_EN: 0
; COMPUTE_PGM_RSRC2:TGID_Z_EN: 0
; COMPUTE_PGM_RSRC2:TIDIG_COMP_CNT: 1
; COMPUTE_PGM_RSRC3_GFX90A:ACCUM_OFFSET: 11
; COMPUTE_PGM_RSRC3_GFX90A:TG_SPLIT: 0
	.section	.text._ZN4vllm3moe22topkGatingSoftplusSqrtILi9ELi576ELi4ELi2ELi64ELb1Ej14__hip_bfloat16EEvPKT6_PKbPfiPT5_PiiiibdPKfPKS9_SF_,"axG",@progbits,_ZN4vllm3moe22topkGatingSoftplusSqrtILi9ELi576ELi4ELi2ELi64ELb1Ej14__hip_bfloat16EEvPKT6_PKbPfiPT5_PiiiibdPKfPKS9_SF_,comdat
	.protected	_ZN4vllm3moe22topkGatingSoftplusSqrtILi9ELi576ELi4ELi2ELi64ELb1Ej14__hip_bfloat16EEvPKT6_PKbPfiPT5_PiiiibdPKfPKS9_SF_ ; -- Begin function _ZN4vllm3moe22topkGatingSoftplusSqrtILi9ELi576ELi4ELi2ELi64ELb1Ej14__hip_bfloat16EEvPKT6_PKbPfiPT5_PiiiibdPKfPKS9_SF_
	.globl	_ZN4vllm3moe22topkGatingSoftplusSqrtILi9ELi576ELi4ELi2ELi64ELb1Ej14__hip_bfloat16EEvPKT6_PKbPfiPT5_PiiiibdPKfPKS9_SF_
	.p2align	8
	.type	_ZN4vllm3moe22topkGatingSoftplusSqrtILi9ELi576ELi4ELi2ELi64ELb1Ej14__hip_bfloat16EEvPKT6_PKbPfiPT5_PiiiibdPKfPKS9_SF_,@function
_ZN4vllm3moe22topkGatingSoftplusSqrtILi9ELi576ELi4ELi2ELi64ELb1Ej14__hip_bfloat16EEvPKT6_PKbPfiPT5_PiiiibdPKfPKS9_SF_: ; @_ZN4vllm3moe22topkGatingSoftplusSqrtILi9ELi576ELi4ELi2ELi64ELb1Ej14__hip_bfloat16EEvPKT6_PKbPfiPT5_PiiiibdPKfPKS9_SF_
; %bb.0:
	s_load_dword s3, s[0:1], 0x18
	v_and_b32_e32 v1, 0x3ff, v0
	s_lshl_b32 s2, s2, 2
	v_lshrrev_b32_e32 v2, 6, v1
	v_bfe_u32 v0, v0, 10, 10
	v_add3_u32 v10, s2, v0, v2
	s_waitcnt lgkmcnt(0)
	v_cmp_gt_i32_e32 vcc, s3, v10
	s_and_saveexec_b64 s[2:3], vcc
	s_cbranch_execz .LBB476_32
; %bb.1:
	s_load_dwordx2 s[2:3], s[0:1], 0x0
	s_load_dword s33, s[0:1], 0x30
	s_movk_i32 s4, 0x240
	v_mul_lo_u32 v2, v10, s4
	v_ashrrev_i32_e32 v3, 31, v2
	v_and_b32_e32 v9, 63, v1
	s_waitcnt lgkmcnt(0)
	v_lshl_add_u64 v[2:3], v[2:3], 1, s[2:3]
	v_lshlrev_b32_e32 v12, 1, v9
	v_mov_b32_e32 v13, 0
	v_lshl_add_u64 v[0:1], v[2:3], 0, v[12:13]
	global_load_ushort v4, v[0:1], off offset:128
	global_load_ushort v5, v[0:1], off
	global_load_ushort v6, v[0:1], off offset:384
	global_load_ushort v7, v[0:1], off offset:256
	s_load_dwordx4 s[8:11], s[0:1], 0x50
	v_ashrrev_i32_e32 v11, 31, v10
	s_mov_b32 s17, 0x800000
	v_mov_b32_e32 v14, 0x4f800000
	s_mov_b32 s16, 0x3f317217
	s_waitcnt lgkmcnt(0)
	v_mov_b32_e32 v2, s8
	v_mov_b32_e32 v3, s9
	v_lshl_add_u64 v[2:3], v[10:11], 2, v[2:3]
	global_load_ushort v8, v[0:1], off offset:1024
	global_load_dword v11, v[2:3], off
	global_load_ushort v17, v[0:1], off offset:512
	global_load_ushort v18, v[0:1], off offset:640
	;; [unrolled: 1-line block ×4, first 2 shown]
	s_mov_b32 s15, 0x7f800000
	v_mov_b32_e32 v15, 0x41b17218
	s_mov_b32 s13, 0x41a00000
	s_mov_b32 s14, 0xf800000
	v_mov_b32_e32 v16, 0x260
	s_cmp_gt_i32 s33, 0
	s_mov_b32 s12, 0
	v_mul_lo_u32 v10, v10, s33
	s_waitcnt vmcnt(9)
	v_lshlrev_b32_e32 v4, 16, v4
	s_waitcnt vmcnt(8)
	v_lshlrev_b32_e32 v5, 16, v5
	v_mul_f32_e32 v0, 0x3fb8aa3b, v5
	v_mul_f32_e32 v1, 0x3fb8aa3b, v4
	v_exp_f32_e32 v0, v0
	v_exp_f32_e32 v1, v1
	s_waitcnt vmcnt(7)
	v_lshlrev_b32_e32 v6, 16, v6
	s_waitcnt vmcnt(6)
	v_lshlrev_b32_e32 v7, 16, v7
	v_mul_f32_e32 v2, 0x3fb8aa3b, v7
	v_mul_f32_e32 v3, 0x3fb8aa3b, v6
	v_pk_add_f32 v[0:1], v[0:1], 1.0 op_sel_hi:[1,0]
	v_exp_f32_e32 v2, v2
	v_exp_f32_e32 v3, v3
	v_cmp_gt_f32_e32 vcc, s17, v1
	s_waitcnt vmcnt(4)
	v_mul_lo_u32 v12, v11, s33
	v_cmp_gt_f32_e64 s[2:3], s17, v0
	v_cndmask_b32_e32 v11, 1.0, v14, vcc
	v_mul_f32_e32 v1, v1, v11
	v_cndmask_b32_e64 v21, 1.0, v14, s[2:3]
	v_mul_f32_e32 v0, v0, v21
	v_log_f32_e32 v1, v1
	v_pk_add_f32 v[2:3], v[2:3], 1.0 op_sel_hi:[1,0]
	v_log_f32_e32 v0, v0
	v_cmp_gt_f32_e64 s[4:5], s17, v3
	v_cndmask_b32_e32 v11, 0, v15, vcc
	v_cmp_lt_f32_e64 vcc, |v1|, s15
	v_cndmask_b32_e64 v22, 1.0, v14, s[4:5]
	v_mul_f32_e32 v3, v3, v22
	v_mul_f32_e32 v22, 0x3f317217, v1
	;; [unrolled: 1-line block ×3, first 2 shown]
	v_fma_f32 v22, v1, s16, -v22
	v_fma_f32 v24, v0, s16, -v24
	v_fmac_f32_e32 v22, 0x3377d1cf, v1
	v_fmac_f32_e32 v24, 0x3377d1cf, v0
	;; [unrolled: 1-line block ×4, first 2 shown]
	v_cndmask_b32_e32 v1, v1, v22, vcc
	v_cmp_lt_f32_e64 vcc, |v0|, s15
	v_cndmask_b32_e64 v21, 0, v15, s[2:3]
	v_sub_f32_e32 v1, v1, v11
	v_cndmask_b32_e32 v0, v0, v24, vcc
	v_sub_f32_e32 v0, v0, v21
	v_cmp_lt_f32_e32 vcc, s13, v5
	v_log_f32_e32 v3, v3
	v_cmp_gt_f32_e64 s[6:7], s17, v2
	v_cndmask_b32_e32 v0, v0, v5, vcc
	v_cmp_lt_f32_e32 vcc, s13, v4
	v_mul_f32_e32 v5, 0x4f800000, v0
	v_cmp_gt_f32_e64 s[2:3], s14, v0
	v_cndmask_b32_e32 v1, v1, v4, vcc
	v_mul_f32_e32 v4, 0x4f800000, v1
	v_cmp_gt_f32_e32 vcc, s14, v1
	v_cndmask_b32_e64 v0, v0, v5, s[2:3]
	v_sqrt_f32_e32 v5, v0
	v_cndmask_b32_e32 v1, v1, v4, vcc
	v_sqrt_f32_e32 v4, v1
	v_cndmask_b32_e64 v23, 1.0, v14, s[6:7]
	v_add_u32_e32 v22, -1, v5
	v_fma_f32 v28, -v22, v5, v0
	v_add_u32_e32 v11, -1, v4
	v_fma_f32 v26, -v11, v4, v1
	v_add_u32_e32 v21, 1, v4
	v_cmp_ge_f32_e64 s[8:9], 0, v26
	v_add_u32_e32 v24, 1, v5
	v_fma_f32 v27, -v21, v4, v1
	v_cndmask_b32_e64 v4, v4, v11, s[8:9]
	v_cmp_ge_f32_e64 s[8:9], 0, v28
	v_fma_f32 v29, -v24, v5, v0
	v_mul_f32_e32 v25, 0x3f317217, v3
	v_cndmask_b32_e64 v5, v5, v22, s[8:9]
	v_cmp_lt_f32_e64 s[8:9], 0, v27
	v_mul_f32_e32 v2, v2, v23
	v_fma_f32 v25, v3, s16, -v25
	v_cndmask_b32_e64 v4, v4, v21, s[8:9]
	v_cmp_lt_f32_e64 s[8:9], 0, v29
	v_mul_f32_e32 v11, 0x37800000, v4
	v_cndmask_b32_e32 v4, v4, v11, vcc
	v_cndmask_b32_e64 v5, v5, v24, s[8:9]
	v_mul_f32_e32 v21, 0x37800000, v5
	v_cmp_class_f32_e32 vcc, v1, v16
	v_log_f32_e32 v2, v2
	v_fmac_f32_e32 v25, 0x3377d1cf, v3
	v_cndmask_b32_e64 v5, v5, v21, s[2:3]
	v_cndmask_b32_e32 v1, v4, v1, vcc
	v_cmp_class_f32_e32 vcc, v0, v16
	v_fmac_f32_e32 v25, 0x3f317217, v3
	v_cndmask_b32_e64 v4, 0, v15, s[4:5]
	v_cndmask_b32_e32 v0, v5, v0, vcc
	v_cmp_lt_f32_e64 vcc, |v3|, s15
	v_cmp_lt_f32_e64 s[2:3], s13, v7
	s_waitcnt vmcnt(2)
	v_lshlrev_b32_e32 v18, 16, v18
	v_cndmask_b32_e32 v3, v3, v25, vcc
	v_sub_f32_e32 v3, v3, v4
	v_mul_f32_e32 v4, 0x3f317217, v2
	v_fma_f32 v4, v2, s16, -v4
	v_fmac_f32_e32 v4, 0x3377d1cf, v2
	v_fmac_f32_e32 v4, 0x3f317217, v2
	v_cmp_lt_f32_e64 vcc, |v2|, s15
	v_lshlrev_b32_e32 v17, 16, v17
	s_waitcnt vmcnt(0)
	v_lshlrev_b32_e32 v20, 16, v20
	v_cndmask_b32_e32 v2, v2, v4, vcc
	v_cmp_lt_f32_e32 vcc, s13, v6
	v_cndmask_b32_e64 v4, 0, v15, s[6:7]
	v_sub_f32_e32 v2, v2, v4
	v_cndmask_b32_e32 v3, v3, v6, vcc
	v_mul_f32_e32 v5, 0x4f800000, v3
	v_cmp_gt_f32_e32 vcc, s14, v3
	v_cndmask_b32_e64 v2, v2, v7, s[2:3]
	v_lshlrev_b32_e32 v19, 16, v19
	v_cndmask_b32_e32 v3, v3, v5, vcc
	v_sqrt_f32_e32 v5, v3
	v_lshlrev_b32_e32 v8, 16, v8
	v_add_u32_e32 v4, -1, v5
	v_fma_f32 v6, -v4, v5, v3
	v_cmp_ge_f32_e64 s[2:3], 0, v6
	v_add_u32_e32 v6, 1, v5
	s_nop 0
	v_cndmask_b32_e64 v4, v5, v4, s[2:3]
	v_fma_f32 v5, -v6, v5, v3
	v_cmp_lt_f32_e64 s[2:3], 0, v5
	s_nop 1
	v_cndmask_b32_e64 v4, v4, v6, s[2:3]
	v_mul_f32_e32 v6, 0x4f800000, v2
	v_cmp_gt_f32_e64 s[2:3], s14, v2
	v_mul_f32_e32 v5, 0x37800000, v4
	v_cndmask_b32_e32 v4, v4, v5, vcc
	v_cndmask_b32_e64 v2, v2, v6, s[2:3]
	v_sqrt_f32_e32 v6, v2
	v_cmp_class_f32_e32 vcc, v3, v16
	v_add_u32_e32 v11, 1, v6
	s_nop 0
	v_cndmask_b32_e32 v3, v4, v3, vcc
	v_add_u32_e32 v4, -1, v6
	v_fma_f32 v5, -v4, v6, v2
	v_cmp_ge_f32_e32 vcc, 0, v5
	v_mul_f32_e32 v5, 0x3fb8aa3b, v18
	v_exp_f32_e32 v5, v5
	v_cndmask_b32_e32 v7, v6, v4, vcc
	v_mul_f32_e32 v4, 0x3fb8aa3b, v17
	v_exp_f32_e32 v4, v4
	v_fma_f32 v6, -v11, v6, v2
	v_cmp_lt_f32_e32 vcc, 0, v6
	v_pk_add_f32 v[4:5], v[4:5], 1.0 op_sel_hi:[1,0]
	s_nop 0
	v_cndmask_b32_e32 v6, v7, v11, vcc
	v_cmp_gt_f32_e32 vcc, s17, v5
	v_mul_f32_e32 v7, 0x37800000, v6
	v_cndmask_b32_e64 v6, v6, v7, s[2:3]
	v_cndmask_b32_e32 v11, 1.0, v14, vcc
	v_mul_f32_e32 v5, v5, v11
	v_log_f32_e32 v5, v5
	v_cmp_class_f32_e64 s[2:3], v2, v16
	v_cmp_lt_f32_e64 s[4:5], |v5|, s15
	s_nop 0
	v_cndmask_b32_e64 v2, v6, v2, s[2:3]
	v_cmp_gt_f32_e64 s[2:3], s17, v4
	v_mul_f32_e32 v6, 0x3f317217, v5
	v_fma_f32 v6, v5, s16, -v6
	v_cndmask_b32_e64 v7, 1.0, v14, s[2:3]
	v_mul_f32_e32 v4, v4, v7
	v_log_f32_e32 v4, v4
	v_fmac_f32_e32 v6, 0x3377d1cf, v5
	v_fmac_f32_e32 v6, 0x3f317217, v5
	v_cndmask_b32_e64 v5, v5, v6, s[4:5]
	v_cndmask_b32_e32 v6, 0, v15, vcc
	v_sub_f32_e32 v5, v5, v6
	v_mul_f32_e32 v6, 0x3f317217, v4
	v_fma_f32 v6, v4, s16, -v6
	v_fmac_f32_e32 v6, 0x3377d1cf, v4
	v_fmac_f32_e32 v6, 0x3f317217, v4
	v_cmp_lt_f32_e64 vcc, |v4|, s15
	s_nop 1
	v_cndmask_b32_e32 v4, v4, v6, vcc
	v_cmp_lt_f32_e32 vcc, s13, v18
	v_cndmask_b32_e64 v6, 0, v15, s[2:3]
	v_sub_f32_e32 v4, v4, v6
	v_cndmask_b32_e32 v5, v5, v18, vcc
	v_mul_f32_e32 v7, 0x4f800000, v5
	v_cmp_gt_f32_e32 vcc, s14, v5
	v_cmp_lt_f32_e64 s[2:3], s13, v17
	s_nop 0
	v_cndmask_b32_e32 v5, v5, v7, vcc
	v_sqrt_f32_e32 v7, v5
	v_cndmask_b32_e64 v4, v4, v17, s[2:3]
	v_add_u32_e32 v6, -1, v7
	v_fma_f32 v11, -v6, v7, v5
	v_cmp_ge_f32_e64 s[2:3], 0, v11
	v_add_u32_e32 v11, 1, v7
	s_nop 0
	v_cndmask_b32_e64 v6, v7, v6, s[2:3]
	v_fma_f32 v7, -v11, v7, v5
	v_cmp_lt_f32_e64 s[2:3], 0, v7
	s_nop 1
	v_cndmask_b32_e64 v6, v6, v11, s[2:3]
	v_mul_f32_e32 v11, 0x4f800000, v4
	v_cmp_gt_f32_e64 s[2:3], s14, v4
	v_mul_f32_e32 v7, 0x37800000, v6
	v_cndmask_b32_e32 v6, v6, v7, vcc
	v_cndmask_b32_e64 v4, v4, v11, s[2:3]
	v_sqrt_f32_e32 v11, v4
	v_cmp_class_f32_e32 vcc, v5, v16
	v_add_u32_e32 v18, 1, v11
	s_nop 0
	v_cndmask_b32_e32 v5, v6, v5, vcc
	v_add_u32_e32 v6, -1, v11
	v_fma_f32 v7, -v6, v11, v4
	v_cmp_ge_f32_e32 vcc, 0, v7
	v_mul_f32_e32 v7, 0x3fb8aa3b, v20
	v_exp_f32_e32 v7, v7
	v_cndmask_b32_e32 v17, v11, v6, vcc
	v_mul_f32_e32 v6, 0x3fb8aa3b, v19
	v_exp_f32_e32 v6, v6
	v_fma_f32 v11, -v18, v11, v4
	v_cmp_lt_f32_e32 vcc, 0, v11
	v_pk_add_f32 v[6:7], v[6:7], 1.0 op_sel_hi:[1,0]
	s_nop 0
	v_cndmask_b32_e32 v11, v17, v18, vcc
	v_cmp_gt_f32_e32 vcc, s17, v7
	v_mul_f32_e32 v17, 0x37800000, v11
	v_cndmask_b32_e64 v11, v11, v17, s[2:3]
	v_cndmask_b32_e32 v18, 1.0, v14, vcc
	v_mul_f32_e32 v7, v7, v18
	v_log_f32_e32 v7, v7
	v_cmp_class_f32_e64 s[2:3], v4, v16
	v_cmp_lt_f32_e64 s[4:5], |v7|, s15
	s_nop 0
	v_cndmask_b32_e64 v4, v11, v4, s[2:3]
	v_cmp_gt_f32_e64 s[2:3], s17, v6
	v_mul_f32_e32 v11, 0x3f317217, v7
	v_fma_f32 v11, v7, s16, -v11
	v_cndmask_b32_e64 v17, 1.0, v14, s[2:3]
	v_mul_f32_e32 v6, v6, v17
	v_log_f32_e32 v6, v6
	v_fmac_f32_e32 v11, 0x3377d1cf, v7
	v_fmac_f32_e32 v11, 0x3f317217, v7
	v_cndmask_b32_e64 v7, v7, v11, s[4:5]
	v_cndmask_b32_e32 v11, 0, v15, vcc
	v_sub_f32_e32 v7, v7, v11
	v_mul_f32_e32 v11, 0x3f317217, v6
	v_fma_f32 v11, v6, s16, -v11
	v_fmac_f32_e32 v11, 0x3377d1cf, v6
	v_fmac_f32_e32 v11, 0x3f317217, v6
	v_cmp_lt_f32_e64 vcc, |v6|, s15
	s_nop 1
	v_cndmask_b32_e32 v6, v6, v11, vcc
	v_cmp_lt_f32_e32 vcc, s13, v20
	v_cndmask_b32_e64 v11, 0, v15, s[2:3]
	v_sub_f32_e32 v6, v6, v11
	v_cndmask_b32_e32 v7, v7, v20, vcc
	v_mul_f32_e32 v17, 0x4f800000, v7
	v_cmp_gt_f32_e32 vcc, s14, v7
	v_cmp_lt_f32_e64 s[2:3], s13, v19
	s_nop 0
	v_cndmask_b32_e32 v7, v7, v17, vcc
	v_sqrt_f32_e32 v17, v7
	v_cndmask_b32_e64 v6, v6, v19, s[2:3]
	v_mul_f32_e32 v19, 0x3fb8aa3b, v8
	v_exp_f32_e32 v19, v19
	v_add_u32_e32 v11, -1, v17
	v_fma_f32 v18, -v11, v17, v7
	v_cmp_ge_f32_e64 s[2:3], 0, v18
	v_add_u32_e32 v18, 1, v17
	v_add_f32_e32 v19, 1.0, v19
	v_cndmask_b32_e64 v11, v17, v11, s[2:3]
	v_fma_f32 v17, -v18, v17, v7
	v_cmp_lt_f32_e64 s[2:3], 0, v17
	s_nop 1
	v_cndmask_b32_e64 v11, v11, v18, s[2:3]
	v_mul_f32_e32 v18, 0x4f800000, v6
	v_cmp_gt_f32_e64 s[2:3], s14, v6
	v_mul_f32_e32 v17, 0x37800000, v11
	v_cndmask_b32_e32 v11, v11, v17, vcc
	v_cndmask_b32_e64 v6, v6, v18, s[2:3]
	v_sqrt_f32_e32 v18, v6
	v_cmp_class_f32_e32 vcc, v7, v16
	s_nop 1
	v_cndmask_b32_e32 v7, v11, v7, vcc
	v_add_u32_e32 v11, -1, v18
	v_fma_f32 v17, -v11, v18, v6
	v_cmp_ge_f32_e32 vcc, 0, v17
	v_add_u32_e32 v17, 1, v18
	s_nop 0
	v_cndmask_b32_e32 v11, v18, v11, vcc
	v_cmp_gt_f32_e32 vcc, s17, v19
	v_fma_f32 v18, -v17, v18, v6
	v_cmp_lt_f32_e64 s[4:5], 0, v18
	v_cndmask_b32_e32 v14, 1.0, v14, vcc
	v_mul_f32_e32 v14, v19, v14
	v_log_f32_e32 v14, v14
	v_cndmask_b32_e64 v11, v11, v17, s[4:5]
	v_cndmask_b32_e32 v15, 0, v15, vcc
	v_cmp_lt_f32_e32 vcc, s13, v8
	v_mul_f32_e32 v18, 0x3f317217, v14
	v_fma_f32 v18, v14, s16, -v18
	v_fmac_f32_e32 v18, 0x3377d1cf, v14
	v_fmac_f32_e32 v18, 0x3f317217, v14
	v_cmp_lt_f32_e64 s[4:5], |v14|, s15
	v_mul_f32_e32 v17, 0x37800000, v11
	v_cndmask_b32_e64 v11, v11, v17, s[2:3]
	v_cndmask_b32_e64 v14, v14, v18, s[4:5]
	v_sub_f32_e32 v14, v14, v15
	v_cndmask_b32_e32 v8, v14, v8, vcc
	v_mul_f32_e32 v14, 0x4f800000, v8
	v_cmp_gt_f32_e32 vcc, s14, v8
	v_cmp_class_f32_e64 s[2:3], v6, v16
	s_cselect_b64 s[4:5], -1, 0
	v_cndmask_b32_e32 v8, v8, v14, vcc
	v_sqrt_f32_e32 v14, v8
	v_cndmask_b32_e64 v6, v11, v6, s[2:3]
	s_cmp_lt_i32 s33, 1
	v_add_u32_e32 v11, -1, v14
	v_fma_f32 v15, -v11, v14, v8
	v_cmp_ge_f32_e64 s[2:3], 0, v15
	v_add_u32_e32 v15, 1, v14
	s_nop 0
	v_cndmask_b32_e64 v11, v14, v11, s[2:3]
	v_fma_f32 v14, -v15, v14, v8
	v_cmp_lt_f32_e64 s[2:3], 0, v14
	s_nop 1
	v_cndmask_b32_e64 v11, v11, v15, s[2:3]
	v_mul_f32_e32 v14, 0x37800000, v11
	v_cndmask_b32_e32 v11, v11, v14, vcc
	v_cmp_class_f32_e32 vcc, v8, v16
	v_lshl_add_u64 v[14:15], v[12:13], 2, s[10:11]
	s_nop 0
	v_cndmask_b32_e32 v8, v11, v8, vcc
	s_cbranch_scc1 .LBB476_29
; %bb.2:
	s_load_dwordx2 s[6:7], s[0:1], 0x20
	s_cmp_lt_u32 s33, 4
	s_cbranch_scc1 .LBB476_21
; %bb.3:
	s_mov_b32 s9, 0
	s_and_b32 s12, s33, 0x7ffffffc
	v_ashrrev_i32_e32 v11, 31, v10
	v_mov_b32_e32 v13, 0
	s_mov_b32 s8, s9
	s_branch .LBB476_5
.LBB476_4:                              ;   in Loop: Header=BB476_5 Depth=1
	s_or_b64 exec, exec, s[10:11]
	s_add_i32 s8, s8, 4
	s_cmp_eq_u32 s8, s12
	s_cbranch_scc1 .LBB476_22
.LBB476_5:                              ; =>This Loop Header: Depth=1
                                        ;     Child Loop BB476_7 Depth 2
                                        ;     Child Loop BB476_11 Depth 2
	;; [unrolled: 1-line block ×4, first 2 shown]
	v_lshl_add_u64 v[16:17], s[8:9], 2, v[14:15]
	global_load_dword v12, v[16:17], off
	v_add_u32_e32 v18, s8, v10
	v_ashrrev_i32_e32 v19, 31, v18
	s_waitcnt lgkmcnt(0)
	v_lshl_add_u64 v[18:19], v[18:19], 2, s[6:7]
	s_mov_b64 s[10:11], 0
	v_mov_b32_e32 v20, v9
	s_mov_b64 s[14:15], 0
	s_waitcnt vmcnt(0)
	s_branch .LBB476_7
.LBB476_6:                              ;   in Loop: Header=BB476_7 Depth=2
	s_or_b64 exec, exec, s[16:17]
	s_cmp_gt_u32 s14, 7
	s_cselect_b64 s[2:3], -1, 0
	s_xor_b64 s[16:17], vcc, -1
	s_or_b64 s[2:3], s[16:17], s[2:3]
	s_add_u32 s14, s14, 1
	s_addc_u32 s15, s15, 0
	s_and_b64 s[2:3], exec, s[2:3]
	s_or_b64 s[10:11], s[2:3], s[10:11]
	v_add_u32_e32 v20, 64, v20
	s_andn2_b64 exec, exec, s[10:11]
	s_cbranch_execz .LBB476_9
.LBB476_7:                              ;   Parent Loop BB476_5 Depth=1
                                        ; =>  This Inner Loop Header: Depth=2
	v_cmp_ne_u32_e32 vcc, v12, v20
	v_cmp_eq_u32_e64 s[2:3], v12, v20
	s_and_saveexec_b64 s[16:17], s[2:3]
	s_cbranch_execz .LBB476_6
; %bb.8:                                ;   in Loop: Header=BB476_7 Depth=2
	s_set_gpr_idx_on s14, gpr_idx(SRC0)
	v_mov_b32_e32 v21, v0
	s_set_gpr_idx_off
	v_add_f32_e32 v13, v13, v21
	global_store_dword v[18:19], v12, off
	s_branch .LBB476_6
.LBB476_9:                              ;   in Loop: Header=BB476_5 Depth=1
	s_or_b64 exec, exec, s[10:11]
	global_load_dword v12, v[16:17], off offset:4
	s_ashr_i32 s3, s8, 31
	s_mov_b32 s2, s8
	v_lshl_add_u64 v[18:19], s[2:3], 0, v[10:11]
	v_lshl_add_u64 v[18:19], v[18:19], 2, s[6:7]
	s_mov_b64 s[10:11], 0
	v_mov_b32_e32 v20, v9
	s_mov_b64 s[14:15], 0
	s_waitcnt vmcnt(0)
	s_branch .LBB476_11
.LBB476_10:                             ;   in Loop: Header=BB476_11 Depth=2
	s_or_b64 exec, exec, s[16:17]
	s_cmp_gt_u32 s14, 7
	s_cselect_b64 s[2:3], -1, 0
	s_xor_b64 s[16:17], vcc, -1
	s_or_b64 s[2:3], s[16:17], s[2:3]
	s_add_u32 s14, s14, 1
	s_addc_u32 s15, s15, 0
	s_and_b64 s[2:3], exec, s[2:3]
	s_or_b64 s[10:11], s[2:3], s[10:11]
	v_add_u32_e32 v20, 64, v20
	s_andn2_b64 exec, exec, s[10:11]
	s_cbranch_execz .LBB476_13
.LBB476_11:                             ;   Parent Loop BB476_5 Depth=1
                                        ; =>  This Inner Loop Header: Depth=2
	v_cmp_ne_u32_e32 vcc, v12, v20
	v_cmp_eq_u32_e64 s[2:3], v12, v20
	s_and_saveexec_b64 s[16:17], s[2:3]
	s_cbranch_execz .LBB476_10
; %bb.12:                               ;   in Loop: Header=BB476_11 Depth=2
	s_set_gpr_idx_on s14, gpr_idx(SRC0)
	v_mov_b32_e32 v21, v0
	s_set_gpr_idx_off
	v_add_f32_e32 v13, v13, v21
	global_store_dword v[18:19], v12, off offset:4
	s_branch .LBB476_10
.LBB476_13:                             ;   in Loop: Header=BB476_5 Depth=1
	s_or_b64 exec, exec, s[10:11]
	global_load_dword v12, v[16:17], off offset:8
	s_mov_b64 s[10:11], 0
	v_mov_b32_e32 v20, v9
	s_mov_b64 s[14:15], 0
	s_waitcnt vmcnt(0)
	s_branch .LBB476_15
.LBB476_14:                             ;   in Loop: Header=BB476_15 Depth=2
	s_or_b64 exec, exec, s[16:17]
	s_cmp_gt_u32 s14, 7
	s_cselect_b64 s[2:3], -1, 0
	s_xor_b64 s[16:17], vcc, -1
	s_or_b64 s[2:3], s[16:17], s[2:3]
	s_add_u32 s14, s14, 1
	s_addc_u32 s15, s15, 0
	s_and_b64 s[2:3], exec, s[2:3]
	s_or_b64 s[10:11], s[2:3], s[10:11]
	v_add_u32_e32 v20, 64, v20
	s_andn2_b64 exec, exec, s[10:11]
	s_cbranch_execz .LBB476_17
.LBB476_15:                             ;   Parent Loop BB476_5 Depth=1
                                        ; =>  This Inner Loop Header: Depth=2
	v_cmp_ne_u32_e32 vcc, v12, v20
	v_cmp_eq_u32_e64 s[2:3], v12, v20
	s_and_saveexec_b64 s[16:17], s[2:3]
	s_cbranch_execz .LBB476_14
; %bb.16:                               ;   in Loop: Header=BB476_15 Depth=2
	s_set_gpr_idx_on s14, gpr_idx(SRC0)
	v_mov_b32_e32 v21, v0
	s_set_gpr_idx_off
	v_add_f32_e32 v13, v13, v21
	global_store_dword v[18:19], v12, off offset:8
	s_branch .LBB476_14
.LBB476_17:                             ;   in Loop: Header=BB476_5 Depth=1
	s_or_b64 exec, exec, s[10:11]
	global_load_dword v12, v[16:17], off offset:12
	s_mov_b64 s[10:11], 0
	v_mov_b32_e32 v16, v9
	s_mov_b64 s[14:15], 0
	s_waitcnt vmcnt(0)
	s_branch .LBB476_19
.LBB476_18:                             ;   in Loop: Header=BB476_19 Depth=2
	s_or_b64 exec, exec, s[16:17]
	s_cmp_gt_u32 s14, 7
	s_cselect_b64 s[2:3], -1, 0
	s_xor_b64 s[16:17], vcc, -1
	s_or_b64 s[2:3], s[16:17], s[2:3]
	s_add_u32 s14, s14, 1
	s_addc_u32 s15, s15, 0
	s_and_b64 s[2:3], exec, s[2:3]
	s_or_b64 s[10:11], s[2:3], s[10:11]
	v_add_u32_e32 v16, 64, v16
	s_andn2_b64 exec, exec, s[10:11]
	s_cbranch_execz .LBB476_4
.LBB476_19:                             ;   Parent Loop BB476_5 Depth=1
                                        ; =>  This Inner Loop Header: Depth=2
	v_cmp_ne_u32_e32 vcc, v12, v16
	v_cmp_eq_u32_e64 s[2:3], v12, v16
	s_and_saveexec_b64 s[16:17], s[2:3]
	s_cbranch_execz .LBB476_18
; %bb.20:                               ;   in Loop: Header=BB476_19 Depth=2
	s_set_gpr_idx_on s14, gpr_idx(SRC0)
	v_mov_b32_e32 v17, v0
	s_set_gpr_idx_off
	v_add_f32_e32 v13, v13, v17
	global_store_dword v[18:19], v12, off offset:12
	s_branch .LBB476_18
.LBB476_21:
	v_mov_b32_e32 v13, 0
.LBB476_22:
	s_and_b32 s16, s33, 3
	s_cmp_eq_u32 s16, 0
	s_mov_b32 s13, 0
	s_cbranch_scc1 .LBB476_29
; %bb.23:
	s_mov_b32 s17, s13
	s_branch .LBB476_25
.LBB476_24:                             ;   in Loop: Header=BB476_25 Depth=1
	s_or_b64 exec, exec, s[8:9]
	s_add_i32 s12, s12, 1
	s_add_i32 s17, s17, 1
	s_cmp_lg_u32 s17, s16
	s_cbranch_scc0 .LBB476_29
.LBB476_25:                             ; =>This Loop Header: Depth=1
                                        ;     Child Loop BB476_27 Depth 2
	v_lshl_add_u64 v[16:17], s[12:13], 2, v[14:15]
	global_load_dword v11, v[16:17], off
	v_add_u32_e32 v16, s12, v10
	v_ashrrev_i32_e32 v17, 31, v16
	s_waitcnt lgkmcnt(0)
	v_lshl_add_u64 v[16:17], v[16:17], 2, s[6:7]
	s_mov_b64 s[8:9], 0
	v_mov_b32_e32 v12, v9
	s_mov_b64 s[10:11], 0
	s_waitcnt vmcnt(0)
	s_branch .LBB476_27
.LBB476_26:                             ;   in Loop: Header=BB476_27 Depth=2
	s_or_b64 exec, exec, s[14:15]
	s_cmp_gt_u32 s10, 7
	s_cselect_b64 s[2:3], -1, 0
	s_xor_b64 s[14:15], vcc, -1
	s_or_b64 s[2:3], s[14:15], s[2:3]
	s_add_u32 s10, s10, 1
	s_addc_u32 s11, s11, 0
	s_and_b64 s[2:3], exec, s[2:3]
	s_or_b64 s[8:9], s[2:3], s[8:9]
	v_add_u32_e32 v12, 64, v12
	s_andn2_b64 exec, exec, s[8:9]
	s_cbranch_execz .LBB476_24
.LBB476_27:                             ;   Parent Loop BB476_25 Depth=1
                                        ; =>  This Inner Loop Header: Depth=2
	v_cmp_ne_u32_e32 vcc, v11, v12
	v_cmp_eq_u32_e64 s[2:3], v11, v12
	s_and_saveexec_b64 s[14:15], s[2:3]
	s_cbranch_execz .LBB476_26
; %bb.28:                               ;   in Loop: Header=BB476_27 Depth=2
	s_set_gpr_idx_on s10, gpr_idx(SRC0)
	v_mov_b32_e32 v18, v0
	s_set_gpr_idx_off
	v_add_f32_e32 v13, v13, v18
	global_store_dword v[16:17], v11, off
	s_branch .LBB476_26
.LBB476_29:
	s_waitcnt lgkmcnt(0)
	s_load_dword s6, s[0:1], 0x3c
	s_waitcnt lgkmcnt(0)
	s_bitcmp1_b32 s6, 0
	s_cselect_b64 s[2:3], -1, 0
	s_bitcmp0_b32 s6, 0
	s_cbranch_scc0 .LBB476_33
; %bb.30:
	s_load_dwordx2 s[6:7], s[0:1], 0x40
	s_andn2_b64 vcc, exec, s[2:3]
	s_waitcnt lgkmcnt(0)
	v_cvt_f32_f64_e32 v20, s[6:7]
	s_cbranch_vccz .LBB476_34
.LBB476_31:
	s_andn2_b64 vcc, exec, s[4:5]
	s_cbranch_vccz .LBB476_35
.LBB476_32:
	s_endpgm
.LBB476_33:
	v_mbcnt_lo_u32_b32 v11, -1, 0
	v_mbcnt_hi_u32_b32 v11, -1, v11
	v_and_b32_e32 v12, 64, v11
	v_add_u32_e32 v12, 64, v12
	v_xor_b32_e32 v16, 32, v11
	v_cmp_lt_i32_e32 vcc, v16, v12
	v_xor_b32_e32 v17, 16, v11
	s_nop 0
	v_cndmask_b32_e32 v16, v11, v16, vcc
	v_lshlrev_b32_e32 v16, 2, v16
	ds_bpermute_b32 v16, v16, v13
	v_cmp_lt_i32_e32 vcc, v17, v12
	s_waitcnt lgkmcnt(0)
	v_add_f32_e32 v13, v13, v16
	v_cndmask_b32_e32 v16, v11, v17, vcc
	v_lshlrev_b32_e32 v16, 2, v16
	ds_bpermute_b32 v16, v16, v13
	v_xor_b32_e32 v17, 8, v11
	v_cmp_lt_i32_e32 vcc, v17, v12
	s_waitcnt lgkmcnt(0)
	v_add_f32_e32 v13, v13, v16
	v_cndmask_b32_e32 v16, v11, v17, vcc
	v_lshlrev_b32_e32 v16, 2, v16
	ds_bpermute_b32 v16, v16, v13
	v_xor_b32_e32 v17, 4, v11
	;; [unrolled: 7-line block ×4, first 2 shown]
	v_cmp_lt_i32_e32 vcc, v17, v12
	s_waitcnt lgkmcnt(0)
	v_add_f32_e32 v13, v13, v16
	v_cndmask_b32_e32 v11, v11, v17, vcc
	v_lshlrev_b32_e32 v11, 2, v11
	ds_bpermute_b32 v11, v11, v13
	s_waitcnt lgkmcnt(0)
	v_add_f32_e32 v13, v13, v11
	s_load_dwordx2 s[6:7], s[0:1], 0x40
	s_andn2_b64 vcc, exec, s[2:3]
	s_waitcnt lgkmcnt(0)
	v_cvt_f32_f64_e32 v20, s[6:7]
	s_cbranch_vccnz .LBB476_31
.LBB476_34:
	v_cmp_lt_f32_e32 vcc, 0, v13
	s_nop 1
	v_cndmask_b32_e32 v11, 1.0, v13, vcc
	v_div_scale_f32 v12, s[2:3], v11, v11, v20
	v_rcp_f32_e32 v13, v12
	s_nop 0
	v_fma_f32 v16, -v12, v13, 1.0
	v_fmac_f32_e32 v13, v16, v13
	v_div_scale_f32 v16, vcc, v20, v11, v20
	v_mul_f32_e32 v17, v16, v13
	v_fma_f32 v18, -v12, v17, v16
	v_fmac_f32_e32 v17, v18, v13
	v_fma_f32 v12, -v12, v17, v16
	v_div_fmas_f32 v12, v12, v13, v17
	v_div_fixup_f32 v20, v12, v11, v20
	s_andn2_b64 vcc, exec, s[4:5]
	s_cbranch_vccnz .LBB476_32
.LBB476_35:
	s_load_dwordx2 s[14:15], s[0:1], 0x10
	v_or_b32_e32 v28, 64, v9
	v_or_b32_e32 v27, 0x80, v9
	;; [unrolled: 1-line block ×8, first 2 shown]
	s_cmp_eq_u32 s33, 1
	s_mov_b32 s16, 0
	s_cbranch_scc1 .LBB476_74
; %bb.36:
	v_ashrrev_i32_e32 v11, 31, v10
	s_waitcnt lgkmcnt(0)
	v_lshl_add_u64 v[12:13], v[10:11], 2, s[14:15]
	s_and_b32 s16, s33, 0x7ffffffe
	v_lshl_add_u64 v[12:13], v[12:13], 0, 4
	v_lshl_add_u64 v[16:17], v[14:15], 0, 4
	s_mov_b32 s17, 0
	s_branch .LBB476_38
.LBB476_37:                             ;   in Loop: Header=BB476_38 Depth=1
	s_or_b64 exec, exec, s[0:1]
	s_add_i32 s17, s17, 2
	v_lshl_add_u64 v[12:13], v[12:13], 0, 8
	s_cmp_lg_u32 s16, s17
	v_lshl_add_u64 v[16:17], v[16:17], 0, 8
	s_cbranch_scc0 .LBB476_74
.LBB476_38:                             ; =>This Inner Loop Header: Depth=1
	global_load_dword v11, v[16:17], off offset:-4
	v_mov_b64_e32 v[18:19], 0
	s_waitcnt vmcnt(0)
	v_cmp_eq_u32_e32 vcc, v11, v9
	v_cmp_ne_u32_e64 s[0:1], v11, v9
	s_and_saveexec_b64 s[18:19], s[0:1]
	s_cbranch_execz .LBB476_54
; %bb.39:                               ;   in Loop: Header=BB476_38 Depth=1
	v_cmp_eq_u32_e64 s[0:1], v11, v28
	v_cmp_ne_u32_e64 s[2:3], v11, v28
	v_mov_b64_e32 v[18:19], 1
	s_and_saveexec_b64 s[20:21], s[2:3]
	s_cbranch_execz .LBB476_53
; %bb.40:                               ;   in Loop: Header=BB476_38 Depth=1
	v_cmp_eq_u32_e64 s[2:3], v11, v27
	v_cmp_ne_u32_e64 s[4:5], v11, v27
	v_mov_b64_e32 v[18:19], 2
	;; [unrolled: 6-line block ×7, first 2 shown]
	s_and_saveexec_b64 s[36:37], s[12:13]
	s_xor_b64 s[36:37], exec, s[36:37]
; %bb.46:                               ;   in Loop: Header=BB476_38 Depth=1
	v_cmp_eq_u32_e64 s[12:13], v11, v21
	s_andn2_b64 s[34:35], s[34:35], exec
	s_and_b64 s[12:13], s[12:13], exec
	v_mov_b64_e32 v[18:19], 8
	s_or_b64 s[34:35], s[34:35], s[12:13]
; %bb.47:                               ;   in Loop: Header=BB476_38 Depth=1
	s_or_b64 exec, exec, s[36:37]
	s_andn2_b64 s[10:11], s[10:11], exec
	s_and_b64 s[12:13], s[34:35], exec
	s_or_b64 s[10:11], s[10:11], s[12:13]
.LBB476_48:                             ;   in Loop: Header=BB476_38 Depth=1
	s_or_b64 exec, exec, s[30:31]
	s_andn2_b64 s[8:9], s[8:9], exec
	s_and_b64 s[10:11], s[10:11], exec
	s_or_b64 s[8:9], s[8:9], s[10:11]
.LBB476_49:                             ;   in Loop: Header=BB476_38 Depth=1
	s_or_b64 exec, exec, s[28:29]
	s_andn2_b64 s[6:7], s[6:7], exec
	s_and_b64 s[8:9], s[8:9], exec
	s_or_b64 s[6:7], s[6:7], s[8:9]
.LBB476_50:                             ;   in Loop: Header=BB476_38 Depth=1
	s_or_b64 exec, exec, s[26:27]
	s_andn2_b64 s[4:5], s[4:5], exec
	s_and_b64 s[6:7], s[6:7], exec
	s_or_b64 s[4:5], s[4:5], s[6:7]
.LBB476_51:                             ;   in Loop: Header=BB476_38 Depth=1
	s_or_b64 exec, exec, s[24:25]
	s_andn2_b64 s[2:3], s[2:3], exec
	s_and_b64 s[4:5], s[4:5], exec
	s_or_b64 s[2:3], s[2:3], s[4:5]
.LBB476_52:                             ;   in Loop: Header=BB476_38 Depth=1
	s_or_b64 exec, exec, s[22:23]
	s_andn2_b64 s[0:1], s[0:1], exec
	s_and_b64 s[2:3], s[2:3], exec
	s_or_b64 s[0:1], s[0:1], s[2:3]
.LBB476_53:                             ;   in Loop: Header=BB476_38 Depth=1
	s_or_b64 exec, exec, s[20:21]
	s_andn2_b64 s[2:3], vcc, exec
	s_and_b64 s[0:1], s[0:1], exec
	s_or_b64 vcc, s[2:3], s[0:1]
.LBB476_54:                             ;   in Loop: Header=BB476_38 Depth=1
	s_or_b64 exec, exec, s[18:19]
	s_and_saveexec_b64 s[0:1], vcc
	s_cbranch_execz .LBB476_56
; %bb.55:                               ;   in Loop: Header=BB476_38 Depth=1
	v_cmp_eq_u32_e32 vcc, 1, v18
	v_add_u32_e32 v30, s17, v10
	v_ashrrev_i32_e32 v31, 31, v30
	v_cndmask_b32_e32 v11, v0, v1, vcc
	v_cmp_eq_u32_e32 vcc, 2, v18
	s_nop 1
	v_cndmask_b32_e32 v11, v11, v2, vcc
	v_cmp_eq_u32_e32 vcc, 3, v18
	s_nop 1
	;; [unrolled: 3-line block ×6, first 2 shown]
	v_cndmask_b32_e32 v11, v11, v7, vcc
	v_cmp_eq_u32_e32 vcc, 8, v18
	v_lshl_add_u64 v[18:19], v[30:31], 2, s[14:15]
	s_nop 0
	v_cndmask_b32_e32 v11, v11, v8, vcc
	v_mul_f32_e32 v11, v20, v11
	global_store_dword v[18:19], v11, off
.LBB476_56:                             ;   in Loop: Header=BB476_38 Depth=1
	s_or_b64 exec, exec, s[0:1]
	global_load_dword v11, v[16:17], off
	v_mov_b64_e32 v[18:19], 0
	s_waitcnt vmcnt(0)
	v_cmp_eq_u32_e64 s[10:11], v11, v9
	v_cmp_ne_u32_e32 vcc, v11, v9
	s_and_saveexec_b64 s[12:13], vcc
	s_cbranch_execz .LBB476_72
; %bb.57:                               ;   in Loop: Header=BB476_38 Depth=1
	v_cmp_eq_u32_e32 vcc, v11, v28
	v_cmp_ne_u32_e64 s[0:1], v11, v28
	v_mov_b64_e32 v[18:19], 1
	s_and_saveexec_b64 s[18:19], s[0:1]
	s_cbranch_execz .LBB476_71
; %bb.58:                               ;   in Loop: Header=BB476_38 Depth=1
	v_cmp_eq_u32_e64 s[0:1], v11, v27
	v_cmp_ne_u32_e64 s[2:3], v11, v27
	v_mov_b64_e32 v[18:19], 2
	s_and_saveexec_b64 s[20:21], s[2:3]
	s_cbranch_execz .LBB476_70
; %bb.59:                               ;   in Loop: Header=BB476_38 Depth=1
	v_cmp_eq_u32_e64 s[2:3], v11, v26
	;; [unrolled: 6-line block ×6, first 2 shown]
	v_cmp_ne_u32_e64 s[8:9], v11, v22
	v_mov_b64_e32 v[18:19], 7
	s_and_saveexec_b64 s[36:37], s[8:9]
; %bb.64:                               ;   in Loop: Header=BB476_38 Depth=1
	v_cmp_eq_u32_e64 s[8:9], v11, v21
	s_andn2_b64 s[34:35], s[34:35], exec
	s_and_b64 s[8:9], s[8:9], exec
	v_mov_b64_e32 v[18:19], 8
	s_or_b64 s[34:35], s[34:35], s[8:9]
; %bb.65:                               ;   in Loop: Header=BB476_38 Depth=1
	s_or_b64 exec, exec, s[36:37]
	s_andn2_b64 s[8:9], s[28:29], exec
	s_and_b64 s[28:29], s[34:35], exec
	s_or_b64 s[28:29], s[8:9], s[28:29]
.LBB476_66:                             ;   in Loop: Header=BB476_38 Depth=1
	s_or_b64 exec, exec, s[30:31]
	s_andn2_b64 s[6:7], s[6:7], exec
	s_and_b64 s[8:9], s[28:29], exec
	s_or_b64 s[6:7], s[6:7], s[8:9]
.LBB476_67:                             ;   in Loop: Header=BB476_38 Depth=1
	s_or_b64 exec, exec, s[26:27]
	s_andn2_b64 s[4:5], s[4:5], exec
	s_and_b64 s[6:7], s[6:7], exec
	s_or_b64 s[4:5], s[4:5], s[6:7]
.LBB476_68:                             ;   in Loop: Header=BB476_38 Depth=1
	s_or_b64 exec, exec, s[24:25]
	s_andn2_b64 s[2:3], s[2:3], exec
	s_and_b64 s[4:5], s[4:5], exec
	s_or_b64 s[2:3], s[2:3], s[4:5]
.LBB476_69:                             ;   in Loop: Header=BB476_38 Depth=1
	s_or_b64 exec, exec, s[22:23]
	s_andn2_b64 s[0:1], s[0:1], exec
	s_and_b64 s[2:3], s[2:3], exec
	s_or_b64 s[0:1], s[0:1], s[2:3]
.LBB476_70:                             ;   in Loop: Header=BB476_38 Depth=1
	s_or_b64 exec, exec, s[20:21]
	s_andn2_b64 s[2:3], vcc, exec
	s_and_b64 s[0:1], s[0:1], exec
	s_or_b64 vcc, s[2:3], s[0:1]
.LBB476_71:                             ;   in Loop: Header=BB476_38 Depth=1
	s_or_b64 exec, exec, s[18:19]
	s_andn2_b64 s[0:1], s[10:11], exec
	s_and_b64 s[2:3], vcc, exec
	s_or_b64 s[10:11], s[0:1], s[2:3]
.LBB476_72:                             ;   in Loop: Header=BB476_38 Depth=1
	s_or_b64 exec, exec, s[12:13]
	s_and_saveexec_b64 s[0:1], s[10:11]
	s_cbranch_execz .LBB476_37
; %bb.73:                               ;   in Loop: Header=BB476_38 Depth=1
	v_cmp_eq_u32_e32 vcc, 1, v18
	s_nop 1
	v_cndmask_b32_e32 v11, v0, v1, vcc
	v_cmp_eq_u32_e32 vcc, 2, v18
	s_nop 1
	v_cndmask_b32_e32 v11, v11, v2, vcc
	;; [unrolled: 3-line block ×8, first 2 shown]
	v_mul_f32_e32 v11, v20, v11
	global_store_dword v[12:13], v11, off
	s_branch .LBB476_37
.LBB476_74:
	s_bitcmp0_b32 s33, 0
	s_mov_b32 s17, 0
	s_cbranch_scc1 .LBB476_32
; %bb.75:
	v_lshl_add_u64 v[12:13], s[16:17], 2, v[14:15]
	global_load_dword v11, v[12:13], off
	v_mov_b64_e32 v[12:13], 0
	s_waitcnt vmcnt(0)
	v_cmp_eq_u32_e64 s[10:11], v11, v9
	v_cmp_ne_u32_e32 vcc, v11, v9
	s_and_saveexec_b64 s[12:13], vcc
	s_cbranch_execz .LBB476_91
; %bb.76:
	v_cmp_eq_u32_e32 vcc, v11, v28
	v_cmp_ne_u32_e64 s[0:1], v11, v28
	v_mov_b64_e32 v[12:13], 1
	s_and_saveexec_b64 s[18:19], s[0:1]
	s_cbranch_execz .LBB476_90
; %bb.77:
	v_cmp_eq_u32_e64 s[0:1], v11, v27
	v_cmp_ne_u32_e64 s[2:3], v11, v27
	v_mov_b64_e32 v[12:13], 2
	s_and_saveexec_b64 s[20:21], s[2:3]
	s_cbranch_execz .LBB476_89
; %bb.78:
	v_cmp_eq_u32_e64 s[2:3], v11, v26
	v_cmp_ne_u32_e64 s[4:5], v11, v26
	v_mov_b64_e32 v[12:13], 3
	s_and_saveexec_b64 s[22:23], s[4:5]
	s_cbranch_execz .LBB476_88
; %bb.79:
	v_cmp_eq_u32_e64 s[4:5], v11, v25
	v_cmp_ne_u32_e64 s[6:7], v11, v25
	v_mov_b64_e32 v[12:13], 4
	s_and_saveexec_b64 s[24:25], s[6:7]
	s_cbranch_execz .LBB476_87
; %bb.80:
	v_cmp_eq_u32_e64 s[6:7], v11, v24
	v_cmp_ne_u32_e64 s[8:9], v11, v24
	v_mov_b64_e32 v[12:13], 5
	s_and_saveexec_b64 s[26:27], s[8:9]
	s_cbranch_execz .LBB476_86
; %bb.81:
	v_cmp_eq_u32_e64 s[28:29], v11, v23
	v_cmp_ne_u32_e64 s[8:9], v11, v23
	v_mov_b64_e32 v[12:13], 6
	s_and_saveexec_b64 s[30:31], s[8:9]
	s_cbranch_execz .LBB476_85
; %bb.82:
	v_cmp_eq_u32_e64 s[34:35], v11, v22
	v_cmp_ne_u32_e64 s[8:9], v11, v22
	v_mov_b64_e32 v[12:13], 7
	s_and_saveexec_b64 s[36:37], s[8:9]
; %bb.83:
	v_cmp_eq_u32_e64 s[8:9], v11, v21
	s_andn2_b64 s[34:35], s[34:35], exec
	s_and_b64 s[8:9], s[8:9], exec
	v_mov_b64_e32 v[12:13], 8
	s_or_b64 s[34:35], s[34:35], s[8:9]
; %bb.84:
	s_or_b64 exec, exec, s[36:37]
	s_andn2_b64 s[8:9], s[28:29], exec
	s_and_b64 s[28:29], s[34:35], exec
	s_or_b64 s[28:29], s[8:9], s[28:29]
.LBB476_85:
	s_or_b64 exec, exec, s[30:31]
	s_andn2_b64 s[6:7], s[6:7], exec
	s_and_b64 s[8:9], s[28:29], exec
	s_or_b64 s[6:7], s[6:7], s[8:9]
.LBB476_86:
	s_or_b64 exec, exec, s[26:27]
	s_andn2_b64 s[4:5], s[4:5], exec
	s_and_b64 s[6:7], s[6:7], exec
	s_or_b64 s[4:5], s[4:5], s[6:7]
.LBB476_87:
	s_or_b64 exec, exec, s[24:25]
	s_andn2_b64 s[2:3], s[2:3], exec
	s_and_b64 s[4:5], s[4:5], exec
	s_or_b64 s[2:3], s[2:3], s[4:5]
.LBB476_88:
	s_or_b64 exec, exec, s[22:23]
	s_andn2_b64 s[0:1], s[0:1], exec
	s_and_b64 s[2:3], s[2:3], exec
	s_or_b64 s[0:1], s[0:1], s[2:3]
.LBB476_89:
	s_or_b64 exec, exec, s[20:21]
	s_andn2_b64 s[2:3], vcc, exec
	s_and_b64 s[0:1], s[0:1], exec
	s_or_b64 vcc, s[2:3], s[0:1]
.LBB476_90:
	s_or_b64 exec, exec, s[18:19]
	s_andn2_b64 s[0:1], s[10:11], exec
	s_and_b64 s[2:3], vcc, exec
	s_or_b64 s[10:11], s[0:1], s[2:3]
.LBB476_91:
	s_or_b64 exec, exec, s[12:13]
	s_and_b64 exec, exec, s[10:11]
	s_cbranch_execz .LBB476_32
; %bb.92:
	v_cmp_eq_u32_e32 vcc, 1, v12
	v_add_u32_e32 v10, s16, v10
	v_ashrrev_i32_e32 v11, 31, v10
	v_cndmask_b32_e32 v0, v0, v1, vcc
	v_cmp_eq_u32_e32 vcc, 2, v12
	s_nop 1
	v_cndmask_b32_e32 v0, v0, v2, vcc
	v_cmp_eq_u32_e32 vcc, 3, v12
	s_nop 1
	;; [unrolled: 3-line block ×7, first 2 shown]
	v_cndmask_b32_e32 v0, v0, v8, vcc
	v_mul_f32_e32 v2, v20, v0
	s_waitcnt lgkmcnt(0)
	v_lshl_add_u64 v[0:1], v[10:11], 2, s[14:15]
	global_store_dword v[0:1], v2, off
	s_endpgm
	.section	.rodata,"a",@progbits
	.p2align	6, 0x0
	.amdhsa_kernel _ZN4vllm3moe22topkGatingSoftplusSqrtILi9ELi576ELi4ELi2ELi64ELb1Ej14__hip_bfloat16EEvPKT6_PKbPfiPT5_PiiiibdPKfPKS9_SF_
		.amdhsa_group_segment_fixed_size 0
		.amdhsa_private_segment_fixed_size 0
		.amdhsa_kernarg_size 96
		.amdhsa_user_sgpr_count 2
		.amdhsa_user_sgpr_dispatch_ptr 0
		.amdhsa_user_sgpr_queue_ptr 0
		.amdhsa_user_sgpr_kernarg_segment_ptr 1
		.amdhsa_user_sgpr_dispatch_id 0
		.amdhsa_user_sgpr_kernarg_preload_length 0
		.amdhsa_user_sgpr_kernarg_preload_offset 0
		.amdhsa_user_sgpr_private_segment_size 0
		.amdhsa_uses_dynamic_stack 0
		.amdhsa_enable_private_segment 0
		.amdhsa_system_sgpr_workgroup_id_x 1
		.amdhsa_system_sgpr_workgroup_id_y 0
		.amdhsa_system_sgpr_workgroup_id_z 0
		.amdhsa_system_sgpr_workgroup_info 0
		.amdhsa_system_vgpr_workitem_id 1
		.amdhsa_next_free_vgpr 32
		.amdhsa_next_free_sgpr 38
		.amdhsa_accum_offset 32
		.amdhsa_reserve_vcc 1
		.amdhsa_float_round_mode_32 0
		.amdhsa_float_round_mode_16_64 0
		.amdhsa_float_denorm_mode_32 3
		.amdhsa_float_denorm_mode_16_64 3
		.amdhsa_dx10_clamp 1
		.amdhsa_ieee_mode 1
		.amdhsa_fp16_overflow 0
		.amdhsa_tg_split 0
		.amdhsa_exception_fp_ieee_invalid_op 0
		.amdhsa_exception_fp_denorm_src 0
		.amdhsa_exception_fp_ieee_div_zero 0
		.amdhsa_exception_fp_ieee_overflow 0
		.amdhsa_exception_fp_ieee_underflow 0
		.amdhsa_exception_fp_ieee_inexact 0
		.amdhsa_exception_int_div_zero 0
	.end_amdhsa_kernel
	.section	.text._ZN4vllm3moe22topkGatingSoftplusSqrtILi9ELi576ELi4ELi2ELi64ELb1Ej14__hip_bfloat16EEvPKT6_PKbPfiPT5_PiiiibdPKfPKS9_SF_,"axG",@progbits,_ZN4vllm3moe22topkGatingSoftplusSqrtILi9ELi576ELi4ELi2ELi64ELb1Ej14__hip_bfloat16EEvPKT6_PKbPfiPT5_PiiiibdPKfPKS9_SF_,comdat
.Lfunc_end476:
	.size	_ZN4vllm3moe22topkGatingSoftplusSqrtILi9ELi576ELi4ELi2ELi64ELb1Ej14__hip_bfloat16EEvPKT6_PKbPfiPT5_PiiiibdPKfPKS9_SF_, .Lfunc_end476-_ZN4vllm3moe22topkGatingSoftplusSqrtILi9ELi576ELi4ELi2ELi64ELb1Ej14__hip_bfloat16EEvPKT6_PKbPfiPT5_PiiiibdPKfPKS9_SF_
                                        ; -- End function
	.section	.AMDGPU.csdata,"",@progbits
; Kernel info:
; codeLenInByte = 5200
; NumSgprs: 44
; NumVgprs: 32
; NumAgprs: 0
; TotalNumVgprs: 32
; ScratchSize: 0
; MemoryBound: 0
; FloatMode: 240
; IeeeMode: 1
; LDSByteSize: 0 bytes/workgroup (compile time only)
; SGPRBlocks: 5
; VGPRBlocks: 3
; NumSGPRsForWavesPerEU: 44
; NumVGPRsForWavesPerEU: 32
; AccumOffset: 32
; Occupancy: 8
; WaveLimiterHint : 1
; COMPUTE_PGM_RSRC2:SCRATCH_EN: 0
; COMPUTE_PGM_RSRC2:USER_SGPR: 2
; COMPUTE_PGM_RSRC2:TRAP_HANDLER: 0
; COMPUTE_PGM_RSRC2:TGID_X_EN: 1
; COMPUTE_PGM_RSRC2:TGID_Y_EN: 0
; COMPUTE_PGM_RSRC2:TGID_Z_EN: 0
; COMPUTE_PGM_RSRC2:TIDIG_COMP_CNT: 1
; COMPUTE_PGM_RSRC3_GFX90A:ACCUM_OFFSET: 7
; COMPUTE_PGM_RSRC3_GFX90A:TG_SPLIT: 0
	.section	.text._ZN4vllm3moe22topkGatingSoftplusSqrtILi9ELi576ELi4ELi2ELi64ELb0Ej14__hip_bfloat16EEvPKT6_PKbPfiPT5_PiiiibdPKfPKS9_SF_,"axG",@progbits,_ZN4vllm3moe22topkGatingSoftplusSqrtILi9ELi576ELi4ELi2ELi64ELb0Ej14__hip_bfloat16EEvPKT6_PKbPfiPT5_PiiiibdPKfPKS9_SF_,comdat
	.protected	_ZN4vllm3moe22topkGatingSoftplusSqrtILi9ELi576ELi4ELi2ELi64ELb0Ej14__hip_bfloat16EEvPKT6_PKbPfiPT5_PiiiibdPKfPKS9_SF_ ; -- Begin function _ZN4vllm3moe22topkGatingSoftplusSqrtILi9ELi576ELi4ELi2ELi64ELb0Ej14__hip_bfloat16EEvPKT6_PKbPfiPT5_PiiiibdPKfPKS9_SF_
	.globl	_ZN4vllm3moe22topkGatingSoftplusSqrtILi9ELi576ELi4ELi2ELi64ELb0Ej14__hip_bfloat16EEvPKT6_PKbPfiPT5_PiiiibdPKfPKS9_SF_
	.p2align	8
	.type	_ZN4vllm3moe22topkGatingSoftplusSqrtILi9ELi576ELi4ELi2ELi64ELb0Ej14__hip_bfloat16EEvPKT6_PKbPfiPT5_PiiiibdPKfPKS9_SF_,@function
_ZN4vllm3moe22topkGatingSoftplusSqrtILi9ELi576ELi4ELi2ELi64ELb0Ej14__hip_bfloat16EEvPKT6_PKbPfiPT5_PiiiibdPKfPKS9_SF_: ; @_ZN4vllm3moe22topkGatingSoftplusSqrtILi9ELi576ELi4ELi2ELi64ELb0Ej14__hip_bfloat16EEvPKT6_PKbPfiPT5_PiiiibdPKfPKS9_SF_
; %bb.0:
	s_load_dword s30, s[0:1], 0x18
	v_and_b32_e32 v1, 0x3ff, v0
	s_lshl_b32 s2, s2, 2
	v_lshrrev_b32_e32 v2, 6, v1
	v_bfe_u32 v0, v0, 10, 10
	v_add3_u32 v10, s2, v0, v2
	s_waitcnt lgkmcnt(0)
	v_cmp_gt_i32_e32 vcc, s30, v10
	s_and_saveexec_b64 s[2:3], vcc
	s_cbranch_execz .LBB477_67
; %bb.1:
	s_load_dwordx4 s[4:7], s[0:1], 0x0
	s_load_dwordx2 s[20:21], s[0:1], 0x10
	s_waitcnt lgkmcnt(0)
	s_cmp_eq_u64 s[6:7], 0
	s_cbranch_scc1 .LBB477_3
; %bb.2:
	v_ashrrev_i32_e32 v11, 31, v10
	v_lshl_add_u64 v[2:3], s[6:7], 0, v[10:11]
	global_load_ubyte v0, v[2:3], off
	s_waitcnt vmcnt(0)
	v_and_b32_e32 v0, 1, v0
	v_cmp_eq_u32_e32 vcc, 1, v0
	s_xor_b64 s[2:3], vcc, -1
	s_orn2_b64 s[22:23], s[2:3], exec
	s_branch .LBB477_4
.LBB477_3:
	s_mov_b64 s[22:23], -1
.LBB477_4:
	s_movk_i32 s2, 0x240
	v_mul_lo_u32 v4, v10, s2
	v_mov_b32_e32 v2, s4
	v_mov_b32_e32 v3, s5
	v_ashrrev_i32_e32 v5, 31, v4
	v_and_b32_e32 v12, 63, v1
	v_lshl_add_u64 v[2:3], v[4:5], 1, v[2:3]
	v_mov_b32_e32 v1, 0
	v_lshlrev_b32_e32 v0, 1, v12
	v_lshl_add_u64 v[14:15], v[2:3], 0, v[0:1]
	global_load_ushort v0, v[14:15], off
	global_load_ushort v1, v[14:15], off offset:128
	global_load_ushort v2, v[14:15], off offset:256
	;; [unrolled: 1-line block ×8, first 2 shown]
	s_mov_b32 s16, 0x800000
	v_mov_b32_e32 v13, 0x4f800000
	s_mov_b32 s13, 0x3f317217
	s_mov_b32 s14, 0x7f800000
	v_mov_b32_e32 v14, 0x41b17218
	s_mov_b32 s12, 0x41a00000
	s_mov_b32 s15, 0xf800000
	s_load_dwordx4 s[8:11], s[0:1], 0x40
	s_waitcnt lgkmcnt(0)
	s_cmp_lg_u64 s[10:11], 0
	s_cselect_b64 s[6:7], -1, 0
	s_and_b64 s[2:3], exec, s[6:7]
	s_waitcnt vmcnt(8)
	v_lshlrev_b32_e32 v0, 16, v0
	v_mul_f32_e32 v9, 0x3fb8aa3b, v0
	v_exp_f32_e32 v9, v9
	s_nop 0
	v_add_f32_e32 v9, 1.0, v9
	v_cmp_gt_f32_e32 vcc, s16, v9
	s_nop 1
	v_cndmask_b32_e32 v11, 1.0, v13, vcc
	v_mul_f32_e32 v9, v9, v11
	v_log_f32_e32 v15, v9
	v_cndmask_b32_e32 v16, 0, v14, vcc
	v_mov_b32_e32 v11, 0x260
	v_lshlrev_b32_e32 v9, 2, v12
	v_mul_f32_e32 v17, 0x3f317217, v15
	v_fma_f32 v17, v15, s13, -v17
	v_fmac_f32_e32 v17, 0x3377d1cf, v15
	v_fmac_f32_e32 v17, 0x3f317217, v15
	v_cmp_lt_f32_e64 vcc, |v15|, s14
	s_nop 1
	v_cndmask_b32_e32 v15, v15, v17, vcc
	v_sub_f32_e32 v15, v15, v16
	v_cmp_lt_f32_e32 vcc, s12, v0
	s_nop 1
	v_cndmask_b32_e32 v0, v15, v0, vcc
	v_mul_f32_e32 v15, 0x4f800000, v0
	v_cmp_gt_f32_e32 vcc, s15, v0
	s_nop 1
	v_cndmask_b32_e32 v0, v0, v15, vcc
	v_sqrt_f32_e32 v15, v0
	s_nop 0
	v_add_u32_e32 v16, -1, v15
	v_add_u32_e32 v17, 1, v15
	v_fma_f32 v18, -v16, v15, v0
	v_fma_f32 v19, -v17, v15, v0
	v_cmp_ge_f32_e64 s[4:5], 0, v18
	s_nop 1
	v_cndmask_b32_e64 v15, v15, v16, s[4:5]
	v_cmp_lt_f32_e64 s[4:5], 0, v19
	s_nop 1
	v_cndmask_b32_e64 v15, v15, v17, s[4:5]
	v_mul_f32_e32 v16, 0x37800000, v15
	v_cndmask_b32_e32 v15, v15, v16, vcc
	v_cmp_class_f32_e32 vcc, v0, v11
	s_nop 1
	v_cndmask_b32_e32 v0, v15, v0, vcc
	s_mov_b64 vcc, s[2:3]
	s_cbranch_vccz .LBB477_6
; %bb.5:
	global_load_dword v15, v9, s[10:11]
	s_waitcnt vmcnt(0)
	v_add_f32_e32 v0, v0, v15
.LBB477_6:
	s_waitcnt vmcnt(7)
	v_lshlrev_b32_e32 v1, 16, v1
	v_mul_f32_e32 v15, 0x3fb8aa3b, v1
	v_exp_f32_e32 v15, v15
	s_nop 0
	v_add_f32_e32 v15, 1.0, v15
	v_cmp_gt_f32_e32 vcc, s16, v15
	s_nop 1
	v_cndmask_b32_e32 v13, 1.0, v13, vcc
	v_mul_f32_e32 v13, v15, v13
	v_log_f32_e32 v13, v13
	v_cndmask_b32_e32 v14, 0, v14, vcc
	v_mul_f32_e32 v15, 0x3f317217, v13
	v_fma_f32 v15, v13, s13, -v15
	v_fmac_f32_e32 v15, 0x3377d1cf, v13
	v_fmac_f32_e32 v15, 0x3f317217, v13
	v_cmp_lt_f32_e64 vcc, |v13|, s14
	s_nop 1
	v_cndmask_b32_e32 v13, v13, v15, vcc
	v_sub_f32_e32 v13, v13, v14
	v_cmp_lt_f32_e32 vcc, s12, v1
	s_nop 1
	v_cndmask_b32_e32 v1, v13, v1, vcc
	v_mul_f32_e32 v13, 0x4f800000, v1
	v_cmp_gt_f32_e32 vcc, s15, v1
	s_nop 1
	v_cndmask_b32_e32 v1, v1, v13, vcc
	v_sqrt_f32_e32 v13, v1
	v_cmp_class_f32_e64 s[4:5], v1, v11
	v_add_u32_e32 v14, -1, v13
	v_add_u32_e32 v15, 1, v13
	v_fma_f32 v16, -v14, v13, v1
	v_fma_f32 v17, -v15, v13, v1
	v_cmp_ge_f32_e64 s[2:3], 0, v16
	s_nop 1
	v_cndmask_b32_e64 v13, v13, v14, s[2:3]
	v_cmp_lt_f32_e64 s[2:3], 0, v17
	s_nop 1
	v_cndmask_b32_e64 v13, v13, v15, s[2:3]
	v_mul_f32_e32 v14, 0x37800000, v13
	v_cndmask_b32_e32 v13, v13, v14, vcc
	v_cndmask_b32_e64 v14, 0, 1, s[6:7]
	v_cmp_ne_u32_e64 s[2:3], 1, v14
	s_andn2_b64 vcc, exec, s[6:7]
	v_cndmask_b32_e64 v1, v13, v1, s[4:5]
	s_cbranch_vccnz .LBB477_8
; %bb.7:
	global_load_dword v11, v9, s[10:11] offset:256
	s_waitcnt vmcnt(0)
	v_add_f32_e32 v1, v1, v11
.LBB477_8:
	s_waitcnt vmcnt(6)
	v_lshlrev_b32_e32 v2, 16, v2
	v_mul_f32_e32 v11, 0x3fb8aa3b, v2
	v_exp_f32_e32 v11, v11
	s_mov_b32 s14, 0x800000
	v_mov_b32_e32 v13, 0x4f800000
	s_mov_b32 s7, 0x3f317217
	v_add_f32_e32 v11, 1.0, v11
	v_cmp_gt_f32_e32 vcc, s14, v11
	s_mov_b32 s12, 0x7f800000
	s_mov_b32 s6, 0x41a00000
	v_cndmask_b32_e32 v14, 1.0, v13, vcc
	v_mul_f32_e32 v11, v11, v14
	v_log_f32_e32 v11, v11
	s_mov_b32 s13, 0xf800000
	v_mul_f32_e32 v14, 0x3f317217, v11
	v_fma_f32 v14, v11, s7, -v14
	v_fmac_f32_e32 v14, 0x3377d1cf, v11
	v_fmac_f32_e32 v14, 0x3f317217, v11
	v_cmp_lt_f32_e64 s[4:5], |v11|, s12
	s_nop 1
	v_cndmask_b32_e64 v11, v11, v14, s[4:5]
	v_mov_b32_e32 v14, 0x41b17218
	v_cndmask_b32_e32 v15, 0, v14, vcc
	v_sub_f32_e32 v11, v11, v15
	v_cmp_lt_f32_e32 vcc, s6, v2
	s_nop 1
	v_cndmask_b32_e32 v2, v11, v2, vcc
	v_mul_f32_e32 v11, 0x4f800000, v2
	v_cmp_gt_f32_e32 vcc, s13, v2
	s_nop 1
	v_cndmask_b32_e32 v2, v2, v11, vcc
	v_sqrt_f32_e32 v11, v2
	s_nop 0
	v_add_u32_e32 v15, -1, v11
	v_fma_f32 v16, -v15, v11, v2
	v_cmp_ge_f32_e64 s[4:5], 0, v16
	v_add_u32_e32 v16, 1, v11
	s_nop 0
	v_cndmask_b32_e64 v15, v11, v15, s[4:5]
	v_fma_f32 v11, -v16, v11, v2
	v_cmp_lt_f32_e64 s[4:5], 0, v11
	s_nop 1
	v_cndmask_b32_e64 v11, v15, v16, s[4:5]
	v_mul_f32_e32 v15, 0x37800000, v11
	v_cndmask_b32_e32 v15, v11, v15, vcc
	v_mov_b32_e32 v11, 0x260
	v_cmp_class_f32_e64 s[4:5], v2, v11
	s_and_b64 vcc, exec, s[2:3]
	s_nop 0
	v_cndmask_b32_e64 v2, v15, v2, s[4:5]
	s_cbranch_vccnz .LBB477_10
; %bb.9:
	global_load_dword v15, v9, s[10:11] offset:512
	s_waitcnt vmcnt(0)
	v_add_f32_e32 v2, v2, v15
.LBB477_10:
	s_waitcnt vmcnt(5)
	v_lshlrev_b32_e32 v3, 16, v3
	v_mul_f32_e32 v15, 0x3fb8aa3b, v3
	v_exp_f32_e32 v15, v15
	s_nop 0
	v_add_f32_e32 v15, 1.0, v15
	v_cmp_gt_f32_e32 vcc, s14, v15
	s_nop 1
	v_cndmask_b32_e32 v13, 1.0, v13, vcc
	v_mul_f32_e32 v13, v15, v13
	v_log_f32_e32 v13, v13
	v_cndmask_b32_e32 v14, 0, v14, vcc
	v_mul_f32_e32 v15, 0x3f317217, v13
	v_fma_f32 v15, v13, s7, -v15
	v_fmac_f32_e32 v15, 0x3377d1cf, v13
	v_fmac_f32_e32 v15, 0x3f317217, v13
	v_cmp_lt_f32_e64 vcc, |v13|, s12
	s_nop 1
	v_cndmask_b32_e32 v13, v13, v15, vcc
	v_sub_f32_e32 v13, v13, v14
	v_cmp_lt_f32_e32 vcc, s6, v3
	s_nop 1
	v_cndmask_b32_e32 v3, v13, v3, vcc
	v_mul_f32_e32 v13, 0x4f800000, v3
	v_cmp_gt_f32_e32 vcc, s13, v3
	s_nop 1
	v_cndmask_b32_e32 v3, v3, v13, vcc
	v_sqrt_f32_e32 v13, v3
	s_nop 0
	v_add_u32_e32 v14, -1, v13
	v_add_u32_e32 v15, 1, v13
	v_fma_f32 v16, -v14, v13, v3
	v_fma_f32 v17, -v15, v13, v3
	v_cmp_ge_f32_e64 s[4:5], 0, v16
	s_nop 1
	v_cndmask_b32_e64 v13, v13, v14, s[4:5]
	v_cmp_lt_f32_e64 s[4:5], 0, v17
	s_nop 1
	v_cndmask_b32_e64 v13, v13, v15, s[4:5]
	v_mul_f32_e32 v14, 0x37800000, v13
	v_cndmask_b32_e32 v13, v13, v14, vcc
	v_cmp_class_f32_e64 s[4:5], v3, v11
	s_and_b64 vcc, exec, s[2:3]
	s_nop 0
	v_cndmask_b32_e64 v3, v13, v3, s[4:5]
	s_cbranch_vccnz .LBB477_12
; %bb.11:
	global_load_dword v11, v9, s[10:11] offset:768
	s_waitcnt vmcnt(0)
	v_add_f32_e32 v3, v3, v11
.LBB477_12:
	s_waitcnt vmcnt(4)
	v_lshlrev_b32_e32 v4, 16, v4
	v_mul_f32_e32 v11, 0x3fb8aa3b, v4
	v_exp_f32_e32 v11, v11
	v_mov_b32_e32 v13, 0x4f800000
	v_add_f32_e32 v11, 1.0, v11
	v_cmp_gt_f32_e32 vcc, s14, v11
	s_nop 1
	v_cndmask_b32_e32 v14, 1.0, v13, vcc
	v_mul_f32_e32 v11, v11, v14
	v_log_f32_e32 v11, v11
	s_nop 0
	v_mul_f32_e32 v14, 0x3f317217, v11
	v_fma_f32 v14, v11, s7, -v14
	v_fmac_f32_e32 v14, 0x3377d1cf, v11
	v_fmac_f32_e32 v14, 0x3f317217, v11
	v_cmp_lt_f32_e64 s[4:5], |v11|, s12
	s_nop 1
	v_cndmask_b32_e64 v11, v11, v14, s[4:5]
	v_mov_b32_e32 v14, 0x41b17218
	v_cndmask_b32_e32 v15, 0, v14, vcc
	v_sub_f32_e32 v11, v11, v15
	v_cmp_lt_f32_e32 vcc, s6, v4
	s_nop 1
	v_cndmask_b32_e32 v4, v11, v4, vcc
	v_mul_f32_e32 v11, 0x4f800000, v4
	v_cmp_gt_f32_e32 vcc, s13, v4
	s_nop 1
	v_cndmask_b32_e32 v4, v4, v11, vcc
	v_sqrt_f32_e32 v11, v4
	s_nop 0
	v_add_u32_e32 v15, -1, v11
	v_fma_f32 v16, -v15, v11, v4
	v_cmp_ge_f32_e64 s[4:5], 0, v16
	v_add_u32_e32 v16, 1, v11
	s_nop 0
	v_cndmask_b32_e64 v15, v11, v15, s[4:5]
	v_fma_f32 v11, -v16, v11, v4
	v_cmp_lt_f32_e64 s[4:5], 0, v11
	s_nop 1
	v_cndmask_b32_e64 v11, v15, v16, s[4:5]
	v_mul_f32_e32 v15, 0x37800000, v11
	v_cndmask_b32_e32 v15, v11, v15, vcc
	v_mov_b32_e32 v11, 0x260
	v_cmp_class_f32_e64 s[4:5], v4, v11
	s_and_b64 vcc, exec, s[2:3]
	s_nop 0
	v_cndmask_b32_e64 v4, v15, v4, s[4:5]
	s_cbranch_vccnz .LBB477_14
; %bb.13:
	global_load_dword v15, v9, s[10:11] offset:1024
	s_waitcnt vmcnt(0)
	v_add_f32_e32 v4, v4, v15
.LBB477_14:
	s_waitcnt vmcnt(3)
	v_lshlrev_b32_e32 v5, 16, v5
	v_mul_f32_e32 v15, 0x3fb8aa3b, v5
	v_exp_f32_e32 v15, v15
	s_nop 0
	v_add_f32_e32 v15, 1.0, v15
	v_cmp_gt_f32_e32 vcc, s14, v15
	s_nop 1
	v_cndmask_b32_e32 v13, 1.0, v13, vcc
	v_mul_f32_e32 v13, v15, v13
	v_log_f32_e32 v13, v13
	v_cndmask_b32_e32 v14, 0, v14, vcc
	v_mul_f32_e32 v15, 0x3f317217, v13
	v_fma_f32 v15, v13, s7, -v15
	v_fmac_f32_e32 v15, 0x3377d1cf, v13
	v_fmac_f32_e32 v15, 0x3f317217, v13
	v_cmp_lt_f32_e64 vcc, |v13|, s12
	s_nop 1
	v_cndmask_b32_e32 v13, v13, v15, vcc
	v_sub_f32_e32 v13, v13, v14
	v_cmp_lt_f32_e32 vcc, s6, v5
	s_nop 1
	v_cndmask_b32_e32 v5, v13, v5, vcc
	v_mul_f32_e32 v13, 0x4f800000, v5
	v_cmp_gt_f32_e32 vcc, s13, v5
	s_nop 1
	v_cndmask_b32_e32 v5, v5, v13, vcc
	v_sqrt_f32_e32 v13, v5
	s_nop 0
	v_add_u32_e32 v14, -1, v13
	v_add_u32_e32 v15, 1, v13
	v_fma_f32 v16, -v14, v13, v5
	v_fma_f32 v17, -v15, v13, v5
	v_cmp_ge_f32_e64 s[4:5], 0, v16
	s_nop 1
	v_cndmask_b32_e64 v13, v13, v14, s[4:5]
	v_cmp_lt_f32_e64 s[4:5], 0, v17
	s_nop 1
	v_cndmask_b32_e64 v13, v13, v15, s[4:5]
	v_mul_f32_e32 v14, 0x37800000, v13
	v_cndmask_b32_e32 v13, v13, v14, vcc
	v_cmp_class_f32_e64 s[4:5], v5, v11
	s_and_b64 vcc, exec, s[2:3]
	s_nop 0
	v_cndmask_b32_e64 v5, v13, v5, s[4:5]
	s_cbranch_vccnz .LBB477_16
; %bb.15:
	global_load_dword v11, v9, s[10:11] offset:1280
	s_waitcnt vmcnt(0)
	v_add_f32_e32 v5, v5, v11
.LBB477_16:
	s_waitcnt vmcnt(2)
	v_lshlrev_b32_e32 v6, 16, v6
	v_mul_f32_e32 v11, 0x3fb8aa3b, v6
	v_exp_f32_e32 v11, v11
	v_mov_b32_e32 v13, 0x4f800000
	v_add_f32_e32 v11, 1.0, v11
	v_cmp_gt_f32_e32 vcc, s14, v11
	s_nop 1
	v_cndmask_b32_e32 v14, 1.0, v13, vcc
	v_mul_f32_e32 v11, v11, v14
	v_log_f32_e32 v11, v11
	s_nop 0
	v_mul_f32_e32 v14, 0x3f317217, v11
	v_fma_f32 v14, v11, s7, -v14
	v_fmac_f32_e32 v14, 0x3377d1cf, v11
	v_fmac_f32_e32 v14, 0x3f317217, v11
	v_cmp_lt_f32_e64 s[4:5], |v11|, s12
	s_nop 1
	v_cndmask_b32_e64 v11, v11, v14, s[4:5]
	v_mov_b32_e32 v14, 0x41b17218
	v_cndmask_b32_e32 v15, 0, v14, vcc
	v_sub_f32_e32 v11, v11, v15
	v_cmp_lt_f32_e32 vcc, s6, v6
	s_nop 1
	v_cndmask_b32_e32 v6, v11, v6, vcc
	v_mul_f32_e32 v11, 0x4f800000, v6
	v_cmp_gt_f32_e32 vcc, s13, v6
	s_nop 1
	v_cndmask_b32_e32 v6, v6, v11, vcc
	v_sqrt_f32_e32 v11, v6
	s_nop 0
	v_add_u32_e32 v15, -1, v11
	v_fma_f32 v16, -v15, v11, v6
	v_cmp_ge_f32_e64 s[4:5], 0, v16
	v_add_u32_e32 v16, 1, v11
	s_nop 0
	v_cndmask_b32_e64 v15, v11, v15, s[4:5]
	v_fma_f32 v11, -v16, v11, v6
	v_cmp_lt_f32_e64 s[4:5], 0, v11
	s_nop 1
	v_cndmask_b32_e64 v11, v15, v16, s[4:5]
	v_mul_f32_e32 v15, 0x37800000, v11
	v_cndmask_b32_e32 v15, v11, v15, vcc
	v_mov_b32_e32 v11, 0x260
	v_cmp_class_f32_e64 s[4:5], v6, v11
	s_and_b64 vcc, exec, s[2:3]
	s_nop 0
	v_cndmask_b32_e64 v6, v15, v6, s[4:5]
	s_cbranch_vccnz .LBB477_18
; %bb.17:
	global_load_dword v15, v9, s[10:11] offset:1536
	s_waitcnt vmcnt(0)
	v_add_f32_e32 v6, v6, v15
.LBB477_18:
	s_waitcnt vmcnt(1)
	v_lshlrev_b32_e32 v7, 16, v7
	v_mul_f32_e32 v15, 0x3fb8aa3b, v7
	v_exp_f32_e32 v15, v15
	s_nop 0
	v_add_f32_e32 v15, 1.0, v15
	v_cmp_gt_f32_e32 vcc, s14, v15
	s_nop 1
	v_cndmask_b32_e32 v13, 1.0, v13, vcc
	v_mul_f32_e32 v13, v15, v13
	v_log_f32_e32 v13, v13
	v_cndmask_b32_e32 v14, 0, v14, vcc
	v_mul_f32_e32 v15, 0x3f317217, v13
	v_fma_f32 v15, v13, s7, -v15
	v_fmac_f32_e32 v15, 0x3377d1cf, v13
	v_fmac_f32_e32 v15, 0x3f317217, v13
	v_cmp_lt_f32_e64 vcc, |v13|, s12
	s_nop 1
	v_cndmask_b32_e32 v13, v13, v15, vcc
	v_sub_f32_e32 v13, v13, v14
	v_cmp_lt_f32_e32 vcc, s6, v7
	s_nop 1
	v_cndmask_b32_e32 v7, v13, v7, vcc
	v_mul_f32_e32 v13, 0x4f800000, v7
	v_cmp_gt_f32_e32 vcc, s13, v7
	s_nop 1
	v_cndmask_b32_e32 v7, v7, v13, vcc
	v_sqrt_f32_e32 v13, v7
	s_nop 0
	v_add_u32_e32 v14, -1, v13
	v_add_u32_e32 v15, 1, v13
	v_fma_f32 v16, -v14, v13, v7
	v_fma_f32 v17, -v15, v13, v7
	v_cmp_ge_f32_e64 s[4:5], 0, v16
	s_nop 1
	v_cndmask_b32_e64 v13, v13, v14, s[4:5]
	v_cmp_lt_f32_e64 s[4:5], 0, v17
	s_nop 1
	v_cndmask_b32_e64 v13, v13, v15, s[4:5]
	v_mul_f32_e32 v14, 0x37800000, v13
	v_cndmask_b32_e32 v13, v13, v14, vcc
	v_cmp_class_f32_e64 s[4:5], v7, v11
	s_and_b64 vcc, exec, s[2:3]
	s_nop 0
	v_cndmask_b32_e64 v7, v13, v7, s[4:5]
	s_cbranch_vccnz .LBB477_20
; %bb.19:
	global_load_dword v11, v9, s[10:11] offset:1792
	s_waitcnt vmcnt(0)
	v_add_f32_e32 v7, v7, v11
.LBB477_20:
	s_waitcnt vmcnt(0)
	v_lshlrev_b32_e32 v8, 16, v8
	v_mul_f32_e32 v11, 0x3fb8aa3b, v8
	v_exp_f32_e32 v11, v11
	s_mov_b32 s4, 0x800000
	v_mov_b32_e32 v13, 0x4f800000
	s_mov_b32 s5, 0x7f800000
	v_add_f32_e32 v11, 1.0, v11
	v_cmp_gt_f32_e32 vcc, s4, v11
	s_mov_b32 s4, 0x3f317217
	s_nop 0
	v_cndmask_b32_e32 v13, 1.0, v13, vcc
	v_mul_f32_e32 v11, v11, v13
	v_log_f32_e32 v11, v11
	s_nop 0
	v_mul_f32_e32 v13, 0x3f317217, v11
	v_fma_f32 v13, v11, s4, -v13
	v_fmamk_f32 v13, v11, 0x3377d1cf, v13
	v_fmac_f32_e32 v13, 0x3f317217, v11
	v_cmp_lt_f32_e64 s[4:5], |v11|, s5
	s_nop 1
	v_cndmask_b32_e64 v11, v11, v13, s[4:5]
	v_mov_b32_e32 v13, 0x41b17218
	v_cndmask_b32_e32 v13, 0, v13, vcc
	v_sub_f32_e32 v11, v11, v13
	v_cmp_lt_f32_e32 vcc, s6, v8
	s_mov_b32 s4, 0xf800000
	s_nop 0
	v_cndmask_b32_e32 v8, v11, v8, vcc
	v_mul_f32_e32 v11, 0x4f800000, v8
	v_cmp_gt_f32_e32 vcc, s4, v8
	s_nop 1
	v_cndmask_b32_e32 v8, v8, v11, vcc
	v_sqrt_f32_e32 v11, v8
	s_nop 0
	v_add_u32_e32 v13, -1, v11
	v_fma_f32 v14, -v13, v11, v8
	v_cmp_ge_f32_e64 s[4:5], 0, v14
	v_add_u32_e32 v14, 1, v11
	s_nop 0
	v_cndmask_b32_e64 v13, v11, v13, s[4:5]
	v_fma_f32 v11, -v14, v11, v8
	v_cmp_lt_f32_e64 s[4:5], 0, v11
	s_nop 1
	v_cndmask_b32_e64 v11, v13, v14, s[4:5]
	v_mul_f32_e32 v13, 0x37800000, v11
	v_cndmask_b32_e32 v11, v11, v13, vcc
	v_mov_b32_e32 v13, 0x260
	v_cmp_class_f32_e64 s[4:5], v8, v13
	s_and_b64 vcc, exec, s[2:3]
	s_nop 0
	v_cndmask_b32_e64 v8, v11, v8, s[4:5]
	s_cbranch_vccnz .LBB477_22
; %bb.21:
	global_load_dword v9, v9, s[10:11] offset:2048
	s_waitcnt vmcnt(0)
	v_add_f32_e32 v8, v8, v9
.LBB477_22:
	s_load_dwordx4 s[12:15], s[0:1], 0x30
	v_cmp_eq_u32_e64 s[6:7], 0, v12
	s_waitcnt lgkmcnt(0)
	s_bitcmp1_b32 s15, 0
	s_cselect_b64 s[4:5], -1, 0
	s_cmp_gt_i32 s12, 0
	s_cselect_b64 s[24:25], -1, 0
	s_and_b64 vcc, exec, s[24:25]
	s_cbranch_vccz .LBB477_53
; %bb.23:
	v_mbcnt_lo_u32_b32 v9, -1, 0
	v_mbcnt_hi_u32_b32 v14, -1, v9
	v_and_b32_e32 v9, 64, v14
	v_add_u32_e32 v15, 64, v9
	v_xor_b32_e32 v18, 32, v14
	v_cmp_lt_i32_e32 vcc, v18, v15
	s_load_dwordx4 s[16:19], s[0:1], 0x20
	s_mov_b32 s15, 0
	v_cndmask_b32_e32 v18, v14, v18, vcc
	v_lshlrev_b32_e32 v23, 2, v18
	v_xor_b32_e32 v18, 16, v14
	v_cmp_lt_i32_e32 vcc, v18, v15
	v_mul_lo_u32 v9, v10, s12
	v_or_b32_e32 v11, 64, v12
	v_cndmask_b32_e32 v18, v14, v18, vcc
	v_lshlrev_b32_e32 v24, 2, v18
	v_xor_b32_e32 v18, 8, v14
	v_cmp_lt_i32_e32 vcc, v18, v15
	v_or_b32_e32 v13, 0x80, v12
	v_or_b32_e32 v16, 0xc0, v12
	v_cndmask_b32_e32 v18, v14, v18, vcc
	v_lshlrev_b32_e32 v25, 2, v18
	v_xor_b32_e32 v18, 4, v14
	v_cmp_lt_i32_e32 vcc, v18, v15
	v_or_b32_e32 v17, 0x100, v12
	;; [unrolled: 6-line block ×4, first 2 shown]
	v_mov_b32_e32 v29, 0x240
	v_cndmask_b32_e32 v14, v14, v18, vcc
	v_lshlrev_b32_e32 v28, 2, v14
	v_mov_b32_e32 v18, 0
	v_mov_b32_e32 v30, 0xc61c4000
	v_mov_b32_e32 v31, v10
	s_branch .LBB477_26
.LBB477_24:                             ;   in Loop: Header=BB477_26 Depth=1
	v_add_u32_e32 v34, s15, v9
	v_cmp_le_i32_e32 vcc, s13, v14
	v_cmp_gt_i32_e64 s[0:1], s14, v14
	v_ashrrev_i32_e32 v35, 31, v34
	s_and_b64 s[0:1], vcc, s[0:1]
	v_lshlrev_b64 v[34:35], 2, v[34:35]
	v_lshl_add_u64 v[36:37], s[20:21], 0, v[34:35]
	v_subrev_u32_e32 v15, s13, v14
	s_and_b64 vcc, s[22:23], s[0:1]
	global_store_dword v[36:37], v32, off
	v_cndmask_b32_e32 v15, v29, v15, vcc
	v_lshl_add_u64 v[36:37], s[16:17], 0, v[34:35]
	global_store_dword v[36:37], v15, off
	v_add_f32_e32 v15, v18, v32
	v_lshl_add_u64 v[34:35], s[18:19], 0, v[34:35]
	v_cndmask_b32_e64 v18, v18, v15, s[4:5]
	global_store_dword v[34:35], v31, off
.LBB477_25:                             ;   in Loop: Header=BB477_26 Depth=1
	s_or_b64 exec, exec, s[26:27]
	v_ashrrev_i32_e32 v15, 31, v14
	v_lshrrev_b32_e32 v15, 26, v15
	v_add_u32_e32 v15, v14, v15
	v_and_b32_e32 v32, 0xffffffc0, v15
	v_sub_u32_e32 v14, v14, v32
	s_add_i32 s15, s15, 1
	v_cmp_eq_u32_e32 vcc, v12, v14
	s_cmp_lt_i32 s15, s12
	v_ashrrev_i32_e32 v14, 6, v15
	s_cselect_b64 s[26:27], -1, 0
	v_cmp_ne_u32_e64 s[0:1], 8, v14
	s_and_b64 vcc, s[26:27], vcc
	s_cmp_eq_u32 s12, s15
	v_cndmask_b32_e64 v15, v30, v8, s[0:1]
	v_cmp_ne_u32_e64 s[0:1], 7, v14
	v_cndmask_b32_e32 v8, v8, v15, vcc
	v_add_u32_e32 v31, s30, v31
	v_cndmask_b32_e64 v15, v30, v7, s[0:1]
	v_cmp_ne_u32_e64 s[0:1], 6, v14
	v_cndmask_b32_e32 v7, v7, v15, vcc
	s_nop 0
	v_cndmask_b32_e64 v15, v30, v6, s[0:1]
	v_cmp_ne_u32_e64 s[0:1], 5, v14
	v_cndmask_b32_e32 v6, v6, v15, vcc
	s_nop 0
	;; [unrolled: 4-line block ×7, first 2 shown]
	v_cndmask_b32_e64 v14, v30, v0, s[0:1]
	v_cndmask_b32_e32 v0, v0, v14, vcc
	s_cbranch_scc1 .LBB477_54
.LBB477_26:                             ; =>This Inner Loop Header: Depth=1
	v_cmp_gt_f32_e32 vcc, v1, v0
	s_nop 1
	v_cndmask_b32_e32 v15, v0, v1, vcc
	v_cndmask_b32_e32 v14, v12, v11, vcc
	v_cmp_gt_f32_e32 vcc, v2, v15
	s_nop 1
	v_cndmask_b32_e32 v15, v15, v2, vcc
	v_cndmask_b32_e32 v14, v14, v13, vcc
	;; [unrolled: 4-line block ×8, first 2 shown]
	ds_bpermute_b32 v15, v23, v32
	s_waitcnt lgkmcnt(0)
	ds_bpermute_b32 v33, v23, v14
	s_waitcnt lgkmcnt(0)
	v_cmp_lt_f32_e64 s[26:27], v32, v15
	v_cmp_nlt_f32_e32 vcc, v32, v15
	s_and_saveexec_b64 s[28:29], vcc
; %bb.27:                               ;   in Loop: Header=BB477_26 Depth=1
	v_cmp_eq_f32_e32 vcc, v32, v15
	v_cmp_lt_i32_e64 s[0:1], v33, v14
	s_and_b64 s[0:1], vcc, s[0:1]
	s_andn2_b64 s[26:27], s[26:27], exec
	s_and_b64 s[0:1], s[0:1], exec
	s_or_b64 s[26:27], s[26:27], s[0:1]
; %bb.28:                               ;   in Loop: Header=BB477_26 Depth=1
	s_or_b64 exec, exec, s[28:29]
	s_and_saveexec_b64 s[0:1], s[26:27]
; %bb.29:                               ;   in Loop: Header=BB477_26 Depth=1
	v_mov_b32_e32 v32, v15
	v_mov_b32_e32 v14, v33
; %bb.30:                               ;   in Loop: Header=BB477_26 Depth=1
	s_or_b64 exec, exec, s[0:1]
	ds_bpermute_b32 v15, v24, v32
	ds_bpermute_b32 v33, v24, v14
	s_waitcnt lgkmcnt(1)
	v_cmp_lt_f32_e64 s[26:27], v32, v15
	v_cmp_nlt_f32_e32 vcc, v32, v15
	s_and_saveexec_b64 s[28:29], vcc
	s_cbranch_execz .LBB477_32
; %bb.31:                               ;   in Loop: Header=BB477_26 Depth=1
	v_cmp_eq_f32_e32 vcc, v32, v15
	s_waitcnt lgkmcnt(0)
	v_cmp_lt_i32_e64 s[0:1], v33, v14
	s_and_b64 s[0:1], vcc, s[0:1]
	s_andn2_b64 s[26:27], s[26:27], exec
	s_and_b64 s[0:1], s[0:1], exec
	s_or_b64 s[26:27], s[26:27], s[0:1]
.LBB477_32:                             ;   in Loop: Header=BB477_26 Depth=1
	s_or_b64 exec, exec, s[28:29]
	s_and_saveexec_b64 s[0:1], s[26:27]
	s_cbranch_execz .LBB477_34
; %bb.33:                               ;   in Loop: Header=BB477_26 Depth=1
	v_mov_b32_e32 v32, v15
	s_waitcnt lgkmcnt(0)
	v_mov_b32_e32 v14, v33
.LBB477_34:                             ;   in Loop: Header=BB477_26 Depth=1
	s_or_b64 exec, exec, s[0:1]
	ds_bpermute_b32 v15, v25, v32
	s_waitcnt lgkmcnt(1)
	ds_bpermute_b32 v33, v25, v14
	s_waitcnt lgkmcnt(1)
	v_cmp_lt_f32_e64 s[26:27], v32, v15
	v_cmp_nlt_f32_e32 vcc, v32, v15
	s_and_saveexec_b64 s[28:29], vcc
	s_cbranch_execz .LBB477_36
; %bb.35:                               ;   in Loop: Header=BB477_26 Depth=1
	v_cmp_eq_f32_e32 vcc, v32, v15
	s_waitcnt lgkmcnt(0)
	v_cmp_lt_i32_e64 s[0:1], v33, v14
	s_and_b64 s[0:1], vcc, s[0:1]
	s_andn2_b64 s[26:27], s[26:27], exec
	s_and_b64 s[0:1], s[0:1], exec
	s_or_b64 s[26:27], s[26:27], s[0:1]
.LBB477_36:                             ;   in Loop: Header=BB477_26 Depth=1
	s_or_b64 exec, exec, s[28:29]
	s_and_saveexec_b64 s[0:1], s[26:27]
	s_cbranch_execz .LBB477_38
; %bb.37:                               ;   in Loop: Header=BB477_26 Depth=1
	v_mov_b32_e32 v32, v15
	s_waitcnt lgkmcnt(0)
	v_mov_b32_e32 v14, v33
.LBB477_38:                             ;   in Loop: Header=BB477_26 Depth=1
	s_or_b64 exec, exec, s[0:1]
	ds_bpermute_b32 v15, v26, v32
	s_waitcnt lgkmcnt(1)
	;; [unrolled: 26-line block ×4, first 2 shown]
	ds_bpermute_b32 v33, v28, v14
	s_waitcnt lgkmcnt(1)
	v_cmp_lt_f32_e64 s[26:27], v32, v15
	v_cmp_nlt_f32_e32 vcc, v32, v15
	s_and_saveexec_b64 s[28:29], vcc
	s_cbranch_execnz .LBB477_49
; %bb.47:                               ;   in Loop: Header=BB477_26 Depth=1
	s_or_b64 exec, exec, s[28:29]
	s_and_saveexec_b64 s[0:1], s[26:27]
	s_cbranch_execnz .LBB477_50
.LBB477_48:                             ;   in Loop: Header=BB477_26 Depth=1
	s_or_b64 exec, exec, s[0:1]
	s_and_saveexec_b64 s[26:27], s[6:7]
	s_cbranch_execz .LBB477_25
	s_branch .LBB477_51
.LBB477_49:                             ;   in Loop: Header=BB477_26 Depth=1
	v_cmp_eq_f32_e32 vcc, v32, v15
	s_waitcnt lgkmcnt(0)
	v_cmp_lt_i32_e64 s[0:1], v33, v14
	s_and_b64 s[0:1], vcc, s[0:1]
	s_andn2_b64 s[26:27], s[26:27], exec
	s_and_b64 s[0:1], s[0:1], exec
	s_or_b64 s[26:27], s[26:27], s[0:1]
	s_or_b64 exec, exec, s[28:29]
	s_and_saveexec_b64 s[0:1], s[26:27]
	s_cbranch_execz .LBB477_48
.LBB477_50:                             ;   in Loop: Header=BB477_26 Depth=1
	s_waitcnt lgkmcnt(0)
	v_mov_b32_e32 v14, v33
	v_mov_b32_e32 v32, v15
	s_or_b64 exec, exec, s[0:1]
	s_and_saveexec_b64 s[26:27], s[6:7]
	s_cbranch_execz .LBB477_25
.LBB477_51:                             ;   in Loop: Header=BB477_26 Depth=1
	s_and_b64 vcc, exec, s[2:3]
	s_cbranch_vccnz .LBB477_24
; %bb.52:                               ;   in Loop: Header=BB477_26 Depth=1
	v_ashrrev_i32_e32 v15, 31, v14
	v_lshl_add_u64 v[34:35], v[14:15], 2, s[10:11]
	global_load_dword v15, v[34:35], off
	s_waitcnt vmcnt(0)
	v_sub_f32_e32 v32, v32, v15
	s_branch .LBB477_24
.LBB477_53:
	v_mov_b32_e32 v18, 0
.LBB477_54:
	v_cmp_eq_u32_e32 vcc, 0, v12
	s_and_b64 exec, exec, vcc
	s_cbranch_execz .LBB477_67
; %bb.55:
	s_andn2_b64 vcc, exec, s[4:5]
	v_cvt_f32_f64_e32 v0, s[8:9]
	s_cbranch_vccnz .LBB477_57
; %bb.56:
	v_cmp_lt_f32_e32 vcc, 0, v18
	s_nop 1
	v_cndmask_b32_e32 v1, 1.0, v18, vcc
	v_div_scale_f32 v2, s[0:1], v1, v1, v0
	v_rcp_f32_e32 v3, v2
	s_nop 0
	v_fma_f32 v4, -v2, v3, 1.0
	v_fmac_f32_e32 v3, v4, v3
	v_div_scale_f32 v4, vcc, v0, v1, v0
	v_mul_f32_e32 v5, v4, v3
	v_fma_f32 v6, -v2, v5, v4
	v_fmac_f32_e32 v5, v6, v3
	v_fma_f32 v2, -v2, v5, v4
	v_div_fmas_f32 v2, v2, v3, v5
	v_div_fixup_f32 v0, v2, v1, v0
.LBB477_57:
	s_andn2_b64 vcc, exec, s[24:25]
	s_cbranch_vccnz .LBB477_67
; %bb.58:
	v_mul_lo_u32 v2, v10, s12
	s_cmp_gt_u32 s12, 3
	v_ashrrev_i32_e32 v3, 31, v2
	s_cbranch_scc0 .LBB477_62
; %bb.59:
	s_and_b32 s0, s12, 0x7ffffffc
	v_lshl_add_u64 v[4:5], v[2:3], 2, s[20:21]
	v_mov_b32_e32 v1, v0
	v_lshl_add_u64 v[4:5], v[4:5], 0, 8
	s_mov_b32 s1, s0
.LBB477_60:                             ; =>This Inner Loop Header: Depth=1
	global_load_dwordx4 v[6:9], v[4:5], off offset:-8
	s_add_i32 s1, s1, -4
	s_cmp_lg_u32 s1, 0
	s_waitcnt vmcnt(0)
	v_pk_mul_f32 v[6:7], v[0:1], v[6:7]
	v_pk_mul_f32 v[8:9], v[0:1], v[8:9]
	global_store_dwordx4 v[4:5], v[6:9], off offset:-8
	v_lshl_add_u64 v[4:5], v[4:5], 0, 16
	s_cbranch_scc1 .LBB477_60
; %bb.61:
	s_cmp_lg_u32 s0, s12
	s_cselect_b64 s[2:3], -1, 0
	s_branch .LBB477_64
.LBB477_62:
	s_mov_b64 s[2:3], 0
                                        ; implicit-def: $sgpr0
	s_cbranch_execz .LBB477_64
; %bb.63:
	s_mov_b64 s[2:3], -1
	s_mov_b32 s0, 0
.LBB477_64:
	s_andn2_b64 vcc, exec, s[2:3]
	s_cbranch_vccnz .LBB477_67
; %bb.65:
	s_mov_b32 s1, 0
	v_lshl_add_u64 v[2:3], v[2:3], 0, s[0:1]
	s_sub_i32 s2, s12, s0
	v_lshl_add_u64 v[2:3], v[2:3], 2, s[20:21]
.LBB477_66:                             ; =>This Inner Loop Header: Depth=1
	global_load_dword v1, v[2:3], off
	s_add_i32 s2, s2, -1
	s_cmp_lg_u32 s2, 0
	s_waitcnt vmcnt(0)
	v_mul_f32_e32 v1, v0, v1
	global_store_dword v[2:3], v1, off
	v_lshl_add_u64 v[2:3], v[2:3], 0, 4
	s_cbranch_scc1 .LBB477_66
.LBB477_67:
	s_endpgm
	.section	.rodata,"a",@progbits
	.p2align	6, 0x0
	.amdhsa_kernel _ZN4vllm3moe22topkGatingSoftplusSqrtILi9ELi576ELi4ELi2ELi64ELb0Ej14__hip_bfloat16EEvPKT6_PKbPfiPT5_PiiiibdPKfPKS9_SF_
		.amdhsa_group_segment_fixed_size 0
		.amdhsa_private_segment_fixed_size 0
		.amdhsa_kernarg_size 96
		.amdhsa_user_sgpr_count 2
		.amdhsa_user_sgpr_dispatch_ptr 0
		.amdhsa_user_sgpr_queue_ptr 0
		.amdhsa_user_sgpr_kernarg_segment_ptr 1
		.amdhsa_user_sgpr_dispatch_id 0
		.amdhsa_user_sgpr_kernarg_preload_length 0
		.amdhsa_user_sgpr_kernarg_preload_offset 0
		.amdhsa_user_sgpr_private_segment_size 0
		.amdhsa_uses_dynamic_stack 0
		.amdhsa_enable_private_segment 0
		.amdhsa_system_sgpr_workgroup_id_x 1
		.amdhsa_system_sgpr_workgroup_id_y 0
		.amdhsa_system_sgpr_workgroup_id_z 0
		.amdhsa_system_sgpr_workgroup_info 0
		.amdhsa_system_vgpr_workitem_id 1
		.amdhsa_next_free_vgpr 38
		.amdhsa_next_free_sgpr 31
		.amdhsa_accum_offset 40
		.amdhsa_reserve_vcc 1
		.amdhsa_float_round_mode_32 0
		.amdhsa_float_round_mode_16_64 0
		.amdhsa_float_denorm_mode_32 3
		.amdhsa_float_denorm_mode_16_64 3
		.amdhsa_dx10_clamp 1
		.amdhsa_ieee_mode 1
		.amdhsa_fp16_overflow 0
		.amdhsa_tg_split 0
		.amdhsa_exception_fp_ieee_invalid_op 0
		.amdhsa_exception_fp_denorm_src 0
		.amdhsa_exception_fp_ieee_div_zero 0
		.amdhsa_exception_fp_ieee_overflow 0
		.amdhsa_exception_fp_ieee_underflow 0
		.amdhsa_exception_fp_ieee_inexact 0
		.amdhsa_exception_int_div_zero 0
	.end_amdhsa_kernel
	.section	.text._ZN4vllm3moe22topkGatingSoftplusSqrtILi9ELi576ELi4ELi2ELi64ELb0Ej14__hip_bfloat16EEvPKT6_PKbPfiPT5_PiiiibdPKfPKS9_SF_,"axG",@progbits,_ZN4vllm3moe22topkGatingSoftplusSqrtILi9ELi576ELi4ELi2ELi64ELb0Ej14__hip_bfloat16EEvPKT6_PKbPfiPT5_PiiiibdPKfPKS9_SF_,comdat
.Lfunc_end477:
	.size	_ZN4vllm3moe22topkGatingSoftplusSqrtILi9ELi576ELi4ELi2ELi64ELb0Ej14__hip_bfloat16EEvPKT6_PKbPfiPT5_PiiiibdPKfPKS9_SF_, .Lfunc_end477-_ZN4vllm3moe22topkGatingSoftplusSqrtILi9ELi576ELi4ELi2ELi64ELb0Ej14__hip_bfloat16EEvPKT6_PKbPfiPT5_PiiiibdPKfPKS9_SF_
                                        ; -- End function
	.section	.AMDGPU.csdata,"",@progbits
; Kernel info:
; codeLenInByte = 4696
; NumSgprs: 37
; NumVgprs: 38
; NumAgprs: 0
; TotalNumVgprs: 38
; ScratchSize: 0
; MemoryBound: 0
; FloatMode: 240
; IeeeMode: 1
; LDSByteSize: 0 bytes/workgroup (compile time only)
; SGPRBlocks: 4
; VGPRBlocks: 4
; NumSGPRsForWavesPerEU: 37
; NumVGPRsForWavesPerEU: 38
; AccumOffset: 40
; Occupancy: 8
; WaveLimiterHint : 1
; COMPUTE_PGM_RSRC2:SCRATCH_EN: 0
; COMPUTE_PGM_RSRC2:USER_SGPR: 2
; COMPUTE_PGM_RSRC2:TRAP_HANDLER: 0
; COMPUTE_PGM_RSRC2:TGID_X_EN: 1
; COMPUTE_PGM_RSRC2:TGID_Y_EN: 0
; COMPUTE_PGM_RSRC2:TGID_Z_EN: 0
; COMPUTE_PGM_RSRC2:TIDIG_COMP_CNT: 1
; COMPUTE_PGM_RSRC3_GFX90A:ACCUM_OFFSET: 9
; COMPUTE_PGM_RSRC3_GFX90A:TG_SPLIT: 0
	.section	.text._ZN4vllm3moe22topkGatingSoftplusSqrtILi18ELi576ELi4ELi2ELi32ELb1Ej14__hip_bfloat16EEvPKT6_PKbPfiPT5_PiiiibdPKfPKS9_SF_,"axG",@progbits,_ZN4vllm3moe22topkGatingSoftplusSqrtILi18ELi576ELi4ELi2ELi32ELb1Ej14__hip_bfloat16EEvPKT6_PKbPfiPT5_PiiiibdPKfPKS9_SF_,comdat
	.protected	_ZN4vllm3moe22topkGatingSoftplusSqrtILi18ELi576ELi4ELi2ELi32ELb1Ej14__hip_bfloat16EEvPKT6_PKbPfiPT5_PiiiibdPKfPKS9_SF_ ; -- Begin function _ZN4vllm3moe22topkGatingSoftplusSqrtILi18ELi576ELi4ELi2ELi32ELb1Ej14__hip_bfloat16EEvPKT6_PKbPfiPT5_PiiiibdPKfPKS9_SF_
	.globl	_ZN4vllm3moe22topkGatingSoftplusSqrtILi18ELi576ELi4ELi2ELi32ELb1Ej14__hip_bfloat16EEvPKT6_PKbPfiPT5_PiiiibdPKfPKS9_SF_
	.p2align	8
	.type	_ZN4vllm3moe22topkGatingSoftplusSqrtILi18ELi576ELi4ELi2ELi32ELb1Ej14__hip_bfloat16EEvPKT6_PKbPfiPT5_PiiiibdPKfPKS9_SF_,@function
_ZN4vllm3moe22topkGatingSoftplusSqrtILi18ELi576ELi4ELi2ELi32ELb1Ej14__hip_bfloat16EEvPKT6_PKbPfiPT5_PiiiibdPKfPKS9_SF_: ; @_ZN4vllm3moe22topkGatingSoftplusSqrtILi18ELi576ELi4ELi2ELi32ELb1Ej14__hip_bfloat16EEvPKT6_PKbPfiPT5_PiiiibdPKfPKS9_SF_
; %bb.0:
	s_load_dword s3, s[0:1], 0x18
	v_and_b32_e32 v1, 0x3ff, v0
	s_lshl_b32 s2, s2, 2
	v_lshrrev_b32_e32 v2, 5, v1
	v_bfe_u32 v0, v0, 10, 10
	v_add3_u32 v10, s2, v0, v2
	s_waitcnt lgkmcnt(0)
	v_cmp_gt_i32_e32 vcc, s3, v10
	s_and_saveexec_b64 s[2:3], vcc
	s_cbranch_execz .LBB478_72
; %bb.1:
	s_load_dwordx4 s[4:7], s[0:1], 0x50
	s_load_dwordx2 s[2:3], s[0:1], 0x0
	s_load_dword s33, s[0:1], 0x30
	s_movk_i32 s8, 0x240
	v_mul_lo_u32 v4, v10, s8
	v_ashrrev_i32_e32 v5, 31, v4
	v_and_b32_e32 v14, 31, v1
	s_waitcnt lgkmcnt(0)
	v_mov_b32_e32 v2, s4
	v_mov_b32_e32 v3, s5
	v_lshl_add_u64 v[4:5], v[4:5], 1, s[2:3]
	v_lshlrev_b32_e32 v8, 1, v14
	v_mov_b32_e32 v9, 0
	v_ashrrev_i32_e32 v11, 31, v10
	v_lshl_add_u64 v[0:1], v[4:5], 0, v[8:9]
	v_lshl_add_u64 v[2:3], v[10:11], 2, v[2:3]
	global_load_ushort v4, v[0:1], off offset:128
	global_load_ushort v5, v[0:1], off offset:192
	;; [unrolled: 1-line block ×16, first 2 shown]
	global_load_dword v27, v[2:3], off
	global_load_ushort v28, v[0:1], off offset:64
	global_load_ushort v29, v[0:1], off
	s_mov_b32 s13, 0x800000
	v_mov_b32_e32 v15, 0x4f800000
	s_mov_b32 s11, 0x3f317217
	s_mov_b32 s12, 0x7f800000
	v_mov_b32_e32 v11, 0x41b17218
	s_mov_b32 s9, 0x41a00000
	s_mov_b32 s10, 0xf800000
	v_mov_b32_e32 v12, s6
	v_mov_b32_e32 v13, s7
	s_cmp_gt_i32 s33, 0
	s_mov_b32 s8, 0
	s_waitcnt vmcnt(18)
	v_lshlrev_b32_e32 v30, 16, v4
	s_waitcnt vmcnt(17)
	v_lshlrev_b32_e32 v4, 16, v5
	;; [unrolled: 2-line block ×10, first 2 shown]
	scratch_store_dwordx4 off, v[4:7], off offset:12
	scratch_store_dwordx4 off, v[0:3], off offset:28
	s_waitcnt vmcnt(10)
	v_lshlrev_b32_e32 v17, 16, v21
	s_waitcnt vmcnt(8)
	v_lshlrev_b32_e32 v19, 16, v23
	;; [unrolled: 2-line block ×3, first 2 shown]
	v_lshlrev_b32_e32 v18, 16, v22
	s_waitcnt vmcnt(3)
	v_lshlrev_b32_e32 v23, 16, v28
	s_waitcnt vmcnt(2)
	v_lshlrev_b32_e32 v24, 16, v29
	v_mul_f32_e32 v0, 0x3fb8aa3b, v24
	v_mul_f32_e32 v1, 0x3fb8aa3b, v23
	v_exp_f32_e32 v6, v0
	v_exp_f32_e32 v7, v1
	v_lshlrev_b32_e32 v21, 16, v25
	v_lshlrev_b32_e32 v22, 16, v26
	scratch_store_dwordx4 off, v[16:19], off offset:44
	scratch_store_dwordx3 off, v[20:22], off offset:60
	scratch_load_dwordx4 v[0:3], off, off offset:16
	v_pk_add_f32 v[6:7], v[6:7], 1.0 op_sel_hi:[1,0]
	v_mul_lo_u32 v8, v27, s33
	v_cmp_gt_f32_e32 vcc, s13, v7
	v_cmp_gt_f32_e64 s[2:3], s13, v6
	s_nop 0
	v_cndmask_b32_e32 v5, 1.0, v15, vcc
	v_cndmask_b32_e64 v16, 1.0, v15, s[2:3]
	v_mul_f32_e32 v5, v7, v5
	v_mul_f32_e32 v6, v6, v16
	v_log_f32_e32 v5, v5
	v_log_f32_e32 v6, v6
	v_cndmask_b32_e32 v7, 0, v11, vcc
	v_cndmask_b32_e64 v16, 0, v11, s[2:3]
	v_mul_f32_e32 v17, 0x3f317217, v5
	v_mul_f32_e32 v18, 0x3f317217, v6
	v_fma_f32 v17, v5, s11, -v17
	v_fma_f32 v18, v6, s11, -v18
	v_fmac_f32_e32 v17, 0x3377d1cf, v5
	v_fmac_f32_e32 v18, 0x3377d1cf, v6
	;; [unrolled: 1-line block ×3, first 2 shown]
	v_cmp_lt_f32_e64 vcc, |v5|, s12
	v_fmac_f32_e32 v18, 0x3f317217, v6
	s_nop 0
	v_cndmask_b32_e32 v5, v5, v17, vcc
	v_cmp_lt_f32_e64 vcc, |v6|, s12
	v_sub_f32_e32 v5, v5, v7
	s_nop 0
	v_cndmask_b32_e32 v6, v6, v18, vcc
	v_sub_f32_e32 v6, v6, v16
	v_cmp_lt_f32_e32 vcc, s9, v24
	s_nop 1
	v_cndmask_b32_e32 v6, v6, v24, vcc
	v_cmp_lt_f32_e32 vcc, s9, v23
	v_mul_f32_e32 v16, 0x4f800000, v6
	v_cmp_gt_f32_e64 s[2:3], s10, v6
	v_cndmask_b32_e32 v5, v5, v23, vcc
	v_mul_f32_e32 v7, 0x4f800000, v5
	v_cmp_gt_f32_e32 vcc, s10, v5
	v_cndmask_b32_e64 v17, v6, v16, s[2:3]
	v_sqrt_f32_e32 v6, v17
	v_cndmask_b32_e32 v5, v5, v7, vcc
	v_sqrt_f32_e32 v7, v5
	s_nop 0
	v_add_u32_e32 v16, -1, v7
	v_add_u32_e32 v18, 1, v7
	v_fma_f32 v19, -v16, v7, v5
	v_fma_f32 v20, -v18, v7, v5
	v_cmp_ge_f32_e64 s[4:5], 0, v19
	s_nop 1
	v_cndmask_b32_e64 v7, v7, v16, s[4:5]
	v_cmp_lt_f32_e64 s[4:5], 0, v20
	s_nop 1
	v_cndmask_b32_e64 v7, v7, v18, s[4:5]
	v_mul_f32_e32 v16, 0x37800000, v7
	v_cndmask_b32_e32 v7, v7, v16, vcc
	v_mov_b32_e32 v16, 0x260
	v_cmp_class_f32_e32 vcc, v5, v16
	v_add_u32_e32 v18, 1, v6
	v_fma_f32 v20, -v18, v6, v17
	v_cndmask_b32_e32 v19, v7, v5, vcc
	v_add_u32_e32 v5, -1, v6
	v_fma_f32 v7, -v5, v6, v17
	v_cmp_ge_f32_e32 vcc, 0, v7
	v_mul_f32_e32 v7, 0x3fb8aa3b, v4
	v_exp_f32_e32 v7, v7
	v_cndmask_b32_e32 v5, v6, v5, vcc
	v_mul_f32_e32 v6, 0x3fb8aa3b, v30
	v_exp_f32_e32 v6, v6
	v_cmp_lt_f32_e32 vcc, 0, v20
	v_pk_add_f32 v[6:7], v[6:7], 1.0 op_sel_hi:[1,0]
	s_nop 0
	v_cndmask_b32_e32 v5, v5, v18, vcc
	v_cmp_gt_f32_e32 vcc, s13, v7
	v_mul_f32_e32 v18, 0x37800000, v5
	v_cndmask_b32_e64 v5, v5, v18, s[2:3]
	v_cndmask_b32_e32 v20, 1.0, v15, vcc
	v_mul_f32_e32 v7, v7, v20
	v_log_f32_e32 v7, v7
	v_cmp_class_f32_e64 s[2:3], v17, v16
	v_cmp_lt_f32_e64 s[4:5], |v7|, s12
	s_nop 0
	v_cndmask_b32_e64 v18, v5, v17, s[2:3]
	v_cmp_gt_f32_e64 s[2:3], s13, v6
	v_mul_f32_e32 v5, 0x3f317217, v7
	v_fma_f32 v5, v7, s11, -v5
	v_cndmask_b32_e64 v17, 1.0, v15, s[2:3]
	v_mul_f32_e32 v6, v6, v17
	v_log_f32_e32 v6, v6
	v_fmac_f32_e32 v5, 0x3377d1cf, v7
	v_fmac_f32_e32 v5, 0x3f317217, v7
	v_cndmask_b32_e64 v5, v7, v5, s[4:5]
	v_cndmask_b32_e32 v7, 0, v11, vcc
	v_sub_f32_e32 v5, v5, v7
	v_mul_f32_e32 v7, 0x3f317217, v6
	v_fma_f32 v7, v6, s11, -v7
	v_fmac_f32_e32 v7, 0x3377d1cf, v6
	v_fmac_f32_e32 v7, 0x3f317217, v6
	v_cmp_lt_f32_e64 vcc, |v6|, s12
	s_nop 1
	v_cndmask_b32_e32 v6, v6, v7, vcc
	v_cmp_lt_f32_e32 vcc, s9, v4
	v_cndmask_b32_e64 v7, 0, v11, s[2:3]
	v_sub_f32_e32 v6, v6, v7
	v_cndmask_b32_e32 v4, v5, v4, vcc
	v_mul_f32_e32 v5, 0x4f800000, v4
	v_cmp_gt_f32_e64 s[2:3], s10, v4
	v_cmp_lt_f32_e32 vcc, s9, v30
	s_nop 0
	v_cndmask_b32_e64 v4, v4, v5, s[2:3]
	v_sqrt_f32_e32 v5, v4
	v_cndmask_b32_e32 v6, v6, v30, vcc
	v_add_u32_e32 v7, -1, v5
	v_fma_f32 v17, -v7, v5, v4
	v_cmp_ge_f32_e32 vcc, 0, v17
	v_add_u32_e32 v17, 1, v5
	s_nop 0
	v_cndmask_b32_e32 v7, v5, v7, vcc
	v_fma_f32 v5, -v17, v5, v4
	v_cmp_lt_f32_e32 vcc, 0, v5
	s_nop 1
	v_cndmask_b32_e32 v5, v7, v17, vcc
	v_mul_f32_e32 v17, 0x4f800000, v6
	v_cmp_gt_f32_e32 vcc, s10, v6
	v_mul_f32_e32 v7, 0x37800000, v5
	v_cndmask_b32_e64 v5, v5, v7, s[2:3]
	v_cndmask_b32_e32 v17, v6, v17, vcc
	v_sqrt_f32_e32 v6, v17
	v_cmp_class_f32_e64 s[2:3], v4, v16
	v_add_u32_e32 v24, 1, v6
	s_nop 0
	v_cndmask_b32_e64 v21, v5, v4, s[2:3]
	v_add_u32_e32 v4, -1, v6
	v_fma_f32 v5, -v4, v6, v17
	v_cmp_ge_f32_e64 s[2:3], 0, v5
	v_fma_f32 v25, -v24, v6, v17
	s_nop 0
	v_cndmask_b32_e64 v20, v6, v4, s[2:3]
	scratch_load_dwordx4 v[4:7], off, off offset:32
	s_waitcnt vmcnt(1)
	v_mul_f32_e32 v22, 0x3fb8aa3b, v0
	v_mul_f32_e32 v23, 0x3fb8aa3b, v1
	v_exp_f32_e32 v22, v22
	v_exp_f32_e32 v23, v23
	v_cmp_lt_f32_e64 s[2:3], 0, v25
	v_pk_add_f32 v[22:23], v[22:23], 1.0 op_sel_hi:[1,0]
	s_nop 0
	v_cndmask_b32_e64 v20, v20, v24, s[2:3]
	v_mul_f32_e32 v24, 0x37800000, v20
	v_cndmask_b32_e32 v20, v20, v24, vcc
	v_cmp_gt_f32_e32 vcc, s13, v23
	v_cmp_class_f32_e64 s[2:3], v17, v16
	s_nop 0
	v_cndmask_b32_e32 v24, 1.0, v15, vcc
	v_mul_f32_e32 v23, v23, v24
	v_log_f32_e32 v23, v23
	v_cndmask_b32_e64 v20, v20, v17, s[2:3]
	v_cmp_gt_f32_e64 s[2:3], s13, v22
	scratch_store_dwordx4 off, v[18:21], off
	v_mul_f32_e32 v17, 0x3f317217, v23
	v_fma_f32 v17, v23, s11, -v17
	v_cndmask_b32_e64 v18, 1.0, v15, s[2:3]
	v_mul_f32_e32 v18, v22, v18
	v_log_f32_e32 v18, v18
	v_fmac_f32_e32 v17, 0x3377d1cf, v23
	v_fmac_f32_e32 v17, 0x3f317217, v23
	v_cmp_lt_f32_e64 s[4:5], |v23|, s12
	v_cndmask_b32_e32 v19, 0, v11, vcc
	v_cmp_lt_f32_e64 vcc, |v18|, s12
	v_cndmask_b32_e64 v17, v23, v17, s[4:5]
	v_sub_f32_e32 v17, v17, v19
	v_mul_f32_e32 v19, 0x3f317217, v18
	v_fma_f32 v19, v18, s11, -v19
	v_fmac_f32_e32 v19, 0x3377d1cf, v18
	v_fmac_f32_e32 v19, 0x3f317217, v18
	v_cndmask_b32_e32 v18, v18, v19, vcc
	v_cmp_lt_f32_e32 vcc, s9, v1
	v_cndmask_b32_e64 v19, 0, v11, s[2:3]
	v_sub_f32_e32 v18, v18, v19
	v_cndmask_b32_e32 v1, v17, v1, vcc
	v_mul_f32_e32 v17, 0x4f800000, v1
	v_cmp_gt_f32_e32 vcc, s10, v1
	v_cmp_lt_f32_e64 s[2:3], s9, v0
	s_nop 0
	v_cndmask_b32_e32 v1, v1, v17, vcc
	v_sqrt_f32_e32 v17, v1
	v_cndmask_b32_e64 v0, v18, v0, s[2:3]
	v_add_u32_e32 v18, -1, v17
	v_fma_f32 v19, -v18, v17, v1
	v_cmp_ge_f32_e64 s[2:3], 0, v19
	v_add_u32_e32 v19, 1, v17
	s_nop 0
	v_cndmask_b32_e64 v18, v17, v18, s[2:3]
	v_fma_f32 v17, -v19, v17, v1
	v_cmp_lt_f32_e64 s[2:3], 0, v17
	s_nop 1
	v_cndmask_b32_e64 v17, v18, v19, s[2:3]
	v_mul_f32_e32 v19, 0x4f800000, v0
	v_cmp_gt_f32_e64 s[2:3], s10, v0
	v_mul_f32_e32 v18, 0x37800000, v17
	v_cndmask_b32_e32 v17, v17, v18, vcc
	v_cndmask_b32_e64 v0, v0, v19, s[2:3]
	v_sqrt_f32_e32 v19, v0
	v_cmp_class_f32_e32 vcc, v1, v16
	v_add_u32_e32 v20, 1, v19
	s_nop 0
	v_cndmask_b32_e32 v1, v17, v1, vcc
	v_add_u32_e32 v17, -1, v19
	v_fma_f32 v18, -v17, v19, v0
	v_cmp_ge_f32_e32 vcc, 0, v18
	v_fma_f32 v21, -v20, v19, v0
	v_mul_f32_e32 v18, 0x3fb8aa3b, v2
	v_cndmask_b32_e32 v17, v19, v17, vcc
	v_mul_f32_e32 v19, 0x3fb8aa3b, v3
	v_exp_f32_e32 v18, v18
	v_exp_f32_e32 v19, v19
	v_cmp_lt_f32_e32 vcc, 0, v21
	v_pk_add_f32 v[18:19], v[18:19], 1.0 op_sel_hi:[1,0]
	s_nop 0
	v_cndmask_b32_e32 v17, v17, v20, vcc
	v_cmp_gt_f32_e32 vcc, s13, v19
	v_mul_f32_e32 v20, 0x37800000, v17
	v_cndmask_b32_e64 v17, v17, v20, s[2:3]
	v_cndmask_b32_e32 v21, 1.0, v15, vcc
	v_mul_f32_e32 v19, v19, v21
	v_log_f32_e32 v19, v19
	v_cmp_class_f32_e64 s[2:3], v0, v16
	v_cmp_lt_f32_e64 s[4:5], |v19|, s12
	s_nop 0
	v_cndmask_b32_e64 v0, v17, v0, s[2:3]
	v_cmp_gt_f32_e64 s[2:3], s13, v18
	v_mul_f32_e32 v17, 0x3f317217, v19
	v_fma_f32 v17, v19, s11, -v17
	v_cndmask_b32_e64 v20, 1.0, v15, s[2:3]
	v_mul_f32_e32 v18, v18, v20
	v_log_f32_e32 v18, v18
	v_fmac_f32_e32 v17, 0x3377d1cf, v19
	v_fmac_f32_e32 v17, 0x3f317217, v19
	v_cndmask_b32_e64 v17, v19, v17, s[4:5]
	v_cndmask_b32_e32 v19, 0, v11, vcc
	v_sub_f32_e32 v17, v17, v19
	v_mul_f32_e32 v19, 0x3f317217, v18
	v_fma_f32 v19, v18, s11, -v19
	v_fmac_f32_e32 v19, 0x3377d1cf, v18
	v_fmac_f32_e32 v19, 0x3f317217, v18
	v_cmp_lt_f32_e64 vcc, |v18|, s12
	s_nop 1
	v_cndmask_b32_e32 v18, v18, v19, vcc
	v_cmp_lt_f32_e32 vcc, s9, v3
	v_cndmask_b32_e64 v19, 0, v11, s[2:3]
	v_sub_f32_e32 v18, v18, v19
	v_cndmask_b32_e32 v3, v17, v3, vcc
	v_mul_f32_e32 v17, 0x4f800000, v3
	v_cmp_gt_f32_e32 vcc, s10, v3
	v_cmp_lt_f32_e64 s[2:3], s9, v2
	s_nop 0
	v_cndmask_b32_e32 v3, v3, v17, vcc
	v_sqrt_f32_e32 v17, v3
	v_cndmask_b32_e64 v2, v18, v2, s[2:3]
	v_add_u32_e32 v18, -1, v17
	v_fma_f32 v19, -v18, v17, v3
	v_cmp_ge_f32_e64 s[2:3], 0, v19
	v_add_u32_e32 v19, 1, v17
	s_nop 0
	v_cndmask_b32_e64 v18, v17, v18, s[2:3]
	v_fma_f32 v17, -v19, v17, v3
	v_cmp_lt_f32_e64 s[2:3], 0, v17
	s_nop 1
	v_cndmask_b32_e64 v17, v18, v19, s[2:3]
	v_mul_f32_e32 v19, 0x4f800000, v2
	v_cmp_gt_f32_e64 s[2:3], s10, v2
	v_mul_f32_e32 v18, 0x37800000, v17
	v_cndmask_b32_e32 v17, v17, v18, vcc
	v_cndmask_b32_e64 v2, v2, v19, s[2:3]
	v_sqrt_f32_e32 v19, v2
	v_cmp_class_f32_e32 vcc, v3, v16
	v_add_u32_e32 v20, 1, v19
	s_nop 0
	v_cndmask_b32_e32 v3, v17, v3, vcc
	v_add_u32_e32 v17, -1, v19
	v_fma_f32 v18, -v17, v19, v2
	v_cmp_ge_f32_e32 vcc, 0, v18
	v_fma_f32 v21, -v20, v19, v2
	s_waitcnt vmcnt(1)
	v_mul_f32_e32 v18, 0x3fb8aa3b, v4
	v_cndmask_b32_e32 v17, v19, v17, vcc
	v_mul_f32_e32 v19, 0x3fb8aa3b, v5
	v_exp_f32_e32 v18, v18
	v_exp_f32_e32 v19, v19
	v_cmp_lt_f32_e32 vcc, 0, v21
	v_pk_add_f32 v[18:19], v[18:19], 1.0 op_sel_hi:[1,0]
	s_nop 0
	v_cndmask_b32_e32 v17, v17, v20, vcc
	v_mul_f32_e32 v20, 0x37800000, v17
	v_cmp_gt_f32_e32 vcc, s13, v19
	v_cndmask_b32_e64 v17, v17, v20, s[2:3]
	v_cmp_class_f32_e64 s[2:3], v2, v16
	v_cndmask_b32_e32 v20, 1.0, v15, vcc
	v_mul_f32_e32 v19, v19, v20
	v_log_f32_e32 v19, v19
	v_cndmask_b32_e64 v2, v17, v2, s[2:3]
	v_cmp_gt_f32_e64 s[2:3], s13, v18
	scratch_store_dwordx4 off, v[0:3], off offset:16
	v_cmp_lt_f32_e64 s[4:5], |v19|, s12
	s_nop 0
	v_cndmask_b32_e64 v1, 1.0, v15, s[2:3]
	v_mul_f32_e32 v0, 0x3f317217, v19
	v_mul_f32_e32 v1, v18, v1
	v_fma_f32 v0, v19, s11, -v0
	v_log_f32_e32 v1, v1
	v_fmac_f32_e32 v0, 0x3377d1cf, v19
	v_fmac_f32_e32 v0, 0x3f317217, v19
	v_cndmask_b32_e64 v0, v19, v0, s[4:5]
	v_cndmask_b32_e32 v2, 0, v11, vcc
	v_sub_f32_e32 v0, v0, v2
	v_mul_f32_e32 v2, 0x3f317217, v1
	v_fma_f32 v2, v1, s11, -v2
	v_fmac_f32_e32 v2, 0x3377d1cf, v1
	v_fmac_f32_e32 v2, 0x3f317217, v1
	v_cmp_lt_f32_e64 vcc, |v1|, s12
	s_nop 1
	v_cndmask_b32_e32 v1, v1, v2, vcc
	v_cmp_lt_f32_e32 vcc, s9, v5
	v_cndmask_b32_e64 v2, 0, v11, s[2:3]
	v_sub_f32_e32 v1, v1, v2
	v_cndmask_b32_e32 v0, v0, v5, vcc
	v_mul_f32_e32 v3, 0x4f800000, v0
	v_cmp_gt_f32_e32 vcc, s10, v0
	v_cmp_lt_f32_e64 s[2:3], s9, v4
	s_nop 0
	v_cndmask_b32_e32 v5, v0, v3, vcc
	v_sqrt_f32_e32 v0, v5
	v_cndmask_b32_e64 v4, v1, v4, s[2:3]
	v_mul_f32_e32 v19, 0x4f800000, v4
	v_add_u32_e32 v1, -1, v0
	v_fma_f32 v2, -v1, v0, v5
	v_cmp_ge_f32_e64 s[2:3], 0, v2
	v_add_u32_e32 v2, 1, v0
	s_nop 0
	v_cndmask_b32_e64 v1, v0, v1, s[2:3]
	v_fma_f32 v0, -v2, v0, v5
	v_cmp_lt_f32_e64 s[2:3], 0, v0
	s_nop 1
	v_cndmask_b32_e64 v17, v1, v2, s[2:3]
	scratch_load_dwordx4 v[0:3], off, off offset:48
	v_cmp_gt_f32_e64 s[2:3], s10, v4
	v_mul_f32_e32 v18, 0x37800000, v17
	v_cndmask_b32_e32 v17, v17, v18, vcc
	v_cndmask_b32_e64 v4, v4, v19, s[2:3]
	v_sqrt_f32_e32 v19, v4
	v_cmp_class_f32_e32 vcc, v5, v16
	v_add_u32_e32 v20, 1, v19
	s_nop 0
	v_cndmask_b32_e32 v5, v17, v5, vcc
	v_add_u32_e32 v17, -1, v19
	v_fma_f32 v18, -v17, v19, v4
	v_cmp_ge_f32_e32 vcc, 0, v18
	v_fma_f32 v21, -v20, v19, v4
	v_mul_f32_e32 v18, 0x3fb8aa3b, v6
	v_cndmask_b32_e32 v17, v19, v17, vcc
	v_mul_f32_e32 v19, 0x3fb8aa3b, v7
	v_exp_f32_e32 v18, v18
	v_exp_f32_e32 v19, v19
	v_cmp_lt_f32_e32 vcc, 0, v21
	v_pk_add_f32 v[18:19], v[18:19], 1.0 op_sel_hi:[1,0]
	s_nop 0
	v_cndmask_b32_e32 v17, v17, v20, vcc
	v_cmp_gt_f32_e32 vcc, s13, v19
	v_mul_f32_e32 v20, 0x37800000, v17
	v_cndmask_b32_e64 v17, v17, v20, s[2:3]
	v_cndmask_b32_e32 v21, 1.0, v15, vcc
	v_mul_f32_e32 v19, v19, v21
	v_log_f32_e32 v19, v19
	v_cmp_class_f32_e64 s[2:3], v4, v16
	v_cmp_lt_f32_e64 s[4:5], |v19|, s12
	s_nop 0
	v_cndmask_b32_e64 v4, v17, v4, s[2:3]
	v_cmp_gt_f32_e64 s[2:3], s13, v18
	v_mul_f32_e32 v17, 0x3f317217, v19
	v_fma_f32 v17, v19, s11, -v17
	v_cndmask_b32_e64 v20, 1.0, v15, s[2:3]
	v_mul_f32_e32 v18, v18, v20
	v_log_f32_e32 v18, v18
	v_fmac_f32_e32 v17, 0x3377d1cf, v19
	v_fmac_f32_e32 v17, 0x3f317217, v19
	v_cndmask_b32_e64 v17, v19, v17, s[4:5]
	v_cndmask_b32_e32 v19, 0, v11, vcc
	v_sub_f32_e32 v17, v17, v19
	v_mul_f32_e32 v19, 0x3f317217, v18
	v_fma_f32 v19, v18, s11, -v19
	v_fmac_f32_e32 v19, 0x3377d1cf, v18
	v_fmac_f32_e32 v19, 0x3f317217, v18
	v_cmp_lt_f32_e64 vcc, |v18|, s12
	s_nop 1
	v_cndmask_b32_e32 v18, v18, v19, vcc
	v_cmp_lt_f32_e32 vcc, s9, v7
	v_cndmask_b32_e64 v19, 0, v11, s[2:3]
	v_sub_f32_e32 v18, v18, v19
	v_cndmask_b32_e32 v7, v17, v7, vcc
	v_mul_f32_e32 v17, 0x4f800000, v7
	v_cmp_gt_f32_e64 s[2:3], s10, v7
	v_cmp_lt_f32_e32 vcc, s9, v6
	s_nop 0
	v_cndmask_b32_e64 v7, v7, v17, s[2:3]
	v_sqrt_f32_e32 v17, v7
	v_cndmask_b32_e32 v6, v18, v6, vcc
	v_add_u32_e32 v18, -1, v17
	v_fma_f32 v19, -v18, v17, v7
	v_cmp_ge_f32_e32 vcc, 0, v19
	v_add_u32_e32 v19, 1, v17
	s_nop 0
	v_cndmask_b32_e32 v18, v17, v18, vcc
	v_fma_f32 v17, -v19, v17, v7
	v_cmp_lt_f32_e32 vcc, 0, v17
	s_nop 1
	v_cndmask_b32_e32 v17, v18, v19, vcc
	v_mul_f32_e32 v19, 0x4f800000, v6
	v_cmp_gt_f32_e32 vcc, s10, v6
	v_mul_f32_e32 v18, 0x37800000, v17
	v_cndmask_b32_e64 v17, v17, v18, s[2:3]
	v_cndmask_b32_e32 v6, v6, v19, vcc
	v_sqrt_f32_e32 v19, v6
	v_cmp_class_f32_e64 s[2:3], v7, v16
	v_add_u32_e32 v22, 1, v19
	s_nop 0
	v_cndmask_b32_e64 v7, v17, v7, s[2:3]
	v_add_u32_e32 v17, -1, v19
	v_fma_f32 v18, -v17, v19, v6
	v_cmp_ge_f32_e64 s[2:3], 0, v18
	v_fma_f32 v23, -v22, v19, v6
	s_nop 0
	v_cndmask_b32_e64 v17, v19, v17, s[2:3]
	scratch_load_dwordx2 v[18:19], off, off offset:64
	s_waitcnt vmcnt(1)
	v_mul_f32_e32 v20, 0x3fb8aa3b, v0
	v_mul_f32_e32 v21, 0x3fb8aa3b, v1
	v_exp_f32_e32 v20, v20
	v_exp_f32_e32 v21, v21
	v_cmp_lt_f32_e64 s[2:3], 0, v23
	v_pk_add_f32 v[20:21], v[20:21], 1.0 op_sel_hi:[1,0]
	s_nop 0
	v_cndmask_b32_e64 v17, v17, v22, s[2:3]
	v_mul_f32_e32 v22, 0x37800000, v17
	v_cndmask_b32_e32 v17, v17, v22, vcc
	v_cmp_gt_f32_e32 vcc, s13, v21
	v_cmp_class_f32_e64 s[2:3], v6, v16
	s_nop 0
	v_cndmask_b32_e32 v22, 1.0, v15, vcc
	v_mul_f32_e32 v21, v21, v22
	v_log_f32_e32 v21, v21
	v_cndmask_b32_e64 v6, v17, v6, s[2:3]
	v_cmp_gt_f32_e64 s[2:3], s13, v20
	scratch_store_dwordx4 off, v[4:7], off offset:32
	v_cmp_lt_f32_e64 s[4:5], |v21|, s12
	s_nop 0
	v_cndmask_b32_e64 v5, 1.0, v15, s[2:3]
	v_mul_f32_e32 v4, 0x3f317217, v21
	v_mul_f32_e32 v5, v20, v5
	v_fma_f32 v4, v21, s11, -v4
	v_log_f32_e32 v5, v5
	v_fmac_f32_e32 v4, 0x3377d1cf, v21
	v_fmac_f32_e32 v4, 0x3f317217, v21
	v_cndmask_b32_e64 v4, v21, v4, s[4:5]
	v_cndmask_b32_e32 v6, 0, v11, vcc
	v_sub_f32_e32 v4, v4, v6
	v_mul_f32_e32 v6, 0x3f317217, v5
	v_fma_f32 v6, v5, s11, -v6
	v_fmac_f32_e32 v6, 0x3377d1cf, v5
	v_fmac_f32_e32 v6, 0x3f317217, v5
	v_cmp_lt_f32_e64 vcc, |v5|, s12
	s_nop 1
	v_cndmask_b32_e32 v5, v5, v6, vcc
	v_cmp_lt_f32_e32 vcc, s9, v1
	v_cndmask_b32_e64 v6, 0, v11, s[2:3]
	v_sub_f32_e32 v5, v5, v6
	v_cndmask_b32_e32 v1, v4, v1, vcc
	v_mul_f32_e32 v4, 0x4f800000, v1
	v_cmp_gt_f32_e32 vcc, s10, v1
	v_cmp_lt_f32_e64 s[2:3], s9, v0
	s_nop 0
	v_cndmask_b32_e32 v1, v1, v4, vcc
	v_sqrt_f32_e32 v4, v1
	v_cndmask_b32_e64 v0, v5, v0, s[2:3]
	v_add_u32_e32 v5, -1, v4
	v_fma_f32 v6, -v5, v4, v1
	v_cmp_ge_f32_e64 s[2:3], 0, v6
	v_add_u32_e32 v6, 1, v4
	s_nop 0
	v_cndmask_b32_e64 v5, v4, v5, s[2:3]
	v_fma_f32 v4, -v6, v4, v1
	v_cmp_lt_f32_e64 s[2:3], 0, v4
	s_nop 1
	v_cndmask_b32_e64 v4, v5, v6, s[2:3]
	v_mul_f32_e32 v6, 0x4f800000, v0
	v_cmp_gt_f32_e64 s[2:3], s10, v0
	v_mul_f32_e32 v5, 0x37800000, v4
	v_cndmask_b32_e32 v4, v4, v5, vcc
	v_cndmask_b32_e64 v0, v0, v6, s[2:3]
	v_sqrt_f32_e32 v6, v0
	v_cmp_class_f32_e32 vcc, v1, v16
	v_add_u32_e32 v17, 1, v6
	s_nop 0
	v_cndmask_b32_e32 v1, v4, v1, vcc
	v_add_u32_e32 v4, -1, v6
	v_fma_f32 v5, -v4, v6, v0
	v_cmp_ge_f32_e32 vcc, 0, v5
	v_mul_f32_e32 v5, 0x3fb8aa3b, v3
	v_exp_f32_e32 v5, v5
	v_cndmask_b32_e32 v7, v6, v4, vcc
	v_mul_f32_e32 v4, 0x3fb8aa3b, v2
	v_exp_f32_e32 v4, v4
	v_fma_f32 v6, -v17, v6, v0
	v_cmp_lt_f32_e32 vcc, 0, v6
	v_pk_add_f32 v[4:5], v[4:5], 1.0 op_sel_hi:[1,0]
	s_nop 0
	v_cndmask_b32_e32 v6, v7, v17, vcc
	v_cmp_gt_f32_e32 vcc, s13, v5
	v_mul_f32_e32 v7, 0x37800000, v6
	v_cndmask_b32_e64 v6, v6, v7, s[2:3]
	v_cndmask_b32_e32 v17, 1.0, v15, vcc
	v_mul_f32_e32 v5, v5, v17
	v_log_f32_e32 v5, v5
	v_cmp_class_f32_e64 s[2:3], v0, v16
	v_cmp_lt_f32_e64 s[4:5], |v5|, s12
	s_nop 0
	v_cndmask_b32_e64 v0, v6, v0, s[2:3]
	v_cmp_gt_f32_e64 s[2:3], s13, v4
	v_mul_f32_e32 v6, 0x3f317217, v5
	v_fma_f32 v6, v5, s11, -v6
	v_cndmask_b32_e64 v7, 1.0, v15, s[2:3]
	v_mul_f32_e32 v4, v4, v7
	v_log_f32_e32 v4, v4
	v_fmac_f32_e32 v6, 0x3377d1cf, v5
	v_fmac_f32_e32 v6, 0x3f317217, v5
	v_cndmask_b32_e64 v5, v5, v6, s[4:5]
	v_cndmask_b32_e32 v6, 0, v11, vcc
	v_sub_f32_e32 v5, v5, v6
	v_mul_f32_e32 v6, 0x3f317217, v4
	v_fma_f32 v6, v4, s11, -v6
	v_fmac_f32_e32 v6, 0x3377d1cf, v4
	v_fmac_f32_e32 v6, 0x3f317217, v4
	v_cmp_lt_f32_e64 vcc, |v4|, s12
	s_nop 1
	v_cndmask_b32_e32 v4, v4, v6, vcc
	v_cmp_lt_f32_e32 vcc, s9, v3
	v_cndmask_b32_e64 v6, 0, v11, s[2:3]
	v_sub_f32_e32 v4, v4, v6
	v_cndmask_b32_e32 v3, v5, v3, vcc
	v_mul_f32_e32 v5, 0x4f800000, v3
	v_cmp_gt_f32_e32 vcc, s10, v3
	v_cmp_lt_f32_e64 s[2:3], s9, v2
	s_nop 0
	v_cndmask_b32_e32 v3, v3, v5, vcc
	v_sqrt_f32_e32 v5, v3
	v_cndmask_b32_e64 v2, v4, v2, s[2:3]
	v_add_u32_e32 v4, -1, v5
	v_fma_f32 v6, -v4, v5, v3
	v_cmp_ge_f32_e64 s[2:3], 0, v6
	v_add_u32_e32 v6, 1, v5
	s_nop 0
	v_cndmask_b32_e64 v4, v5, v4, s[2:3]
	v_fma_f32 v5, -v6, v5, v3
	v_cmp_lt_f32_e64 s[2:3], 0, v5
	s_nop 1
	v_cndmask_b32_e64 v4, v4, v6, s[2:3]
	v_mul_f32_e32 v6, 0x4f800000, v2
	v_cmp_gt_f32_e64 s[2:3], s10, v2
	v_mul_f32_e32 v5, 0x37800000, v4
	v_cndmask_b32_e32 v4, v4, v5, vcc
	v_cndmask_b32_e64 v2, v2, v6, s[2:3]
	v_sqrt_f32_e32 v6, v2
	v_cmp_class_f32_e32 vcc, v3, v16
	v_add_u32_e32 v17, 1, v6
	s_nop 0
	v_cndmask_b32_e32 v3, v4, v3, vcc
	v_add_u32_e32 v4, -1, v6
	v_fma_f32 v5, -v4, v6, v2
	v_cmp_ge_f32_e32 vcc, 0, v5
	s_waitcnt vmcnt(1)
	v_mul_f32_e32 v5, 0x3fb8aa3b, v19
	v_exp_f32_e32 v5, v5
	v_cndmask_b32_e32 v7, v6, v4, vcc
	v_mul_f32_e32 v4, 0x3fb8aa3b, v18
	v_exp_f32_e32 v4, v4
	v_fma_f32 v6, -v17, v6, v2
	v_cmp_lt_f32_e32 vcc, 0, v6
	v_pk_add_f32 v[4:5], v[4:5], 1.0 op_sel_hi:[1,0]
	s_nop 0
	v_cndmask_b32_e32 v6, v7, v17, vcc
	v_mul_f32_e32 v7, 0x37800000, v6
	v_cmp_gt_f32_e32 vcc, s13, v5
	v_cndmask_b32_e64 v6, v6, v7, s[2:3]
	v_cmp_class_f32_e64 s[2:3], v2, v16
	v_cndmask_b32_e32 v7, 1.0, v15, vcc
	v_mul_f32_e32 v5, v5, v7
	v_log_f32_e32 v5, v5
	v_cndmask_b32_e64 v2, v6, v2, s[2:3]
	v_cmp_gt_f32_e64 s[2:3], s13, v4
	scratch_store_dwordx4 off, v[0:3], off offset:48
	v_cmp_lt_f32_e64 s[4:5], |v5|, s12
	s_nop 0
	v_cndmask_b32_e64 v1, 1.0, v15, s[2:3]
	v_mul_f32_e32 v0, 0x3f317217, v5
	v_mul_f32_e32 v1, v4, v1
	v_fma_f32 v0, v5, s11, -v0
	v_log_f32_e32 v1, v1
	v_fmac_f32_e32 v0, 0x3377d1cf, v5
	v_fmac_f32_e32 v0, 0x3f317217, v5
	v_cndmask_b32_e64 v0, v5, v0, s[4:5]
	v_cndmask_b32_e32 v2, 0, v11, vcc
	v_sub_f32_e32 v0, v0, v2
	v_mul_f32_e32 v2, 0x3f317217, v1
	v_fma_f32 v2, v1, s11, -v2
	v_fmac_f32_e32 v2, 0x3377d1cf, v1
	v_fmac_f32_e32 v2, 0x3f317217, v1
	v_cmp_lt_f32_e64 vcc, |v1|, s12
	s_cselect_b64 s[4:5], -1, 0
	s_cmp_lt_i32 s33, 1
	v_cndmask_b32_e32 v1, v1, v2, vcc
	v_cmp_lt_f32_e32 vcc, s9, v19
	v_cndmask_b32_e64 v2, 0, v11, s[2:3]
	v_sub_f32_e32 v1, v1, v2
	v_cndmask_b32_e32 v0, v0, v19, vcc
	v_mul_f32_e32 v3, 0x4f800000, v0
	v_cmp_gt_f32_e32 vcc, s10, v0
	v_cmp_lt_f32_e64 s[2:3], s9, v18
	s_nop 0
	v_cndmask_b32_e32 v0, v0, v3, vcc
	v_sqrt_f32_e32 v3, v0
	v_cndmask_b32_e64 v1, v1, v18, s[2:3]
	v_add_u32_e32 v2, -1, v3
	v_fma_f32 v4, -v2, v3, v0
	v_cmp_ge_f32_e64 s[2:3], 0, v4
	v_add_u32_e32 v4, 1, v3
	s_nop 0
	v_cndmask_b32_e64 v2, v3, v2, s[2:3]
	v_fma_f32 v3, -v4, v3, v0
	v_cmp_lt_f32_e64 s[2:3], 0, v3
	s_nop 1
	v_cndmask_b32_e64 v2, v2, v4, s[2:3]
	v_mul_f32_e32 v4, 0x4f800000, v1
	v_cmp_gt_f32_e64 s[2:3], s10, v1
	v_mul_f32_e32 v3, 0x37800000, v2
	s_nop 0
	v_cndmask_b32_e64 v4, v1, v4, s[2:3]
	v_sqrt_f32_e32 v5, v4
	v_cndmask_b32_e32 v1, v2, v3, vcc
	v_cmp_class_f32_e32 vcc, v0, v16
	s_nop 1
	v_cndmask_b32_e32 v1, v1, v0, vcc
	v_add_u32_e32 v0, -1, v5
	v_fma_f32 v2, -v0, v5, v4
	v_cmp_ge_f32_e32 vcc, 0, v2
	v_add_u32_e32 v2, 1, v5
	v_fma_f32 v3, -v2, v5, v4
	v_cndmask_b32_e32 v0, v5, v0, vcc
	v_cmp_lt_f32_e32 vcc, 0, v3
	s_nop 1
	v_cndmask_b32_e32 v0, v0, v2, vcc
	v_mul_f32_e32 v2, 0x37800000, v0
	v_cndmask_b32_e64 v0, v0, v2, s[2:3]
	v_cmp_class_f32_e32 vcc, v4, v16
	v_mul_lo_u32 v2, v10, s33
	s_nop 0
	v_cndmask_b32_e32 v0, v0, v4, vcc
	scratch_store_dwordx2 off, v[0:1], off offset:64
	v_lshl_add_u64 v[0:1], v[8:9], 2, v[12:13]
	s_cbranch_scc1 .LBB478_29
; %bb.2:
	s_load_dwordx2 s[6:7], s[0:1], 0x20
	s_cmp_lt_u32 s33, 4
	v_mul_lo_u32 v4, v10, s33
	s_cbranch_scc1 .LBB478_21
; %bb.3:
	s_mov_b32 s11, 0
	s_and_b32 s8, s33, 0x7ffffffc
	v_ashrrev_i32_e32 v5, 31, v4
	v_mov_b32_e32 v9, 0
	s_mov_b32 s10, s11
	s_branch .LBB478_5
.LBB478_4:                              ;   in Loop: Header=BB478_5 Depth=1
	s_or_b64 exec, exec, s[12:13]
	s_add_i32 s10, s10, 4
	s_cmp_eq_u32 s10, s8
	s_cbranch_scc1 .LBB478_22
.LBB478_5:                              ; =>This Loop Header: Depth=1
                                        ;     Child Loop BB478_7 Depth 2
                                        ;     Child Loop BB478_11 Depth 2
	;; [unrolled: 1-line block ×4, first 2 shown]
	v_lshl_add_u64 v[6:7], s[10:11], 2, v[0:1]
	global_load_dword v3, v[6:7], off
	v_add_u32_e32 v10, s10, v4
	v_ashrrev_i32_e32 v11, 31, v10
	s_waitcnt lgkmcnt(0)
	v_lshl_add_u64 v[10:11], v[10:11], 2, s[6:7]
	v_mov_b32_e32 v8, 0
	s_mov_b64 s[12:13], 0
	v_mov_b32_e32 v12, v14
	s_mov_b32 s9, 0
	s_branch .LBB478_7
.LBB478_6:                              ;   in Loop: Header=BB478_7 Depth=2
	s_or_b64 exec, exec, s[14:15]
	s_add_i32 s16, s9, 1
	s_cmp_gt_u32 s9, 16
	s_cselect_b64 s[2:3], -1, 0
	s_xor_b64 s[14:15], vcc, -1
	s_or_b64 s[2:3], s[14:15], s[2:3]
	s_and_b64 s[2:3], exec, s[2:3]
	v_add_u32_e32 v12, 32, v12
	v_add_u32_e32 v8, 4, v8
	s_or_b64 s[12:13], s[2:3], s[12:13]
	s_mov_b32 s9, s16
	s_andn2_b64 exec, exec, s[12:13]
	s_cbranch_execz .LBB478_9
.LBB478_7:                              ;   Parent Loop BB478_5 Depth=1
                                        ; =>  This Inner Loop Header: Depth=2
	s_waitcnt vmcnt(0)
	v_cmp_ne_u32_e32 vcc, v3, v12
	v_cmp_eq_u32_e64 s[2:3], v3, v12
	s_and_saveexec_b64 s[14:15], s[2:3]
	s_cbranch_execz .LBB478_6
; %bb.8:                                ;   in Loop: Header=BB478_7 Depth=2
	scratch_load_dword v13, v8, off
	s_waitcnt vmcnt(0)
	v_add_f32_e32 v9, v9, v13
	global_store_dword v[10:11], v3, off
	s_branch .LBB478_6
.LBB478_9:                              ;   in Loop: Header=BB478_5 Depth=1
	s_or_b64 exec, exec, s[12:13]
	global_load_dword v3, v[6:7], off offset:4
	s_ashr_i32 s3, s10, 31
	s_mov_b32 s2, s10
	v_lshl_add_u64 v[10:11], s[2:3], 0, v[4:5]
	v_lshl_add_u64 v[10:11], v[10:11], 2, s[6:7]
	v_mov_b32_e32 v8, 0
	s_mov_b32 s9, 0
	s_mov_b64 s[12:13], 0
	v_mov_b32_e32 v12, v14
	s_branch .LBB478_11
.LBB478_10:                             ;   in Loop: Header=BB478_11 Depth=2
	s_or_b64 exec, exec, s[14:15]
	s_add_i32 s16, s9, 1
	s_cmp_gt_u32 s9, 16
	s_cselect_b64 s[2:3], -1, 0
	s_xor_b64 s[14:15], vcc, -1
	s_or_b64 s[2:3], s[14:15], s[2:3]
	s_and_b64 s[2:3], exec, s[2:3]
	v_add_u32_e32 v8, 4, v8
	v_add_u32_e32 v12, 32, v12
	s_or_b64 s[12:13], s[2:3], s[12:13]
	s_mov_b32 s9, s16
	s_andn2_b64 exec, exec, s[12:13]
	s_cbranch_execz .LBB478_13
.LBB478_11:                             ;   Parent Loop BB478_5 Depth=1
                                        ; =>  This Inner Loop Header: Depth=2
	s_waitcnt vmcnt(0)
	v_cmp_ne_u32_e32 vcc, v3, v12
	v_cmp_eq_u32_e64 s[2:3], v3, v12
	s_and_saveexec_b64 s[14:15], s[2:3]
	s_cbranch_execz .LBB478_10
; %bb.12:                               ;   in Loop: Header=BB478_11 Depth=2
	scratch_load_dword v13, v8, off
	s_waitcnt vmcnt(0)
	v_add_f32_e32 v9, v9, v13
	global_store_dword v[10:11], v3, off offset:4
	s_branch .LBB478_10
.LBB478_13:                             ;   in Loop: Header=BB478_5 Depth=1
	s_or_b64 exec, exec, s[12:13]
	global_load_dword v3, v[6:7], off offset:8
	v_mov_b32_e32 v8, 0
	s_mov_b32 s9, 0
	s_mov_b64 s[12:13], 0
	v_mov_b32_e32 v12, v14
	s_branch .LBB478_15
.LBB478_14:                             ;   in Loop: Header=BB478_15 Depth=2
	s_or_b64 exec, exec, s[14:15]
	s_add_i32 s16, s9, 1
	s_cmp_gt_u32 s9, 16
	s_cselect_b64 s[2:3], -1, 0
	s_xor_b64 s[14:15], vcc, -1
	s_or_b64 s[2:3], s[14:15], s[2:3]
	s_and_b64 s[2:3], exec, s[2:3]
	v_add_u32_e32 v8, 4, v8
	v_add_u32_e32 v12, 32, v12
	s_or_b64 s[12:13], s[2:3], s[12:13]
	s_mov_b32 s9, s16
	s_andn2_b64 exec, exec, s[12:13]
	s_cbranch_execz .LBB478_17
.LBB478_15:                             ;   Parent Loop BB478_5 Depth=1
                                        ; =>  This Inner Loop Header: Depth=2
	s_waitcnt vmcnt(0)
	v_cmp_ne_u32_e32 vcc, v3, v12
	v_cmp_eq_u32_e64 s[2:3], v3, v12
	s_and_saveexec_b64 s[14:15], s[2:3]
	s_cbranch_execz .LBB478_14
; %bb.16:                               ;   in Loop: Header=BB478_15 Depth=2
	scratch_load_dword v13, v8, off
	s_waitcnt vmcnt(0)
	v_add_f32_e32 v9, v9, v13
	global_store_dword v[10:11], v3, off offset:8
	s_branch .LBB478_14
.LBB478_17:                             ;   in Loop: Header=BB478_5 Depth=1
	s_or_b64 exec, exec, s[12:13]
	global_load_dword v3, v[6:7], off offset:12
	v_mov_b32_e32 v6, 0
	s_mov_b32 s9, 0
	s_mov_b64 s[12:13], 0
	v_mov_b32_e32 v7, v14
	s_branch .LBB478_19
.LBB478_18:                             ;   in Loop: Header=BB478_19 Depth=2
	s_or_b64 exec, exec, s[14:15]
	s_add_i32 s16, s9, 1
	s_cmp_gt_u32 s9, 16
	s_cselect_b64 s[2:3], -1, 0
	s_xor_b64 s[14:15], vcc, -1
	s_or_b64 s[2:3], s[14:15], s[2:3]
	s_and_b64 s[2:3], exec, s[2:3]
	v_add_u32_e32 v6, 4, v6
	v_add_u32_e32 v7, 32, v7
	s_or_b64 s[12:13], s[2:3], s[12:13]
	s_mov_b32 s9, s16
	s_andn2_b64 exec, exec, s[12:13]
	s_cbranch_execz .LBB478_4
.LBB478_19:                             ;   Parent Loop BB478_5 Depth=1
                                        ; =>  This Inner Loop Header: Depth=2
	s_waitcnt vmcnt(0)
	v_cmp_ne_u32_e32 vcc, v3, v7
	v_cmp_eq_u32_e64 s[2:3], v3, v7
	s_and_saveexec_b64 s[14:15], s[2:3]
	s_cbranch_execz .LBB478_18
; %bb.20:                               ;   in Loop: Header=BB478_19 Depth=2
	scratch_load_dword v8, v6, off
	s_waitcnt vmcnt(0)
	v_add_f32_e32 v9, v9, v8
	global_store_dword v[10:11], v3, off offset:12
	s_branch .LBB478_18
.LBB478_21:
	v_mov_b32_e32 v9, 0
.LBB478_22:
	s_and_b32 s14, s33, 3
	s_cmp_eq_u32 s14, 0
	s_mov_b32 s9, 0
	s_cbranch_scc1 .LBB478_29
; %bb.23:
	s_mov_b32 s15, s9
	s_branch .LBB478_25
.LBB478_24:                             ;   in Loop: Header=BB478_25 Depth=1
	s_or_b64 exec, exec, s[10:11]
	s_add_i32 s8, s8, 1
	s_add_i32 s15, s15, 1
	s_cmp_lg_u32 s15, s14
	s_cbranch_scc0 .LBB478_29
.LBB478_25:                             ; =>This Loop Header: Depth=1
                                        ;     Child Loop BB478_27 Depth 2
	v_lshl_add_u64 v[6:7], s[8:9], 2, v[0:1]
	global_load_dword v3, v[6:7], off
	v_add_u32_e32 v6, s8, v4
	v_ashrrev_i32_e32 v7, 31, v6
	s_waitcnt lgkmcnt(0)
	v_lshl_add_u64 v[6:7], v[6:7], 2, s[6:7]
	v_mov_b32_e32 v5, 0
	s_mov_b32 s16, 0
	s_mov_b64 s[10:11], 0
	v_mov_b32_e32 v8, v14
	s_branch .LBB478_27
.LBB478_26:                             ;   in Loop: Header=BB478_27 Depth=2
	s_or_b64 exec, exec, s[12:13]
	s_add_i32 s17, s16, 1
	s_cmp_gt_u32 s16, 16
	s_cselect_b64 s[2:3], -1, 0
	s_xor_b64 s[12:13], vcc, -1
	s_or_b64 s[2:3], s[12:13], s[2:3]
	s_and_b64 s[2:3], exec, s[2:3]
	v_add_u32_e32 v5, 4, v5
	v_add_u32_e32 v8, 32, v8
	s_or_b64 s[10:11], s[2:3], s[10:11]
	s_mov_b32 s16, s17
	s_andn2_b64 exec, exec, s[10:11]
	s_cbranch_execz .LBB478_24
.LBB478_27:                             ;   Parent Loop BB478_25 Depth=1
                                        ; =>  This Inner Loop Header: Depth=2
	s_waitcnt vmcnt(0)
	v_cmp_ne_u32_e32 vcc, v3, v8
	v_cmp_eq_u32_e64 s[2:3], v3, v8
	s_and_saveexec_b64 s[12:13], s[2:3]
	s_cbranch_execz .LBB478_26
; %bb.28:                               ;   in Loop: Header=BB478_27 Depth=2
	scratch_load_dword v10, v5, off
	s_waitcnt vmcnt(0)
	v_add_f32_e32 v9, v9, v10
	global_store_dword v[6:7], v3, off
	s_branch .LBB478_26
.LBB478_29:
	s_waitcnt lgkmcnt(0)
	s_load_dword s6, s[0:1], 0x3c
	s_waitcnt lgkmcnt(0)
	s_bitcmp1_b32 s6, 0
	s_cselect_b64 s[2:3], -1, 0
	s_bitcmp0_b32 s6, 0
	s_cbranch_scc0 .LBB478_32
; %bb.30:
	s_load_dwordx2 s[6:7], s[0:1], 0x40
	s_andn2_b64 vcc, exec, s[2:3]
	s_waitcnt lgkmcnt(0)
	v_cvt_f32_f64_e32 v4, s[6:7]
	s_cbranch_vccz .LBB478_33
.LBB478_31:
	s_andn2_b64 vcc, exec, s[4:5]
	s_cbranch_vccz .LBB478_34
	s_branch .LBB478_72
.LBB478_32:
	v_mbcnt_lo_u32_b32 v3, -1, 0
	v_mbcnt_hi_u32_b32 v3, -1, v3
	v_and_b32_e32 v4, 0x60, v3
	v_add_u32_e32 v4, 32, v4
	v_xor_b32_e32 v5, 16, v3
	v_cmp_lt_i32_e32 vcc, v5, v4
	v_xor_b32_e32 v6, 8, v3
	v_xor_b32_e32 v7, 4, v3
	v_cndmask_b32_e32 v5, v3, v5, vcc
	v_lshlrev_b32_e32 v5, 2, v5
	ds_bpermute_b32 v5, v5, v9
	v_cmp_lt_i32_e32 vcc, v6, v4
	s_waitcnt lgkmcnt(0)
	v_add_f32_e32 v5, v9, v5
	v_cndmask_b32_e32 v6, v3, v6, vcc
	v_lshlrev_b32_e32 v6, 2, v6
	ds_bpermute_b32 v6, v6, v5
	v_cmp_lt_i32_e32 vcc, v7, v4
	s_waitcnt lgkmcnt(0)
	v_add_f32_e32 v5, v5, v6
	v_cndmask_b32_e32 v6, v3, v7, vcc
	v_lshlrev_b32_e32 v6, 2, v6
	ds_bpermute_b32 v6, v6, v5
	v_xor_b32_e32 v7, 2, v3
	v_cmp_lt_i32_e32 vcc, v7, v4
	s_waitcnt lgkmcnt(0)
	v_add_f32_e32 v5, v5, v6
	v_cndmask_b32_e32 v6, v3, v7, vcc
	v_lshlrev_b32_e32 v6, 2, v6
	ds_bpermute_b32 v6, v6, v5
	v_xor_b32_e32 v7, 1, v3
	v_cmp_lt_i32_e32 vcc, v7, v4
	s_waitcnt lgkmcnt(0)
	v_add_f32_e32 v5, v5, v6
	v_cndmask_b32_e32 v3, v3, v7, vcc
	v_lshlrev_b32_e32 v3, 2, v3
	ds_bpermute_b32 v3, v3, v5
	s_waitcnt lgkmcnt(0)
	v_add_f32_e32 v9, v5, v3
	s_load_dwordx2 s[6:7], s[0:1], 0x40
	s_andn2_b64 vcc, exec, s[2:3]
	s_waitcnt lgkmcnt(0)
	v_cvt_f32_f64_e32 v4, s[6:7]
	s_cbranch_vccnz .LBB478_31
.LBB478_33:
	v_cmp_lt_f32_e32 vcc, 0, v9
	s_nop 1
	v_cndmask_b32_e32 v3, 1.0, v9, vcc
	v_div_scale_f32 v5, s[2:3], v3, v3, v4
	v_rcp_f32_e32 v6, v5
	s_nop 0
	v_fma_f32 v7, -v5, v6, 1.0
	v_fmac_f32_e32 v6, v7, v6
	v_div_scale_f32 v7, vcc, v4, v3, v4
	v_mul_f32_e32 v8, v7, v6
	v_fma_f32 v9, -v5, v8, v7
	v_fmac_f32_e32 v8, v9, v6
	v_fma_f32 v5, -v5, v8, v7
	v_div_fmas_f32 v5, v5, v6, v8
	v_div_fixup_f32 v4, v5, v3, v4
	s_andn2_b64 vcc, exec, s[4:5]
	s_cbranch_vccnz .LBB478_72
.LBB478_34:
	s_load_dwordx2 s[34:35], s[0:1], 0x10
	v_mov_b32_e32 v3, 0
	v_or_b32_e32 v5, 4, v3
	v_or_b32_e32 v6, 8, v3
	;; [unrolled: 1-line block ×3, first 2 shown]
	v_add_u32_e32 v8, 16, v3
	v_add_u32_e32 v9, 20, v3
	;; [unrolled: 1-line block ×14, first 2 shown]
	v_or_b32_e32 v23, 32, v14
	v_or_b32_e32 v24, 64, v14
	;; [unrolled: 1-line block ×17, first 2 shown]
	s_branch .LBB478_36
.LBB478_35:                             ;   in Loop: Header=BB478_36 Depth=1
	s_or_b64 exec, exec, s[0:1]
	s_add_i32 s33, s33, -1
	v_add_u32_e32 v2, 1, v2
	s_cmp_eq_u32 s33, 0
	v_lshl_add_u64 v[0:1], v[0:1], 0, 4
	s_cbranch_scc1 .LBB478_72
.LBB478_36:                             ; =>This Inner Loop Header: Depth=1
	global_load_dword v40, v[0:1], off
	v_mov_b32_e32 v3, 0
	s_waitcnt vmcnt(0)
	v_cmp_eq_u32_e32 vcc, v40, v14
	v_cmp_ne_u32_e64 s[0:1], v40, v14
	s_and_saveexec_b64 s[36:37], s[0:1]
	s_cbranch_execz .LBB478_70
; %bb.37:                               ;   in Loop: Header=BB478_36 Depth=1
	v_cmp_eq_u32_e64 s[0:1], v40, v23
	v_cmp_ne_u32_e64 s[2:3], v40, v23
	v_mov_b32_e32 v3, v5
	s_and_saveexec_b64 s[38:39], s[2:3]
	s_cbranch_execz .LBB478_69
; %bb.38:                               ;   in Loop: Header=BB478_36 Depth=1
	v_cmp_eq_u32_e64 s[2:3], v40, v24
	v_cmp_ne_u32_e64 s[4:5], v40, v24
	v_mov_b32_e32 v3, v6
	;; [unrolled: 6-line block ×16, first 2 shown]
	s_and_saveexec_b64 s[70:71], s[30:31]
	s_xor_b64 s[70:71], exec, s[70:71]
; %bb.53:                               ;   in Loop: Header=BB478_36 Depth=1
	v_cmp_eq_u32_e64 s[30:31], v40, v39
	s_andn2_b64 s[68:69], s[68:69], exec
	s_and_b64 s[30:31], s[30:31], exec
	s_or_b64 s[68:69], s[68:69], s[30:31]
	v_mov_b32_e32 v3, v22
; %bb.54:                               ;   in Loop: Header=BB478_36 Depth=1
	s_or_b64 exec, exec, s[70:71]
	s_andn2_b64 s[28:29], s[28:29], exec
	s_and_b64 s[30:31], s[68:69], exec
	s_or_b64 s[28:29], s[28:29], s[30:31]
.LBB478_55:                             ;   in Loop: Header=BB478_36 Depth=1
	s_or_b64 exec, exec, s[66:67]
	s_andn2_b64 s[26:27], s[26:27], exec
	s_and_b64 s[28:29], s[28:29], exec
	s_or_b64 s[26:27], s[26:27], s[28:29]
.LBB478_56:                             ;   in Loop: Header=BB478_36 Depth=1
	s_or_b64 exec, exec, s[64:65]
	s_andn2_b64 s[24:25], s[24:25], exec
	s_and_b64 s[26:27], s[26:27], exec
	s_or_b64 s[24:25], s[24:25], s[26:27]
.LBB478_57:                             ;   in Loop: Header=BB478_36 Depth=1
	s_or_b64 exec, exec, s[62:63]
	s_andn2_b64 s[22:23], s[22:23], exec
	s_and_b64 s[24:25], s[24:25], exec
	s_or_b64 s[22:23], s[22:23], s[24:25]
.LBB478_58:                             ;   in Loop: Header=BB478_36 Depth=1
	s_or_b64 exec, exec, s[60:61]
	s_andn2_b64 s[20:21], s[20:21], exec
	s_and_b64 s[22:23], s[22:23], exec
	s_or_b64 s[20:21], s[20:21], s[22:23]
.LBB478_59:                             ;   in Loop: Header=BB478_36 Depth=1
	s_or_b64 exec, exec, s[58:59]
	s_andn2_b64 s[18:19], s[18:19], exec
	s_and_b64 s[20:21], s[20:21], exec
	s_or_b64 s[18:19], s[18:19], s[20:21]
.LBB478_60:                             ;   in Loop: Header=BB478_36 Depth=1
	s_or_b64 exec, exec, s[56:57]
	s_andn2_b64 s[16:17], s[16:17], exec
	s_and_b64 s[18:19], s[18:19], exec
	s_or_b64 s[16:17], s[16:17], s[18:19]
.LBB478_61:                             ;   in Loop: Header=BB478_36 Depth=1
	s_or_b64 exec, exec, s[54:55]
	s_andn2_b64 s[14:15], s[14:15], exec
	s_and_b64 s[16:17], s[16:17], exec
	s_or_b64 s[14:15], s[14:15], s[16:17]
.LBB478_62:                             ;   in Loop: Header=BB478_36 Depth=1
	s_or_b64 exec, exec, s[52:53]
	s_andn2_b64 s[12:13], s[12:13], exec
	s_and_b64 s[14:15], s[14:15], exec
	s_or_b64 s[12:13], s[12:13], s[14:15]
.LBB478_63:                             ;   in Loop: Header=BB478_36 Depth=1
	s_or_b64 exec, exec, s[50:51]
	s_andn2_b64 s[10:11], s[10:11], exec
	s_and_b64 s[12:13], s[12:13], exec
	s_or_b64 s[10:11], s[10:11], s[12:13]
.LBB478_64:                             ;   in Loop: Header=BB478_36 Depth=1
	s_or_b64 exec, exec, s[48:49]
	s_andn2_b64 s[8:9], s[8:9], exec
	s_and_b64 s[10:11], s[10:11], exec
	s_or_b64 s[8:9], s[8:9], s[10:11]
.LBB478_65:                             ;   in Loop: Header=BB478_36 Depth=1
	s_or_b64 exec, exec, s[46:47]
	s_andn2_b64 s[6:7], s[6:7], exec
	s_and_b64 s[8:9], s[8:9], exec
	s_or_b64 s[6:7], s[6:7], s[8:9]
.LBB478_66:                             ;   in Loop: Header=BB478_36 Depth=1
	s_or_b64 exec, exec, s[44:45]
	s_andn2_b64 s[4:5], s[4:5], exec
	s_and_b64 s[6:7], s[6:7], exec
	s_or_b64 s[4:5], s[4:5], s[6:7]
.LBB478_67:                             ;   in Loop: Header=BB478_36 Depth=1
	s_or_b64 exec, exec, s[42:43]
	s_andn2_b64 s[2:3], s[2:3], exec
	s_and_b64 s[4:5], s[4:5], exec
	s_or_b64 s[2:3], s[2:3], s[4:5]
.LBB478_68:                             ;   in Loop: Header=BB478_36 Depth=1
	s_or_b64 exec, exec, s[40:41]
	s_andn2_b64 s[0:1], s[0:1], exec
	s_and_b64 s[2:3], s[2:3], exec
	s_or_b64 s[0:1], s[0:1], s[2:3]
.LBB478_69:                             ;   in Loop: Header=BB478_36 Depth=1
	s_or_b64 exec, exec, s[38:39]
	s_andn2_b64 s[2:3], vcc, exec
	s_and_b64 s[0:1], s[0:1], exec
	s_or_b64 vcc, s[2:3], s[0:1]
.LBB478_70:                             ;   in Loop: Header=BB478_36 Depth=1
	s_or_b64 exec, exec, s[36:37]
	s_and_saveexec_b64 s[0:1], vcc
	s_cbranch_execz .LBB478_35
; %bb.71:                               ;   in Loop: Header=BB478_36 Depth=1
	scratch_load_dword v40, v3, off
	v_ashrrev_i32_e32 v3, 31, v2
	s_waitcnt vmcnt(0)
	v_mul_f32_e32 v42, v4, v40
	s_waitcnt lgkmcnt(0)
	v_lshl_add_u64 v[40:41], v[2:3], 2, s[34:35]
	global_store_dword v[40:41], v42, off
	s_branch .LBB478_35
.LBB478_72:
	s_endpgm
	.section	.rodata,"a",@progbits
	.p2align	6, 0x0
	.amdhsa_kernel _ZN4vllm3moe22topkGatingSoftplusSqrtILi18ELi576ELi4ELi2ELi32ELb1Ej14__hip_bfloat16EEvPKT6_PKbPfiPT5_PiiiibdPKfPKS9_SF_
		.amdhsa_group_segment_fixed_size 0
		.amdhsa_private_segment_fixed_size 80
		.amdhsa_kernarg_size 96
		.amdhsa_user_sgpr_count 2
		.amdhsa_user_sgpr_dispatch_ptr 0
		.amdhsa_user_sgpr_queue_ptr 0
		.amdhsa_user_sgpr_kernarg_segment_ptr 1
		.amdhsa_user_sgpr_dispatch_id 0
		.amdhsa_user_sgpr_kernarg_preload_length 0
		.amdhsa_user_sgpr_kernarg_preload_offset 0
		.amdhsa_user_sgpr_private_segment_size 0
		.amdhsa_uses_dynamic_stack 0
		.amdhsa_enable_private_segment 1
		.amdhsa_system_sgpr_workgroup_id_x 1
		.amdhsa_system_sgpr_workgroup_id_y 0
		.amdhsa_system_sgpr_workgroup_id_z 0
		.amdhsa_system_sgpr_workgroup_info 0
		.amdhsa_system_vgpr_workitem_id 1
		.amdhsa_next_free_vgpr 43
		.amdhsa_next_free_sgpr 72
		.amdhsa_accum_offset 44
		.amdhsa_reserve_vcc 1
		.amdhsa_float_round_mode_32 0
		.amdhsa_float_round_mode_16_64 0
		.amdhsa_float_denorm_mode_32 3
		.amdhsa_float_denorm_mode_16_64 3
		.amdhsa_dx10_clamp 1
		.amdhsa_ieee_mode 1
		.amdhsa_fp16_overflow 0
		.amdhsa_tg_split 0
		.amdhsa_exception_fp_ieee_invalid_op 0
		.amdhsa_exception_fp_denorm_src 0
		.amdhsa_exception_fp_ieee_div_zero 0
		.amdhsa_exception_fp_ieee_overflow 0
		.amdhsa_exception_fp_ieee_underflow 0
		.amdhsa_exception_fp_ieee_inexact 0
		.amdhsa_exception_int_div_zero 0
	.end_amdhsa_kernel
	.section	.text._ZN4vllm3moe22topkGatingSoftplusSqrtILi18ELi576ELi4ELi2ELi32ELb1Ej14__hip_bfloat16EEvPKT6_PKbPfiPT5_PiiiibdPKfPKS9_SF_,"axG",@progbits,_ZN4vllm3moe22topkGatingSoftplusSqrtILi18ELi576ELi4ELi2ELi32ELb1Ej14__hip_bfloat16EEvPKT6_PKbPfiPT5_PiiiibdPKfPKS9_SF_,comdat
.Lfunc_end478:
	.size	_ZN4vllm3moe22topkGatingSoftplusSqrtILi18ELi576ELi4ELi2ELi32ELb1Ej14__hip_bfloat16EEvPKT6_PKbPfiPT5_PiiiibdPKfPKS9_SF_, .Lfunc_end478-_ZN4vllm3moe22topkGatingSoftplusSqrtILi18ELi576ELi4ELi2ELi32ELb1Ej14__hip_bfloat16EEvPKT6_PKbPfiPT5_PiiiibdPKfPKS9_SF_
                                        ; -- End function
	.section	.AMDGPU.csdata,"",@progbits
; Kernel info:
; codeLenInByte = 6864
; NumSgprs: 78
; NumVgprs: 43
; NumAgprs: 0
; TotalNumVgprs: 43
; ScratchSize: 80
; MemoryBound: 0
; FloatMode: 240
; IeeeMode: 1
; LDSByteSize: 0 bytes/workgroup (compile time only)
; SGPRBlocks: 9
; VGPRBlocks: 5
; NumSGPRsForWavesPerEU: 78
; NumVGPRsForWavesPerEU: 43
; AccumOffset: 44
; Occupancy: 8
; WaveLimiterHint : 1
; COMPUTE_PGM_RSRC2:SCRATCH_EN: 1
; COMPUTE_PGM_RSRC2:USER_SGPR: 2
; COMPUTE_PGM_RSRC2:TRAP_HANDLER: 0
; COMPUTE_PGM_RSRC2:TGID_X_EN: 1
; COMPUTE_PGM_RSRC2:TGID_Y_EN: 0
; COMPUTE_PGM_RSRC2:TGID_Z_EN: 0
; COMPUTE_PGM_RSRC2:TIDIG_COMP_CNT: 1
; COMPUTE_PGM_RSRC3_GFX90A:ACCUM_OFFSET: 10
; COMPUTE_PGM_RSRC3_GFX90A:TG_SPLIT: 0
	.section	.text._ZN4vllm3moe22topkGatingSoftplusSqrtILi18ELi576ELi4ELi2ELi32ELb0Ej14__hip_bfloat16EEvPKT6_PKbPfiPT5_PiiiibdPKfPKS9_SF_,"axG",@progbits,_ZN4vllm3moe22topkGatingSoftplusSqrtILi18ELi576ELi4ELi2ELi32ELb0Ej14__hip_bfloat16EEvPKT6_PKbPfiPT5_PiiiibdPKfPKS9_SF_,comdat
	.protected	_ZN4vllm3moe22topkGatingSoftplusSqrtILi18ELi576ELi4ELi2ELi32ELb0Ej14__hip_bfloat16EEvPKT6_PKbPfiPT5_PiiiibdPKfPKS9_SF_ ; -- Begin function _ZN4vllm3moe22topkGatingSoftplusSqrtILi18ELi576ELi4ELi2ELi32ELb0Ej14__hip_bfloat16EEvPKT6_PKbPfiPT5_PiiiibdPKfPKS9_SF_
	.globl	_ZN4vllm3moe22topkGatingSoftplusSqrtILi18ELi576ELi4ELi2ELi32ELb0Ej14__hip_bfloat16EEvPKT6_PKbPfiPT5_PiiiibdPKfPKS9_SF_
	.p2align	8
	.type	_ZN4vllm3moe22topkGatingSoftplusSqrtILi18ELi576ELi4ELi2ELi32ELb0Ej14__hip_bfloat16EEvPKT6_PKbPfiPT5_PiiiibdPKfPKS9_SF_,@function
_ZN4vllm3moe22topkGatingSoftplusSqrtILi18ELi576ELi4ELi2ELi32ELb0Ej14__hip_bfloat16EEvPKT6_PKbPfiPT5_PiiiibdPKfPKS9_SF_: ; @_ZN4vllm3moe22topkGatingSoftplusSqrtILi18ELi576ELi4ELi2ELi32ELb0Ej14__hip_bfloat16EEvPKT6_PKbPfiPT5_PiiiibdPKfPKS9_SF_
; %bb.0:
	s_load_dword s30, s[0:1], 0x18
	v_and_b32_e32 v1, 0x3ff, v0
	s_lshl_b32 s2, s2, 2
	v_lshrrev_b32_e32 v2, 5, v1
	v_bfe_u32 v0, v0, 10, 10
	v_add3_u32 v14, s2, v0, v2
	s_waitcnt lgkmcnt(0)
	v_cmp_gt_i32_e32 vcc, s30, v14
	s_and_saveexec_b64 s[2:3], vcc
	s_cbranch_execz .LBB479_83
; %bb.1:
	s_load_dwordx4 s[4:7], s[0:1], 0x0
	s_load_dwordx2 s[20:21], s[0:1], 0x10
	s_waitcnt lgkmcnt(0)
	s_cmp_eq_u64 s[6:7], 0
	s_cbranch_scc1 .LBB479_3
; %bb.2:
	v_ashrrev_i32_e32 v15, 31, v14
	v_lshl_add_u64 v[2:3], s[6:7], 0, v[14:15]
	global_load_ubyte v0, v[2:3], off
	s_waitcnt vmcnt(0)
	v_and_b32_e32 v0, 1, v0
	v_cmp_eq_u32_e32 vcc, 1, v0
	s_xor_b64 s[2:3], vcc, -1
	s_orn2_b64 s[22:23], s[2:3], exec
	s_branch .LBB479_4
.LBB479_3:
	s_mov_b64 s[22:23], -1
.LBB479_4:
	s_movk_i32 s2, 0x240
	v_mul_lo_u32 v4, v14, s2
	v_mov_b32_e32 v2, s4
	v_mov_b32_e32 v3, s5
	v_ashrrev_i32_e32 v5, 31, v4
	v_and_b32_e32 v16, 31, v1
	v_lshl_add_u64 v[2:3], v[4:5], 1, v[2:3]
	v_mov_b32_e32 v1, 0
	v_lshlrev_b32_e32 v0, 1, v16
	v_lshl_add_u64 v[0:1], v[2:3], 0, v[0:1]
	global_load_ushort v2, v[0:1], off
	global_load_ushort v3, v[0:1], off offset:64
	global_load_ushort v4, v[0:1], off offset:128
	;; [unrolled: 1-line block ×7, first 2 shown]
	s_mov_b32 s16, 0x800000
	v_mov_b32_e32 v17, 0x4f800000
	s_mov_b32 s13, 0x3f317217
	s_mov_b32 s14, 0x7f800000
	v_mov_b32_e32 v20, 0x41b17218
	s_mov_b32 s12, 0x41a00000
	s_mov_b32 s15, 0xf800000
	s_load_dwordx4 s[8:11], s[0:1], 0x40
	v_mov_b32_e32 v15, 0x260
	s_waitcnt lgkmcnt(0)
	s_cmp_lg_u64 s[10:11], 0
	s_cselect_b64 s[6:7], -1, 0
	s_and_b64 vcc, exec, s[6:7]
	s_waitcnt vmcnt(7)
	v_lshlrev_b32_e32 v10, 16, v2
	s_waitcnt vmcnt(6)
	v_lshlrev_b32_e32 v11, 16, v3
	;; [unrolled: 2-line block ×4, first 2 shown]
	scratch_store_dwordx4 off, v[10:13], off
	global_load_ushort v2, v[0:1], off offset:512
	global_load_ushort v3, v[0:1], off offset:576
	;; [unrolled: 1-line block ×6, first 2 shown]
	scratch_load_dword v25, off, off
	global_load_ushort v26, v[0:1], off offset:896
	global_load_ushort v27, v[0:1], off offset:960
	;; [unrolled: 1-line block ×4, first 2 shown]
	s_waitcnt vmcnt(15)
	v_lshlrev_b32_e32 v8, 16, v6
	s_waitcnt vmcnt(12)
	v_lshlrev_b32_e32 v11, 16, v19
	v_lshlrev_b32_e32 v9, 16, v7
	;; [unrolled: 1-line block ×4, first 2 shown]
	scratch_store_dwordx4 off, v[8:11], off offset:16
	s_waitcnt vmcnt(11)
	v_lshlrev_b32_e32 v4, 16, v2
	s_waitcnt vmcnt(10)
	v_lshlrev_b32_e32 v5, 16, v3
	;; [unrolled: 2-line block ×6, first 2 shown]
	s_waitcnt vmcnt(5)
	v_mul_f32_e32 v2, 0x3fb8aa3b, v25
	v_exp_f32_e32 v19, v2
	s_waitcnt vmcnt(4)
	v_lshlrev_b32_e32 v2, 16, v26
	s_waitcnt vmcnt(3)
	v_lshlrev_b32_e32 v3, 16, v27
	;; [unrolled: 2-line block ×3, first 2 shown]
	v_add_f32_e32 v19, 1.0, v19
	v_cmp_gt_f32_e64 s[2:3], s16, v19
	s_nop 1
	v_cndmask_b32_e64 v21, 1.0, v17, s[2:3]
	v_mul_f32_e32 v19, v19, v21
	v_log_f32_e32 v21, v19
	v_cndmask_b32_e64 v22, 0, v20, s[2:3]
	s_waitcnt vmcnt(1)
	v_lshlrev_b32_e32 v19, 16, v29
	scratch_store_dwordx4 off, v[4:7], off offset:32
	scratch_store_dwordx4 off, v[0:3], off offset:48
	scratch_store_dwordx2 off, v[18:19], off offset:64
	v_mul_f32_e32 v23, 0x3f317217, v21
	v_fma_f32 v23, v21, s13, -v23
	v_fmac_f32_e32 v23, 0x3377d1cf, v21
	v_fmac_f32_e32 v23, 0x3f317217, v21
	v_cmp_lt_f32_e64 s[2:3], |v21|, s14
	s_nop 1
	v_cndmask_b32_e64 v21, v21, v23, s[2:3]
	v_sub_f32_e32 v21, v21, v22
	v_cmp_lt_f32_e64 s[2:3], s12, v25
	s_nop 1
	v_cndmask_b32_e64 v21, v21, v25, s[2:3]
	v_mul_f32_e32 v22, 0x4f800000, v21
	v_cmp_gt_f32_e64 s[2:3], s15, v21
	s_nop 1
	v_cndmask_b32_e64 v21, v21, v22, s[2:3]
	v_sqrt_f32_e32 v22, v21
	s_nop 0
	v_add_u32_e32 v23, -1, v22
	v_add_u32_e32 v24, 1, v22
	v_fma_f32 v25, -v23, v22, v21
	v_fma_f32 v26, -v24, v22, v21
	v_cmp_ge_f32_e64 s[4:5], 0, v25
	s_nop 1
	v_cndmask_b32_e64 v22, v22, v23, s[4:5]
	v_cmp_lt_f32_e64 s[4:5], 0, v26
	s_nop 1
	v_cndmask_b32_e64 v22, v22, v24, s[4:5]
	v_mul_f32_e32 v23, 0x37800000, v22
	v_cndmask_b32_e64 v22, v22, v23, s[2:3]
	v_cmp_class_f32_e64 s[2:3], v21, v15
	s_nop 1
	v_cndmask_b32_e64 v21, v22, v21, s[2:3]
	s_cbranch_vccz .LBB479_6
; %bb.5:
	global_load_dword v22, v12, s[10:11]
	s_waitcnt vmcnt(0)
	v_add_f32_e32 v21, v21, v22
.LBB479_6:
	scratch_load_dword v22, off, off offset:4
	s_waitcnt vmcnt(0)
	v_mul_f32_e32 v23, 0x3fb8aa3b, v22
	v_exp_f32_e32 v23, v23
	scratch_store_dword off, v21, off
	v_add_f32_e32 v23, 1.0, v23
	v_cmp_gt_f32_e32 vcc, s16, v23
	s_nop 1
	v_cndmask_b32_e32 v17, 1.0, v17, vcc
	v_mul_f32_e32 v17, v23, v17
	v_log_f32_e32 v17, v17
	v_cndmask_b32_e32 v20, 0, v20, vcc
	v_mul_f32_e32 v21, 0x3f317217, v17
	v_fma_f32 v21, v17, s13, -v21
	v_fmac_f32_e32 v21, 0x3377d1cf, v17
	v_fmac_f32_e32 v21, 0x3f317217, v17
	v_cmp_lt_f32_e64 vcc, |v17|, s14
	s_nop 1
	v_cndmask_b32_e32 v17, v17, v21, vcc
	v_sub_f32_e32 v17, v17, v20
	v_cmp_lt_f32_e32 vcc, s12, v22
	v_cndmask_b32_e64 v21, 0, 1, s[6:7]
	v_cmp_ne_u32_e64 s[2:3], 1, v21
	v_cndmask_b32_e32 v17, v17, v22, vcc
	v_mul_f32_e32 v20, 0x4f800000, v17
	v_cmp_gt_f32_e64 s[4:5], s15, v17
	s_andn2_b64 vcc, exec, s[6:7]
	s_nop 0
	v_cndmask_b32_e64 v17, v17, v20, s[4:5]
	v_sqrt_f32_e32 v20, v17
	s_nop 0
	v_add_u32_e32 v21, -1, v20
	v_add_u32_e32 v22, 1, v20
	v_fma_f32 v23, -v21, v20, v17
	v_fma_f32 v24, -v22, v20, v17
	v_cmp_ge_f32_e64 s[6:7], 0, v23
	s_nop 1
	v_cndmask_b32_e64 v20, v20, v21, s[6:7]
	v_cmp_lt_f32_e64 s[6:7], 0, v24
	s_nop 1
	v_cndmask_b32_e64 v20, v20, v22, s[6:7]
	v_mul_f32_e32 v21, 0x37800000, v20
	v_cndmask_b32_e64 v20, v20, v21, s[4:5]
	v_cmp_class_f32_e64 s[4:5], v17, v15
	s_nop 1
	v_cndmask_b32_e64 v17, v20, v17, s[4:5]
	s_cbranch_vccnz .LBB479_8
; %bb.7:
	global_load_dword v15, v12, s[10:11] offset:128
	s_waitcnt vmcnt(0)
	v_add_f32_e32 v17, v17, v15
.LBB479_8:
	scratch_load_dword v21, off, off offset:8
	s_mov_b32 s15, 0x800000
	s_mov_b32 s16, 0xf800000
	scratch_store_dword off, v17, off offset:4
	v_mov_b32_e32 v17, 0x260
	s_waitcnt vmcnt(1)
	v_mul_f32_e32 v15, 0x3fb8aa3b, v21
	v_exp_f32_e32 v20, v15
	v_mov_b32_e32 v15, 0x4f800000
	v_add_f32_e32 v20, 1.0, v20
	v_cmp_gt_f32_e32 vcc, s15, v20
	s_nop 1
	v_cndmask_b32_e32 v22, 1.0, v15, vcc
	v_mul_f32_e32 v20, v20, v22
	v_log_f32_e32 v22, v20
	v_mov_b32_e32 v20, 0x41b17218
	v_cndmask_b32_e32 v23, 0, v20, vcc
	v_mul_f32_e32 v24, 0x3f317217, v22
	v_fma_f32 v24, v22, s13, -v24
	v_fmac_f32_e32 v24, 0x3377d1cf, v22
	v_fmac_f32_e32 v24, 0x3f317217, v22
	v_cmp_lt_f32_e64 vcc, |v22|, s14
	s_nop 1
	v_cndmask_b32_e32 v22, v22, v24, vcc
	v_sub_f32_e32 v22, v22, v23
	v_cmp_lt_f32_e32 vcc, s12, v21
	s_nop 1
	v_cndmask_b32_e32 v21, v22, v21, vcc
	v_mul_f32_e32 v22, 0x4f800000, v21
	v_cmp_gt_f32_e64 s[4:5], s16, v21
	s_and_b64 vcc, exec, s[2:3]
	s_nop 0
	v_cndmask_b32_e64 v21, v21, v22, s[4:5]
	v_sqrt_f32_e32 v22, v21
	s_nop 0
	v_add_u32_e32 v23, -1, v22
	v_add_u32_e32 v24, 1, v22
	v_fma_f32 v25, -v23, v22, v21
	v_fma_f32 v26, -v24, v22, v21
	v_cmp_ge_f32_e64 s[6:7], 0, v25
	s_nop 1
	v_cndmask_b32_e64 v22, v22, v23, s[6:7]
	v_cmp_lt_f32_e64 s[6:7], 0, v26
	s_nop 1
	v_cndmask_b32_e64 v22, v22, v24, s[6:7]
	v_mul_f32_e32 v23, 0x37800000, v22
	v_cndmask_b32_e64 v22, v22, v23, s[4:5]
	v_cmp_class_f32_e64 s[4:5], v21, v17
	s_nop 1
	v_cndmask_b32_e64 v21, v22, v21, s[4:5]
	s_cbranch_vccnz .LBB479_10
; %bb.9:
	global_load_dword v22, v12, s[10:11] offset:256
	s_waitcnt vmcnt(0)
	v_add_f32_e32 v21, v21, v22
.LBB479_10:
	v_mul_f32_e32 v22, 0x3fb8aa3b, v13
	v_exp_f32_e32 v22, v22
	scratch_store_dword off, v21, off offset:8
	v_add_f32_e32 v22, 1.0, v22
	v_cmp_gt_f32_e32 vcc, s15, v22
	s_nop 1
	v_cndmask_b32_e32 v15, 1.0, v15, vcc
	v_mul_f32_e32 v15, v22, v15
	v_log_f32_e32 v15, v15
	v_cndmask_b32_e32 v20, 0, v20, vcc
	v_mul_f32_e32 v22, 0x3f317217, v15
	v_fma_f32 v22, v15, s13, -v22
	v_fmac_f32_e32 v22, 0x3377d1cf, v15
	v_fmac_f32_e32 v22, 0x3f317217, v15
	v_cmp_lt_f32_e64 vcc, |v15|, s14
	s_nop 1
	v_cndmask_b32_e32 v15, v15, v22, vcc
	v_sub_f32_e32 v15, v15, v20
	v_cmp_lt_f32_e32 vcc, s12, v13
	s_nop 1
	v_cndmask_b32_e32 v13, v15, v13, vcc
	v_mul_f32_e32 v15, 0x4f800000, v13
	v_cmp_gt_f32_e32 vcc, s16, v13
	s_nop 1
	v_cndmask_b32_e32 v13, v13, v15, vcc
	v_sqrt_f32_e32 v15, v13
	s_nop 0
	v_add_u32_e32 v20, -1, v15
	v_add_u32_e32 v21, 1, v15
	v_fma_f32 v22, -v20, v15, v13
	v_fma_f32 v23, -v21, v15, v13
	v_cmp_ge_f32_e64 s[4:5], 0, v22
	s_nop 1
	v_cndmask_b32_e64 v15, v15, v20, s[4:5]
	v_cmp_lt_f32_e64 s[4:5], 0, v23
	s_nop 1
	v_cndmask_b32_e64 v15, v15, v21, s[4:5]
	v_mul_f32_e32 v20, 0x37800000, v15
	v_cndmask_b32_e32 v15, v15, v20, vcc
	v_cmp_class_f32_e64 s[4:5], v13, v17
	s_and_b64 vcc, exec, s[2:3]
	s_nop 0
	v_cndmask_b32_e64 v17, v15, v13, s[4:5]
	s_cbranch_vccnz .LBB479_12
; %bb.11:
	global_load_dword v13, v12, s[10:11] offset:384
	s_waitcnt vmcnt(0)
	v_add_f32_e32 v17, v17, v13
.LBB479_12:
	v_mul_f32_e32 v13, 0x3fb8aa3b, v8
	v_exp_f32_e32 v15, v13
	s_mov_b32 s13, 0x800000
	v_mov_b32_e32 v13, 0x4f800000
	s_mov_b32 s7, 0x3f317217
	v_add_f32_e32 v15, 1.0, v15
	v_cmp_gt_f32_e32 vcc, s13, v15
	s_mov_b32 s12, 0x7f800000
	s_mov_b32 s6, 0x41a00000
	v_cndmask_b32_e32 v20, 1.0, v13, vcc
	v_mul_f32_e32 v15, v15, v20
	v_log_f32_e32 v15, v15
	s_mov_b32 s14, 0xf800000
	scratch_store_dword off, v17, off offset:12
	v_mul_f32_e32 v20, 0x3f317217, v15
	v_fma_f32 v20, v15, s7, -v20
	v_fmac_f32_e32 v20, 0x3377d1cf, v15
	v_fmac_f32_e32 v20, 0x3f317217, v15
	v_cmp_lt_f32_e64 s[4:5], |v15|, s12
	s_nop 1
	v_cndmask_b32_e64 v20, v15, v20, s[4:5]
	v_mov_b32_e32 v15, 0x41b17218
	v_cndmask_b32_e32 v21, 0, v15, vcc
	v_sub_f32_e32 v20, v20, v21
	v_cmp_lt_f32_e32 vcc, s6, v8
	s_nop 1
	v_cndmask_b32_e32 v8, v20, v8, vcc
	v_mul_f32_e32 v20, 0x4f800000, v8
	v_cmp_gt_f32_e32 vcc, s14, v8
	s_nop 1
	v_cndmask_b32_e32 v20, v8, v20, vcc
	v_sqrt_f32_e32 v8, v20
	s_nop 0
	v_add_u32_e32 v17, -1, v8
	v_fma_f32 v21, -v17, v8, v20
	v_cmp_ge_f32_e64 s[4:5], 0, v21
	v_add_u32_e32 v21, 1, v8
	s_nop 0
	v_cndmask_b32_e64 v17, v8, v17, s[4:5]
	v_fma_f32 v8, -v21, v8, v20
	v_cmp_lt_f32_e64 s[4:5], 0, v8
	s_nop 1
	v_cndmask_b32_e64 v8, v17, v21, s[4:5]
	v_mul_f32_e32 v17, 0x37800000, v8
	v_cndmask_b32_e32 v17, v8, v17, vcc
	v_mov_b32_e32 v8, 0x260
	v_cmp_class_f32_e64 s[4:5], v20, v8
	s_and_b64 vcc, exec, s[2:3]
	s_nop 0
	v_cndmask_b32_e64 v17, v17, v20, s[4:5]
	s_cbranch_vccnz .LBB479_14
; %bb.13:
	global_load_dword v20, v12, s[10:11] offset:512
	s_waitcnt vmcnt(0)
	v_add_f32_e32 v17, v17, v20
.LBB479_14:
	v_mul_f32_e32 v20, 0x3fb8aa3b, v9
	v_exp_f32_e32 v20, v20
	scratch_store_dword off, v17, off offset:16
	v_add_f32_e32 v20, 1.0, v20
	v_cmp_gt_f32_e32 vcc, s13, v20
	s_nop 1
	v_cndmask_b32_e32 v13, 1.0, v13, vcc
	v_mul_f32_e32 v13, v20, v13
	v_log_f32_e32 v13, v13
	v_cndmask_b32_e32 v15, 0, v15, vcc
	v_mul_f32_e32 v20, 0x3f317217, v13
	v_fma_f32 v20, v13, s7, -v20
	v_fmac_f32_e32 v20, 0x3377d1cf, v13
	v_fmac_f32_e32 v20, 0x3f317217, v13
	v_cmp_lt_f32_e64 vcc, |v13|, s12
	s_nop 1
	v_cndmask_b32_e32 v13, v13, v20, vcc
	v_sub_f32_e32 v13, v13, v15
	v_cmp_lt_f32_e32 vcc, s6, v9
	s_nop 1
	v_cndmask_b32_e32 v9, v13, v9, vcc
	v_mul_f32_e32 v13, 0x4f800000, v9
	v_cmp_gt_f32_e32 vcc, s14, v9
	s_nop 1
	v_cndmask_b32_e32 v9, v9, v13, vcc
	v_sqrt_f32_e32 v13, v9
	s_nop 0
	v_add_u32_e32 v15, -1, v13
	v_add_u32_e32 v17, 1, v13
	v_fma_f32 v20, -v15, v13, v9
	v_fma_f32 v21, -v17, v13, v9
	v_cmp_ge_f32_e64 s[4:5], 0, v20
	s_nop 1
	v_cndmask_b32_e64 v13, v13, v15, s[4:5]
	v_cmp_lt_f32_e64 s[4:5], 0, v21
	s_nop 1
	v_cndmask_b32_e64 v13, v13, v17, s[4:5]
	v_mul_f32_e32 v15, 0x37800000, v13
	v_cndmask_b32_e32 v13, v13, v15, vcc
	v_cmp_class_f32_e64 s[4:5], v9, v8
	s_and_b64 vcc, exec, s[2:3]
	s_nop 0
	v_cndmask_b32_e64 v9, v13, v9, s[4:5]
	s_cbranch_vccnz .LBB479_16
; %bb.15:
	global_load_dword v8, v12, s[10:11] offset:640
	s_waitcnt vmcnt(0)
	v_add_f32_e32 v9, v9, v8
.LBB479_16:
	v_mul_f32_e32 v8, 0x3fb8aa3b, v10
	v_exp_f32_e32 v13, v8
	v_mov_b32_e32 v8, 0x4f800000
	scratch_store_dword off, v9, off offset:20
	v_add_f32_e32 v13, 1.0, v13
	v_cmp_gt_f32_e32 vcc, s13, v13
	s_nop 1
	v_cndmask_b32_e32 v15, 1.0, v8, vcc
	v_mul_f32_e32 v13, v13, v15
	v_log_f32_e32 v13, v13
	s_nop 0
	v_mul_f32_e32 v15, 0x3f317217, v13
	v_fma_f32 v15, v13, s7, -v15
	v_fmac_f32_e32 v15, 0x3377d1cf, v13
	v_fmac_f32_e32 v15, 0x3f317217, v13
	v_cmp_lt_f32_e64 s[4:5], |v13|, s12
	s_nop 1
	v_cndmask_b32_e64 v15, v13, v15, s[4:5]
	v_mov_b32_e32 v13, 0x41b17218
	v_cndmask_b32_e32 v17, 0, v13, vcc
	v_sub_f32_e32 v15, v15, v17
	v_cmp_lt_f32_e32 vcc, s6, v10
	s_nop 1
	v_cndmask_b32_e32 v10, v15, v10, vcc
	v_mul_f32_e32 v15, 0x4f800000, v10
	v_cmp_gt_f32_e32 vcc, s14, v10
	s_nop 1
	v_cndmask_b32_e32 v10, v10, v15, vcc
	v_sqrt_f32_e32 v15, v10
	s_nop 0
	v_add_u32_e32 v9, -1, v15
	v_fma_f32 v17, -v9, v15, v10
	v_cmp_ge_f32_e64 s[4:5], 0, v17
	v_add_u32_e32 v17, 1, v15
	s_nop 0
	v_cndmask_b32_e64 v9, v15, v9, s[4:5]
	v_fma_f32 v15, -v17, v15, v10
	v_cmp_lt_f32_e64 s[4:5], 0, v15
	s_nop 1
	v_cndmask_b32_e64 v9, v9, v17, s[4:5]
	v_mul_f32_e32 v15, 0x37800000, v9
	v_cndmask_b32_e32 v15, v9, v15, vcc
	v_mov_b32_e32 v9, 0x260
	v_cmp_class_f32_e64 s[4:5], v10, v9
	s_and_b64 vcc, exec, s[2:3]
	s_nop 0
	v_cndmask_b32_e64 v10, v15, v10, s[4:5]
	s_cbranch_vccnz .LBB479_18
; %bb.17:
	global_load_dword v15, v12, s[10:11] offset:768
	s_waitcnt vmcnt(0)
	v_add_f32_e32 v10, v10, v15
.LBB479_18:
	v_mul_f32_e32 v15, 0x3fb8aa3b, v11
	v_exp_f32_e32 v15, v15
	scratch_store_dword off, v10, off offset:24
	v_add_f32_e32 v15, 1.0, v15
	v_cmp_gt_f32_e32 vcc, s13, v15
	s_nop 1
	v_cndmask_b32_e32 v8, 1.0, v8, vcc
	v_mul_f32_e32 v8, v15, v8
	v_log_f32_e32 v8, v8
	v_cndmask_b32_e32 v13, 0, v13, vcc
	v_mul_f32_e32 v15, 0x3f317217, v8
	v_fma_f32 v15, v8, s7, -v15
	v_fmac_f32_e32 v15, 0x3377d1cf, v8
	v_fmac_f32_e32 v15, 0x3f317217, v8
	v_cmp_lt_f32_e64 vcc, |v8|, s12
	s_nop 1
	v_cndmask_b32_e32 v8, v8, v15, vcc
	v_sub_f32_e32 v8, v8, v13
	v_cmp_lt_f32_e32 vcc, s6, v11
	s_nop 1
	v_cndmask_b32_e32 v8, v8, v11, vcc
	v_mul_f32_e32 v11, 0x4f800000, v8
	v_cmp_gt_f32_e32 vcc, s14, v8
	s_nop 1
	v_cndmask_b32_e32 v8, v8, v11, vcc
	v_sqrt_f32_e32 v11, v8
	s_nop 0
	v_add_u32_e32 v10, -1, v11
	v_add_u32_e32 v13, 1, v11
	v_fma_f32 v15, -v10, v11, v8
	v_fma_f32 v17, -v13, v11, v8
	v_cmp_ge_f32_e64 s[4:5], 0, v15
	s_nop 1
	v_cndmask_b32_e64 v10, v11, v10, s[4:5]
	v_cmp_lt_f32_e64 s[4:5], 0, v17
	s_nop 1
	v_cndmask_b32_e64 v10, v10, v13, s[4:5]
	v_mul_f32_e32 v11, 0x37800000, v10
	v_cndmask_b32_e32 v10, v10, v11, vcc
	v_cmp_class_f32_e64 s[4:5], v8, v9
	s_and_b64 vcc, exec, s[2:3]
	s_nop 0
	v_cndmask_b32_e64 v10, v10, v8, s[4:5]
	s_cbranch_vccnz .LBB479_20
; %bb.19:
	global_load_dword v8, v12, s[10:11] offset:896
	s_waitcnt vmcnt(0)
	v_add_f32_e32 v10, v10, v8
.LBB479_20:
	v_mul_f32_e32 v8, 0x3fb8aa3b, v4
	v_exp_f32_e32 v9, v8
	v_mov_b32_e32 v8, 0x4f800000
	scratch_store_dword off, v10, off offset:28
	v_add_f32_e32 v9, 1.0, v9
	v_cmp_gt_f32_e32 vcc, s13, v9
	s_nop 1
	v_cndmask_b32_e32 v11, 1.0, v8, vcc
	v_mul_f32_e32 v9, v9, v11
	v_log_f32_e32 v9, v9
	s_nop 0
	v_mul_f32_e32 v11, 0x3f317217, v9
	v_fma_f32 v11, v9, s7, -v11
	v_fmac_f32_e32 v11, 0x3377d1cf, v9
	v_fmac_f32_e32 v11, 0x3f317217, v9
	v_cmp_lt_f32_e64 s[4:5], |v9|, s12
	s_nop 1
	v_cndmask_b32_e64 v11, v9, v11, s[4:5]
	v_mov_b32_e32 v9, 0x41b17218
	v_cndmask_b32_e32 v13, 0, v9, vcc
	v_sub_f32_e32 v11, v11, v13
	v_cmp_lt_f32_e32 vcc, s6, v4
	s_nop 1
	v_cndmask_b32_e32 v4, v11, v4, vcc
	v_mul_f32_e32 v11, 0x4f800000, v4
	v_cmp_gt_f32_e32 vcc, s14, v4
	s_nop 1
	v_cndmask_b32_e32 v11, v4, v11, vcc
	v_sqrt_f32_e32 v4, v11
	s_nop 0
	v_add_u32_e32 v10, -1, v4
	v_fma_f32 v13, -v10, v4, v11
	v_cmp_ge_f32_e64 s[4:5], 0, v13
	v_add_u32_e32 v13, 1, v4
	s_nop 0
	v_cndmask_b32_e64 v10, v4, v10, s[4:5]
	v_fma_f32 v4, -v13, v4, v11
	v_cmp_lt_f32_e64 s[4:5], 0, v4
	s_nop 1
	v_cndmask_b32_e64 v4, v10, v13, s[4:5]
	v_mul_f32_e32 v10, 0x37800000, v4
	v_cndmask_b32_e32 v10, v4, v10, vcc
	v_mov_b32_e32 v4, 0x260
	v_cmp_class_f32_e64 s[4:5], v11, v4
	s_and_b64 vcc, exec, s[2:3]
	s_nop 0
	v_cndmask_b32_e64 v10, v10, v11, s[4:5]
	s_cbranch_vccnz .LBB479_22
; %bb.21:
	global_load_dword v11, v12, s[10:11] offset:1024
	s_waitcnt vmcnt(0)
	v_add_f32_e32 v10, v10, v11
.LBB479_22:
	v_mul_f32_e32 v11, 0x3fb8aa3b, v5
	v_exp_f32_e32 v11, v11
	scratch_store_dword off, v10, off offset:32
	v_add_f32_e32 v11, 1.0, v11
	v_cmp_gt_f32_e32 vcc, s13, v11
	s_nop 1
	v_cndmask_b32_e32 v8, 1.0, v8, vcc
	v_mul_f32_e32 v8, v11, v8
	v_log_f32_e32 v8, v8
	v_cndmask_b32_e32 v9, 0, v9, vcc
	v_mul_f32_e32 v11, 0x3f317217, v8
	v_fma_f32 v11, v8, s7, -v11
	v_fmac_f32_e32 v11, 0x3377d1cf, v8
	v_fmac_f32_e32 v11, 0x3f317217, v8
	v_cmp_lt_f32_e64 vcc, |v8|, s12
	s_nop 1
	v_cndmask_b32_e32 v8, v8, v11, vcc
	v_sub_f32_e32 v8, v8, v9
	v_cmp_lt_f32_e32 vcc, s6, v5
	s_nop 1
	v_cndmask_b32_e32 v5, v8, v5, vcc
	v_mul_f32_e32 v8, 0x4f800000, v5
	v_cmp_gt_f32_e32 vcc, s14, v5
	s_nop 1
	v_cndmask_b32_e32 v5, v5, v8, vcc
	v_sqrt_f32_e32 v8, v5
	s_nop 0
	v_add_u32_e32 v9, -1, v8
	v_add_u32_e32 v10, 1, v8
	v_fma_f32 v11, -v9, v8, v5
	v_fma_f32 v13, -v10, v8, v5
	v_cmp_ge_f32_e64 s[4:5], 0, v11
	s_nop 1
	v_cndmask_b32_e64 v8, v8, v9, s[4:5]
	v_cmp_lt_f32_e64 s[4:5], 0, v13
	s_nop 1
	v_cndmask_b32_e64 v8, v8, v10, s[4:5]
	v_mul_f32_e32 v9, 0x37800000, v8
	v_cndmask_b32_e32 v8, v8, v9, vcc
	v_cmp_class_f32_e64 s[4:5], v5, v4
	s_and_b64 vcc, exec, s[2:3]
	s_nop 0
	v_cndmask_b32_e64 v5, v8, v5, s[4:5]
	s_cbranch_vccnz .LBB479_24
; %bb.23:
	global_load_dword v4, v12, s[10:11] offset:1152
	s_waitcnt vmcnt(0)
	v_add_f32_e32 v5, v5, v4
.LBB479_24:
	v_mul_f32_e32 v4, 0x3fb8aa3b, v6
	v_exp_f32_e32 v8, v4
	v_mov_b32_e32 v4, 0x4f800000
	scratch_store_dword off, v5, off offset:36
	v_add_f32_e32 v8, 1.0, v8
	v_cmp_gt_f32_e32 vcc, s13, v8
	s_nop 1
	v_cndmask_b32_e32 v9, 1.0, v4, vcc
	v_mul_f32_e32 v8, v8, v9
	v_log_f32_e32 v8, v8
	s_nop 0
	v_mul_f32_e32 v9, 0x3f317217, v8
	v_fma_f32 v9, v8, s7, -v9
	v_fmac_f32_e32 v9, 0x3377d1cf, v8
	v_fmac_f32_e32 v9, 0x3f317217, v8
	v_cmp_lt_f32_e64 s[4:5], |v8|, s12
	s_nop 1
	v_cndmask_b32_e64 v9, v8, v9, s[4:5]
	v_mov_b32_e32 v8, 0x41b17218
	v_cndmask_b32_e32 v10, 0, v8, vcc
	v_sub_f32_e32 v9, v9, v10
	v_cmp_lt_f32_e32 vcc, s6, v6
	s_nop 1
	v_cndmask_b32_e32 v6, v9, v6, vcc
	v_mul_f32_e32 v9, 0x4f800000, v6
	v_cmp_gt_f32_e32 vcc, s14, v6
	s_nop 1
	v_cndmask_b32_e32 v6, v6, v9, vcc
	v_sqrt_f32_e32 v9, v6
	s_nop 0
	v_add_u32_e32 v5, -1, v9
	v_fma_f32 v10, -v5, v9, v6
	v_cmp_ge_f32_e64 s[4:5], 0, v10
	v_add_u32_e32 v10, 1, v9
	s_nop 0
	v_cndmask_b32_e64 v5, v9, v5, s[4:5]
	v_fma_f32 v9, -v10, v9, v6
	v_cmp_lt_f32_e64 s[4:5], 0, v9
	s_nop 1
	v_cndmask_b32_e64 v5, v5, v10, s[4:5]
	v_mul_f32_e32 v9, 0x37800000, v5
	v_cndmask_b32_e32 v9, v5, v9, vcc
	v_mov_b32_e32 v5, 0x260
	v_cmp_class_f32_e64 s[4:5], v6, v5
	s_and_b64 vcc, exec, s[2:3]
	s_nop 0
	v_cndmask_b32_e64 v6, v9, v6, s[4:5]
	s_cbranch_vccnz .LBB479_26
; %bb.25:
	global_load_dword v9, v12, s[10:11] offset:1280
	s_waitcnt vmcnt(0)
	v_add_f32_e32 v6, v6, v9
.LBB479_26:
	v_mul_f32_e32 v9, 0x3fb8aa3b, v7
	v_exp_f32_e32 v9, v9
	scratch_store_dword off, v6, off offset:40
	v_add_f32_e32 v9, 1.0, v9
	v_cmp_gt_f32_e32 vcc, s13, v9
	s_nop 1
	v_cndmask_b32_e32 v4, 1.0, v4, vcc
	v_mul_f32_e32 v4, v9, v4
	v_log_f32_e32 v4, v4
	v_cndmask_b32_e32 v8, 0, v8, vcc
	v_mul_f32_e32 v9, 0x3f317217, v4
	v_fma_f32 v9, v4, s7, -v9
	v_fmac_f32_e32 v9, 0x3377d1cf, v4
	v_fmac_f32_e32 v9, 0x3f317217, v4
	v_cmp_lt_f32_e64 vcc, |v4|, s12
	s_nop 1
	v_cndmask_b32_e32 v4, v4, v9, vcc
	v_sub_f32_e32 v4, v4, v8
	v_cmp_lt_f32_e32 vcc, s6, v7
	s_nop 1
	v_cndmask_b32_e32 v4, v4, v7, vcc
	v_mul_f32_e32 v7, 0x4f800000, v4
	v_cmp_gt_f32_e32 vcc, s14, v4
	s_nop 1
	v_cndmask_b32_e32 v4, v4, v7, vcc
	v_sqrt_f32_e32 v7, v4
	s_nop 0
	v_add_u32_e32 v6, -1, v7
	v_add_u32_e32 v8, 1, v7
	v_fma_f32 v9, -v6, v7, v4
	v_fma_f32 v10, -v8, v7, v4
	v_cmp_ge_f32_e64 s[4:5], 0, v9
	s_nop 1
	v_cndmask_b32_e64 v6, v7, v6, s[4:5]
	v_cmp_lt_f32_e64 s[4:5], 0, v10
	s_nop 1
	v_cndmask_b32_e64 v6, v6, v8, s[4:5]
	v_mul_f32_e32 v7, 0x37800000, v6
	v_cndmask_b32_e32 v6, v6, v7, vcc
	v_cmp_class_f32_e64 s[4:5], v4, v5
	s_and_b64 vcc, exec, s[2:3]
	s_nop 0
	v_cndmask_b32_e64 v6, v6, v4, s[4:5]
	s_cbranch_vccnz .LBB479_28
; %bb.27:
	global_load_dword v4, v12, s[10:11] offset:1408
	s_waitcnt vmcnt(0)
	v_add_f32_e32 v6, v6, v4
.LBB479_28:
	v_mul_f32_e32 v4, 0x3fb8aa3b, v0
	v_exp_f32_e32 v5, v4
	v_mov_b32_e32 v4, 0x4f800000
	scratch_store_dword off, v6, off offset:44
	v_add_f32_e32 v5, 1.0, v5
	v_cmp_gt_f32_e32 vcc, s13, v5
	s_nop 1
	v_cndmask_b32_e32 v7, 1.0, v4, vcc
	v_mul_f32_e32 v5, v5, v7
	v_log_f32_e32 v5, v5
	s_nop 0
	v_mul_f32_e32 v7, 0x3f317217, v5
	v_fma_f32 v7, v5, s7, -v7
	v_fmac_f32_e32 v7, 0x3377d1cf, v5
	v_fmac_f32_e32 v7, 0x3f317217, v5
	v_cmp_lt_f32_e64 s[4:5], |v5|, s12
	s_nop 1
	v_cndmask_b32_e64 v7, v5, v7, s[4:5]
	v_mov_b32_e32 v5, 0x41b17218
	v_cndmask_b32_e32 v8, 0, v5, vcc
	v_sub_f32_e32 v7, v7, v8
	v_cmp_lt_f32_e32 vcc, s6, v0
	s_nop 1
	v_cndmask_b32_e32 v0, v7, v0, vcc
	v_mul_f32_e32 v7, 0x4f800000, v0
	v_cmp_gt_f32_e32 vcc, s14, v0
	s_nop 1
	v_cndmask_b32_e32 v7, v0, v7, vcc
	v_sqrt_f32_e32 v0, v7
	s_nop 0
	v_add_u32_e32 v6, -1, v0
	v_fma_f32 v8, -v6, v0, v7
	v_cmp_ge_f32_e64 s[4:5], 0, v8
	v_add_u32_e32 v8, 1, v0
	s_nop 0
	v_cndmask_b32_e64 v6, v0, v6, s[4:5]
	v_fma_f32 v0, -v8, v0, v7
	v_cmp_lt_f32_e64 s[4:5], 0, v0
	s_nop 1
	v_cndmask_b32_e64 v0, v6, v8, s[4:5]
	v_mul_f32_e32 v6, 0x37800000, v0
	v_cndmask_b32_e32 v6, v0, v6, vcc
	v_mov_b32_e32 v0, 0x260
	v_cmp_class_f32_e64 s[4:5], v7, v0
	s_and_b64 vcc, exec, s[2:3]
	s_nop 0
	v_cndmask_b32_e64 v6, v6, v7, s[4:5]
	s_cbranch_vccnz .LBB479_30
; %bb.29:
	global_load_dword v7, v12, s[10:11] offset:1536
	s_waitcnt vmcnt(0)
	v_add_f32_e32 v6, v6, v7
.LBB479_30:
	v_mul_f32_e32 v7, 0x3fb8aa3b, v1
	v_exp_f32_e32 v7, v7
	scratch_store_dword off, v6, off offset:48
	v_add_f32_e32 v7, 1.0, v7
	v_cmp_gt_f32_e32 vcc, s13, v7
	s_nop 1
	v_cndmask_b32_e32 v4, 1.0, v4, vcc
	v_mul_f32_e32 v4, v7, v4
	v_log_f32_e32 v4, v4
	v_cndmask_b32_e32 v5, 0, v5, vcc
	v_mul_f32_e32 v7, 0x3f317217, v4
	v_fma_f32 v7, v4, s7, -v7
	v_fmac_f32_e32 v7, 0x3377d1cf, v4
	v_fmac_f32_e32 v7, 0x3f317217, v4
	v_cmp_lt_f32_e64 vcc, |v4|, s12
	s_nop 1
	v_cndmask_b32_e32 v4, v4, v7, vcc
	v_sub_f32_e32 v4, v4, v5
	v_cmp_lt_f32_e32 vcc, s6, v1
	s_nop 1
	v_cndmask_b32_e32 v1, v4, v1, vcc
	v_mul_f32_e32 v4, 0x4f800000, v1
	v_cmp_gt_f32_e32 vcc, s14, v1
	s_nop 1
	v_cndmask_b32_e32 v1, v1, v4, vcc
	v_sqrt_f32_e32 v4, v1
	s_nop 0
	v_add_u32_e32 v5, -1, v4
	v_add_u32_e32 v6, 1, v4
	v_fma_f32 v7, -v5, v4, v1
	v_fma_f32 v8, -v6, v4, v1
	v_cmp_ge_f32_e64 s[4:5], 0, v7
	s_nop 1
	v_cndmask_b32_e64 v4, v4, v5, s[4:5]
	v_cmp_lt_f32_e64 s[4:5], 0, v8
	s_nop 1
	v_cndmask_b32_e64 v4, v4, v6, s[4:5]
	v_mul_f32_e32 v5, 0x37800000, v4
	v_cndmask_b32_e32 v4, v4, v5, vcc
	v_cmp_class_f32_e64 s[4:5], v1, v0
	s_and_b64 vcc, exec, s[2:3]
	s_nop 0
	v_cndmask_b32_e64 v1, v4, v1, s[4:5]
	s_cbranch_vccnz .LBB479_32
; %bb.31:
	global_load_dword v0, v12, s[10:11] offset:1664
	s_waitcnt vmcnt(0)
	v_add_f32_e32 v1, v1, v0
.LBB479_32:
	v_mul_f32_e32 v0, 0x3fb8aa3b, v2
	v_exp_f32_e32 v4, v0
	v_mov_b32_e32 v0, 0x4f800000
	scratch_store_dword off, v1, off offset:52
	v_add_f32_e32 v4, 1.0, v4
	v_cmp_gt_f32_e32 vcc, s13, v4
	s_nop 1
	v_cndmask_b32_e32 v5, 1.0, v0, vcc
	v_mul_f32_e32 v4, v4, v5
	v_log_f32_e32 v4, v4
	s_nop 0
	v_mul_f32_e32 v5, 0x3f317217, v4
	v_fma_f32 v5, v4, s7, -v5
	v_fmac_f32_e32 v5, 0x3377d1cf, v4
	v_fmac_f32_e32 v5, 0x3f317217, v4
	v_cmp_lt_f32_e64 s[4:5], |v4|, s12
	s_nop 1
	v_cndmask_b32_e64 v5, v4, v5, s[4:5]
	v_mov_b32_e32 v4, 0x41b17218
	v_cndmask_b32_e32 v6, 0, v4, vcc
	v_sub_f32_e32 v5, v5, v6
	v_cmp_lt_f32_e32 vcc, s6, v2
	s_nop 1
	v_cndmask_b32_e32 v2, v5, v2, vcc
	v_mul_f32_e32 v5, 0x4f800000, v2
	v_cmp_gt_f32_e32 vcc, s14, v2
	s_nop 1
	v_cndmask_b32_e32 v2, v2, v5, vcc
	v_sqrt_f32_e32 v5, v2
	s_nop 0
	v_add_u32_e32 v1, -1, v5
	v_fma_f32 v6, -v1, v5, v2
	v_cmp_ge_f32_e64 s[4:5], 0, v6
	v_add_u32_e32 v6, 1, v5
	s_nop 0
	v_cndmask_b32_e64 v1, v5, v1, s[4:5]
	v_fma_f32 v5, -v6, v5, v2
	v_cmp_lt_f32_e64 s[4:5], 0, v5
	s_nop 1
	v_cndmask_b32_e64 v1, v1, v6, s[4:5]
	v_mul_f32_e32 v5, 0x37800000, v1
	v_cndmask_b32_e32 v5, v1, v5, vcc
	v_mov_b32_e32 v1, 0x260
	v_cmp_class_f32_e64 s[4:5], v2, v1
	s_and_b64 vcc, exec, s[2:3]
	s_nop 0
	v_cndmask_b32_e64 v2, v5, v2, s[4:5]
	s_cbranch_vccnz .LBB479_34
; %bb.33:
	global_load_dword v5, v12, s[10:11] offset:1792
	s_waitcnt vmcnt(0)
	v_add_f32_e32 v2, v2, v5
.LBB479_34:
	v_mul_f32_e32 v5, 0x3fb8aa3b, v3
	v_exp_f32_e32 v5, v5
	scratch_store_dword off, v2, off offset:56
	v_add_f32_e32 v5, 1.0, v5
	v_cmp_gt_f32_e32 vcc, s13, v5
	s_nop 1
	v_cndmask_b32_e32 v0, 1.0, v0, vcc
	v_mul_f32_e32 v0, v5, v0
	v_log_f32_e32 v0, v0
	v_cndmask_b32_e32 v4, 0, v4, vcc
	v_mul_f32_e32 v5, 0x3f317217, v0
	v_fma_f32 v5, v0, s7, -v5
	v_fmac_f32_e32 v5, 0x3377d1cf, v0
	v_fmac_f32_e32 v5, 0x3f317217, v0
	v_cmp_lt_f32_e64 vcc, |v0|, s12
	s_nop 1
	v_cndmask_b32_e32 v0, v0, v5, vcc
	v_sub_f32_e32 v0, v0, v4
	v_cmp_lt_f32_e32 vcc, s6, v3
	s_nop 1
	v_cndmask_b32_e32 v0, v0, v3, vcc
	v_mul_f32_e32 v3, 0x4f800000, v0
	v_cmp_gt_f32_e32 vcc, s14, v0
	s_nop 1
	v_cndmask_b32_e32 v0, v0, v3, vcc
	v_sqrt_f32_e32 v3, v0
	s_nop 0
	v_add_u32_e32 v2, -1, v3
	v_add_u32_e32 v4, 1, v3
	v_fma_f32 v5, -v2, v3, v0
	v_fma_f32 v6, -v4, v3, v0
	v_cmp_ge_f32_e64 s[4:5], 0, v5
	s_nop 1
	v_cndmask_b32_e64 v2, v3, v2, s[4:5]
	v_cmp_lt_f32_e64 s[4:5], 0, v6
	s_nop 1
	v_cndmask_b32_e64 v2, v2, v4, s[4:5]
	v_mul_f32_e32 v3, 0x37800000, v2
	v_cndmask_b32_e32 v2, v2, v3, vcc
	v_cmp_class_f32_e64 s[4:5], v0, v1
	s_and_b64 vcc, exec, s[2:3]
	s_nop 0
	v_cndmask_b32_e64 v1, v2, v0, s[4:5]
	s_cbranch_vccnz .LBB479_36
; %bb.35:
	global_load_dword v0, v12, s[10:11] offset:1920
	s_waitcnt vmcnt(0)
	v_add_f32_e32 v1, v1, v0
.LBB479_36:
	v_mul_f32_e32 v0, 0x3fb8aa3b, v18
	v_exp_f32_e32 v2, v0
	v_mov_b32_e32 v0, 0x4f800000
	scratch_store_dword off, v1, off offset:60
	v_add_f32_e32 v2, 1.0, v2
	v_cmp_gt_f32_e32 vcc, s13, v2
	s_nop 1
	v_cndmask_b32_e32 v3, 1.0, v0, vcc
	v_mul_f32_e32 v2, v2, v3
	v_log_f32_e32 v2, v2
	s_nop 0
	v_mul_f32_e32 v3, 0x3f317217, v2
	v_fma_f32 v3, v2, s7, -v3
	v_fmac_f32_e32 v3, 0x3377d1cf, v2
	v_fmac_f32_e32 v3, 0x3f317217, v2
	v_cmp_lt_f32_e64 s[4:5], |v2|, s12
	s_nop 1
	v_cndmask_b32_e64 v3, v2, v3, s[4:5]
	v_mov_b32_e32 v2, 0x41b17218
	v_cndmask_b32_e32 v4, 0, v2, vcc
	v_sub_f32_e32 v3, v3, v4
	v_cmp_lt_f32_e32 vcc, s6, v18
	s_nop 1
	v_cndmask_b32_e32 v3, v3, v18, vcc
	v_mul_f32_e32 v4, 0x4f800000, v3
	v_cmp_gt_f32_e32 vcc, s14, v3
	s_nop 1
	v_cndmask_b32_e32 v3, v3, v4, vcc
	v_sqrt_f32_e32 v4, v3
	s_nop 0
	v_add_u32_e32 v1, -1, v4
	v_fma_f32 v5, -v1, v4, v3
	v_cmp_ge_f32_e64 s[4:5], 0, v5
	v_add_u32_e32 v5, 1, v4
	s_nop 0
	v_cndmask_b32_e64 v1, v4, v1, s[4:5]
	v_fma_f32 v4, -v5, v4, v3
	v_cmp_lt_f32_e64 s[4:5], 0, v4
	s_nop 1
	v_cndmask_b32_e64 v1, v1, v5, s[4:5]
	v_mul_f32_e32 v4, 0x37800000, v1
	v_cndmask_b32_e32 v4, v1, v4, vcc
	v_mov_b32_e32 v1, 0x260
	v_cmp_class_f32_e64 s[4:5], v3, v1
	s_and_b64 vcc, exec, s[2:3]
	s_nop 0
	v_cndmask_b32_e64 v3, v4, v3, s[4:5]
	s_cbranch_vccnz .LBB479_38
; %bb.37:
	global_load_dword v4, v12, s[10:11] offset:2048
	s_waitcnt vmcnt(0)
	v_add_f32_e32 v3, v3, v4
.LBB479_38:
	v_mul_f32_e32 v4, 0x3fb8aa3b, v19
	v_exp_f32_e32 v4, v4
	scratch_store_dword off, v3, off offset:64
	v_add_f32_e32 v4, 1.0, v4
	v_cmp_gt_f32_e32 vcc, s13, v4
	s_nop 1
	v_cndmask_b32_e32 v0, 1.0, v0, vcc
	v_mul_f32_e32 v0, v4, v0
	v_log_f32_e32 v0, v0
	v_cndmask_b32_e32 v2, 0, v2, vcc
	v_mul_f32_e32 v4, 0x3f317217, v0
	v_fma_f32 v4, v0, s7, -v4
	v_fmac_f32_e32 v4, 0x3377d1cf, v0
	v_fmac_f32_e32 v4, 0x3f317217, v0
	v_cmp_lt_f32_e64 vcc, |v0|, s12
	s_nop 1
	v_cndmask_b32_e32 v0, v0, v4, vcc
	v_sub_f32_e32 v0, v0, v2
	v_cmp_lt_f32_e32 vcc, s6, v19
	s_nop 1
	v_cndmask_b32_e32 v0, v0, v19, vcc
	v_mul_f32_e32 v2, 0x4f800000, v0
	v_cmp_gt_f32_e32 vcc, s14, v0
	s_nop 1
	v_cndmask_b32_e32 v0, v0, v2, vcc
	v_sqrt_f32_e32 v2, v0
	s_nop 0
	v_add_u32_e32 v3, -1, v2
	v_add_u32_e32 v4, 1, v2
	v_fma_f32 v5, -v3, v2, v0
	v_fma_f32 v6, -v4, v2, v0
	v_cmp_ge_f32_e64 s[4:5], 0, v5
	s_nop 1
	v_cndmask_b32_e64 v2, v2, v3, s[4:5]
	v_cmp_lt_f32_e64 s[4:5], 0, v6
	s_nop 1
	v_cndmask_b32_e64 v2, v2, v4, s[4:5]
	v_mul_f32_e32 v3, 0x37800000, v2
	v_cndmask_b32_e32 v2, v2, v3, vcc
	v_cmp_class_f32_e64 s[4:5], v0, v1
	s_and_b64 vcc, exec, s[2:3]
	s_nop 0
	v_cndmask_b32_e64 v0, v2, v0, s[4:5]
	s_cbranch_vccnz .LBB479_40
; %bb.39:
	global_load_dword v1, v12, s[10:11] offset:2176
	s_waitcnt vmcnt(0)
	v_add_f32_e32 v0, v0, v1
.LBB479_40:
	s_load_dwordx4 s[12:15], s[0:1], 0x30
	s_mov_b32 s31, 0
	v_cmp_eq_u32_e64 s[6:7], 0, v16
	scratch_store_dword off, v0, off offset:68
	s_waitcnt lgkmcnt(0)
	s_bitcmp1_b32 s15, 0
	s_cselect_b64 s[4:5], -1, 0
	s_cmp_gt_i32 s12, 0
	s_cselect_b64 s[24:25], -1, 0
	s_and_b64 vcc, exec, s[24:25]
	s_cbranch_vccz .LBB479_69
; %bb.41:
	v_mbcnt_lo_u32_b32 v0, -1, 0
	v_mbcnt_hi_u32_b32 v0, -1, v0
	v_and_b32_e32 v1, 0x60, v0
	v_add_u32_e32 v1, 32, v1
	v_xor_b32_e32 v12, 16, v0
	v_cmp_lt_i32_e32 vcc, v12, v1
	s_load_dwordx4 s[16:19], s[0:1], 0x20
	v_mul_lo_u32 v2, v14, s12
	v_cndmask_b32_e32 v12, v0, v12, vcc
	v_lshlrev_b32_e32 v23, 2, v12
	v_xor_b32_e32 v12, 8, v0
	v_cmp_lt_i32_e32 vcc, v12, v1
	v_or_b32_e32 v3, 32, v16
	v_or_b32_e32 v4, 64, v16
	v_cndmask_b32_e32 v12, v0, v12, vcc
	v_lshlrev_b32_e32 v24, 2, v12
	v_xor_b32_e32 v12, 4, v0
	v_cmp_lt_i32_e32 vcc, v12, v1
	v_or_b32_e32 v5, 0x60, v16
	v_or_b32_e32 v6, 0x80, v16
	;; [unrolled: 6-line block ×4, first 2 shown]
	v_cndmask_b32_e32 v0, v0, v12, vcc
	v_or_b32_e32 v11, 0x120, v16
	v_or_b32_e32 v13, 0x140, v16
	;; [unrolled: 1-line block ×9, first 2 shown]
	v_lshlrev_b32_e32 v27, 2, v0
	v_mov_b32_e32 v12, 0
	v_mov_b32_e32 v28, 0
	;; [unrolled: 1-line block ×5, first 2 shown]
	s_branch .LBB479_43
.LBB479_42:                             ;   in Loop: Header=BB479_43 Depth=1
	s_or_b64 exec, exec, s[0:1]
	s_cmp_eq_u32 s12, s31
	v_add_u32_e32 v31, s30, v31
	s_cbranch_scc1 .LBB479_70
.LBB479_43:                             ; =>This Inner Loop Header: Depth=1
	s_waitcnt lgkmcnt(0)
	scratch_load_dwordx4 v[32:35], off, off
	scratch_load_dwordx4 v[36:39], off, off offset:16
	scratch_load_dwordx4 v[40:43], off, off offset:32
	;; [unrolled: 1-line block ×3, first 2 shown]
	scratch_load_dwordx2 v[0:1], off, off offset:64
	s_waitcnt vmcnt(4)
	v_cmp_gt_f32_e32 vcc, v33, v32
	s_nop 1
	v_cndmask_b32_e32 v32, v32, v33, vcc
	v_cndmask_b32_e32 v48, v16, v3, vcc
	v_cmp_gt_f32_e32 vcc, v34, v32
	s_nop 1
	v_cndmask_b32_e32 v32, v32, v34, vcc
	v_cndmask_b32_e32 v33, v48, v4, vcc
	v_cmp_gt_f32_e32 vcc, v35, v32
	s_nop 1
	v_cndmask_b32_e32 v32, v32, v35, vcc
	v_cndmask_b32_e32 v33, v33, v5, vcc
	s_waitcnt vmcnt(3)
	v_cmp_gt_f32_e32 vcc, v36, v32
	s_nop 1
	v_cndmask_b32_e32 v32, v32, v36, vcc
	v_cndmask_b32_e32 v33, v33, v6, vcc
	v_cmp_gt_f32_e32 vcc, v37, v32
	s_nop 1
	v_cndmask_b32_e32 v32, v32, v37, vcc
	v_cndmask_b32_e32 v33, v33, v7, vcc
	v_cmp_gt_f32_e32 vcc, v38, v32
	s_nop 1
	v_cndmask_b32_e32 v32, v32, v38, vcc
	v_cndmask_b32_e32 v33, v33, v8, vcc
	v_cmp_gt_f32_e32 vcc, v39, v32
	s_nop 1
	v_cndmask_b32_e32 v32, v32, v39, vcc
	v_cndmask_b32_e32 v33, v33, v9, vcc
	s_waitcnt vmcnt(2)
	v_cmp_gt_f32_e32 vcc, v40, v32
	s_nop 1
	v_cndmask_b32_e32 v32, v32, v40, vcc
	v_cndmask_b32_e32 v33, v33, v10, vcc
	v_cmp_gt_f32_e32 vcc, v41, v32
	s_nop 1
	v_cndmask_b32_e32 v32, v32, v41, vcc
	v_cndmask_b32_e32 v33, v33, v11, vcc
	v_cmp_gt_f32_e32 vcc, v42, v32
	s_nop 1
	v_cndmask_b32_e32 v32, v32, v42, vcc
	v_cndmask_b32_e32 v33, v33, v13, vcc
	v_cmp_gt_f32_e32 vcc, v43, v32
	s_nop 1
	v_cndmask_b32_e32 v32, v32, v43, vcc
	v_cndmask_b32_e32 v33, v33, v15, vcc
	s_waitcnt vmcnt(1)
	v_cmp_gt_f32_e32 vcc, v44, v32
	s_nop 1
	v_cndmask_b32_e32 v32, v32, v44, vcc
	v_cndmask_b32_e32 v33, v33, v17, vcc
	v_cmp_gt_f32_e32 vcc, v45, v32
	s_nop 1
	v_cndmask_b32_e32 v32, v32, v45, vcc
	v_cndmask_b32_e32 v33, v33, v18, vcc
	v_cmp_gt_f32_e32 vcc, v46, v32
	s_nop 1
	v_cndmask_b32_e32 v32, v32, v46, vcc
	v_cndmask_b32_e32 v33, v33, v19, vcc
	v_cmp_gt_f32_e32 vcc, v47, v32
	s_nop 1
	v_cndmask_b32_e32 v32, v32, v47, vcc
	v_cndmask_b32_e32 v33, v33, v20, vcc
	s_waitcnt vmcnt(0)
	v_cmp_gt_f32_e32 vcc, v0, v32
	s_nop 1
	v_cndmask_b32_e32 v32, v32, v0, vcc
	v_cndmask_b32_e32 v33, v33, v21, vcc
	v_cmp_gt_f32_e32 vcc, v1, v32
	s_nop 1
	v_cndmask_b32_e32 v32, v32, v1, vcc
	v_cndmask_b32_e32 v0, v33, v22, vcc
	ds_bpermute_b32 v1, v23, v32
	ds_bpermute_b32 v33, v23, v0
	s_waitcnt lgkmcnt(0)
	v_cmp_lt_f32_e64 s[26:27], v32, v1
	v_cmp_nlt_f32_e32 vcc, v32, v1
	s_and_saveexec_b64 s[28:29], vcc
; %bb.44:                               ;   in Loop: Header=BB479_43 Depth=1
	v_cmp_eq_f32_e32 vcc, v32, v1
	v_cmp_lt_i32_e64 s[0:1], v33, v0
	s_and_b64 s[0:1], vcc, s[0:1]
	s_andn2_b64 s[26:27], s[26:27], exec
	s_and_b64 s[0:1], s[0:1], exec
	s_or_b64 s[26:27], s[26:27], s[0:1]
; %bb.45:                               ;   in Loop: Header=BB479_43 Depth=1
	s_or_b64 exec, exec, s[28:29]
	s_and_saveexec_b64 s[0:1], s[26:27]
; %bb.46:                               ;   in Loop: Header=BB479_43 Depth=1
	v_mov_b32_e32 v32, v1
	v_mov_b32_e32 v0, v33
; %bb.47:                               ;   in Loop: Header=BB479_43 Depth=1
	s_or_b64 exec, exec, s[0:1]
	ds_bpermute_b32 v1, v24, v32
	ds_bpermute_b32 v33, v24, v0
	s_waitcnt lgkmcnt(1)
	v_cmp_lt_f32_e64 s[26:27], v32, v1
	v_cmp_nlt_f32_e32 vcc, v32, v1
	s_and_saveexec_b64 s[28:29], vcc
	s_cbranch_execz .LBB479_49
; %bb.48:                               ;   in Loop: Header=BB479_43 Depth=1
	v_cmp_eq_f32_e32 vcc, v32, v1
	s_waitcnt lgkmcnt(0)
	v_cmp_lt_i32_e64 s[0:1], v33, v0
	s_and_b64 s[0:1], vcc, s[0:1]
	s_andn2_b64 s[26:27], s[26:27], exec
	s_and_b64 s[0:1], s[0:1], exec
	s_or_b64 s[26:27], s[26:27], s[0:1]
.LBB479_49:                             ;   in Loop: Header=BB479_43 Depth=1
	s_or_b64 exec, exec, s[28:29]
	s_and_saveexec_b64 s[0:1], s[26:27]
	s_cbranch_execz .LBB479_51
; %bb.50:                               ;   in Loop: Header=BB479_43 Depth=1
	v_mov_b32_e32 v32, v1
	s_waitcnt lgkmcnt(0)
	v_mov_b32_e32 v0, v33
.LBB479_51:                             ;   in Loop: Header=BB479_43 Depth=1
	s_or_b64 exec, exec, s[0:1]
	ds_bpermute_b32 v1, v25, v32
	s_waitcnt lgkmcnt(1)
	ds_bpermute_b32 v33, v25, v0
	s_waitcnt lgkmcnt(1)
	v_cmp_lt_f32_e64 s[26:27], v32, v1
	v_cmp_nlt_f32_e32 vcc, v32, v1
	s_and_saveexec_b64 s[28:29], vcc
	s_cbranch_execz .LBB479_53
; %bb.52:                               ;   in Loop: Header=BB479_43 Depth=1
	v_cmp_eq_f32_e32 vcc, v32, v1
	s_waitcnt lgkmcnt(0)
	v_cmp_lt_i32_e64 s[0:1], v33, v0
	s_and_b64 s[0:1], vcc, s[0:1]
	s_andn2_b64 s[26:27], s[26:27], exec
	s_and_b64 s[0:1], s[0:1], exec
	s_or_b64 s[26:27], s[26:27], s[0:1]
.LBB479_53:                             ;   in Loop: Header=BB479_43 Depth=1
	s_or_b64 exec, exec, s[28:29]
	s_and_saveexec_b64 s[0:1], s[26:27]
	s_cbranch_execz .LBB479_55
; %bb.54:                               ;   in Loop: Header=BB479_43 Depth=1
	v_mov_b32_e32 v32, v1
	s_waitcnt lgkmcnt(0)
	v_mov_b32_e32 v0, v33
.LBB479_55:                             ;   in Loop: Header=BB479_43 Depth=1
	s_or_b64 exec, exec, s[0:1]
	ds_bpermute_b32 v1, v26, v32
	s_waitcnt lgkmcnt(1)
	;; [unrolled: 26-line block ×3, first 2 shown]
	ds_bpermute_b32 v33, v27, v0
	s_waitcnt lgkmcnt(1)
	v_cmp_lt_f32_e64 s[26:27], v32, v1
	v_cmp_nlt_f32_e32 vcc, v32, v1
	s_and_saveexec_b64 s[28:29], vcc
	s_cbranch_execnz .LBB479_62
; %bb.60:                               ;   in Loop: Header=BB479_43 Depth=1
	s_or_b64 exec, exec, s[28:29]
	s_and_saveexec_b64 s[0:1], s[26:27]
	s_cbranch_execnz .LBB479_63
.LBB479_61:                             ;   in Loop: Header=BB479_43 Depth=1
	s_or_b64 exec, exec, s[0:1]
	s_and_saveexec_b64 s[26:27], s[6:7]
	s_cbranch_execnz .LBB479_64
	s_branch .LBB479_67
.LBB479_62:                             ;   in Loop: Header=BB479_43 Depth=1
	v_cmp_eq_f32_e32 vcc, v32, v1
	s_waitcnt lgkmcnt(0)
	v_cmp_lt_i32_e64 s[0:1], v33, v0
	s_and_b64 s[0:1], vcc, s[0:1]
	s_andn2_b64 s[26:27], s[26:27], exec
	s_and_b64 s[0:1], s[0:1], exec
	s_or_b64 s[26:27], s[26:27], s[0:1]
	s_or_b64 exec, exec, s[28:29]
	s_and_saveexec_b64 s[0:1], s[26:27]
	s_cbranch_execz .LBB479_61
.LBB479_63:                             ;   in Loop: Header=BB479_43 Depth=1
	s_waitcnt lgkmcnt(0)
	v_mov_b32_e32 v0, v33
	v_mov_b32_e32 v32, v1
	s_or_b64 exec, exec, s[0:1]
	s_and_saveexec_b64 s[26:27], s[6:7]
	s_cbranch_execz .LBB479_67
.LBB479_64:                             ;   in Loop: Header=BB479_43 Depth=1
	s_and_b64 vcc, exec, s[2:3]
	s_cbranch_vccnz .LBB479_66
; %bb.65:                               ;   in Loop: Header=BB479_43 Depth=1
	v_ashrrev_i32_e32 v1, 31, v0
	v_lshl_add_u64 v[34:35], v[0:1], 2, s[10:11]
	global_load_dword v1, v[34:35], off
	s_waitcnt vmcnt(0)
	v_sub_f32_e32 v32, v32, v1
.LBB479_66:                             ;   in Loop: Header=BB479_43 Depth=1
	v_add_u32_e32 v34, s31, v2
	v_cmp_le_i32_e32 vcc, s13, v0
	v_cmp_gt_i32_e64 s[0:1], s14, v0
	v_ashrrev_i32_e32 v35, 31, v34
	s_and_b64 s[0:1], vcc, s[0:1]
	v_lshlrev_b64 v[34:35], 2, v[34:35]
	v_lshl_add_u64 v[36:37], s[20:21], 0, v[34:35]
	v_subrev_u32_e32 v1, s13, v0
	s_and_b64 vcc, s[22:23], s[0:1]
	global_store_dword v[36:37], v32, off
	v_cndmask_b32_e32 v1, v30, v1, vcc
	v_lshl_add_u64 v[36:37], s[16:17], 0, v[34:35]
	global_store_dword v[36:37], v1, off
	v_add_f32_e32 v1, v12, v32
	v_lshl_add_u64 v[34:35], s[18:19], 0, v[34:35]
	v_cndmask_b32_e64 v12, v12, v1, s[4:5]
	global_store_dword v[34:35], v31, off
.LBB479_67:                             ;   in Loop: Header=BB479_43 Depth=1
	s_or_b64 exec, exec, s[26:27]
	v_ashrrev_i32_e32 v1, 31, v0
	v_lshrrev_b32_e32 v1, 27, v1
	v_add_u32_e32 v1, v0, v1
	s_add_i32 s31, s31, 1
	v_and_b32_e32 v32, 0xffffffe0, v1
	s_cmp_lt_i32 s31, s12
	v_sub_u32_e32 v0, v0, v32
	s_cselect_b64 s[0:1], -1, 0
	v_cmp_eq_u32_e32 vcc, v16, v0
	s_and_b64 s[26:27], s[0:1], vcc
	s_and_saveexec_b64 s[0:1], s[26:27]
	s_cbranch_execz .LBB479_42
; %bb.68:                               ;   in Loop: Header=BB479_43 Depth=1
	v_ashrrev_i32_e32 v0, 5, v1
	v_lshl_add_u32 v0, v0, 2, v28
	scratch_store_dword v0, v29, off
	s_branch .LBB479_42
.LBB479_69:
	v_mov_b32_e32 v12, 0
.LBB479_70:
	v_cmp_eq_u32_e32 vcc, 0, v16
	s_and_b64 exec, exec, vcc
	s_cbranch_execz .LBB479_83
; %bb.71:
	s_andn2_b64 vcc, exec, s[4:5]
	v_cvt_f32_f64_e32 v0, s[8:9]
	s_cbranch_vccnz .LBB479_73
; %bb.72:
	v_cmp_lt_f32_e32 vcc, 0, v12
	s_nop 1
	v_cndmask_b32_e32 v1, 1.0, v12, vcc
	v_div_scale_f32 v2, s[0:1], v1, v1, v0
	v_rcp_f32_e32 v3, v2
	s_nop 0
	v_fma_f32 v4, -v2, v3, 1.0
	v_fmac_f32_e32 v3, v4, v3
	v_div_scale_f32 v4, vcc, v0, v1, v0
	v_mul_f32_e32 v5, v4, v3
	v_fma_f32 v6, -v2, v5, v4
	v_fmac_f32_e32 v5, v6, v3
	v_fma_f32 v2, -v2, v5, v4
	v_div_fmas_f32 v2, v2, v3, v5
	v_div_fixup_f32 v0, v2, v1, v0
.LBB479_73:
	s_andn2_b64 vcc, exec, s[24:25]
	s_cbranch_vccnz .LBB479_83
; %bb.74:
	v_mul_lo_u32 v2, v14, s12
	s_cmp_gt_u32 s12, 3
	v_ashrrev_i32_e32 v3, 31, v2
	s_cbranch_scc0 .LBB479_78
; %bb.75:
	s_and_b32 s0, s12, 0x7ffffffc
	v_lshl_add_u64 v[4:5], v[2:3], 2, s[20:21]
	v_mov_b32_e32 v1, v0
	v_lshl_add_u64 v[4:5], v[4:5], 0, 8
	s_mov_b32 s1, s0
.LBB479_76:                             ; =>This Inner Loop Header: Depth=1
	global_load_dwordx4 v[6:9], v[4:5], off offset:-8
	s_add_i32 s1, s1, -4
	s_cmp_lg_u32 s1, 0
	s_waitcnt vmcnt(0)
	v_pk_mul_f32 v[6:7], v[0:1], v[6:7]
	v_pk_mul_f32 v[8:9], v[0:1], v[8:9]
	global_store_dwordx4 v[4:5], v[6:9], off offset:-8
	v_lshl_add_u64 v[4:5], v[4:5], 0, 16
	s_cbranch_scc1 .LBB479_76
; %bb.77:
	s_cmp_lg_u32 s0, s12
	s_cselect_b64 s[2:3], -1, 0
	s_branch .LBB479_80
.LBB479_78:
	s_mov_b64 s[2:3], 0
                                        ; implicit-def: $sgpr0
	s_cbranch_execz .LBB479_80
; %bb.79:
	s_mov_b64 s[2:3], -1
	s_mov_b32 s0, 0
.LBB479_80:
	s_andn2_b64 vcc, exec, s[2:3]
	s_cbranch_vccnz .LBB479_83
; %bb.81:
	s_mov_b32 s1, 0
	v_lshl_add_u64 v[2:3], v[2:3], 0, s[0:1]
	s_sub_i32 s2, s12, s0
	v_lshl_add_u64 v[2:3], v[2:3], 2, s[20:21]
.LBB479_82:                             ; =>This Inner Loop Header: Depth=1
	global_load_dword v1, v[2:3], off
	s_add_i32 s2, s2, -1
	s_cmp_lg_u32 s2, 0
	s_waitcnt vmcnt(0)
	v_mul_f32_e32 v1, v0, v1
	global_store_dword v[2:3], v1, off
	v_lshl_add_u64 v[2:3], v[2:3], 0, 4
	s_cbranch_scc1 .LBB479_82
.LBB479_83:
	s_endpgm
	.section	.rodata,"a",@progbits
	.p2align	6, 0x0
	.amdhsa_kernel _ZN4vllm3moe22topkGatingSoftplusSqrtILi18ELi576ELi4ELi2ELi32ELb0Ej14__hip_bfloat16EEvPKT6_PKbPfiPT5_PiiiibdPKfPKS9_SF_
		.amdhsa_group_segment_fixed_size 0
		.amdhsa_private_segment_fixed_size 80
		.amdhsa_kernarg_size 96
		.amdhsa_user_sgpr_count 2
		.amdhsa_user_sgpr_dispatch_ptr 0
		.amdhsa_user_sgpr_queue_ptr 0
		.amdhsa_user_sgpr_kernarg_segment_ptr 1
		.amdhsa_user_sgpr_dispatch_id 0
		.amdhsa_user_sgpr_kernarg_preload_length 0
		.amdhsa_user_sgpr_kernarg_preload_offset 0
		.amdhsa_user_sgpr_private_segment_size 0
		.amdhsa_uses_dynamic_stack 0
		.amdhsa_enable_private_segment 1
		.amdhsa_system_sgpr_workgroup_id_x 1
		.amdhsa_system_sgpr_workgroup_id_y 0
		.amdhsa_system_sgpr_workgroup_id_z 0
		.amdhsa_system_sgpr_workgroup_info 0
		.amdhsa_system_vgpr_workitem_id 1
		.amdhsa_next_free_vgpr 49
		.amdhsa_next_free_sgpr 32
		.amdhsa_accum_offset 52
		.amdhsa_reserve_vcc 1
		.amdhsa_float_round_mode_32 0
		.amdhsa_float_round_mode_16_64 0
		.amdhsa_float_denorm_mode_32 3
		.amdhsa_float_denorm_mode_16_64 3
		.amdhsa_dx10_clamp 1
		.amdhsa_ieee_mode 1
		.amdhsa_fp16_overflow 0
		.amdhsa_tg_split 0
		.amdhsa_exception_fp_ieee_invalid_op 0
		.amdhsa_exception_fp_denorm_src 0
		.amdhsa_exception_fp_ieee_div_zero 0
		.amdhsa_exception_fp_ieee_overflow 0
		.amdhsa_exception_fp_ieee_underflow 0
		.amdhsa_exception_fp_ieee_inexact 0
		.amdhsa_exception_int_div_zero 0
	.end_amdhsa_kernel
	.section	.text._ZN4vllm3moe22topkGatingSoftplusSqrtILi18ELi576ELi4ELi2ELi32ELb0Ej14__hip_bfloat16EEvPKT6_PKbPfiPT5_PiiiibdPKfPKS9_SF_,"axG",@progbits,_ZN4vllm3moe22topkGatingSoftplusSqrtILi18ELi576ELi4ELi2ELi32ELb0Ej14__hip_bfloat16EEvPKT6_PKbPfiPT5_PiiiibdPKfPKS9_SF_,comdat
.Lfunc_end479:
	.size	_ZN4vllm3moe22topkGatingSoftplusSqrtILi18ELi576ELi4ELi2ELi32ELb0Ej14__hip_bfloat16EEvPKT6_PKbPfiPT5_PiiiibdPKfPKS9_SF_, .Lfunc_end479-_ZN4vllm3moe22topkGatingSoftplusSqrtILi18ELi576ELi4ELi2ELi32ELb0Ej14__hip_bfloat16EEvPKT6_PKbPfiPT5_PiiiibdPKfPKS9_SF_
                                        ; -- End function
	.section	.AMDGPU.csdata,"",@progbits
; Kernel info:
; codeLenInByte = 7452
; NumSgprs: 38
; NumVgprs: 49
; NumAgprs: 0
; TotalNumVgprs: 49
; ScratchSize: 80
; MemoryBound: 0
; FloatMode: 240
; IeeeMode: 1
; LDSByteSize: 0 bytes/workgroup (compile time only)
; SGPRBlocks: 4
; VGPRBlocks: 6
; NumSGPRsForWavesPerEU: 38
; NumVGPRsForWavesPerEU: 49
; AccumOffset: 52
; Occupancy: 8
; WaveLimiterHint : 0
; COMPUTE_PGM_RSRC2:SCRATCH_EN: 1
; COMPUTE_PGM_RSRC2:USER_SGPR: 2
; COMPUTE_PGM_RSRC2:TRAP_HANDLER: 0
; COMPUTE_PGM_RSRC2:TGID_X_EN: 1
; COMPUTE_PGM_RSRC2:TGID_Y_EN: 0
; COMPUTE_PGM_RSRC2:TGID_Z_EN: 0
; COMPUTE_PGM_RSRC2:TIDIG_COMP_CNT: 1
; COMPUTE_PGM_RSRC3_GFX90A:ACCUM_OFFSET: 12
; COMPUTE_PGM_RSRC3_GFX90A:TG_SPLIT: 0
	.section	.text._ZN4vllm3moe22topkGatingSoftplusSqrtILi1ELi1ELi4ELi2ELi64ELb1El14__hip_bfloat16EEvPKT6_PKbPfiPT5_PiiiibdPKfPKS9_SF_,"axG",@progbits,_ZN4vllm3moe22topkGatingSoftplusSqrtILi1ELi1ELi4ELi2ELi64ELb1El14__hip_bfloat16EEvPKT6_PKbPfiPT5_PiiiibdPKfPKS9_SF_,comdat
	.protected	_ZN4vllm3moe22topkGatingSoftplusSqrtILi1ELi1ELi4ELi2ELi64ELb1El14__hip_bfloat16EEvPKT6_PKbPfiPT5_PiiiibdPKfPKS9_SF_ ; -- Begin function _ZN4vllm3moe22topkGatingSoftplusSqrtILi1ELi1ELi4ELi2ELi64ELb1El14__hip_bfloat16EEvPKT6_PKbPfiPT5_PiiiibdPKfPKS9_SF_
	.globl	_ZN4vllm3moe22topkGatingSoftplusSqrtILi1ELi1ELi4ELi2ELi64ELb1El14__hip_bfloat16EEvPKT6_PKbPfiPT5_PiiiibdPKfPKS9_SF_
	.p2align	8
	.type	_ZN4vllm3moe22topkGatingSoftplusSqrtILi1ELi1ELi4ELi2ELi64ELb1El14__hip_bfloat16EEvPKT6_PKbPfiPT5_PiiiibdPKfPKS9_SF_,@function
_ZN4vllm3moe22topkGatingSoftplusSqrtILi1ELi1ELi4ELi2ELi64ELb1El14__hip_bfloat16EEvPKT6_PKbPfiPT5_PiiiibdPKfPKS9_SF_: ; @_ZN4vllm3moe22topkGatingSoftplusSqrtILi1ELi1ELi4ELi2ELi64ELb1El14__hip_bfloat16EEvPKT6_PKbPfiPT5_PiiiibdPKfPKS9_SF_
; %bb.0:
	s_load_dword s3, s[0:1], 0x18
	v_bfe_u32 v1, v0, 10, 10
	s_lshl_b32 s2, s2, 8
	v_lshlrev_b32_e32 v1, 6, v1
	v_and_b32_e32 v0, 0x3ff, v0
	v_add3_u32 v0, v1, v0, s2
	s_waitcnt lgkmcnt(0)
	v_cmp_gt_i32_e32 vcc, s3, v0
	s_and_saveexec_b64 s[2:3], vcc
	s_cbranch_execz .LBB480_54
; %bb.1:
	s_load_dwordx2 s[2:3], s[0:1], 0x0
	s_load_dword s8, s[0:1], 0x30
	v_ashrrev_i32_e32 v1, 31, v0
	s_load_dwordx4 s[4:7], s[0:1], 0x50
	v_mov_b32_e32 v5, 0x4f800000
	s_waitcnt lgkmcnt(0)
	v_lshl_add_u64 v[2:3], v[0:1], 1, s[2:3]
	global_load_ushort v4, v[2:3], off
	s_ashr_i32 s9, s8, 31
	v_mov_b32_e32 v2, s4
	v_mov_b32_e32 v3, s5
	v_lshl_add_u64 v[2:3], v[0:1], 3, v[2:3]
	global_load_dwordx2 v[2:3], v[2:3], off
	s_mov_b32 s5, 0x800000
	v_cmp_lt_i64_e64 s[2:3], s[8:9], 1
	s_and_b64 vcc, exec, s[2:3]
	v_mov_b32_e32 v6, 0x41b17218
	s_mov_b32 s13, 0x3f317217
	s_mov_b32 s14, 0x7f800000
	;; [unrolled: 1-line block ×4, first 2 shown]
	v_mov_b32_e32 v7, 0x260
	s_mov_b32 s12, 0
	v_mov_b32_e32 v1, 0
	v_mul_lo_u32 v0, v0, s8
	v_cmp_gt_i64_e64 s[10:11], s[8:9], 0
	s_waitcnt vmcnt(1)
	v_lshlrev_b32_e32 v4, 16, v4
	v_mul_f32_e32 v8, 0x3fb8aa3b, v4
	v_exp_f32_e32 v8, v8
	s_waitcnt vmcnt(0)
	v_mul_lo_u32 v9, v2, s9
	v_add_f32_e32 v8, 1.0, v8
	v_cmp_gt_f32_e64 s[2:3], s5, v8
	s_nop 1
	v_cndmask_b32_e64 v5, 1.0, v5, s[2:3]
	v_mul_f32_e32 v5, v8, v5
	v_log_f32_e32 v5, v5
	v_mul_lo_u32 v8, v3, s8
	v_cndmask_b32_e64 v3, 0, v6, s[2:3]
	v_mul_f32_e32 v6, 0x3f317217, v5
	v_fma_f32 v6, v5, s13, -v6
	v_fmamk_f32 v6, v5, 0x3377d1cf, v6
	v_fmac_f32_e32 v6, 0x3f317217, v5
	v_cmp_lt_f32_e64 s[2:3], |v5|, s14
	s_nop 1
	v_cndmask_b32_e64 v5, v5, v6, s[2:3]
	v_sub_f32_e32 v3, v5, v3
	v_cmp_lt_f32_e64 s[2:3], s4, v4
	s_nop 1
	v_cndmask_b32_e64 v3, v3, v4, s[2:3]
	v_mul_f32_e32 v4, 0x4f800000, v3
	v_cmp_gt_f32_e64 s[2:3], s15, v3
	s_nop 1
	v_cndmask_b32_e64 v4, v3, v4, s[2:3]
	v_sqrt_f32_e32 v5, v4
	v_mad_u64_u32 v[2:3], s[4:5], v2, s8, 0
	v_add3_u32 v3, v3, v9, v8
	v_add_u32_e32 v6, -1, v5
	v_add_u32_e32 v8, 1, v5
	v_fma_f32 v9, -v6, v5, v4
	v_fma_f32 v10, -v8, v5, v4
	v_cmp_ge_f32_e64 s[4:5], 0, v9
	s_nop 1
	v_cndmask_b32_e64 v5, v5, v6, s[4:5]
	v_cmp_lt_f32_e64 s[4:5], 0, v10
	s_nop 1
	v_cndmask_b32_e64 v5, v5, v8, s[4:5]
	v_mul_f32_e32 v6, 0x37800000, v5
	v_cndmask_b32_e64 v5, v5, v6, s[2:3]
	v_cmp_class_f32_e64 s[2:3], v4, v7
	s_nop 1
	v_cndmask_b32_e64 v12, v5, v4, s[2:3]
	s_cbranch_vccnz .LBB480_27
; %bb.2:
	s_load_dwordx2 s[2:3], s[0:1], 0x20
	s_cmp_lt_u32 s8, 8
	s_cbranch_scc1 .LBB480_21
; %bb.3:
	v_ashrrev_i32_e32 v1, 31, v0
	v_lshl_add_u64 v[4:5], v[2:3], 3, s[6:7]
	s_and_b32 s12, s8, 0x7ffffff8
	s_waitcnt lgkmcnt(0)
	v_lshl_add_u64 v[6:7], v[0:1], 3, s[2:3]
	s_mov_b32 s9, 0
	s_mov_b64 s[4:5], 0
	v_mov_b32_e32 v8, 0
	v_mov_b32_e32 v1, 0
	s_branch .LBB480_5
.LBB480_4:                              ;   in Loop: Header=BB480_5 Depth=1
	s_or_b64 exec, exec, s[14:15]
	s_add_i32 s9, s9, 8
	s_add_u32 s4, s4, 64
	s_addc_u32 s5, s5, 0
	s_cmp_eq_u32 s12, s9
	s_cbranch_scc1 .LBB480_22
.LBB480_5:                              ; =>This Inner Loop Header: Depth=1
	v_lshl_add_u64 v[10:11], v[4:5], 0, s[4:5]
	global_load_dword v9, v[10:11], off
	s_waitcnt vmcnt(0)
	v_cmp_eq_u32_e32 vcc, 0, v9
	s_and_saveexec_b64 s[14:15], vcc
	s_cbranch_execz .LBB480_7
; %bb.6:                                ;   in Loop: Header=BB480_5 Depth=1
	v_add_u32_e32 v14, s9, v0
	v_ashrrev_i32_e32 v15, 31, v14
	v_lshl_add_u64 v[14:15], v[14:15], 3, s[2:3]
	v_add_f32_e32 v1, v12, v1
	v_mov_b32_e32 v9, v8
	global_store_dwordx2 v[14:15], v[8:9], off
.LBB480_7:                              ;   in Loop: Header=BB480_5 Depth=1
	s_or_b64 exec, exec, s[14:15]
	global_load_dword v9, v[10:11], off offset:8
	s_waitcnt vmcnt(0)
	v_cmp_eq_u32_e32 vcc, 0, v9
	s_and_saveexec_b64 s[14:15], vcc
	s_cbranch_execz .LBB480_9
; %bb.8:                                ;   in Loop: Header=BB480_5 Depth=1
	v_lshl_add_u64 v[14:15], v[6:7], 0, s[4:5]
	v_add_f32_e32 v1, v12, v1
	v_mov_b32_e32 v9, v8
	global_store_dwordx2 v[14:15], v[8:9], off offset:8
.LBB480_9:                              ;   in Loop: Header=BB480_5 Depth=1
	s_or_b64 exec, exec, s[14:15]
	global_load_dword v9, v[10:11], off offset:16
	s_waitcnt vmcnt(0)
	v_cmp_eq_u32_e32 vcc, 0, v9
	s_and_saveexec_b64 s[14:15], vcc
	s_cbranch_execz .LBB480_11
; %bb.10:                               ;   in Loop: Header=BB480_5 Depth=1
	v_lshl_add_u64 v[14:15], v[6:7], 0, s[4:5]
	v_add_f32_e32 v1, v12, v1
	v_mov_b32_e32 v9, v8
	global_store_dwordx2 v[14:15], v[8:9], off offset:16
.LBB480_11:                             ;   in Loop: Header=BB480_5 Depth=1
	s_or_b64 exec, exec, s[14:15]
	global_load_dword v9, v[10:11], off offset:24
	s_waitcnt vmcnt(0)
	v_cmp_eq_u32_e32 vcc, 0, v9
	s_and_saveexec_b64 s[14:15], vcc
	s_cbranch_execz .LBB480_13
; %bb.12:                               ;   in Loop: Header=BB480_5 Depth=1
	v_lshl_add_u64 v[14:15], v[6:7], 0, s[4:5]
	v_add_f32_e32 v1, v12, v1
	v_mov_b32_e32 v9, v8
	global_store_dwordx2 v[14:15], v[8:9], off offset:24
.LBB480_13:                             ;   in Loop: Header=BB480_5 Depth=1
	;; [unrolled: 12-line block ×5, first 2 shown]
	s_or_b64 exec, exec, s[14:15]
	global_load_dword v9, v[10:11], off offset:56
	s_waitcnt vmcnt(0)
	v_cmp_eq_u32_e32 vcc, 0, v9
	s_and_saveexec_b64 s[14:15], vcc
	s_cbranch_execz .LBB480_4
; %bb.20:                               ;   in Loop: Header=BB480_5 Depth=1
	v_lshl_add_u64 v[10:11], v[6:7], 0, s[4:5]
	v_add_f32_e32 v1, v12, v1
	v_mov_b32_e32 v9, v8
	global_store_dwordx2 v[10:11], v[8:9], off offset:56
	s_branch .LBB480_4
.LBB480_21:
	v_mov_b32_e32 v1, 0
.LBB480_22:
	s_and_b32 s9, s8, 7
	s_cmp_eq_u32 s9, 0
	s_mov_b32 s13, 0
	s_cbranch_scc1 .LBB480_27
; %bb.23:
	s_lshl_b64 s[4:5], s[12:13], 3
	s_add_u32 s4, s6, s4
	s_addc_u32 s5, s7, s5
	v_add_u32_e32 v4, s12, v0
	v_lshl_add_u64 v[6:7], v[2:3], 3, s[4:5]
	v_mov_b32_e32 v8, 0
	s_branch .LBB480_25
.LBB480_24:                             ;   in Loop: Header=BB480_25 Depth=1
	s_or_b64 exec, exec, s[4:5]
	s_add_i32 s9, s9, -1
	v_add_u32_e32 v4, 1, v4
	s_cmp_lg_u32 s9, 0
	v_lshl_add_u64 v[6:7], v[6:7], 0, 8
	s_cbranch_scc0 .LBB480_27
.LBB480_25:                             ; =>This Inner Loop Header: Depth=1
	global_load_dword v5, v[6:7], off
	s_waitcnt vmcnt(0)
	v_cmp_eq_u32_e32 vcc, 0, v5
	s_and_saveexec_b64 s[4:5], vcc
	s_cbranch_execz .LBB480_24
; %bb.26:                               ;   in Loop: Header=BB480_25 Depth=1
	v_ashrrev_i32_e32 v5, 31, v4
	s_waitcnt lgkmcnt(0)
	v_lshl_add_u64 v[10:11], v[4:5], 3, s[2:3]
	v_add_f32_e32 v1, v12, v1
	v_mov_b32_e32 v9, v8
	global_store_dwordx2 v[10:11], v[8:9], off
	s_branch .LBB480_24
.LBB480_27:
	s_load_dword s4, s[0:1], 0x3c
	s_waitcnt lgkmcnt(0)
	s_load_dwordx2 s[2:3], s[0:1], 0x40
	s_bitcmp1_b32 s4, 0
	s_cselect_b64 s[4:5], -1, 0
	s_waitcnt lgkmcnt(0)
	v_cvt_f32_f64_e32 v4, s[2:3]
	s_and_b64 vcc, exec, s[4:5]
	s_cbranch_vccz .LBB480_29
; %bb.28:
	v_cmp_lt_f32_e32 vcc, 0, v1
	s_nop 1
	v_cndmask_b32_e32 v1, 1.0, v1, vcc
	v_div_scale_f32 v5, s[2:3], v1, v1, v4
	v_rcp_f32_e32 v6, v5
	s_nop 0
	v_fma_f32 v7, -v5, v6, 1.0
	v_fmac_f32_e32 v6, v7, v6
	v_div_scale_f32 v7, vcc, v4, v1, v4
	v_mul_f32_e32 v8, v7, v6
	v_fma_f32 v9, -v5, v8, v7
	v_fmac_f32_e32 v8, v9, v6
	v_fma_f32 v5, -v5, v8, v7
	v_div_fmas_f32 v5, v5, v6, v8
	v_div_fixup_f32 v4, v5, v1, v4
.LBB480_29:
	s_andn2_b64 vcc, exec, s[10:11]
	s_cbranch_vccnz .LBB480_54
; %bb.30:
	s_load_dwordx2 s[0:1], s[0:1], 0x10
	v_mul_f32_e32 v8, v12, v4
	s_cmp_lt_u32 s8, 8
	s_mov_b32 s2, 0
	s_cbranch_scc1 .LBB480_49
; %bb.31:
	v_ashrrev_i32_e32 v1, 31, v0
	s_waitcnt lgkmcnt(0)
	v_lshl_add_u64 v[4:5], v[0:1], 2, s[0:1]
	v_lshl_add_u64 v[6:7], v[2:3], 3, s[6:7]
	s_and_b32 s2, s8, 0x7ffffff8
	v_lshl_add_u64 v[4:5], v[4:5], 0, 28
	v_lshl_add_u64 v[6:7], v[6:7], 0, 56
	s_mov_b32 s3, 0
	s_branch .LBB480_33
.LBB480_32:                             ;   in Loop: Header=BB480_33 Depth=1
	s_or_b64 exec, exec, s[4:5]
	s_add_i32 s3, s3, 8
	v_lshl_add_u64 v[4:5], v[4:5], 0, 32
	s_cmp_lg_u32 s2, s3
	v_lshl_add_u64 v[6:7], v[6:7], 0, 64
	s_cbranch_scc0 .LBB480_49
.LBB480_33:                             ; =>This Inner Loop Header: Depth=1
	global_load_dword v1, v[6:7], off offset:-56
	s_waitcnt vmcnt(0)
	v_cmp_eq_u32_e32 vcc, 0, v1
	s_and_saveexec_b64 s[4:5], vcc
	s_cbranch_execz .LBB480_35
; %bb.34:                               ;   in Loop: Header=BB480_33 Depth=1
	v_add_u32_e32 v10, s3, v0
	v_ashrrev_i32_e32 v11, 31, v10
	v_lshl_add_u64 v[10:11], v[10:11], 2, s[0:1]
	global_store_dword v[10:11], v8, off
.LBB480_35:                             ;   in Loop: Header=BB480_33 Depth=1
	s_or_b64 exec, exec, s[4:5]
	global_load_dword v1, v[6:7], off offset:-48
	s_waitcnt vmcnt(0)
	v_cmp_eq_u32_e32 vcc, 0, v1
	s_and_saveexec_b64 s[4:5], vcc
	s_cbranch_execz .LBB480_37
; %bb.36:                               ;   in Loop: Header=BB480_33 Depth=1
	global_store_dword v[4:5], v8, off offset:-24
.LBB480_37:                             ;   in Loop: Header=BB480_33 Depth=1
	s_or_b64 exec, exec, s[4:5]
	global_load_dword v1, v[6:7], off offset:-40
	s_waitcnt vmcnt(0)
	v_cmp_eq_u32_e32 vcc, 0, v1
	s_and_saveexec_b64 s[4:5], vcc
	s_cbranch_execz .LBB480_39
; %bb.38:                               ;   in Loop: Header=BB480_33 Depth=1
	global_store_dword v[4:5], v8, off offset:-20
.LBB480_39:                             ;   in Loop: Header=BB480_33 Depth=1
	;; [unrolled: 9-line block ×6, first 2 shown]
	s_or_b64 exec, exec, s[4:5]
	global_load_dword v1, v[6:7], off
	s_waitcnt vmcnt(0)
	v_cmp_eq_u32_e32 vcc, 0, v1
	s_and_saveexec_b64 s[4:5], vcc
	s_cbranch_execz .LBB480_32
; %bb.48:                               ;   in Loop: Header=BB480_33 Depth=1
	global_store_dword v[4:5], v8, off
	s_branch .LBB480_32
.LBB480_49:
	s_and_b32 s4, s8, 7
	s_cmp_eq_u32 s4, 0
	s_mov_b32 s3, 0
	s_cbranch_scc1 .LBB480_54
; %bb.50:
	v_add_u32_e32 v0, s2, v0
	s_lshl_b64 s[2:3], s[2:3], 3
	s_add_u32 s2, s6, s2
	s_addc_u32 s3, s7, s3
	v_lshl_add_u64 v[2:3], v[2:3], 3, s[2:3]
	s_branch .LBB480_52
.LBB480_51:                             ;   in Loop: Header=BB480_52 Depth=1
	s_or_b64 exec, exec, s[2:3]
	s_add_i32 s4, s4, -1
	v_add_u32_e32 v0, 1, v0
	s_cmp_lg_u32 s4, 0
	v_lshl_add_u64 v[2:3], v[2:3], 0, 8
	s_cbranch_scc0 .LBB480_54
.LBB480_52:                             ; =>This Inner Loop Header: Depth=1
	global_load_dword v1, v[2:3], off
	s_waitcnt vmcnt(0)
	v_cmp_eq_u32_e32 vcc, 0, v1
	s_and_saveexec_b64 s[2:3], vcc
	s_cbranch_execz .LBB480_51
; %bb.53:                               ;   in Loop: Header=BB480_52 Depth=1
	v_ashrrev_i32_e32 v1, 31, v0
	s_waitcnt lgkmcnt(0)
	v_lshl_add_u64 v[4:5], v[0:1], 2, s[0:1]
	global_store_dword v[4:5], v8, off
	s_branch .LBB480_51
.LBB480_54:
	s_endpgm
	.section	.rodata,"a",@progbits
	.p2align	6, 0x0
	.amdhsa_kernel _ZN4vllm3moe22topkGatingSoftplusSqrtILi1ELi1ELi4ELi2ELi64ELb1El14__hip_bfloat16EEvPKT6_PKbPfiPT5_PiiiibdPKfPKS9_SF_
		.amdhsa_group_segment_fixed_size 0
		.amdhsa_private_segment_fixed_size 0
		.amdhsa_kernarg_size 96
		.amdhsa_user_sgpr_count 2
		.amdhsa_user_sgpr_dispatch_ptr 0
		.amdhsa_user_sgpr_queue_ptr 0
		.amdhsa_user_sgpr_kernarg_segment_ptr 1
		.amdhsa_user_sgpr_dispatch_id 0
		.amdhsa_user_sgpr_kernarg_preload_length 0
		.amdhsa_user_sgpr_kernarg_preload_offset 0
		.amdhsa_user_sgpr_private_segment_size 0
		.amdhsa_uses_dynamic_stack 0
		.amdhsa_enable_private_segment 0
		.amdhsa_system_sgpr_workgroup_id_x 1
		.amdhsa_system_sgpr_workgroup_id_y 0
		.amdhsa_system_sgpr_workgroup_id_z 0
		.amdhsa_system_sgpr_workgroup_info 0
		.amdhsa_system_vgpr_workitem_id 1
		.amdhsa_next_free_vgpr 16
		.amdhsa_next_free_sgpr 16
		.amdhsa_accum_offset 16
		.amdhsa_reserve_vcc 1
		.amdhsa_float_round_mode_32 0
		.amdhsa_float_round_mode_16_64 0
		.amdhsa_float_denorm_mode_32 3
		.amdhsa_float_denorm_mode_16_64 3
		.amdhsa_dx10_clamp 1
		.amdhsa_ieee_mode 1
		.amdhsa_fp16_overflow 0
		.amdhsa_tg_split 0
		.amdhsa_exception_fp_ieee_invalid_op 0
		.amdhsa_exception_fp_denorm_src 0
		.amdhsa_exception_fp_ieee_div_zero 0
		.amdhsa_exception_fp_ieee_overflow 0
		.amdhsa_exception_fp_ieee_underflow 0
		.amdhsa_exception_fp_ieee_inexact 0
		.amdhsa_exception_int_div_zero 0
	.end_amdhsa_kernel
	.section	.text._ZN4vllm3moe22topkGatingSoftplusSqrtILi1ELi1ELi4ELi2ELi64ELb1El14__hip_bfloat16EEvPKT6_PKbPfiPT5_PiiiibdPKfPKS9_SF_,"axG",@progbits,_ZN4vllm3moe22topkGatingSoftplusSqrtILi1ELi1ELi4ELi2ELi64ELb1El14__hip_bfloat16EEvPKT6_PKbPfiPT5_PiiiibdPKfPKS9_SF_,comdat
.Lfunc_end480:
	.size	_ZN4vllm3moe22topkGatingSoftplusSqrtILi1ELi1ELi4ELi2ELi64ELb1El14__hip_bfloat16EEvPKT6_PKbPfiPT5_PiiiibdPKfPKS9_SF_, .Lfunc_end480-_ZN4vllm3moe22topkGatingSoftplusSqrtILi1ELi1ELi4ELi2ELi64ELb1El14__hip_bfloat16EEvPKT6_PKbPfiPT5_PiiiibdPKfPKS9_SF_
                                        ; -- End function
	.section	.AMDGPU.csdata,"",@progbits
; Kernel info:
; codeLenInByte = 1888
; NumSgprs: 22
; NumVgprs: 16
; NumAgprs: 0
; TotalNumVgprs: 16
; ScratchSize: 0
; MemoryBound: 0
; FloatMode: 240
; IeeeMode: 1
; LDSByteSize: 0 bytes/workgroup (compile time only)
; SGPRBlocks: 2
; VGPRBlocks: 1
; NumSGPRsForWavesPerEU: 22
; NumVGPRsForWavesPerEU: 16
; AccumOffset: 16
; Occupancy: 8
; WaveLimiterHint : 1
; COMPUTE_PGM_RSRC2:SCRATCH_EN: 0
; COMPUTE_PGM_RSRC2:USER_SGPR: 2
; COMPUTE_PGM_RSRC2:TRAP_HANDLER: 0
; COMPUTE_PGM_RSRC2:TGID_X_EN: 1
; COMPUTE_PGM_RSRC2:TGID_Y_EN: 0
; COMPUTE_PGM_RSRC2:TGID_Z_EN: 0
; COMPUTE_PGM_RSRC2:TIDIG_COMP_CNT: 1
; COMPUTE_PGM_RSRC3_GFX90A:ACCUM_OFFSET: 3
; COMPUTE_PGM_RSRC3_GFX90A:TG_SPLIT: 0
	.section	.text._ZN4vllm3moe22topkGatingSoftplusSqrtILi1ELi1ELi4ELi2ELi64ELb0El14__hip_bfloat16EEvPKT6_PKbPfiPT5_PiiiibdPKfPKS9_SF_,"axG",@progbits,_ZN4vllm3moe22topkGatingSoftplusSqrtILi1ELi1ELi4ELi2ELi64ELb0El14__hip_bfloat16EEvPKT6_PKbPfiPT5_PiiiibdPKfPKS9_SF_,comdat
	.protected	_ZN4vllm3moe22topkGatingSoftplusSqrtILi1ELi1ELi4ELi2ELi64ELb0El14__hip_bfloat16EEvPKT6_PKbPfiPT5_PiiiibdPKfPKS9_SF_ ; -- Begin function _ZN4vllm3moe22topkGatingSoftplusSqrtILi1ELi1ELi4ELi2ELi64ELb0El14__hip_bfloat16EEvPKT6_PKbPfiPT5_PiiiibdPKfPKS9_SF_
	.globl	_ZN4vllm3moe22topkGatingSoftplusSqrtILi1ELi1ELi4ELi2ELi64ELb0El14__hip_bfloat16EEvPKT6_PKbPfiPT5_PiiiibdPKfPKS9_SF_
	.p2align	8
	.type	_ZN4vllm3moe22topkGatingSoftplusSqrtILi1ELi1ELi4ELi2ELi64ELb0El14__hip_bfloat16EEvPKT6_PKbPfiPT5_PiiiibdPKfPKS9_SF_,@function
_ZN4vllm3moe22topkGatingSoftplusSqrtILi1ELi1ELi4ELi2ELi64ELb0El14__hip_bfloat16EEvPKT6_PKbPfiPT5_PiiiibdPKfPKS9_SF_: ; @_ZN4vllm3moe22topkGatingSoftplusSqrtILi1ELi1ELi4ELi2ELi64ELb0El14__hip_bfloat16EEvPKT6_PKbPfiPT5_PiiiibdPKfPKS9_SF_
; %bb.0:
	s_load_dword s24, s[0:1], 0x18
	v_bfe_u32 v1, v0, 10, 10
	s_lshl_b32 s2, s2, 8
	v_lshlrev_b32_e32 v1, 6, v1
	v_and_b32_e32 v0, 0x3ff, v0
	v_add3_u32 v2, v1, v0, s2
	s_waitcnt lgkmcnt(0)
	v_cmp_gt_i32_e32 vcc, s24, v2
	s_and_saveexec_b64 s[2:3], vcc
	s_cbranch_execz .LBB481_24
; %bb.1:
	s_load_dwordx4 s[4:7], s[0:1], 0x0
	s_load_dwordx2 s[16:17], s[0:1], 0x10
	v_ashrrev_i32_e32 v3, 31, v2
	s_waitcnt lgkmcnt(0)
	s_cmp_eq_u64 s[6:7], 0
	s_cbranch_scc1 .LBB481_3
; %bb.2:
	v_lshl_add_u64 v[0:1], s[6:7], 0, v[2:3]
	global_load_ubyte v0, v[0:1], off
	s_waitcnt vmcnt(0)
	v_and_b32_e32 v0, 1, v0
	v_cmp_eq_u32_e32 vcc, 1, v0
	s_xor_b64 s[2:3], vcc, -1
	s_orn2_b64 s[18:19], s[2:3], exec
	s_branch .LBB481_4
.LBB481_3:
	s_mov_b64 s[18:19], -1
.LBB481_4:
	v_mov_b32_e32 v0, s4
	v_mov_b32_e32 v1, s5
	v_lshl_add_u64 v[0:1], v[2:3], 1, v[0:1]
	global_load_ushort v0, v[0:1], off
	s_mov_b32 s3, 0x800000
	v_mov_b32_e32 v1, 0x4f800000
	s_mov_b32 s4, 0x3f317217
	s_mov_b32 s5, 0x7f800000
	v_mov_b32_e32 v4, 0x41b17218
	s_mov_b32 s2, 0x41a00000
	s_load_dwordx4 s[8:11], s[0:1], 0x40
	s_waitcnt lgkmcnt(0)
	s_cmp_lg_u64 s[10:11], 0
	s_cselect_b64 s[22:23], -1, 0
	s_cmp_eq_u64 s[10:11], 0
	s_waitcnt vmcnt(0)
	v_lshlrev_b32_e32 v0, 16, v0
	v_mul_f32_e32 v3, 0x3fb8aa3b, v0
	v_exp_f32_e32 v3, v3
	s_nop 0
	v_add_f32_e32 v3, 1.0, v3
	v_cmp_gt_f32_e32 vcc, s3, v3
	s_mov_b32 s3, 0xf800000
	s_nop 0
	v_cndmask_b32_e32 v1, 1.0, v1, vcc
	v_mul_f32_e32 v1, v3, v1
	v_log_f32_e32 v1, v1
	v_cndmask_b32_e32 v4, 0, v4, vcc
	v_mov_b32_e32 v3, 0x260
	v_mul_f32_e32 v5, 0x3f317217, v1
	v_fma_f32 v5, v1, s4, -v5
	v_fmamk_f32 v5, v1, 0x3377d1cf, v5
	v_fmac_f32_e32 v5, 0x3f317217, v1
	v_cmp_lt_f32_e64 vcc, |v1|, s5
	s_nop 1
	v_cndmask_b32_e32 v1, v1, v5, vcc
	v_sub_f32_e32 v1, v1, v4
	v_cmp_lt_f32_e32 vcc, s2, v0
	s_nop 1
	v_cndmask_b32_e32 v0, v1, v0, vcc
	v_mul_f32_e32 v1, 0x4f800000, v0
	v_cmp_gt_f32_e32 vcc, s3, v0
	s_nop 1
	v_cndmask_b32_e32 v0, v0, v1, vcc
	v_sqrt_f32_e32 v1, v0
	s_nop 0
	v_add_u32_e32 v4, -1, v1
	v_add_u32_e32 v5, 1, v1
	v_fma_f32 v6, -v4, v1, v0
	v_fma_f32 v7, -v5, v1, v0
	v_cmp_ge_f32_e64 s[2:3], 0, v6
	s_nop 1
	v_cndmask_b32_e64 v1, v1, v4, s[2:3]
	v_cmp_lt_f32_e64 s[2:3], 0, v7
	s_nop 1
	v_cndmask_b32_e64 v1, v1, v5, s[2:3]
	v_mul_f32_e32 v4, 0x37800000, v1
	v_cndmask_b32_e32 v1, v1, v4, vcc
	v_cmp_class_f32_e32 vcc, v0, v3
	s_nop 1
	v_cndmask_b32_e32 v1, v1, v0, vcc
	s_cbranch_scc1 .LBB481_6
; %bb.5:
	s_load_dword s2, s[10:11], 0x0
	s_waitcnt lgkmcnt(0)
	v_add_f32_e32 v1, s2, v1
.LBB481_6:
	s_load_dwordx4 s[4:7], s[0:1], 0x30
	s_waitcnt lgkmcnt(0)
	s_bitcmp1_b32 s7, 0
	s_cselect_b64 s[2:3], -1, 0
	s_cmp_gt_i32 s4, 0
	s_cselect_b64 s[20:21], -1, 0
	s_cmp_lt_i32 s4, 1
	v_mul_lo_u32 v0, v2, s4
	s_cbranch_scc1 .LBB481_11
; %bb.7:
	s_cmp_lt_i32 s5, 1
	s_load_dwordx4 s[12:15], s[0:1], 0x20
	s_cselect_b64 s[0:1], -1, 0
	s_cmp_gt_i32 s6, 0
	s_cselect_b64 s[26:27], -1, 0
	s_sub_i32 s5, 0, s5
	s_and_b64 s[0:1], s[0:1], s[26:27]
	s_ashr_i32 s6, s5, 31
	v_mov_b32_e32 v3, s6
	s_and_b64 vcc, s[18:19], s[0:1]
	v_cndmask_b32_e32 v5, 0, v3, vcc
	v_mov_b32_e32 v3, s5
	v_cndmask_b32_e32 v4, 1, v3, vcc
	v_cndmask_b32_e64 v3, 0, 1, s[22:23]
	s_mov_b32 s7, 0
	v_mov_b32_e32 v6, 0
	v_cmp_ne_u32_e64 s[0:1], 1, v3
	v_mov_b32_e32 v7, 0xc61c4000
	v_mov_b32_e32 v3, 0
	s_branch .LBB481_9
.LBB481_8:                              ;   in Loop: Header=BB481_9 Depth=1
	v_add_u32_e32 v10, s7, v0
	v_ashrrev_i32_e32 v11, 31, v10
	v_lshlrev_b64 v[12:13], 2, v[10:11]
	s_add_i32 s7, s7, 1
	v_lshl_add_u64 v[14:15], s[16:17], 0, v[12:13]
	s_waitcnt lgkmcnt(0)
	v_lshl_add_u64 v[10:11], v[10:11], 3, s[12:13]
	s_cmp_ge_i32 s7, s4
	global_store_dword v[14:15], v8, off
	global_store_dwordx2 v[10:11], v[4:5], off
	v_lshl_add_u64 v[10:11], s[14:15], 0, v[12:13]
	v_add_f32_e32 v8, v3, v8
	s_cselect_b64 vcc, -1, 0
	global_store_dword v[10:11], v2, off
	v_cndmask_b32_e64 v3, v3, v8, s[2:3]
	v_cndmask_b32_e32 v1, v7, v1, vcc
	s_cmp_lg_u32 s4, s7
	v_add_u32_e32 v2, s24, v2
	s_cbranch_scc0 .LBB481_12
.LBB481_9:                              ; =>This Inner Loop Header: Depth=1
	s_and_b64 vcc, exec, s[0:1]
	v_mov_b32_e32 v8, v1
	s_cbranch_vccnz .LBB481_8
; %bb.10:                               ;   in Loop: Header=BB481_9 Depth=1
	global_load_dword v8, v6, s[10:11]
	s_waitcnt vmcnt(0)
	v_sub_f32_e32 v8, v1, v8
	s_branch .LBB481_8
.LBB481_11:
	v_mov_b32_e32 v3, 0
.LBB481_12:
	s_andn2_b64 vcc, exec, s[2:3]
	v_cvt_f32_f64_e32 v2, s[8:9]
	s_cbranch_vccnz .LBB481_14
; %bb.13:
	v_cmp_lt_f32_e32 vcc, 0, v3
	s_nop 1
	v_cndmask_b32_e32 v1, 1.0, v3, vcc
	v_div_scale_f32 v3, s[0:1], v1, v1, v2
	v_rcp_f32_e32 v4, v3
	s_nop 0
	v_fma_f32 v5, -v3, v4, 1.0
	v_fmac_f32_e32 v4, v5, v4
	v_div_scale_f32 v5, vcc, v2, v1, v2
	v_mul_f32_e32 v6, v5, v4
	v_fma_f32 v7, -v3, v6, v5
	v_fmac_f32_e32 v6, v7, v4
	v_fma_f32 v3, -v3, v6, v5
	v_div_fmas_f32 v3, v3, v4, v6
	v_div_fixup_f32 v2, v3, v1, v2
.LBB481_14:
	s_andn2_b64 vcc, exec, s[20:21]
	s_cbranch_vccnz .LBB481_24
; %bb.15:
	s_cmp_gt_u32 s4, 3
	v_ashrrev_i32_e32 v1, 31, v0
	s_cbranch_scc0 .LBB481_19
; %bb.16:
	s_and_b32 s0, s4, 0x7ffffffc
	v_lshl_add_u64 v[4:5], v[0:1], 2, s[16:17]
	v_mov_b32_e32 v3, v2
	v_lshl_add_u64 v[4:5], v[4:5], 0, 8
	s_mov_b32 s1, s0
.LBB481_17:                             ; =>This Inner Loop Header: Depth=1
	global_load_dwordx4 v[6:9], v[4:5], off offset:-8
	s_add_i32 s1, s1, -4
	s_cmp_lg_u32 s1, 0
	s_waitcnt vmcnt(0)
	v_pk_mul_f32 v[6:7], v[2:3], v[6:7]
	v_pk_mul_f32 v[8:9], v[2:3], v[8:9]
	global_store_dwordx4 v[4:5], v[6:9], off offset:-8
	v_lshl_add_u64 v[4:5], v[4:5], 0, 16
	s_cbranch_scc1 .LBB481_17
; %bb.18:
	s_cmp_lg_u32 s0, s4
	s_cselect_b64 s[2:3], -1, 0
	s_branch .LBB481_21
.LBB481_19:
	s_mov_b64 s[2:3], 0
                                        ; implicit-def: $sgpr0
	s_cbranch_execz .LBB481_21
; %bb.20:
	s_mov_b64 s[2:3], -1
	s_mov_b32 s0, 0
.LBB481_21:
	s_andn2_b64 vcc, exec, s[2:3]
	s_cbranch_vccnz .LBB481_24
; %bb.22:
	s_mov_b32 s1, 0
	v_lshl_add_u64 v[0:1], v[0:1], 0, s[0:1]
	s_sub_i32 s2, s4, s0
	v_lshl_add_u64 v[0:1], v[0:1], 2, s[16:17]
.LBB481_23:                             ; =>This Inner Loop Header: Depth=1
	global_load_dword v3, v[0:1], off
	s_add_i32 s2, s2, -1
	s_cmp_lg_u32 s2, 0
	s_waitcnt vmcnt(0)
	v_mul_f32_e32 v3, v2, v3
	global_store_dword v[0:1], v3, off
	v_lshl_add_u64 v[0:1], v[0:1], 0, 4
	s_cbranch_scc1 .LBB481_23
.LBB481_24:
	s_endpgm
	.section	.rodata,"a",@progbits
	.p2align	6, 0x0
	.amdhsa_kernel _ZN4vllm3moe22topkGatingSoftplusSqrtILi1ELi1ELi4ELi2ELi64ELb0El14__hip_bfloat16EEvPKT6_PKbPfiPT5_PiiiibdPKfPKS9_SF_
		.amdhsa_group_segment_fixed_size 0
		.amdhsa_private_segment_fixed_size 0
		.amdhsa_kernarg_size 96
		.amdhsa_user_sgpr_count 2
		.amdhsa_user_sgpr_dispatch_ptr 0
		.amdhsa_user_sgpr_queue_ptr 0
		.amdhsa_user_sgpr_kernarg_segment_ptr 1
		.amdhsa_user_sgpr_dispatch_id 0
		.amdhsa_user_sgpr_kernarg_preload_length 0
		.amdhsa_user_sgpr_kernarg_preload_offset 0
		.amdhsa_user_sgpr_private_segment_size 0
		.amdhsa_uses_dynamic_stack 0
		.amdhsa_enable_private_segment 0
		.amdhsa_system_sgpr_workgroup_id_x 1
		.amdhsa_system_sgpr_workgroup_id_y 0
		.amdhsa_system_sgpr_workgroup_id_z 0
		.amdhsa_system_sgpr_workgroup_info 0
		.amdhsa_system_vgpr_workitem_id 1
		.amdhsa_next_free_vgpr 16
		.amdhsa_next_free_sgpr 28
		.amdhsa_accum_offset 16
		.amdhsa_reserve_vcc 1
		.amdhsa_float_round_mode_32 0
		.amdhsa_float_round_mode_16_64 0
		.amdhsa_float_denorm_mode_32 3
		.amdhsa_float_denorm_mode_16_64 3
		.amdhsa_dx10_clamp 1
		.amdhsa_ieee_mode 1
		.amdhsa_fp16_overflow 0
		.amdhsa_tg_split 0
		.amdhsa_exception_fp_ieee_invalid_op 0
		.amdhsa_exception_fp_denorm_src 0
		.amdhsa_exception_fp_ieee_div_zero 0
		.amdhsa_exception_fp_ieee_overflow 0
		.amdhsa_exception_fp_ieee_underflow 0
		.amdhsa_exception_fp_ieee_inexact 0
		.amdhsa_exception_int_div_zero 0
	.end_amdhsa_kernel
	.section	.text._ZN4vllm3moe22topkGatingSoftplusSqrtILi1ELi1ELi4ELi2ELi64ELb0El14__hip_bfloat16EEvPKT6_PKbPfiPT5_PiiiibdPKfPKS9_SF_,"axG",@progbits,_ZN4vllm3moe22topkGatingSoftplusSqrtILi1ELi1ELi4ELi2ELi64ELb0El14__hip_bfloat16EEvPKT6_PKbPfiPT5_PiiiibdPKfPKS9_SF_,comdat
.Lfunc_end481:
	.size	_ZN4vllm3moe22topkGatingSoftplusSqrtILi1ELi1ELi4ELi2ELi64ELb0El14__hip_bfloat16EEvPKT6_PKbPfiPT5_PiiiibdPKfPKS9_SF_, .Lfunc_end481-_ZN4vllm3moe22topkGatingSoftplusSqrtILi1ELi1ELi4ELi2ELi64ELb0El14__hip_bfloat16EEvPKT6_PKbPfiPT5_PiiiibdPKfPKS9_SF_
                                        ; -- End function
	.section	.AMDGPU.csdata,"",@progbits
; Kernel info:
; codeLenInByte = 1096
; NumSgprs: 34
; NumVgprs: 16
; NumAgprs: 0
; TotalNumVgprs: 16
; ScratchSize: 0
; MemoryBound: 0
; FloatMode: 240
; IeeeMode: 1
; LDSByteSize: 0 bytes/workgroup (compile time only)
; SGPRBlocks: 4
; VGPRBlocks: 1
; NumSGPRsForWavesPerEU: 34
; NumVGPRsForWavesPerEU: 16
; AccumOffset: 16
; Occupancy: 8
; WaveLimiterHint : 0
; COMPUTE_PGM_RSRC2:SCRATCH_EN: 0
; COMPUTE_PGM_RSRC2:USER_SGPR: 2
; COMPUTE_PGM_RSRC2:TRAP_HANDLER: 0
; COMPUTE_PGM_RSRC2:TGID_X_EN: 1
; COMPUTE_PGM_RSRC2:TGID_Y_EN: 0
; COMPUTE_PGM_RSRC2:TGID_Z_EN: 0
; COMPUTE_PGM_RSRC2:TIDIG_COMP_CNT: 1
; COMPUTE_PGM_RSRC3_GFX90A:ACCUM_OFFSET: 3
; COMPUTE_PGM_RSRC3_GFX90A:TG_SPLIT: 0
	.section	.text._ZN4vllm3moe22topkGatingSoftplusSqrtILi1ELi1ELi4ELi2ELi32ELb1El14__hip_bfloat16EEvPKT6_PKbPfiPT5_PiiiibdPKfPKS9_SF_,"axG",@progbits,_ZN4vllm3moe22topkGatingSoftplusSqrtILi1ELi1ELi4ELi2ELi32ELb1El14__hip_bfloat16EEvPKT6_PKbPfiPT5_PiiiibdPKfPKS9_SF_,comdat
	.protected	_ZN4vllm3moe22topkGatingSoftplusSqrtILi1ELi1ELi4ELi2ELi32ELb1El14__hip_bfloat16EEvPKT6_PKbPfiPT5_PiiiibdPKfPKS9_SF_ ; -- Begin function _ZN4vllm3moe22topkGatingSoftplusSqrtILi1ELi1ELi4ELi2ELi32ELb1El14__hip_bfloat16EEvPKT6_PKbPfiPT5_PiiiibdPKfPKS9_SF_
	.globl	_ZN4vllm3moe22topkGatingSoftplusSqrtILi1ELi1ELi4ELi2ELi32ELb1El14__hip_bfloat16EEvPKT6_PKbPfiPT5_PiiiibdPKfPKS9_SF_
	.p2align	8
	.type	_ZN4vllm3moe22topkGatingSoftplusSqrtILi1ELi1ELi4ELi2ELi32ELb1El14__hip_bfloat16EEvPKT6_PKbPfiPT5_PiiiibdPKfPKS9_SF_,@function
_ZN4vllm3moe22topkGatingSoftplusSqrtILi1ELi1ELi4ELi2ELi32ELb1El14__hip_bfloat16EEvPKT6_PKbPfiPT5_PiiiibdPKfPKS9_SF_: ; @_ZN4vllm3moe22topkGatingSoftplusSqrtILi1ELi1ELi4ELi2ELi32ELb1El14__hip_bfloat16EEvPKT6_PKbPfiPT5_PiiiibdPKfPKS9_SF_
; %bb.0:
	s_load_dword s3, s[0:1], 0x18
	v_bfe_u32 v1, v0, 10, 10
	s_lshl_b32 s2, s2, 7
	v_lshlrev_b32_e32 v1, 5, v1
	v_and_b32_e32 v0, 0x3ff, v0
	v_add3_u32 v0, v1, v0, s2
	s_waitcnt lgkmcnt(0)
	v_cmp_gt_i32_e32 vcc, s3, v0
	s_and_saveexec_b64 s[2:3], vcc
	s_cbranch_execz .LBB482_54
; %bb.1:
	s_load_dwordx2 s[2:3], s[0:1], 0x0
	s_load_dword s8, s[0:1], 0x30
	v_ashrrev_i32_e32 v1, 31, v0
	s_load_dwordx4 s[4:7], s[0:1], 0x50
	v_mov_b32_e32 v5, 0x4f800000
	s_waitcnt lgkmcnt(0)
	v_lshl_add_u64 v[2:3], v[0:1], 1, s[2:3]
	global_load_ushort v4, v[2:3], off
	s_ashr_i32 s9, s8, 31
	v_mov_b32_e32 v2, s4
	v_mov_b32_e32 v3, s5
	v_lshl_add_u64 v[2:3], v[0:1], 3, v[2:3]
	global_load_dwordx2 v[2:3], v[2:3], off
	s_mov_b32 s5, 0x800000
	v_cmp_lt_i64_e64 s[2:3], s[8:9], 1
	s_and_b64 vcc, exec, s[2:3]
	v_mov_b32_e32 v6, 0x41b17218
	s_mov_b32 s13, 0x3f317217
	s_mov_b32 s14, 0x7f800000
	s_mov_b32 s4, 0x41a00000
	s_mov_b32 s15, 0xf800000
	v_mov_b32_e32 v7, 0x260
	s_mov_b32 s12, 0
	v_mov_b32_e32 v1, 0
	v_mul_lo_u32 v0, v0, s8
	v_cmp_gt_i64_e64 s[10:11], s[8:9], 0
	s_waitcnt vmcnt(1)
	v_lshlrev_b32_e32 v4, 16, v4
	v_mul_f32_e32 v8, 0x3fb8aa3b, v4
	v_exp_f32_e32 v8, v8
	s_waitcnt vmcnt(0)
	v_mul_lo_u32 v9, v2, s9
	v_add_f32_e32 v8, 1.0, v8
	v_cmp_gt_f32_e64 s[2:3], s5, v8
	s_nop 1
	v_cndmask_b32_e64 v5, 1.0, v5, s[2:3]
	v_mul_f32_e32 v5, v8, v5
	v_log_f32_e32 v5, v5
	v_mul_lo_u32 v8, v3, s8
	v_cndmask_b32_e64 v3, 0, v6, s[2:3]
	v_mul_f32_e32 v6, 0x3f317217, v5
	v_fma_f32 v6, v5, s13, -v6
	v_fmamk_f32 v6, v5, 0x3377d1cf, v6
	v_fmac_f32_e32 v6, 0x3f317217, v5
	v_cmp_lt_f32_e64 s[2:3], |v5|, s14
	s_nop 1
	v_cndmask_b32_e64 v5, v5, v6, s[2:3]
	v_sub_f32_e32 v3, v5, v3
	v_cmp_lt_f32_e64 s[2:3], s4, v4
	s_nop 1
	v_cndmask_b32_e64 v3, v3, v4, s[2:3]
	v_mul_f32_e32 v4, 0x4f800000, v3
	v_cmp_gt_f32_e64 s[2:3], s15, v3
	s_nop 1
	v_cndmask_b32_e64 v4, v3, v4, s[2:3]
	v_sqrt_f32_e32 v5, v4
	v_mad_u64_u32 v[2:3], s[4:5], v2, s8, 0
	v_add3_u32 v3, v3, v9, v8
	v_add_u32_e32 v6, -1, v5
	v_add_u32_e32 v8, 1, v5
	v_fma_f32 v9, -v6, v5, v4
	v_fma_f32 v10, -v8, v5, v4
	v_cmp_ge_f32_e64 s[4:5], 0, v9
	s_nop 1
	v_cndmask_b32_e64 v5, v5, v6, s[4:5]
	v_cmp_lt_f32_e64 s[4:5], 0, v10
	s_nop 1
	v_cndmask_b32_e64 v5, v5, v8, s[4:5]
	v_mul_f32_e32 v6, 0x37800000, v5
	v_cndmask_b32_e64 v5, v5, v6, s[2:3]
	v_cmp_class_f32_e64 s[2:3], v4, v7
	s_nop 1
	v_cndmask_b32_e64 v12, v5, v4, s[2:3]
	s_cbranch_vccnz .LBB482_27
; %bb.2:
	s_load_dwordx2 s[2:3], s[0:1], 0x20
	s_cmp_lt_u32 s8, 8
	s_cbranch_scc1 .LBB482_21
; %bb.3:
	v_ashrrev_i32_e32 v1, 31, v0
	v_lshl_add_u64 v[4:5], v[2:3], 3, s[6:7]
	s_and_b32 s12, s8, 0x7ffffff8
	s_waitcnt lgkmcnt(0)
	v_lshl_add_u64 v[6:7], v[0:1], 3, s[2:3]
	s_mov_b32 s9, 0
	s_mov_b64 s[4:5], 0
	v_mov_b32_e32 v8, 0
	v_mov_b32_e32 v1, 0
	s_branch .LBB482_5
.LBB482_4:                              ;   in Loop: Header=BB482_5 Depth=1
	s_or_b64 exec, exec, s[14:15]
	s_add_i32 s9, s9, 8
	s_add_u32 s4, s4, 64
	s_addc_u32 s5, s5, 0
	s_cmp_eq_u32 s12, s9
	s_cbranch_scc1 .LBB482_22
.LBB482_5:                              ; =>This Inner Loop Header: Depth=1
	v_lshl_add_u64 v[10:11], v[4:5], 0, s[4:5]
	global_load_dword v9, v[10:11], off
	s_waitcnt vmcnt(0)
	v_cmp_eq_u32_e32 vcc, 0, v9
	s_and_saveexec_b64 s[14:15], vcc
	s_cbranch_execz .LBB482_7
; %bb.6:                                ;   in Loop: Header=BB482_5 Depth=1
	v_add_u32_e32 v14, s9, v0
	v_ashrrev_i32_e32 v15, 31, v14
	v_lshl_add_u64 v[14:15], v[14:15], 3, s[2:3]
	v_add_f32_e32 v1, v12, v1
	v_mov_b32_e32 v9, v8
	global_store_dwordx2 v[14:15], v[8:9], off
.LBB482_7:                              ;   in Loop: Header=BB482_5 Depth=1
	s_or_b64 exec, exec, s[14:15]
	global_load_dword v9, v[10:11], off offset:8
	s_waitcnt vmcnt(0)
	v_cmp_eq_u32_e32 vcc, 0, v9
	s_and_saveexec_b64 s[14:15], vcc
	s_cbranch_execz .LBB482_9
; %bb.8:                                ;   in Loop: Header=BB482_5 Depth=1
	v_lshl_add_u64 v[14:15], v[6:7], 0, s[4:5]
	v_add_f32_e32 v1, v12, v1
	v_mov_b32_e32 v9, v8
	global_store_dwordx2 v[14:15], v[8:9], off offset:8
.LBB482_9:                              ;   in Loop: Header=BB482_5 Depth=1
	s_or_b64 exec, exec, s[14:15]
	global_load_dword v9, v[10:11], off offset:16
	s_waitcnt vmcnt(0)
	v_cmp_eq_u32_e32 vcc, 0, v9
	s_and_saveexec_b64 s[14:15], vcc
	s_cbranch_execz .LBB482_11
; %bb.10:                               ;   in Loop: Header=BB482_5 Depth=1
	v_lshl_add_u64 v[14:15], v[6:7], 0, s[4:5]
	v_add_f32_e32 v1, v12, v1
	v_mov_b32_e32 v9, v8
	global_store_dwordx2 v[14:15], v[8:9], off offset:16
.LBB482_11:                             ;   in Loop: Header=BB482_5 Depth=1
	s_or_b64 exec, exec, s[14:15]
	global_load_dword v9, v[10:11], off offset:24
	s_waitcnt vmcnt(0)
	v_cmp_eq_u32_e32 vcc, 0, v9
	s_and_saveexec_b64 s[14:15], vcc
	s_cbranch_execz .LBB482_13
; %bb.12:                               ;   in Loop: Header=BB482_5 Depth=1
	v_lshl_add_u64 v[14:15], v[6:7], 0, s[4:5]
	v_add_f32_e32 v1, v12, v1
	v_mov_b32_e32 v9, v8
	global_store_dwordx2 v[14:15], v[8:9], off offset:24
.LBB482_13:                             ;   in Loop: Header=BB482_5 Depth=1
	;; [unrolled: 12-line block ×5, first 2 shown]
	s_or_b64 exec, exec, s[14:15]
	global_load_dword v9, v[10:11], off offset:56
	s_waitcnt vmcnt(0)
	v_cmp_eq_u32_e32 vcc, 0, v9
	s_and_saveexec_b64 s[14:15], vcc
	s_cbranch_execz .LBB482_4
; %bb.20:                               ;   in Loop: Header=BB482_5 Depth=1
	v_lshl_add_u64 v[10:11], v[6:7], 0, s[4:5]
	v_add_f32_e32 v1, v12, v1
	v_mov_b32_e32 v9, v8
	global_store_dwordx2 v[10:11], v[8:9], off offset:56
	s_branch .LBB482_4
.LBB482_21:
	v_mov_b32_e32 v1, 0
.LBB482_22:
	s_and_b32 s9, s8, 7
	s_cmp_eq_u32 s9, 0
	s_mov_b32 s13, 0
	s_cbranch_scc1 .LBB482_27
; %bb.23:
	s_lshl_b64 s[4:5], s[12:13], 3
	s_add_u32 s4, s6, s4
	s_addc_u32 s5, s7, s5
	v_add_u32_e32 v4, s12, v0
	v_lshl_add_u64 v[6:7], v[2:3], 3, s[4:5]
	v_mov_b32_e32 v8, 0
	s_branch .LBB482_25
.LBB482_24:                             ;   in Loop: Header=BB482_25 Depth=1
	s_or_b64 exec, exec, s[4:5]
	s_add_i32 s9, s9, -1
	v_add_u32_e32 v4, 1, v4
	s_cmp_lg_u32 s9, 0
	v_lshl_add_u64 v[6:7], v[6:7], 0, 8
	s_cbranch_scc0 .LBB482_27
.LBB482_25:                             ; =>This Inner Loop Header: Depth=1
	global_load_dword v5, v[6:7], off
	s_waitcnt vmcnt(0)
	v_cmp_eq_u32_e32 vcc, 0, v5
	s_and_saveexec_b64 s[4:5], vcc
	s_cbranch_execz .LBB482_24
; %bb.26:                               ;   in Loop: Header=BB482_25 Depth=1
	v_ashrrev_i32_e32 v5, 31, v4
	s_waitcnt lgkmcnt(0)
	v_lshl_add_u64 v[10:11], v[4:5], 3, s[2:3]
	v_add_f32_e32 v1, v12, v1
	v_mov_b32_e32 v9, v8
	global_store_dwordx2 v[10:11], v[8:9], off
	s_branch .LBB482_24
.LBB482_27:
	s_load_dword s4, s[0:1], 0x3c
	s_waitcnt lgkmcnt(0)
	s_load_dwordx2 s[2:3], s[0:1], 0x40
	s_bitcmp1_b32 s4, 0
	s_cselect_b64 s[4:5], -1, 0
	s_waitcnt lgkmcnt(0)
	v_cvt_f32_f64_e32 v4, s[2:3]
	s_and_b64 vcc, exec, s[4:5]
	s_cbranch_vccz .LBB482_29
; %bb.28:
	v_cmp_lt_f32_e32 vcc, 0, v1
	s_nop 1
	v_cndmask_b32_e32 v1, 1.0, v1, vcc
	v_div_scale_f32 v5, s[2:3], v1, v1, v4
	v_rcp_f32_e32 v6, v5
	s_nop 0
	v_fma_f32 v7, -v5, v6, 1.0
	v_fmac_f32_e32 v6, v7, v6
	v_div_scale_f32 v7, vcc, v4, v1, v4
	v_mul_f32_e32 v8, v7, v6
	v_fma_f32 v9, -v5, v8, v7
	v_fmac_f32_e32 v8, v9, v6
	v_fma_f32 v5, -v5, v8, v7
	v_div_fmas_f32 v5, v5, v6, v8
	v_div_fixup_f32 v4, v5, v1, v4
.LBB482_29:
	s_andn2_b64 vcc, exec, s[10:11]
	s_cbranch_vccnz .LBB482_54
; %bb.30:
	s_load_dwordx2 s[0:1], s[0:1], 0x10
	v_mul_f32_e32 v8, v12, v4
	s_cmp_lt_u32 s8, 8
	s_mov_b32 s2, 0
	s_cbranch_scc1 .LBB482_49
; %bb.31:
	v_ashrrev_i32_e32 v1, 31, v0
	s_waitcnt lgkmcnt(0)
	v_lshl_add_u64 v[4:5], v[0:1], 2, s[0:1]
	v_lshl_add_u64 v[6:7], v[2:3], 3, s[6:7]
	s_and_b32 s2, s8, 0x7ffffff8
	v_lshl_add_u64 v[4:5], v[4:5], 0, 28
	v_lshl_add_u64 v[6:7], v[6:7], 0, 56
	s_mov_b32 s3, 0
	s_branch .LBB482_33
.LBB482_32:                             ;   in Loop: Header=BB482_33 Depth=1
	s_or_b64 exec, exec, s[4:5]
	s_add_i32 s3, s3, 8
	v_lshl_add_u64 v[4:5], v[4:5], 0, 32
	s_cmp_lg_u32 s2, s3
	v_lshl_add_u64 v[6:7], v[6:7], 0, 64
	s_cbranch_scc0 .LBB482_49
.LBB482_33:                             ; =>This Inner Loop Header: Depth=1
	global_load_dword v1, v[6:7], off offset:-56
	s_waitcnt vmcnt(0)
	v_cmp_eq_u32_e32 vcc, 0, v1
	s_and_saveexec_b64 s[4:5], vcc
	s_cbranch_execz .LBB482_35
; %bb.34:                               ;   in Loop: Header=BB482_33 Depth=1
	v_add_u32_e32 v10, s3, v0
	v_ashrrev_i32_e32 v11, 31, v10
	v_lshl_add_u64 v[10:11], v[10:11], 2, s[0:1]
	global_store_dword v[10:11], v8, off
.LBB482_35:                             ;   in Loop: Header=BB482_33 Depth=1
	s_or_b64 exec, exec, s[4:5]
	global_load_dword v1, v[6:7], off offset:-48
	s_waitcnt vmcnt(0)
	v_cmp_eq_u32_e32 vcc, 0, v1
	s_and_saveexec_b64 s[4:5], vcc
	s_cbranch_execz .LBB482_37
; %bb.36:                               ;   in Loop: Header=BB482_33 Depth=1
	global_store_dword v[4:5], v8, off offset:-24
.LBB482_37:                             ;   in Loop: Header=BB482_33 Depth=1
	s_or_b64 exec, exec, s[4:5]
	global_load_dword v1, v[6:7], off offset:-40
	s_waitcnt vmcnt(0)
	v_cmp_eq_u32_e32 vcc, 0, v1
	s_and_saveexec_b64 s[4:5], vcc
	s_cbranch_execz .LBB482_39
; %bb.38:                               ;   in Loop: Header=BB482_33 Depth=1
	global_store_dword v[4:5], v8, off offset:-20
.LBB482_39:                             ;   in Loop: Header=BB482_33 Depth=1
	;; [unrolled: 9-line block ×6, first 2 shown]
	s_or_b64 exec, exec, s[4:5]
	global_load_dword v1, v[6:7], off
	s_waitcnt vmcnt(0)
	v_cmp_eq_u32_e32 vcc, 0, v1
	s_and_saveexec_b64 s[4:5], vcc
	s_cbranch_execz .LBB482_32
; %bb.48:                               ;   in Loop: Header=BB482_33 Depth=1
	global_store_dword v[4:5], v8, off
	s_branch .LBB482_32
.LBB482_49:
	s_and_b32 s4, s8, 7
	s_cmp_eq_u32 s4, 0
	s_mov_b32 s3, 0
	s_cbranch_scc1 .LBB482_54
; %bb.50:
	v_add_u32_e32 v0, s2, v0
	s_lshl_b64 s[2:3], s[2:3], 3
	s_add_u32 s2, s6, s2
	s_addc_u32 s3, s7, s3
	v_lshl_add_u64 v[2:3], v[2:3], 3, s[2:3]
	s_branch .LBB482_52
.LBB482_51:                             ;   in Loop: Header=BB482_52 Depth=1
	s_or_b64 exec, exec, s[2:3]
	s_add_i32 s4, s4, -1
	v_add_u32_e32 v0, 1, v0
	s_cmp_lg_u32 s4, 0
	v_lshl_add_u64 v[2:3], v[2:3], 0, 8
	s_cbranch_scc0 .LBB482_54
.LBB482_52:                             ; =>This Inner Loop Header: Depth=1
	global_load_dword v1, v[2:3], off
	s_waitcnt vmcnt(0)
	v_cmp_eq_u32_e32 vcc, 0, v1
	s_and_saveexec_b64 s[2:3], vcc
	s_cbranch_execz .LBB482_51
; %bb.53:                               ;   in Loop: Header=BB482_52 Depth=1
	v_ashrrev_i32_e32 v1, 31, v0
	s_waitcnt lgkmcnt(0)
	v_lshl_add_u64 v[4:5], v[0:1], 2, s[0:1]
	global_store_dword v[4:5], v8, off
	s_branch .LBB482_51
.LBB482_54:
	s_endpgm
	.section	.rodata,"a",@progbits
	.p2align	6, 0x0
	.amdhsa_kernel _ZN4vllm3moe22topkGatingSoftplusSqrtILi1ELi1ELi4ELi2ELi32ELb1El14__hip_bfloat16EEvPKT6_PKbPfiPT5_PiiiibdPKfPKS9_SF_
		.amdhsa_group_segment_fixed_size 0
		.amdhsa_private_segment_fixed_size 0
		.amdhsa_kernarg_size 96
		.amdhsa_user_sgpr_count 2
		.amdhsa_user_sgpr_dispatch_ptr 0
		.amdhsa_user_sgpr_queue_ptr 0
		.amdhsa_user_sgpr_kernarg_segment_ptr 1
		.amdhsa_user_sgpr_dispatch_id 0
		.amdhsa_user_sgpr_kernarg_preload_length 0
		.amdhsa_user_sgpr_kernarg_preload_offset 0
		.amdhsa_user_sgpr_private_segment_size 0
		.amdhsa_uses_dynamic_stack 0
		.amdhsa_enable_private_segment 0
		.amdhsa_system_sgpr_workgroup_id_x 1
		.amdhsa_system_sgpr_workgroup_id_y 0
		.amdhsa_system_sgpr_workgroup_id_z 0
		.amdhsa_system_sgpr_workgroup_info 0
		.amdhsa_system_vgpr_workitem_id 1
		.amdhsa_next_free_vgpr 16
		.amdhsa_next_free_sgpr 16
		.amdhsa_accum_offset 16
		.amdhsa_reserve_vcc 1
		.amdhsa_float_round_mode_32 0
		.amdhsa_float_round_mode_16_64 0
		.amdhsa_float_denorm_mode_32 3
		.amdhsa_float_denorm_mode_16_64 3
		.amdhsa_dx10_clamp 1
		.amdhsa_ieee_mode 1
		.amdhsa_fp16_overflow 0
		.amdhsa_tg_split 0
		.amdhsa_exception_fp_ieee_invalid_op 0
		.amdhsa_exception_fp_denorm_src 0
		.amdhsa_exception_fp_ieee_div_zero 0
		.amdhsa_exception_fp_ieee_overflow 0
		.amdhsa_exception_fp_ieee_underflow 0
		.amdhsa_exception_fp_ieee_inexact 0
		.amdhsa_exception_int_div_zero 0
	.end_amdhsa_kernel
	.section	.text._ZN4vllm3moe22topkGatingSoftplusSqrtILi1ELi1ELi4ELi2ELi32ELb1El14__hip_bfloat16EEvPKT6_PKbPfiPT5_PiiiibdPKfPKS9_SF_,"axG",@progbits,_ZN4vllm3moe22topkGatingSoftplusSqrtILi1ELi1ELi4ELi2ELi32ELb1El14__hip_bfloat16EEvPKT6_PKbPfiPT5_PiiiibdPKfPKS9_SF_,comdat
.Lfunc_end482:
	.size	_ZN4vllm3moe22topkGatingSoftplusSqrtILi1ELi1ELi4ELi2ELi32ELb1El14__hip_bfloat16EEvPKT6_PKbPfiPT5_PiiiibdPKfPKS9_SF_, .Lfunc_end482-_ZN4vllm3moe22topkGatingSoftplusSqrtILi1ELi1ELi4ELi2ELi32ELb1El14__hip_bfloat16EEvPKT6_PKbPfiPT5_PiiiibdPKfPKS9_SF_
                                        ; -- End function
	.section	.AMDGPU.csdata,"",@progbits
; Kernel info:
; codeLenInByte = 1888
; NumSgprs: 22
; NumVgprs: 16
; NumAgprs: 0
; TotalNumVgprs: 16
; ScratchSize: 0
; MemoryBound: 0
; FloatMode: 240
; IeeeMode: 1
; LDSByteSize: 0 bytes/workgroup (compile time only)
; SGPRBlocks: 2
; VGPRBlocks: 1
; NumSGPRsForWavesPerEU: 22
; NumVGPRsForWavesPerEU: 16
; AccumOffset: 16
; Occupancy: 8
; WaveLimiterHint : 1
; COMPUTE_PGM_RSRC2:SCRATCH_EN: 0
; COMPUTE_PGM_RSRC2:USER_SGPR: 2
; COMPUTE_PGM_RSRC2:TRAP_HANDLER: 0
; COMPUTE_PGM_RSRC2:TGID_X_EN: 1
; COMPUTE_PGM_RSRC2:TGID_Y_EN: 0
; COMPUTE_PGM_RSRC2:TGID_Z_EN: 0
; COMPUTE_PGM_RSRC2:TIDIG_COMP_CNT: 1
; COMPUTE_PGM_RSRC3_GFX90A:ACCUM_OFFSET: 3
; COMPUTE_PGM_RSRC3_GFX90A:TG_SPLIT: 0
	.section	.text._ZN4vllm3moe22topkGatingSoftplusSqrtILi1ELi1ELi4ELi2ELi32ELb0El14__hip_bfloat16EEvPKT6_PKbPfiPT5_PiiiibdPKfPKS9_SF_,"axG",@progbits,_ZN4vllm3moe22topkGatingSoftplusSqrtILi1ELi1ELi4ELi2ELi32ELb0El14__hip_bfloat16EEvPKT6_PKbPfiPT5_PiiiibdPKfPKS9_SF_,comdat
	.protected	_ZN4vllm3moe22topkGatingSoftplusSqrtILi1ELi1ELi4ELi2ELi32ELb0El14__hip_bfloat16EEvPKT6_PKbPfiPT5_PiiiibdPKfPKS9_SF_ ; -- Begin function _ZN4vllm3moe22topkGatingSoftplusSqrtILi1ELi1ELi4ELi2ELi32ELb0El14__hip_bfloat16EEvPKT6_PKbPfiPT5_PiiiibdPKfPKS9_SF_
	.globl	_ZN4vllm3moe22topkGatingSoftplusSqrtILi1ELi1ELi4ELi2ELi32ELb0El14__hip_bfloat16EEvPKT6_PKbPfiPT5_PiiiibdPKfPKS9_SF_
	.p2align	8
	.type	_ZN4vllm3moe22topkGatingSoftplusSqrtILi1ELi1ELi4ELi2ELi32ELb0El14__hip_bfloat16EEvPKT6_PKbPfiPT5_PiiiibdPKfPKS9_SF_,@function
_ZN4vllm3moe22topkGatingSoftplusSqrtILi1ELi1ELi4ELi2ELi32ELb0El14__hip_bfloat16EEvPKT6_PKbPfiPT5_PiiiibdPKfPKS9_SF_: ; @_ZN4vllm3moe22topkGatingSoftplusSqrtILi1ELi1ELi4ELi2ELi32ELb0El14__hip_bfloat16EEvPKT6_PKbPfiPT5_PiiiibdPKfPKS9_SF_
; %bb.0:
	s_load_dword s24, s[0:1], 0x18
	v_bfe_u32 v1, v0, 10, 10
	s_lshl_b32 s2, s2, 7
	v_lshlrev_b32_e32 v1, 5, v1
	v_and_b32_e32 v0, 0x3ff, v0
	v_add3_u32 v2, v1, v0, s2
	s_waitcnt lgkmcnt(0)
	v_cmp_gt_i32_e32 vcc, s24, v2
	s_and_saveexec_b64 s[2:3], vcc
	s_cbranch_execz .LBB483_24
; %bb.1:
	s_load_dwordx4 s[4:7], s[0:1], 0x0
	s_load_dwordx2 s[16:17], s[0:1], 0x10
	v_ashrrev_i32_e32 v3, 31, v2
	s_waitcnt lgkmcnt(0)
	s_cmp_eq_u64 s[6:7], 0
	s_cbranch_scc1 .LBB483_3
; %bb.2:
	v_lshl_add_u64 v[0:1], s[6:7], 0, v[2:3]
	global_load_ubyte v0, v[0:1], off
	s_waitcnt vmcnt(0)
	v_and_b32_e32 v0, 1, v0
	v_cmp_eq_u32_e32 vcc, 1, v0
	s_xor_b64 s[2:3], vcc, -1
	s_orn2_b64 s[18:19], s[2:3], exec
	s_branch .LBB483_4
.LBB483_3:
	s_mov_b64 s[18:19], -1
.LBB483_4:
	v_mov_b32_e32 v0, s4
	v_mov_b32_e32 v1, s5
	v_lshl_add_u64 v[0:1], v[2:3], 1, v[0:1]
	global_load_ushort v0, v[0:1], off
	s_mov_b32 s3, 0x800000
	v_mov_b32_e32 v1, 0x4f800000
	s_mov_b32 s4, 0x3f317217
	s_mov_b32 s5, 0x7f800000
	v_mov_b32_e32 v4, 0x41b17218
	s_mov_b32 s2, 0x41a00000
	s_load_dwordx4 s[8:11], s[0:1], 0x40
	s_waitcnt lgkmcnt(0)
	s_cmp_lg_u64 s[10:11], 0
	s_cselect_b64 s[22:23], -1, 0
	s_cmp_eq_u64 s[10:11], 0
	s_waitcnt vmcnt(0)
	v_lshlrev_b32_e32 v0, 16, v0
	v_mul_f32_e32 v3, 0x3fb8aa3b, v0
	v_exp_f32_e32 v3, v3
	s_nop 0
	v_add_f32_e32 v3, 1.0, v3
	v_cmp_gt_f32_e32 vcc, s3, v3
	s_mov_b32 s3, 0xf800000
	s_nop 0
	v_cndmask_b32_e32 v1, 1.0, v1, vcc
	v_mul_f32_e32 v1, v3, v1
	v_log_f32_e32 v1, v1
	v_cndmask_b32_e32 v4, 0, v4, vcc
	v_mov_b32_e32 v3, 0x260
	v_mul_f32_e32 v5, 0x3f317217, v1
	v_fma_f32 v5, v1, s4, -v5
	v_fmamk_f32 v5, v1, 0x3377d1cf, v5
	v_fmac_f32_e32 v5, 0x3f317217, v1
	v_cmp_lt_f32_e64 vcc, |v1|, s5
	s_nop 1
	v_cndmask_b32_e32 v1, v1, v5, vcc
	v_sub_f32_e32 v1, v1, v4
	v_cmp_lt_f32_e32 vcc, s2, v0
	s_nop 1
	v_cndmask_b32_e32 v0, v1, v0, vcc
	v_mul_f32_e32 v1, 0x4f800000, v0
	v_cmp_gt_f32_e32 vcc, s3, v0
	s_nop 1
	v_cndmask_b32_e32 v0, v0, v1, vcc
	v_sqrt_f32_e32 v1, v0
	s_nop 0
	v_add_u32_e32 v4, -1, v1
	v_add_u32_e32 v5, 1, v1
	v_fma_f32 v6, -v4, v1, v0
	v_fma_f32 v7, -v5, v1, v0
	v_cmp_ge_f32_e64 s[2:3], 0, v6
	s_nop 1
	v_cndmask_b32_e64 v1, v1, v4, s[2:3]
	v_cmp_lt_f32_e64 s[2:3], 0, v7
	s_nop 1
	v_cndmask_b32_e64 v1, v1, v5, s[2:3]
	v_mul_f32_e32 v4, 0x37800000, v1
	v_cndmask_b32_e32 v1, v1, v4, vcc
	v_cmp_class_f32_e32 vcc, v0, v3
	s_nop 1
	v_cndmask_b32_e32 v1, v1, v0, vcc
	s_cbranch_scc1 .LBB483_6
; %bb.5:
	s_load_dword s2, s[10:11], 0x0
	s_waitcnt lgkmcnt(0)
	v_add_f32_e32 v1, s2, v1
.LBB483_6:
	s_load_dwordx4 s[4:7], s[0:1], 0x30
	s_waitcnt lgkmcnt(0)
	s_bitcmp1_b32 s7, 0
	s_cselect_b64 s[2:3], -1, 0
	s_cmp_gt_i32 s4, 0
	s_cselect_b64 s[20:21], -1, 0
	s_cmp_lt_i32 s4, 1
	v_mul_lo_u32 v0, v2, s4
	s_cbranch_scc1 .LBB483_11
; %bb.7:
	s_cmp_lt_i32 s5, 1
	s_load_dwordx4 s[12:15], s[0:1], 0x20
	s_cselect_b64 s[0:1], -1, 0
	s_cmp_gt_i32 s6, 0
	s_cselect_b64 s[26:27], -1, 0
	s_sub_i32 s5, 0, s5
	s_and_b64 s[0:1], s[0:1], s[26:27]
	s_ashr_i32 s6, s5, 31
	v_mov_b32_e32 v3, s6
	s_and_b64 vcc, s[18:19], s[0:1]
	v_cndmask_b32_e32 v5, 0, v3, vcc
	v_mov_b32_e32 v3, s5
	v_cndmask_b32_e32 v4, 1, v3, vcc
	v_cndmask_b32_e64 v3, 0, 1, s[22:23]
	s_mov_b32 s7, 0
	v_mov_b32_e32 v6, 0
	v_cmp_ne_u32_e64 s[0:1], 1, v3
	v_mov_b32_e32 v7, 0xc61c4000
	v_mov_b32_e32 v3, 0
	s_branch .LBB483_9
.LBB483_8:                              ;   in Loop: Header=BB483_9 Depth=1
	v_add_u32_e32 v10, s7, v0
	v_ashrrev_i32_e32 v11, 31, v10
	v_lshlrev_b64 v[12:13], 2, v[10:11]
	s_add_i32 s7, s7, 1
	v_lshl_add_u64 v[14:15], s[16:17], 0, v[12:13]
	s_waitcnt lgkmcnt(0)
	v_lshl_add_u64 v[10:11], v[10:11], 3, s[12:13]
	s_cmp_ge_i32 s7, s4
	global_store_dword v[14:15], v8, off
	global_store_dwordx2 v[10:11], v[4:5], off
	v_lshl_add_u64 v[10:11], s[14:15], 0, v[12:13]
	v_add_f32_e32 v8, v3, v8
	s_cselect_b64 vcc, -1, 0
	global_store_dword v[10:11], v2, off
	v_cndmask_b32_e64 v3, v3, v8, s[2:3]
	v_cndmask_b32_e32 v1, v7, v1, vcc
	s_cmp_lg_u32 s4, s7
	v_add_u32_e32 v2, s24, v2
	s_cbranch_scc0 .LBB483_12
.LBB483_9:                              ; =>This Inner Loop Header: Depth=1
	s_and_b64 vcc, exec, s[0:1]
	v_mov_b32_e32 v8, v1
	s_cbranch_vccnz .LBB483_8
; %bb.10:                               ;   in Loop: Header=BB483_9 Depth=1
	global_load_dword v8, v6, s[10:11]
	s_waitcnt vmcnt(0)
	v_sub_f32_e32 v8, v1, v8
	s_branch .LBB483_8
.LBB483_11:
	v_mov_b32_e32 v3, 0
.LBB483_12:
	s_andn2_b64 vcc, exec, s[2:3]
	v_cvt_f32_f64_e32 v2, s[8:9]
	s_cbranch_vccnz .LBB483_14
; %bb.13:
	v_cmp_lt_f32_e32 vcc, 0, v3
	s_nop 1
	v_cndmask_b32_e32 v1, 1.0, v3, vcc
	v_div_scale_f32 v3, s[0:1], v1, v1, v2
	v_rcp_f32_e32 v4, v3
	s_nop 0
	v_fma_f32 v5, -v3, v4, 1.0
	v_fmac_f32_e32 v4, v5, v4
	v_div_scale_f32 v5, vcc, v2, v1, v2
	v_mul_f32_e32 v6, v5, v4
	v_fma_f32 v7, -v3, v6, v5
	v_fmac_f32_e32 v6, v7, v4
	v_fma_f32 v3, -v3, v6, v5
	v_div_fmas_f32 v3, v3, v4, v6
	v_div_fixup_f32 v2, v3, v1, v2
.LBB483_14:
	s_andn2_b64 vcc, exec, s[20:21]
	s_cbranch_vccnz .LBB483_24
; %bb.15:
	s_cmp_gt_u32 s4, 3
	v_ashrrev_i32_e32 v1, 31, v0
	s_cbranch_scc0 .LBB483_19
; %bb.16:
	s_and_b32 s0, s4, 0x7ffffffc
	v_lshl_add_u64 v[4:5], v[0:1], 2, s[16:17]
	v_mov_b32_e32 v3, v2
	v_lshl_add_u64 v[4:5], v[4:5], 0, 8
	s_mov_b32 s1, s0
.LBB483_17:                             ; =>This Inner Loop Header: Depth=1
	global_load_dwordx4 v[6:9], v[4:5], off offset:-8
	s_add_i32 s1, s1, -4
	s_cmp_lg_u32 s1, 0
	s_waitcnt vmcnt(0)
	v_pk_mul_f32 v[6:7], v[2:3], v[6:7]
	v_pk_mul_f32 v[8:9], v[2:3], v[8:9]
	global_store_dwordx4 v[4:5], v[6:9], off offset:-8
	v_lshl_add_u64 v[4:5], v[4:5], 0, 16
	s_cbranch_scc1 .LBB483_17
; %bb.18:
	s_cmp_lg_u32 s0, s4
	s_cselect_b64 s[2:3], -1, 0
	s_branch .LBB483_21
.LBB483_19:
	s_mov_b64 s[2:3], 0
                                        ; implicit-def: $sgpr0
	s_cbranch_execz .LBB483_21
; %bb.20:
	s_mov_b64 s[2:3], -1
	s_mov_b32 s0, 0
.LBB483_21:
	s_andn2_b64 vcc, exec, s[2:3]
	s_cbranch_vccnz .LBB483_24
; %bb.22:
	s_mov_b32 s1, 0
	v_lshl_add_u64 v[0:1], v[0:1], 0, s[0:1]
	s_sub_i32 s2, s4, s0
	v_lshl_add_u64 v[0:1], v[0:1], 2, s[16:17]
.LBB483_23:                             ; =>This Inner Loop Header: Depth=1
	global_load_dword v3, v[0:1], off
	s_add_i32 s2, s2, -1
	s_cmp_lg_u32 s2, 0
	s_waitcnt vmcnt(0)
	v_mul_f32_e32 v3, v2, v3
	global_store_dword v[0:1], v3, off
	v_lshl_add_u64 v[0:1], v[0:1], 0, 4
	s_cbranch_scc1 .LBB483_23
.LBB483_24:
	s_endpgm
	.section	.rodata,"a",@progbits
	.p2align	6, 0x0
	.amdhsa_kernel _ZN4vllm3moe22topkGatingSoftplusSqrtILi1ELi1ELi4ELi2ELi32ELb0El14__hip_bfloat16EEvPKT6_PKbPfiPT5_PiiiibdPKfPKS9_SF_
		.amdhsa_group_segment_fixed_size 0
		.amdhsa_private_segment_fixed_size 0
		.amdhsa_kernarg_size 96
		.amdhsa_user_sgpr_count 2
		.amdhsa_user_sgpr_dispatch_ptr 0
		.amdhsa_user_sgpr_queue_ptr 0
		.amdhsa_user_sgpr_kernarg_segment_ptr 1
		.amdhsa_user_sgpr_dispatch_id 0
		.amdhsa_user_sgpr_kernarg_preload_length 0
		.amdhsa_user_sgpr_kernarg_preload_offset 0
		.amdhsa_user_sgpr_private_segment_size 0
		.amdhsa_uses_dynamic_stack 0
		.amdhsa_enable_private_segment 0
		.amdhsa_system_sgpr_workgroup_id_x 1
		.amdhsa_system_sgpr_workgroup_id_y 0
		.amdhsa_system_sgpr_workgroup_id_z 0
		.amdhsa_system_sgpr_workgroup_info 0
		.amdhsa_system_vgpr_workitem_id 1
		.amdhsa_next_free_vgpr 16
		.amdhsa_next_free_sgpr 28
		.amdhsa_accum_offset 16
		.amdhsa_reserve_vcc 1
		.amdhsa_float_round_mode_32 0
		.amdhsa_float_round_mode_16_64 0
		.amdhsa_float_denorm_mode_32 3
		.amdhsa_float_denorm_mode_16_64 3
		.amdhsa_dx10_clamp 1
		.amdhsa_ieee_mode 1
		.amdhsa_fp16_overflow 0
		.amdhsa_tg_split 0
		.amdhsa_exception_fp_ieee_invalid_op 0
		.amdhsa_exception_fp_denorm_src 0
		.amdhsa_exception_fp_ieee_div_zero 0
		.amdhsa_exception_fp_ieee_overflow 0
		.amdhsa_exception_fp_ieee_underflow 0
		.amdhsa_exception_fp_ieee_inexact 0
		.amdhsa_exception_int_div_zero 0
	.end_amdhsa_kernel
	.section	.text._ZN4vllm3moe22topkGatingSoftplusSqrtILi1ELi1ELi4ELi2ELi32ELb0El14__hip_bfloat16EEvPKT6_PKbPfiPT5_PiiiibdPKfPKS9_SF_,"axG",@progbits,_ZN4vllm3moe22topkGatingSoftplusSqrtILi1ELi1ELi4ELi2ELi32ELb0El14__hip_bfloat16EEvPKT6_PKbPfiPT5_PiiiibdPKfPKS9_SF_,comdat
.Lfunc_end483:
	.size	_ZN4vllm3moe22topkGatingSoftplusSqrtILi1ELi1ELi4ELi2ELi32ELb0El14__hip_bfloat16EEvPKT6_PKbPfiPT5_PiiiibdPKfPKS9_SF_, .Lfunc_end483-_ZN4vllm3moe22topkGatingSoftplusSqrtILi1ELi1ELi4ELi2ELi32ELb0El14__hip_bfloat16EEvPKT6_PKbPfiPT5_PiiiibdPKfPKS9_SF_
                                        ; -- End function
	.section	.AMDGPU.csdata,"",@progbits
; Kernel info:
; codeLenInByte = 1096
; NumSgprs: 34
; NumVgprs: 16
; NumAgprs: 0
; TotalNumVgprs: 16
; ScratchSize: 0
; MemoryBound: 0
; FloatMode: 240
; IeeeMode: 1
; LDSByteSize: 0 bytes/workgroup (compile time only)
; SGPRBlocks: 4
; VGPRBlocks: 1
; NumSGPRsForWavesPerEU: 34
; NumVGPRsForWavesPerEU: 16
; AccumOffset: 16
; Occupancy: 8
; WaveLimiterHint : 0
; COMPUTE_PGM_RSRC2:SCRATCH_EN: 0
; COMPUTE_PGM_RSRC2:USER_SGPR: 2
; COMPUTE_PGM_RSRC2:TRAP_HANDLER: 0
; COMPUTE_PGM_RSRC2:TGID_X_EN: 1
; COMPUTE_PGM_RSRC2:TGID_Y_EN: 0
; COMPUTE_PGM_RSRC2:TGID_Z_EN: 0
; COMPUTE_PGM_RSRC2:TIDIG_COMP_CNT: 1
; COMPUTE_PGM_RSRC3_GFX90A:ACCUM_OFFSET: 3
; COMPUTE_PGM_RSRC3_GFX90A:TG_SPLIT: 0
	.section	.text._ZN4vllm3moe22topkGatingSoftplusSqrtILi2ELi2ELi4ELi4ELi64ELb1El14__hip_bfloat16EEvPKT6_PKbPfiPT5_PiiiibdPKfPKS9_SF_,"axG",@progbits,_ZN4vllm3moe22topkGatingSoftplusSqrtILi2ELi2ELi4ELi4ELi64ELb1El14__hip_bfloat16EEvPKT6_PKbPfiPT5_PiiiibdPKfPKS9_SF_,comdat
	.protected	_ZN4vllm3moe22topkGatingSoftplusSqrtILi2ELi2ELi4ELi4ELi64ELb1El14__hip_bfloat16EEvPKT6_PKbPfiPT5_PiiiibdPKfPKS9_SF_ ; -- Begin function _ZN4vllm3moe22topkGatingSoftplusSqrtILi2ELi2ELi4ELi4ELi64ELb1El14__hip_bfloat16EEvPKT6_PKbPfiPT5_PiiiibdPKfPKS9_SF_
	.globl	_ZN4vllm3moe22topkGatingSoftplusSqrtILi2ELi2ELi4ELi4ELi64ELb1El14__hip_bfloat16EEvPKT6_PKbPfiPT5_PiiiibdPKfPKS9_SF_
	.p2align	8
	.type	_ZN4vllm3moe22topkGatingSoftplusSqrtILi2ELi2ELi4ELi4ELi64ELb1El14__hip_bfloat16EEvPKT6_PKbPfiPT5_PiiiibdPKfPKS9_SF_,@function
_ZN4vllm3moe22topkGatingSoftplusSqrtILi2ELi2ELi4ELi4ELi64ELb1El14__hip_bfloat16EEvPKT6_PKbPfiPT5_PiiiibdPKfPKS9_SF_: ; @_ZN4vllm3moe22topkGatingSoftplusSqrtILi2ELi2ELi4ELi4ELi64ELb1El14__hip_bfloat16EEvPKT6_PKbPfiPT5_PiiiibdPKfPKS9_SF_
; %bb.0:
	s_load_dword s3, s[0:1], 0x18
	v_bfe_u32 v1, v0, 10, 10
	s_lshl_b32 s2, s2, 8
	v_lshlrev_b32_e32 v1, 6, v1
	v_and_b32_e32 v0, 0x3ff, v0
	v_add3_u32 v0, v1, v0, s2
	s_waitcnt lgkmcnt(0)
	v_cmp_gt_i32_e32 vcc, s3, v0
	s_and_saveexec_b64 s[2:3], vcc
	s_cbranch_execz .LBB484_48
; %bb.1:
	s_load_dwordx4 s[8:11], s[0:1], 0x50
	s_load_dwordx2 s[2:3], s[0:1], 0x0
	s_load_dword s12, s[0:1], 0x30
	v_lshlrev_b32_e32 v2, 1, v0
	v_ashrrev_i32_e32 v3, 31, v2
	s_waitcnt lgkmcnt(0)
	v_mov_b32_e32 v4, s8
	v_mov_b32_e32 v5, s9
	v_lshl_add_u64 v[2:3], v[2:3], 1, s[2:3]
	v_ashrrev_i32_e32 v1, 31, v0
	global_load_dword v6, v[2:3], off
	v_lshl_add_u64 v[2:3], v[0:1], 3, v[4:5]
	global_load_dwordx2 v[2:3], v[2:3], off
	s_ashr_i32 s13, s12, 31
	v_cmp_lt_i64_e64 s[2:3], s[12:13], 1
	s_mov_b32 s4, 0x800000
	s_and_b64 vcc, exec, s[2:3]
	v_mov_b32_e32 v1, 0x4f800000
	s_mov_b32 s7, 0x3f317217
	s_mov_b32 s9, 0x7f800000
	v_mov_b32_e32 v7, 0x41b17218
	s_mov_b32 s6, 0x41a00000
	s_mov_b32 s16, 0xf800000
	v_mov_b32_e32 v8, 0x260
	s_mov_b32 s8, 0
	v_mov_b32_e32 v14, 0
	v_mul_lo_u32 v0, v0, s12
	v_cmp_gt_i64_e64 s[14:15], s[12:13], 0
	s_waitcnt vmcnt(1)
	v_and_b32_e32 v9, 0xffff0000, v6
	v_lshlrev_b32_e32 v6, 16, v6
	s_waitcnt vmcnt(0)
	v_mul_lo_u32 v10, v3, s12
	v_mul_f32_e32 v3, 0x3fb8aa3b, v6
	v_mul_f32_e32 v5, 0x3fb8aa3b, v9
	v_exp_f32_e32 v4, v3
	v_exp_f32_e32 v5, v5
	v_mul_lo_u32 v11, v2, s13
	v_mad_u64_u32 v[2:3], s[2:3], v2, s12, 0
	v_pk_add_f32 v[4:5], v[4:5], 1.0 op_sel_hi:[1,0]
	v_add3_u32 v3, v3, v11, v10
	v_cmp_gt_f32_e64 s[2:3], s4, v5
	v_cmp_gt_f32_e64 s[4:5], s4, v4
	s_nop 0
	v_cndmask_b32_e64 v12, 1.0, v1, s[2:3]
	v_cndmask_b32_e64 v1, 1.0, v1, s[4:5]
	v_mul_f32_e32 v5, v5, v12
	v_mul_f32_e32 v1, v4, v1
	v_log_f32_e32 v4, v5
	v_log_f32_e32 v1, v1
	v_cndmask_b32_e64 v5, 0, v7, s[2:3]
	v_cndmask_b32_e64 v7, 0, v7, s[4:5]
	v_mul_f32_e32 v12, 0x3f317217, v4
	v_mul_f32_e32 v13, 0x3f317217, v1
	v_fma_f32 v12, v4, s7, -v12
	v_fma_f32 v13, v1, s7, -v13
	v_fmac_f32_e32 v12, 0x3377d1cf, v4
	v_fmac_f32_e32 v13, 0x3377d1cf, v1
	v_fmac_f32_e32 v12, 0x3f317217, v4
	v_cmp_lt_f32_e64 s[2:3], |v4|, s9
	v_fmac_f32_e32 v13, 0x3f317217, v1
	s_nop 0
	v_cndmask_b32_e64 v4, v4, v12, s[2:3]
	v_cmp_lt_f32_e64 s[2:3], |v1|, s9
	v_sub_f32_e32 v4, v4, v5
	s_nop 0
	v_cndmask_b32_e64 v1, v1, v13, s[2:3]
	v_sub_f32_e32 v1, v1, v7
	v_cmp_lt_f32_e64 s[2:3], s6, v6
	s_nop 1
	v_cndmask_b32_e64 v1, v1, v6, s[2:3]
	v_cmp_lt_f32_e64 s[2:3], s6, v9
	v_mul_f32_e32 v6, 0x4f800000, v1
	v_cmp_gt_f32_e64 s[4:5], s16, v1
	v_cndmask_b32_e64 v4, v4, v9, s[2:3]
	v_mul_f32_e32 v5, 0x4f800000, v4
	v_cmp_gt_f32_e64 s[2:3], s16, v4
	v_cndmask_b32_e64 v1, v1, v6, s[4:5]
	v_sqrt_f32_e32 v6, v1
	v_cndmask_b32_e64 v4, v4, v5, s[2:3]
	v_sqrt_f32_e32 v5, v4
	v_add_u32_e32 v10, -1, v6
	v_fma_f32 v15, -v10, v6, v1
	v_add_u32_e32 v7, -1, v5
	v_fma_f32 v12, -v7, v5, v4
	v_add_u32_e32 v9, 1, v5
	v_cmp_ge_f32_e64 s[6:7], 0, v12
	v_add_u32_e32 v11, 1, v6
	v_fma_f32 v13, -v9, v5, v4
	v_cndmask_b32_e64 v5, v5, v7, s[6:7]
	v_cmp_ge_f32_e64 s[6:7], 0, v15
	v_fma_f32 v16, -v11, v6, v1
	s_nop 0
	v_cndmask_b32_e64 v6, v6, v10, s[6:7]
	v_cmp_lt_f32_e64 s[6:7], 0, v13
	s_nop 1
	v_cndmask_b32_e64 v5, v5, v9, s[6:7]
	v_cmp_lt_f32_e64 s[6:7], 0, v16
	v_mul_f32_e32 v7, 0x37800000, v5
	v_cndmask_b32_e64 v5, v5, v7, s[2:3]
	v_cndmask_b32_e64 v6, v6, v11, s[6:7]
	v_mul_f32_e32 v9, 0x37800000, v6
	v_cmp_class_f32_e64 s[2:3], v4, v8
	v_cndmask_b32_e64 v6, v6, v9, s[4:5]
	s_nop 0
	v_cndmask_b32_e64 v12, v5, v4, s[2:3]
	v_cmp_class_f32_e64 s[2:3], v1, v8
	s_nop 1
	v_cndmask_b32_e64 v13, v6, v1, s[2:3]
	s_cbranch_vccnz .LBB484_29
; %bb.2:
	s_load_dwordx2 s[2:3], s[0:1], 0x20
	s_cmp_lt_u32 s12, 4
	v_lshl_add_u64 v[4:5], v[2:3], 3, s[10:11]
	s_cbranch_scc1 .LBB484_21
; %bb.3:
	s_mov_b32 s5, 0
	s_and_b32 s8, s12, 0x7ffffffc
	v_ashrrev_i32_e32 v1, 31, v0
	v_mov_b32_e32 v7, 0
	v_mov_b32_e32 v14, 0
	s_mov_b32 s4, s5
	s_branch .LBB484_5
.LBB484_4:                              ;   in Loop: Header=BB484_5 Depth=1
	s_or_b64 exec, exec, s[6:7]
	s_add_i32 s4, s4, 4
	s_cmp_eq_u32 s4, s8
	s_cbranch_scc1 .LBB484_22
.LBB484_5:                              ; =>This Loop Header: Depth=1
                                        ;     Child Loop BB484_7 Depth 2
                                        ;     Child Loop BB484_11 Depth 2
	;; [unrolled: 1-line block ×4, first 2 shown]
	v_lshl_add_u64 v[8:9], s[4:5], 3, v[4:5]
	global_load_dword v6, v[8:9], off
	v_add_u32_e32 v10, s4, v0
	v_ashrrev_i32_e32 v11, 31, v10
	s_mov_b64 s[6:7], 0
	s_waitcnt lgkmcnt(0)
	v_lshl_add_u64 v[10:11], v[10:11], 3, s[2:3]
	s_waitcnt vmcnt(0)
	v_cmp_eq_u32_e32 vcc, 0, v6
	s_nop 1
	v_cndmask_b32_e64 v15, 2, 1, vcc
	v_cmp_eq_u32_e32 vcc, 1, v6
	v_mov_b32_e32 v17, v6
	s_nop 0
	v_cndmask_b32_e32 v16, v13, v12, vcc
	s_branch .LBB484_7
.LBB484_6:                              ;   in Loop: Header=BB484_7 Depth=2
	s_or_b64 exec, exec, s[16:17]
	v_add_u32_e32 v15, -1, v15
	v_cmp_eq_u32_e32 vcc, 0, v15
	s_or_b64 s[6:7], vcc, s[6:7]
	v_add_u32_e32 v17, -1, v17
	s_andn2_b64 exec, exec, s[6:7]
	s_cbranch_execz .LBB484_9
.LBB484_7:                              ;   Parent Loop BB484_5 Depth=1
                                        ; =>  This Inner Loop Header: Depth=2
	v_cmp_eq_u32_e32 vcc, 0, v17
	s_and_saveexec_b64 s[16:17], vcc
	s_cbranch_execz .LBB484_6
; %bb.8:                                ;   in Loop: Header=BB484_7 Depth=2
	v_add_f32_e32 v14, v14, v16
	global_store_dwordx2 v[10:11], v[6:7], off
	s_branch .LBB484_6
.LBB484_9:                              ;   in Loop: Header=BB484_5 Depth=1
	s_or_b64 exec, exec, s[6:7]
	global_load_dword v6, v[8:9], off offset:8
	s_ashr_i32 s17, s4, 31
	s_mov_b32 s16, s4
	v_lshl_add_u64 v[10:11], s[16:17], 0, v[0:1]
	s_mov_b64 s[6:7], 0
	v_lshl_add_u64 v[10:11], v[10:11], 3, s[2:3]
	s_waitcnt vmcnt(0)
	v_cmp_eq_u32_e32 vcc, 0, v6
	s_nop 1
	v_cndmask_b32_e64 v15, 2, 1, vcc
	v_cmp_eq_u32_e32 vcc, 1, v6
	v_mov_b32_e32 v17, v6
	s_nop 0
	v_cndmask_b32_e32 v16, v13, v12, vcc
	s_branch .LBB484_11
.LBB484_10:                             ;   in Loop: Header=BB484_11 Depth=2
	s_or_b64 exec, exec, s[16:17]
	v_add_u32_e32 v15, -1, v15
	v_cmp_eq_u32_e32 vcc, 0, v15
	s_or_b64 s[6:7], vcc, s[6:7]
	v_add_u32_e32 v17, -1, v17
	s_andn2_b64 exec, exec, s[6:7]
	s_cbranch_execz .LBB484_13
.LBB484_11:                             ;   Parent Loop BB484_5 Depth=1
                                        ; =>  This Inner Loop Header: Depth=2
	v_cmp_eq_u32_e32 vcc, 0, v17
	s_and_saveexec_b64 s[16:17], vcc
	s_cbranch_execz .LBB484_10
; %bb.12:                               ;   in Loop: Header=BB484_11 Depth=2
	v_add_f32_e32 v14, v14, v16
	global_store_dwordx2 v[10:11], v[6:7], off offset:8
	s_branch .LBB484_10
.LBB484_13:                             ;   in Loop: Header=BB484_5 Depth=1
	s_or_b64 exec, exec, s[6:7]
	global_load_dword v6, v[8:9], off offset:16
	s_mov_b64 s[6:7], 0
	s_waitcnt vmcnt(0)
	v_cmp_eq_u32_e32 vcc, 0, v6
	s_nop 1
	v_cndmask_b32_e64 v15, 2, 1, vcc
	v_cmp_eq_u32_e32 vcc, 1, v6
	v_mov_b32_e32 v17, v6
	s_nop 0
	v_cndmask_b32_e32 v16, v13, v12, vcc
	s_branch .LBB484_15
.LBB484_14:                             ;   in Loop: Header=BB484_15 Depth=2
	s_or_b64 exec, exec, s[16:17]
	v_add_u32_e32 v15, -1, v15
	v_cmp_eq_u32_e32 vcc, 0, v15
	s_or_b64 s[6:7], vcc, s[6:7]
	v_add_u32_e32 v17, -1, v17
	s_andn2_b64 exec, exec, s[6:7]
	s_cbranch_execz .LBB484_17
.LBB484_15:                             ;   Parent Loop BB484_5 Depth=1
                                        ; =>  This Inner Loop Header: Depth=2
	v_cmp_eq_u32_e32 vcc, 0, v17
	s_and_saveexec_b64 s[16:17], vcc
	s_cbranch_execz .LBB484_14
; %bb.16:                               ;   in Loop: Header=BB484_15 Depth=2
	v_add_f32_e32 v14, v14, v16
	global_store_dwordx2 v[10:11], v[6:7], off offset:16
	s_branch .LBB484_14
.LBB484_17:                             ;   in Loop: Header=BB484_5 Depth=1
	s_or_b64 exec, exec, s[6:7]
	global_load_dword v6, v[8:9], off offset:24
	s_mov_b64 s[6:7], 0
	s_waitcnt vmcnt(0)
	v_cmp_eq_u32_e32 vcc, 0, v6
	s_nop 1
	v_cndmask_b32_e64 v8, 2, 1, vcc
	v_cmp_eq_u32_e32 vcc, 1, v6
	v_mov_b32_e32 v15, v6
	s_nop 0
	v_cndmask_b32_e32 v9, v13, v12, vcc
	s_branch .LBB484_19
.LBB484_18:                             ;   in Loop: Header=BB484_19 Depth=2
	s_or_b64 exec, exec, s[16:17]
	v_add_u32_e32 v8, -1, v8
	v_cmp_eq_u32_e32 vcc, 0, v8
	s_or_b64 s[6:7], vcc, s[6:7]
	v_add_u32_e32 v15, -1, v15
	s_andn2_b64 exec, exec, s[6:7]
	s_cbranch_execz .LBB484_4
.LBB484_19:                             ;   Parent Loop BB484_5 Depth=1
                                        ; =>  This Inner Loop Header: Depth=2
	v_cmp_eq_u32_e32 vcc, 0, v15
	s_and_saveexec_b64 s[16:17], vcc
	s_cbranch_execz .LBB484_18
; %bb.20:                               ;   in Loop: Header=BB484_19 Depth=2
	v_add_f32_e32 v14, v14, v9
	global_store_dwordx2 v[10:11], v[6:7], off offset:24
	s_branch .LBB484_18
.LBB484_21:
	v_mov_b32_e32 v14, 0
.LBB484_22:
	s_and_b32 s13, s12, 3
	s_cmp_eq_u32 s13, 0
	s_mov_b32 s9, 0
	s_cbranch_scc1 .LBB484_29
; %bb.23:
	v_mov_b32_e32 v7, 0
	s_mov_b32 s16, s9
	s_branch .LBB484_25
.LBB484_24:                             ;   in Loop: Header=BB484_25 Depth=1
	s_or_b64 exec, exec, s[4:5]
	s_add_i32 s8, s8, 1
	s_add_i32 s16, s16, 1
	s_cmp_lg_u32 s16, s13
	s_cbranch_scc0 .LBB484_29
.LBB484_25:                             ; =>This Loop Header: Depth=1
                                        ;     Child Loop BB484_27 Depth 2
	v_lshl_add_u64 v[8:9], s[8:9], 3, v[4:5]
	global_load_dword v6, v[8:9], off
	v_add_u32_e32 v8, s8, v0
	v_ashrrev_i32_e32 v9, 31, v8
	s_mov_b64 s[4:5], 0
	s_waitcnt lgkmcnt(0)
	v_lshl_add_u64 v[8:9], v[8:9], 3, s[2:3]
	s_waitcnt vmcnt(0)
	v_cmp_eq_u32_e32 vcc, 0, v6
	s_nop 1
	v_cndmask_b32_e64 v1, 2, 1, vcc
	v_cmp_eq_u32_e32 vcc, 1, v6
	v_mov_b32_e32 v11, v6
	s_nop 0
	v_cndmask_b32_e32 v10, v13, v12, vcc
	s_branch .LBB484_27
.LBB484_26:                             ;   in Loop: Header=BB484_27 Depth=2
	s_or_b64 exec, exec, s[6:7]
	v_add_u32_e32 v1, -1, v1
	v_cmp_eq_u32_e32 vcc, 0, v1
	s_or_b64 s[4:5], vcc, s[4:5]
	v_add_u32_e32 v11, -1, v11
	s_andn2_b64 exec, exec, s[4:5]
	s_cbranch_execz .LBB484_24
.LBB484_27:                             ;   Parent Loop BB484_25 Depth=1
                                        ; =>  This Inner Loop Header: Depth=2
	v_cmp_eq_u32_e32 vcc, 0, v11
	s_and_saveexec_b64 s[6:7], vcc
	s_cbranch_execz .LBB484_26
; %bb.28:                               ;   in Loop: Header=BB484_27 Depth=2
	v_add_f32_e32 v14, v14, v10
	global_store_dwordx2 v[8:9], v[6:7], off
	s_branch .LBB484_26
.LBB484_29:
	s_load_dword s4, s[0:1], 0x3c
	s_waitcnt lgkmcnt(0)
	s_load_dwordx2 s[2:3], s[0:1], 0x40
	s_bitcmp1_b32 s4, 0
	s_cselect_b64 s[4:5], -1, 0
	s_waitcnt lgkmcnt(0)
	v_cvt_f32_f64_e32 v15, s[2:3]
	s_and_b64 vcc, exec, s[4:5]
	s_cbranch_vccz .LBB484_31
; %bb.30:
	v_cmp_lt_f32_e32 vcc, 0, v14
	s_nop 1
	v_cndmask_b32_e32 v1, 1.0, v14, vcc
	v_div_scale_f32 v4, s[2:3], v1, v1, v15
	v_rcp_f32_e32 v5, v4
	s_nop 0
	v_fma_f32 v6, -v4, v5, 1.0
	v_fmac_f32_e32 v5, v6, v5
	v_div_scale_f32 v6, vcc, v15, v1, v15
	v_mul_f32_e32 v7, v6, v5
	v_fma_f32 v8, -v4, v7, v6
	v_fmac_f32_e32 v7, v8, v5
	v_fma_f32 v4, -v4, v7, v6
	v_div_fmas_f32 v4, v4, v5, v7
	v_div_fixup_f32 v15, v4, v1, v15
.LBB484_31:
	s_andn2_b64 vcc, exec, s[14:15]
	s_cbranch_vccnz .LBB484_48
; %bb.32:
	s_load_dwordx2 s[0:1], s[0:1], 0x10
	s_cmp_lt_u32 s12, 4
	s_mov_b32 s2, 0
	s_cbranch_scc1 .LBB484_43
; %bb.33:
	v_ashrrev_i32_e32 v1, 31, v0
	s_waitcnt lgkmcnt(0)
	v_lshl_add_u64 v[4:5], v[0:1], 2, s[0:1]
	v_lshl_add_u64 v[6:7], v[2:3], 3, s[10:11]
	s_and_b32 s2, s12, 0x7ffffffc
	v_lshl_add_u64 v[4:5], v[4:5], 0, 12
	v_lshl_add_u64 v[6:7], v[6:7], 0, 16
	s_mov_b32 s3, 0
	v_mov_b32_e32 v9, 0
	s_branch .LBB484_35
.LBB484_34:                             ;   in Loop: Header=BB484_35 Depth=1
	s_or_b64 exec, exec, s[4:5]
	s_add_i32 s3, s3, 4
	v_lshl_add_u64 v[4:5], v[4:5], 0, 16
	s_cmp_lg_u32 s2, s3
	v_lshl_add_u64 v[6:7], v[6:7], 0, 32
	s_cbranch_scc0 .LBB484_43
.LBB484_35:                             ; =>This Inner Loop Header: Depth=1
	global_load_dwordx2 v[10:11], v[6:7], off offset:-16
	s_waitcnt vmcnt(0)
	v_and_b32_e32 v8, -2, v10
	v_cmp_eq_u64_e32 vcc, 0, v[8:9]
	s_and_saveexec_b64 s[4:5], vcc
	s_cbranch_execz .LBB484_37
; %bb.36:                               ;   in Loop: Header=BB484_35 Depth=1
	v_and_b32_e32 v1, 1, v10
	v_add_u32_e32 v16, s3, v0
	v_cmp_eq_u32_e32 vcc, 1, v1
	v_ashrrev_i32_e32 v17, 31, v16
	v_lshl_add_u64 v[10:11], v[16:17], 2, s[0:1]
	v_cndmask_b32_e32 v1, v13, v12, vcc
	v_mul_f32_e32 v1, v15, v1
	global_store_dword v[10:11], v1, off
.LBB484_37:                             ;   in Loop: Header=BB484_35 Depth=1
	s_or_b64 exec, exec, s[4:5]
	global_load_dwordx2 v[10:11], v[6:7], off offset:-8
	s_waitcnt vmcnt(0)
	v_and_b32_e32 v8, -2, v10
	v_cmp_eq_u64_e32 vcc, 0, v[8:9]
	s_and_saveexec_b64 s[4:5], vcc
	s_cbranch_execz .LBB484_39
; %bb.38:                               ;   in Loop: Header=BB484_35 Depth=1
	v_and_b32_e32 v1, 1, v10
	v_cmp_eq_u32_e32 vcc, 1, v1
	s_nop 1
	v_cndmask_b32_e32 v1, v13, v12, vcc
	v_mul_f32_e32 v1, v15, v1
	global_store_dword v[4:5], v1, off offset:-8
.LBB484_39:                             ;   in Loop: Header=BB484_35 Depth=1
	s_or_b64 exec, exec, s[4:5]
	global_load_dwordx2 v[10:11], v[6:7], off
	s_waitcnt vmcnt(0)
	v_and_b32_e32 v8, -2, v10
	v_cmp_eq_u64_e32 vcc, 0, v[8:9]
	s_and_saveexec_b64 s[4:5], vcc
	s_cbranch_execz .LBB484_41
; %bb.40:                               ;   in Loop: Header=BB484_35 Depth=1
	v_and_b32_e32 v1, 1, v10
	v_cmp_eq_u32_e32 vcc, 1, v1
	s_nop 1
	v_cndmask_b32_e32 v1, v13, v12, vcc
	v_mul_f32_e32 v1, v15, v1
	global_store_dword v[4:5], v1, off offset:-4
.LBB484_41:                             ;   in Loop: Header=BB484_35 Depth=1
	s_or_b64 exec, exec, s[4:5]
	global_load_dwordx2 v[10:11], v[6:7], off offset:8
	s_waitcnt vmcnt(0)
	v_and_b32_e32 v8, -2, v10
	v_cmp_eq_u64_e32 vcc, 0, v[8:9]
	s_and_saveexec_b64 s[4:5], vcc
	s_cbranch_execz .LBB484_34
; %bb.42:                               ;   in Loop: Header=BB484_35 Depth=1
	v_and_b32_e32 v1, 1, v10
	v_cmp_eq_u32_e32 vcc, 1, v1
	s_nop 1
	v_cndmask_b32_e32 v1, v13, v12, vcc
	v_mul_f32_e32 v1, v15, v1
	global_store_dword v[4:5], v1, off
	s_branch .LBB484_34
.LBB484_43:
	s_and_b32 s4, s12, 3
	s_cmp_eq_u32 s4, 0
	s_mov_b32 s3, 0
	s_cbranch_scc1 .LBB484_48
; %bb.44:
	v_add_u32_e32 v0, s2, v0
	s_lshl_b64 s[2:3], s[2:3], 3
	s_add_u32 s2, s10, s2
	s_addc_u32 s3, s11, s3
	v_lshl_add_u64 v[2:3], v[2:3], 3, s[2:3]
	v_mov_b32_e32 v5, 0
	s_branch .LBB484_46
.LBB484_45:                             ;   in Loop: Header=BB484_46 Depth=1
	s_or_b64 exec, exec, s[2:3]
	s_add_i32 s4, s4, -1
	v_add_u32_e32 v0, 1, v0
	s_cmp_lg_u32 s4, 0
	v_lshl_add_u64 v[2:3], v[2:3], 0, 8
	s_cbranch_scc0 .LBB484_48
.LBB484_46:                             ; =>This Inner Loop Header: Depth=1
	global_load_dwordx2 v[6:7], v[2:3], off
	s_waitcnt vmcnt(0)
	v_and_b32_e32 v4, -2, v6
	v_cmp_eq_u64_e32 vcc, 0, v[4:5]
	s_and_saveexec_b64 s[2:3], vcc
	s_cbranch_execz .LBB484_45
; %bb.47:                               ;   in Loop: Header=BB484_46 Depth=1
	v_and_b32_e32 v1, 1, v6
	v_cmp_eq_u32_e32 vcc, 1, v1
	s_nop 1
	v_cndmask_b32_e32 v1, v13, v12, vcc
	v_mul_f32_e32 v4, v15, v1
	v_ashrrev_i32_e32 v1, 31, v0
	s_waitcnt lgkmcnt(0)
	v_lshl_add_u64 v[6:7], v[0:1], 2, s[0:1]
	global_store_dword v[6:7], v4, off
	s_branch .LBB484_45
.LBB484_48:
	s_endpgm
	.section	.rodata,"a",@progbits
	.p2align	6, 0x0
	.amdhsa_kernel _ZN4vllm3moe22topkGatingSoftplusSqrtILi2ELi2ELi4ELi4ELi64ELb1El14__hip_bfloat16EEvPKT6_PKbPfiPT5_PiiiibdPKfPKS9_SF_
		.amdhsa_group_segment_fixed_size 0
		.amdhsa_private_segment_fixed_size 0
		.amdhsa_kernarg_size 96
		.amdhsa_user_sgpr_count 2
		.amdhsa_user_sgpr_dispatch_ptr 0
		.amdhsa_user_sgpr_queue_ptr 0
		.amdhsa_user_sgpr_kernarg_segment_ptr 1
		.amdhsa_user_sgpr_dispatch_id 0
		.amdhsa_user_sgpr_kernarg_preload_length 0
		.amdhsa_user_sgpr_kernarg_preload_offset 0
		.amdhsa_user_sgpr_private_segment_size 0
		.amdhsa_uses_dynamic_stack 0
		.amdhsa_enable_private_segment 0
		.amdhsa_system_sgpr_workgroup_id_x 1
		.amdhsa_system_sgpr_workgroup_id_y 0
		.amdhsa_system_sgpr_workgroup_id_z 0
		.amdhsa_system_sgpr_workgroup_info 0
		.amdhsa_system_vgpr_workitem_id 1
		.amdhsa_next_free_vgpr 18
		.amdhsa_next_free_sgpr 18
		.amdhsa_accum_offset 20
		.amdhsa_reserve_vcc 1
		.amdhsa_float_round_mode_32 0
		.amdhsa_float_round_mode_16_64 0
		.amdhsa_float_denorm_mode_32 3
		.amdhsa_float_denorm_mode_16_64 3
		.amdhsa_dx10_clamp 1
		.amdhsa_ieee_mode 1
		.amdhsa_fp16_overflow 0
		.amdhsa_tg_split 0
		.amdhsa_exception_fp_ieee_invalid_op 0
		.amdhsa_exception_fp_denorm_src 0
		.amdhsa_exception_fp_ieee_div_zero 0
		.amdhsa_exception_fp_ieee_overflow 0
		.amdhsa_exception_fp_ieee_underflow 0
		.amdhsa_exception_fp_ieee_inexact 0
		.amdhsa_exception_int_div_zero 0
	.end_amdhsa_kernel
	.section	.text._ZN4vllm3moe22topkGatingSoftplusSqrtILi2ELi2ELi4ELi4ELi64ELb1El14__hip_bfloat16EEvPKT6_PKbPfiPT5_PiiiibdPKfPKS9_SF_,"axG",@progbits,_ZN4vllm3moe22topkGatingSoftplusSqrtILi2ELi2ELi4ELi4ELi64ELb1El14__hip_bfloat16EEvPKT6_PKbPfiPT5_PiiiibdPKfPKS9_SF_,comdat
.Lfunc_end484:
	.size	_ZN4vllm3moe22topkGatingSoftplusSqrtILi2ELi2ELi4ELi4ELi64ELb1El14__hip_bfloat16EEvPKT6_PKbPfiPT5_PiiiibdPKfPKS9_SF_, .Lfunc_end484-_ZN4vllm3moe22topkGatingSoftplusSqrtILi2ELi2ELi4ELi4ELi64ELb1El14__hip_bfloat16EEvPKT6_PKbPfiPT5_PiiiibdPKfPKS9_SF_
                                        ; -- End function
	.section	.AMDGPU.csdata,"",@progbits
; Kernel info:
; codeLenInByte = 2208
; NumSgprs: 24
; NumVgprs: 18
; NumAgprs: 0
; TotalNumVgprs: 18
; ScratchSize: 0
; MemoryBound: 0
; FloatMode: 240
; IeeeMode: 1
; LDSByteSize: 0 bytes/workgroup (compile time only)
; SGPRBlocks: 2
; VGPRBlocks: 2
; NumSGPRsForWavesPerEU: 24
; NumVGPRsForWavesPerEU: 18
; AccumOffset: 20
; Occupancy: 8
; WaveLimiterHint : 1
; COMPUTE_PGM_RSRC2:SCRATCH_EN: 0
; COMPUTE_PGM_RSRC2:USER_SGPR: 2
; COMPUTE_PGM_RSRC2:TRAP_HANDLER: 0
; COMPUTE_PGM_RSRC2:TGID_X_EN: 1
; COMPUTE_PGM_RSRC2:TGID_Y_EN: 0
; COMPUTE_PGM_RSRC2:TGID_Z_EN: 0
; COMPUTE_PGM_RSRC2:TIDIG_COMP_CNT: 1
; COMPUTE_PGM_RSRC3_GFX90A:ACCUM_OFFSET: 4
; COMPUTE_PGM_RSRC3_GFX90A:TG_SPLIT: 0
	.section	.text._ZN4vllm3moe22topkGatingSoftplusSqrtILi2ELi2ELi4ELi4ELi64ELb0El14__hip_bfloat16EEvPKT6_PKbPfiPT5_PiiiibdPKfPKS9_SF_,"axG",@progbits,_ZN4vllm3moe22topkGatingSoftplusSqrtILi2ELi2ELi4ELi4ELi64ELb0El14__hip_bfloat16EEvPKT6_PKbPfiPT5_PiiiibdPKfPKS9_SF_,comdat
	.protected	_ZN4vllm3moe22topkGatingSoftplusSqrtILi2ELi2ELi4ELi4ELi64ELb0El14__hip_bfloat16EEvPKT6_PKbPfiPT5_PiiiibdPKfPKS9_SF_ ; -- Begin function _ZN4vllm3moe22topkGatingSoftplusSqrtILi2ELi2ELi4ELi4ELi64ELb0El14__hip_bfloat16EEvPKT6_PKbPfiPT5_PiiiibdPKfPKS9_SF_
	.globl	_ZN4vllm3moe22topkGatingSoftplusSqrtILi2ELi2ELi4ELi4ELi64ELb0El14__hip_bfloat16EEvPKT6_PKbPfiPT5_PiiiibdPKfPKS9_SF_
	.p2align	8
	.type	_ZN4vllm3moe22topkGatingSoftplusSqrtILi2ELi2ELi4ELi4ELi64ELb0El14__hip_bfloat16EEvPKT6_PKbPfiPT5_PiiiibdPKfPKS9_SF_,@function
_ZN4vllm3moe22topkGatingSoftplusSqrtILi2ELi2ELi4ELi4ELi64ELb0El14__hip_bfloat16EEvPKT6_PKbPfiPT5_PiiiibdPKfPKS9_SF_: ; @_ZN4vllm3moe22topkGatingSoftplusSqrtILi2ELi2ELi4ELi4ELi64ELb0El14__hip_bfloat16EEvPKT6_PKbPfiPT5_PiiiibdPKfPKS9_SF_
; %bb.0:
	s_load_dword s24, s[0:1], 0x18
	v_bfe_u32 v1, v0, 10, 10
	s_lshl_b32 s2, s2, 8
	v_lshlrev_b32_e32 v1, 6, v1
	v_and_b32_e32 v0, 0x3ff, v0
	v_add3_u32 v0, v1, v0, s2
	s_waitcnt lgkmcnt(0)
	v_cmp_gt_i32_e32 vcc, s24, v0
	s_and_saveexec_b64 s[2:3], vcc
	s_cbranch_execz .LBB485_28
; %bb.1:
	s_load_dwordx4 s[4:7], s[0:1], 0x0
	s_load_dwordx2 s[16:17], s[0:1], 0x10
	s_waitcnt lgkmcnt(0)
	s_cmp_eq_u64 s[6:7], 0
	s_cbranch_scc1 .LBB485_3
; %bb.2:
	v_ashrrev_i32_e32 v1, 31, v0
	v_lshl_add_u64 v[2:3], s[6:7], 0, v[0:1]
	global_load_ubyte v1, v[2:3], off
	s_waitcnt vmcnt(0)
	v_and_b32_e32 v1, 1, v1
	v_cmp_eq_u32_e32 vcc, 1, v1
	s_xor_b64 s[2:3], vcc, -1
	s_orn2_b64 s[18:19], s[2:3], exec
	s_branch .LBB485_4
.LBB485_3:
	s_mov_b64 s[18:19], -1
.LBB485_4:
	v_lshlrev_b32_e32 v4, 1, v0
	v_mov_b32_e32 v2, s4
	v_mov_b32_e32 v3, s5
	v_ashrrev_i32_e32 v5, 31, v4
	v_lshl_add_u64 v[2:3], v[4:5], 1, v[2:3]
	global_load_dword v2, v[2:3], off
	s_mov_b32 s14, 0x800000
	v_mov_b32_e32 v3, 0x4f800000
	s_mov_b32 s7, 0x3f317217
	s_mov_b32 s12, 0x7f800000
	v_mov_b32_e32 v5, 0x41b17218
	s_mov_b32 s6, 0x41a00000
	s_mov_b32 s13, 0xf800000
	s_load_dwordx4 s[8:11], s[0:1], 0x40
	s_waitcnt lgkmcnt(0)
	s_cmp_lg_u64 s[10:11], 0
	s_cselect_b64 s[20:21], -1, 0
	s_and_b64 s[2:3], exec, s[20:21]
	s_waitcnt vmcnt(0)
	v_lshlrev_b32_e32 v4, 16, v2
	v_mul_f32_e32 v1, 0x3fb8aa3b, v4
	v_exp_f32_e32 v1, v1
	s_nop 0
	v_add_f32_e32 v1, 1.0, v1
	v_cmp_gt_f32_e32 vcc, s14, v1
	s_nop 1
	v_cndmask_b32_e32 v6, 1.0, v3, vcc
	v_mul_f32_e32 v1, v1, v6
	v_log_f32_e32 v6, v1
	v_cndmask_b32_e32 v7, 0, v5, vcc
	v_mov_b32_e32 v1, 0x260
	v_mul_f32_e32 v8, 0x3f317217, v6
	v_fma_f32 v8, v6, s7, -v8
	v_fmac_f32_e32 v8, 0x3377d1cf, v6
	v_fmac_f32_e32 v8, 0x3f317217, v6
	v_cmp_lt_f32_e64 vcc, |v6|, s12
	s_nop 1
	v_cndmask_b32_e32 v6, v6, v8, vcc
	v_sub_f32_e32 v6, v6, v7
	v_cmp_lt_f32_e32 vcc, s6, v4
	s_nop 1
	v_cndmask_b32_e32 v4, v6, v4, vcc
	v_mul_f32_e32 v6, 0x4f800000, v4
	v_cmp_gt_f32_e32 vcc, s13, v4
	s_nop 1
	v_cndmask_b32_e32 v4, v4, v6, vcc
	v_sqrt_f32_e32 v6, v4
	s_nop 0
	v_add_u32_e32 v7, -1, v6
	v_add_u32_e32 v8, 1, v6
	v_fma_f32 v9, -v7, v6, v4
	v_fma_f32 v10, -v8, v6, v4
	v_cmp_ge_f32_e64 s[4:5], 0, v9
	s_nop 1
	v_cndmask_b32_e64 v6, v6, v7, s[4:5]
	v_cmp_lt_f32_e64 s[4:5], 0, v10
	s_nop 1
	v_cndmask_b32_e64 v6, v6, v8, s[4:5]
	v_mul_f32_e32 v7, 0x37800000, v6
	v_cndmask_b32_e32 v6, v6, v7, vcc
	v_cmp_class_f32_e32 vcc, v4, v1
	s_nop 1
	v_cndmask_b32_e32 v4, v6, v4, vcc
	s_mov_b64 vcc, s[2:3]
	s_cbranch_vccz .LBB485_6
; %bb.5:
	s_load_dword s2, s[10:11], 0x0
	s_waitcnt lgkmcnt(0)
	v_add_f32_e32 v4, s2, v4
.LBB485_6:
	v_and_b32_e32 v2, 0xffff0000, v2
	v_mul_f32_e32 v6, 0x3fb8aa3b, v2
	v_exp_f32_e32 v6, v6
	s_nop 0
	v_add_f32_e32 v6, 1.0, v6
	v_cmp_gt_f32_e32 vcc, s14, v6
	s_nop 1
	v_cndmask_b32_e32 v3, 1.0, v3, vcc
	v_mul_f32_e32 v3, v6, v3
	v_log_f32_e32 v3, v3
	v_cndmask_b32_e32 v5, 0, v5, vcc
	v_mul_f32_e32 v6, 0x3f317217, v3
	v_fma_f32 v6, v3, s7, -v6
	v_fmac_f32_e32 v6, 0x3377d1cf, v3
	v_fmac_f32_e32 v6, 0x3f317217, v3
	v_cmp_lt_f32_e64 vcc, |v3|, s12
	s_nop 1
	v_cndmask_b32_e32 v3, v3, v6, vcc
	v_sub_f32_e32 v3, v3, v5
	v_cmp_lt_f32_e32 vcc, s6, v2
	s_nop 1
	v_cndmask_b32_e32 v2, v3, v2, vcc
	v_mul_f32_e32 v3, 0x4f800000, v2
	v_cmp_gt_f32_e32 vcc, s13, v2
	s_nop 1
	v_cndmask_b32_e32 v2, v2, v3, vcc
	v_sqrt_f32_e32 v3, v2
	s_nop 0
	v_add_u32_e32 v5, -1, v3
	v_add_u32_e32 v6, 1, v3
	v_fma_f32 v7, -v5, v3, v2
	v_fma_f32 v8, -v6, v3, v2
	v_cmp_ge_f32_e64 s[2:3], 0, v7
	s_nop 1
	v_cndmask_b32_e64 v3, v3, v5, s[2:3]
	v_cmp_lt_f32_e64 s[2:3], 0, v8
	s_nop 1
	v_cndmask_b32_e64 v3, v3, v6, s[2:3]
	v_mul_f32_e32 v5, 0x37800000, v3
	v_cndmask_b32_e32 v3, v3, v5, vcc
	v_cmp_class_f32_e64 s[2:3], v2, v1
	s_andn2_b64 vcc, exec, s[20:21]
	s_nop 0
	v_cndmask_b32_e64 v1, v3, v2, s[2:3]
	s_cbranch_vccnz .LBB485_8
; %bb.7:
	s_load_dword s2, s[10:11], 0x4
	s_waitcnt lgkmcnt(0)
	v_add_f32_e32 v1, s2, v1
.LBB485_8:
	s_load_dwordx4 s[4:7], s[0:1], 0x30
	s_mov_b32 s25, 0
	s_waitcnt lgkmcnt(0)
	s_bitcmp1_b32 s7, 0
	s_cselect_b64 s[2:3], -1, 0
	s_cmp_gt_i32 s4, 0
	s_cselect_b64 s[22:23], -1, 0
	s_and_b64 vcc, exec, s[22:23]
	v_mul_lo_u32 v2, v0, s4
	s_cbranch_vccz .LBB485_15
; %bb.9:
	s_load_dwordx4 s[12:15], s[0:1], 0x20
	v_mov_b32_e32 v3, 0
	v_mov_b32_e32 v5, 0xc61c4000
	s_branch .LBB485_11
.LBB485_10:                             ;   in Loop: Header=BB485_11 Depth=1
	v_add_u32_e32 v8, s25, v2
	v_ashrrev_i32_e32 v9, 31, v8
	v_lshlrev_b64 v[10:11], 2, v[8:9]
	v_cmp_le_i32_e32 vcc, s5, v6
	v_cmp_gt_i32_e64 s[0:1], s6, v6
	v_lshl_add_u64 v[12:13], s[16:17], 0, v[10:11]
	s_and_b64 s[0:1], vcc, s[0:1]
	global_store_dword v[12:13], v7, off
	v_subrev_u32_e32 v12, s5, v6
	v_ashrrev_i32_e32 v13, 31, v12
	s_and_b64 vcc, s[18:19], s[0:1]
	v_cndmask_b32_e32 v13, 0, v13, vcc
	v_cndmask_b32_e32 v12, 2, v12, vcc
	v_add_f32_e32 v7, v3, v7
	s_add_i32 s25, s25, 1
	v_cmp_ne_u32_e32 vcc, 0, v6
	s_waitcnt lgkmcnt(0)
	v_lshl_add_u64 v[8:9], v[8:9], 3, s[12:13]
	v_cndmask_b32_e64 v3, v3, v7, s[2:3]
	s_cmp_lt_i32 s25, s4
	v_cndmask_b32_e32 v7, v5, v4, vcc
	v_cmp_ne_u32_e32 vcc, 1, v6
	global_store_dwordx2 v[8:9], v[12:13], off
	v_lshl_add_u64 v[8:9], s[14:15], 0, v[10:11]
	v_cndmask_b32_e32 v6, v5, v1, vcc
	s_cselect_b64 vcc, -1, 0
	global_store_dword v[8:9], v0, off
	v_cndmask_b32_e32 v1, v1, v6, vcc
	v_cndmask_b32_e32 v4, v4, v7, vcc
	s_cmp_lg_u32 s4, s25
	v_add_u32_e32 v0, s24, v0
	s_cbranch_scc0 .LBB485_16
.LBB485_11:                             ; =>This Inner Loop Header: Depth=1
	v_cmp_gt_f32_e32 vcc, v1, v4
	s_and_b64 s[0:1], exec, s[20:21]
	s_nop 0
	v_cndmask_b32_e32 v8, v4, v1, vcc
	v_cndmask_b32_e64 v6, 0, 1, vcc
	s_mov_b64 vcc, s[0:1]
	s_cbranch_vccz .LBB485_13
; %bb.12:                               ;   in Loop: Header=BB485_11 Depth=1
	v_lshlrev_b32_e32 v7, 2, v6
	global_load_dword v7, v7, s[10:11]
	s_waitcnt vmcnt(0)
	v_sub_f32_e32 v7, v8, v7
	s_cbranch_execnz .LBB485_10
	s_branch .LBB485_14
.LBB485_13:                             ;   in Loop: Header=BB485_11 Depth=1
                                        ; implicit-def: $vgpr7
.LBB485_14:                             ;   in Loop: Header=BB485_11 Depth=1
	v_mov_b32_e32 v7, v8
	s_branch .LBB485_10
.LBB485_15:
	v_mov_b32_e32 v3, 0
.LBB485_16:
	s_andn2_b64 vcc, exec, s[2:3]
	v_cvt_f32_f64_e32 v0, s[8:9]
	s_cbranch_vccnz .LBB485_18
; %bb.17:
	v_cmp_lt_f32_e32 vcc, 0, v3
	s_nop 1
	v_cndmask_b32_e32 v1, 1.0, v3, vcc
	v_div_scale_f32 v3, s[0:1], v1, v1, v0
	v_rcp_f32_e32 v4, v3
	s_nop 0
	v_fma_f32 v5, -v3, v4, 1.0
	v_fmac_f32_e32 v4, v5, v4
	v_div_scale_f32 v5, vcc, v0, v1, v0
	v_mul_f32_e32 v6, v5, v4
	v_fma_f32 v7, -v3, v6, v5
	v_fmac_f32_e32 v6, v7, v4
	v_fma_f32 v3, -v3, v6, v5
	v_div_fmas_f32 v3, v3, v4, v6
	v_div_fixup_f32 v0, v3, v1, v0
.LBB485_18:
	s_andn2_b64 vcc, exec, s[22:23]
	s_cbranch_vccnz .LBB485_28
; %bb.19:
	s_cmp_gt_u32 s4, 3
	v_ashrrev_i32_e32 v3, 31, v2
	s_cbranch_scc0 .LBB485_23
; %bb.20:
	s_and_b32 s0, s4, 0x7ffffffc
	v_lshl_add_u64 v[4:5], v[2:3], 2, s[16:17]
	v_mov_b32_e32 v1, v0
	v_lshl_add_u64 v[4:5], v[4:5], 0, 8
	s_mov_b32 s1, s0
.LBB485_21:                             ; =>This Inner Loop Header: Depth=1
	global_load_dwordx4 v[6:9], v[4:5], off offset:-8
	s_add_i32 s1, s1, -4
	s_cmp_lg_u32 s1, 0
	s_waitcnt vmcnt(0)
	v_pk_mul_f32 v[6:7], v[0:1], v[6:7]
	v_pk_mul_f32 v[8:9], v[0:1], v[8:9]
	global_store_dwordx4 v[4:5], v[6:9], off offset:-8
	v_lshl_add_u64 v[4:5], v[4:5], 0, 16
	s_cbranch_scc1 .LBB485_21
; %bb.22:
	s_cmp_lg_u32 s0, s4
	s_cselect_b64 s[2:3], -1, 0
	s_branch .LBB485_25
.LBB485_23:
	s_mov_b64 s[2:3], 0
                                        ; implicit-def: $sgpr0
	s_cbranch_execz .LBB485_25
; %bb.24:
	s_mov_b64 s[2:3], -1
	s_mov_b32 s0, 0
.LBB485_25:
	s_andn2_b64 vcc, exec, s[2:3]
	s_cbranch_vccnz .LBB485_28
; %bb.26:
	s_mov_b32 s1, 0
	v_lshl_add_u64 v[2:3], v[2:3], 0, s[0:1]
	s_sub_i32 s2, s4, s0
	v_lshl_add_u64 v[2:3], v[2:3], 2, s[16:17]
.LBB485_27:                             ; =>This Inner Loop Header: Depth=1
	global_load_dword v1, v[2:3], off
	s_add_i32 s2, s2, -1
	s_cmp_lg_u32 s2, 0
	s_waitcnt vmcnt(0)
	v_mul_f32_e32 v1, v0, v1
	global_store_dword v[2:3], v1, off
	v_lshl_add_u64 v[2:3], v[2:3], 0, 4
	s_cbranch_scc1 .LBB485_27
.LBB485_28:
	s_endpgm
	.section	.rodata,"a",@progbits
	.p2align	6, 0x0
	.amdhsa_kernel _ZN4vllm3moe22topkGatingSoftplusSqrtILi2ELi2ELi4ELi4ELi64ELb0El14__hip_bfloat16EEvPKT6_PKbPfiPT5_PiiiibdPKfPKS9_SF_
		.amdhsa_group_segment_fixed_size 0
		.amdhsa_private_segment_fixed_size 0
		.amdhsa_kernarg_size 96
		.amdhsa_user_sgpr_count 2
		.amdhsa_user_sgpr_dispatch_ptr 0
		.amdhsa_user_sgpr_queue_ptr 0
		.amdhsa_user_sgpr_kernarg_segment_ptr 1
		.amdhsa_user_sgpr_dispatch_id 0
		.amdhsa_user_sgpr_kernarg_preload_length 0
		.amdhsa_user_sgpr_kernarg_preload_offset 0
		.amdhsa_user_sgpr_private_segment_size 0
		.amdhsa_uses_dynamic_stack 0
		.amdhsa_enable_private_segment 0
		.amdhsa_system_sgpr_workgroup_id_x 1
		.amdhsa_system_sgpr_workgroup_id_y 0
		.amdhsa_system_sgpr_workgroup_id_z 0
		.amdhsa_system_sgpr_workgroup_info 0
		.amdhsa_system_vgpr_workitem_id 1
		.amdhsa_next_free_vgpr 14
		.amdhsa_next_free_sgpr 26
		.amdhsa_accum_offset 16
		.amdhsa_reserve_vcc 1
		.amdhsa_float_round_mode_32 0
		.amdhsa_float_round_mode_16_64 0
		.amdhsa_float_denorm_mode_32 3
		.amdhsa_float_denorm_mode_16_64 3
		.amdhsa_dx10_clamp 1
		.amdhsa_ieee_mode 1
		.amdhsa_fp16_overflow 0
		.amdhsa_tg_split 0
		.amdhsa_exception_fp_ieee_invalid_op 0
		.amdhsa_exception_fp_denorm_src 0
		.amdhsa_exception_fp_ieee_div_zero 0
		.amdhsa_exception_fp_ieee_overflow 0
		.amdhsa_exception_fp_ieee_underflow 0
		.amdhsa_exception_fp_ieee_inexact 0
		.amdhsa_exception_int_div_zero 0
	.end_amdhsa_kernel
	.section	.text._ZN4vllm3moe22topkGatingSoftplusSqrtILi2ELi2ELi4ELi4ELi64ELb0El14__hip_bfloat16EEvPKT6_PKbPfiPT5_PiiiibdPKfPKS9_SF_,"axG",@progbits,_ZN4vllm3moe22topkGatingSoftplusSqrtILi2ELi2ELi4ELi4ELi64ELb0El14__hip_bfloat16EEvPKT6_PKbPfiPT5_PiiiibdPKfPKS9_SF_,comdat
.Lfunc_end485:
	.size	_ZN4vllm3moe22topkGatingSoftplusSqrtILi2ELi2ELi4ELi4ELi64ELb0El14__hip_bfloat16EEvPKT6_PKbPfiPT5_PiiiibdPKfPKS9_SF_, .Lfunc_end485-_ZN4vllm3moe22topkGatingSoftplusSqrtILi2ELi2ELi4ELi4ELi64ELb0El14__hip_bfloat16EEvPKT6_PKbPfiPT5_PiiiibdPKfPKS9_SF_
                                        ; -- End function
	.section	.AMDGPU.csdata,"",@progbits
; Kernel info:
; codeLenInByte = 1396
; NumSgprs: 32
; NumVgprs: 14
; NumAgprs: 0
; TotalNumVgprs: 14
; ScratchSize: 0
; MemoryBound: 0
; FloatMode: 240
; IeeeMode: 1
; LDSByteSize: 0 bytes/workgroup (compile time only)
; SGPRBlocks: 3
; VGPRBlocks: 1
; NumSGPRsForWavesPerEU: 32
; NumVGPRsForWavesPerEU: 14
; AccumOffset: 16
; Occupancy: 8
; WaveLimiterHint : 0
; COMPUTE_PGM_RSRC2:SCRATCH_EN: 0
; COMPUTE_PGM_RSRC2:USER_SGPR: 2
; COMPUTE_PGM_RSRC2:TRAP_HANDLER: 0
; COMPUTE_PGM_RSRC2:TGID_X_EN: 1
; COMPUTE_PGM_RSRC2:TGID_Y_EN: 0
; COMPUTE_PGM_RSRC2:TGID_Z_EN: 0
; COMPUTE_PGM_RSRC2:TIDIG_COMP_CNT: 1
; COMPUTE_PGM_RSRC3_GFX90A:ACCUM_OFFSET: 3
; COMPUTE_PGM_RSRC3_GFX90A:TG_SPLIT: 0
	.section	.text._ZN4vllm3moe22topkGatingSoftplusSqrtILi2ELi2ELi4ELi4ELi32ELb1El14__hip_bfloat16EEvPKT6_PKbPfiPT5_PiiiibdPKfPKS9_SF_,"axG",@progbits,_ZN4vllm3moe22topkGatingSoftplusSqrtILi2ELi2ELi4ELi4ELi32ELb1El14__hip_bfloat16EEvPKT6_PKbPfiPT5_PiiiibdPKfPKS9_SF_,comdat
	.protected	_ZN4vllm3moe22topkGatingSoftplusSqrtILi2ELi2ELi4ELi4ELi32ELb1El14__hip_bfloat16EEvPKT6_PKbPfiPT5_PiiiibdPKfPKS9_SF_ ; -- Begin function _ZN4vllm3moe22topkGatingSoftplusSqrtILi2ELi2ELi4ELi4ELi32ELb1El14__hip_bfloat16EEvPKT6_PKbPfiPT5_PiiiibdPKfPKS9_SF_
	.globl	_ZN4vllm3moe22topkGatingSoftplusSqrtILi2ELi2ELi4ELi4ELi32ELb1El14__hip_bfloat16EEvPKT6_PKbPfiPT5_PiiiibdPKfPKS9_SF_
	.p2align	8
	.type	_ZN4vllm3moe22topkGatingSoftplusSqrtILi2ELi2ELi4ELi4ELi32ELb1El14__hip_bfloat16EEvPKT6_PKbPfiPT5_PiiiibdPKfPKS9_SF_,@function
_ZN4vllm3moe22topkGatingSoftplusSqrtILi2ELi2ELi4ELi4ELi32ELb1El14__hip_bfloat16EEvPKT6_PKbPfiPT5_PiiiibdPKfPKS9_SF_: ; @_ZN4vllm3moe22topkGatingSoftplusSqrtILi2ELi2ELi4ELi4ELi32ELb1El14__hip_bfloat16EEvPKT6_PKbPfiPT5_PiiiibdPKfPKS9_SF_
; %bb.0:
	s_load_dword s3, s[0:1], 0x18
	v_bfe_u32 v1, v0, 10, 10
	s_lshl_b32 s2, s2, 7
	v_lshlrev_b32_e32 v1, 5, v1
	v_and_b32_e32 v0, 0x3ff, v0
	v_add3_u32 v0, v1, v0, s2
	s_waitcnt lgkmcnt(0)
	v_cmp_gt_i32_e32 vcc, s3, v0
	s_and_saveexec_b64 s[2:3], vcc
	s_cbranch_execz .LBB486_48
; %bb.1:
	s_load_dwordx4 s[8:11], s[0:1], 0x50
	s_load_dwordx2 s[2:3], s[0:1], 0x0
	s_load_dword s12, s[0:1], 0x30
	v_lshlrev_b32_e32 v2, 1, v0
	v_ashrrev_i32_e32 v3, 31, v2
	s_waitcnt lgkmcnt(0)
	v_mov_b32_e32 v4, s8
	v_mov_b32_e32 v5, s9
	v_lshl_add_u64 v[2:3], v[2:3], 1, s[2:3]
	v_ashrrev_i32_e32 v1, 31, v0
	global_load_dword v6, v[2:3], off
	v_lshl_add_u64 v[2:3], v[0:1], 3, v[4:5]
	global_load_dwordx2 v[2:3], v[2:3], off
	s_ashr_i32 s13, s12, 31
	v_cmp_lt_i64_e64 s[2:3], s[12:13], 1
	s_mov_b32 s4, 0x800000
	s_and_b64 vcc, exec, s[2:3]
	v_mov_b32_e32 v1, 0x4f800000
	s_mov_b32 s7, 0x3f317217
	s_mov_b32 s9, 0x7f800000
	v_mov_b32_e32 v7, 0x41b17218
	s_mov_b32 s6, 0x41a00000
	s_mov_b32 s16, 0xf800000
	v_mov_b32_e32 v8, 0x260
	s_mov_b32 s8, 0
	v_mov_b32_e32 v14, 0
	v_mul_lo_u32 v0, v0, s12
	v_cmp_gt_i64_e64 s[14:15], s[12:13], 0
	s_waitcnt vmcnt(1)
	v_and_b32_e32 v9, 0xffff0000, v6
	v_lshlrev_b32_e32 v6, 16, v6
	s_waitcnt vmcnt(0)
	v_mul_lo_u32 v10, v3, s12
	v_mul_f32_e32 v3, 0x3fb8aa3b, v6
	v_mul_f32_e32 v5, 0x3fb8aa3b, v9
	v_exp_f32_e32 v4, v3
	v_exp_f32_e32 v5, v5
	v_mul_lo_u32 v11, v2, s13
	v_mad_u64_u32 v[2:3], s[2:3], v2, s12, 0
	v_pk_add_f32 v[4:5], v[4:5], 1.0 op_sel_hi:[1,0]
	v_add3_u32 v3, v3, v11, v10
	v_cmp_gt_f32_e64 s[2:3], s4, v5
	v_cmp_gt_f32_e64 s[4:5], s4, v4
	s_nop 0
	v_cndmask_b32_e64 v12, 1.0, v1, s[2:3]
	v_cndmask_b32_e64 v1, 1.0, v1, s[4:5]
	v_mul_f32_e32 v5, v5, v12
	v_mul_f32_e32 v1, v4, v1
	v_log_f32_e32 v4, v5
	v_log_f32_e32 v1, v1
	v_cndmask_b32_e64 v5, 0, v7, s[2:3]
	v_cndmask_b32_e64 v7, 0, v7, s[4:5]
	v_mul_f32_e32 v12, 0x3f317217, v4
	v_mul_f32_e32 v13, 0x3f317217, v1
	v_fma_f32 v12, v4, s7, -v12
	v_fma_f32 v13, v1, s7, -v13
	v_fmac_f32_e32 v12, 0x3377d1cf, v4
	v_fmac_f32_e32 v13, 0x3377d1cf, v1
	v_fmac_f32_e32 v12, 0x3f317217, v4
	v_cmp_lt_f32_e64 s[2:3], |v4|, s9
	v_fmac_f32_e32 v13, 0x3f317217, v1
	s_nop 0
	v_cndmask_b32_e64 v4, v4, v12, s[2:3]
	v_cmp_lt_f32_e64 s[2:3], |v1|, s9
	v_sub_f32_e32 v4, v4, v5
	s_nop 0
	v_cndmask_b32_e64 v1, v1, v13, s[2:3]
	v_sub_f32_e32 v1, v1, v7
	v_cmp_lt_f32_e64 s[2:3], s6, v6
	s_nop 1
	v_cndmask_b32_e64 v1, v1, v6, s[2:3]
	v_cmp_lt_f32_e64 s[2:3], s6, v9
	v_mul_f32_e32 v6, 0x4f800000, v1
	v_cmp_gt_f32_e64 s[4:5], s16, v1
	v_cndmask_b32_e64 v4, v4, v9, s[2:3]
	v_mul_f32_e32 v5, 0x4f800000, v4
	v_cmp_gt_f32_e64 s[2:3], s16, v4
	v_cndmask_b32_e64 v1, v1, v6, s[4:5]
	v_sqrt_f32_e32 v6, v1
	v_cndmask_b32_e64 v4, v4, v5, s[2:3]
	v_sqrt_f32_e32 v5, v4
	v_add_u32_e32 v10, -1, v6
	v_fma_f32 v15, -v10, v6, v1
	v_add_u32_e32 v7, -1, v5
	v_fma_f32 v12, -v7, v5, v4
	v_add_u32_e32 v9, 1, v5
	v_cmp_ge_f32_e64 s[6:7], 0, v12
	v_add_u32_e32 v11, 1, v6
	v_fma_f32 v13, -v9, v5, v4
	v_cndmask_b32_e64 v5, v5, v7, s[6:7]
	v_cmp_ge_f32_e64 s[6:7], 0, v15
	v_fma_f32 v16, -v11, v6, v1
	s_nop 0
	v_cndmask_b32_e64 v6, v6, v10, s[6:7]
	v_cmp_lt_f32_e64 s[6:7], 0, v13
	s_nop 1
	v_cndmask_b32_e64 v5, v5, v9, s[6:7]
	v_cmp_lt_f32_e64 s[6:7], 0, v16
	v_mul_f32_e32 v7, 0x37800000, v5
	v_cndmask_b32_e64 v5, v5, v7, s[2:3]
	v_cndmask_b32_e64 v6, v6, v11, s[6:7]
	v_mul_f32_e32 v9, 0x37800000, v6
	v_cmp_class_f32_e64 s[2:3], v4, v8
	v_cndmask_b32_e64 v6, v6, v9, s[4:5]
	s_nop 0
	v_cndmask_b32_e64 v12, v5, v4, s[2:3]
	v_cmp_class_f32_e64 s[2:3], v1, v8
	s_nop 1
	v_cndmask_b32_e64 v13, v6, v1, s[2:3]
	s_cbranch_vccnz .LBB486_29
; %bb.2:
	s_load_dwordx2 s[2:3], s[0:1], 0x20
	s_cmp_lt_u32 s12, 4
	v_lshl_add_u64 v[4:5], v[2:3], 3, s[10:11]
	s_cbranch_scc1 .LBB486_21
; %bb.3:
	s_mov_b32 s5, 0
	s_and_b32 s8, s12, 0x7ffffffc
	v_ashrrev_i32_e32 v1, 31, v0
	v_mov_b32_e32 v7, 0
	v_mov_b32_e32 v14, 0
	s_mov_b32 s4, s5
	s_branch .LBB486_5
.LBB486_4:                              ;   in Loop: Header=BB486_5 Depth=1
	s_or_b64 exec, exec, s[6:7]
	s_add_i32 s4, s4, 4
	s_cmp_eq_u32 s4, s8
	s_cbranch_scc1 .LBB486_22
.LBB486_5:                              ; =>This Loop Header: Depth=1
                                        ;     Child Loop BB486_7 Depth 2
                                        ;     Child Loop BB486_11 Depth 2
	;; [unrolled: 1-line block ×4, first 2 shown]
	v_lshl_add_u64 v[8:9], s[4:5], 3, v[4:5]
	global_load_dword v6, v[8:9], off
	v_add_u32_e32 v10, s4, v0
	v_ashrrev_i32_e32 v11, 31, v10
	s_mov_b64 s[6:7], 0
	s_waitcnt lgkmcnt(0)
	v_lshl_add_u64 v[10:11], v[10:11], 3, s[2:3]
	s_waitcnt vmcnt(0)
	v_cmp_eq_u32_e32 vcc, 0, v6
	s_nop 1
	v_cndmask_b32_e64 v15, 2, 1, vcc
	v_cmp_eq_u32_e32 vcc, 1, v6
	v_mov_b32_e32 v17, v6
	s_nop 0
	v_cndmask_b32_e32 v16, v13, v12, vcc
	s_branch .LBB486_7
.LBB486_6:                              ;   in Loop: Header=BB486_7 Depth=2
	s_or_b64 exec, exec, s[16:17]
	v_add_u32_e32 v15, -1, v15
	v_cmp_eq_u32_e32 vcc, 0, v15
	s_or_b64 s[6:7], vcc, s[6:7]
	v_add_u32_e32 v17, -1, v17
	s_andn2_b64 exec, exec, s[6:7]
	s_cbranch_execz .LBB486_9
.LBB486_7:                              ;   Parent Loop BB486_5 Depth=1
                                        ; =>  This Inner Loop Header: Depth=2
	v_cmp_eq_u32_e32 vcc, 0, v17
	s_and_saveexec_b64 s[16:17], vcc
	s_cbranch_execz .LBB486_6
; %bb.8:                                ;   in Loop: Header=BB486_7 Depth=2
	v_add_f32_e32 v14, v14, v16
	global_store_dwordx2 v[10:11], v[6:7], off
	s_branch .LBB486_6
.LBB486_9:                              ;   in Loop: Header=BB486_5 Depth=1
	s_or_b64 exec, exec, s[6:7]
	global_load_dword v6, v[8:9], off offset:8
	s_ashr_i32 s17, s4, 31
	s_mov_b32 s16, s4
	v_lshl_add_u64 v[10:11], s[16:17], 0, v[0:1]
	s_mov_b64 s[6:7], 0
	v_lshl_add_u64 v[10:11], v[10:11], 3, s[2:3]
	s_waitcnt vmcnt(0)
	v_cmp_eq_u32_e32 vcc, 0, v6
	s_nop 1
	v_cndmask_b32_e64 v15, 2, 1, vcc
	v_cmp_eq_u32_e32 vcc, 1, v6
	v_mov_b32_e32 v17, v6
	s_nop 0
	v_cndmask_b32_e32 v16, v13, v12, vcc
	s_branch .LBB486_11
.LBB486_10:                             ;   in Loop: Header=BB486_11 Depth=2
	s_or_b64 exec, exec, s[16:17]
	v_add_u32_e32 v15, -1, v15
	v_cmp_eq_u32_e32 vcc, 0, v15
	s_or_b64 s[6:7], vcc, s[6:7]
	v_add_u32_e32 v17, -1, v17
	s_andn2_b64 exec, exec, s[6:7]
	s_cbranch_execz .LBB486_13
.LBB486_11:                             ;   Parent Loop BB486_5 Depth=1
                                        ; =>  This Inner Loop Header: Depth=2
	v_cmp_eq_u32_e32 vcc, 0, v17
	s_and_saveexec_b64 s[16:17], vcc
	s_cbranch_execz .LBB486_10
; %bb.12:                               ;   in Loop: Header=BB486_11 Depth=2
	v_add_f32_e32 v14, v14, v16
	global_store_dwordx2 v[10:11], v[6:7], off offset:8
	s_branch .LBB486_10
.LBB486_13:                             ;   in Loop: Header=BB486_5 Depth=1
	s_or_b64 exec, exec, s[6:7]
	global_load_dword v6, v[8:9], off offset:16
	s_mov_b64 s[6:7], 0
	s_waitcnt vmcnt(0)
	v_cmp_eq_u32_e32 vcc, 0, v6
	s_nop 1
	v_cndmask_b32_e64 v15, 2, 1, vcc
	v_cmp_eq_u32_e32 vcc, 1, v6
	v_mov_b32_e32 v17, v6
	s_nop 0
	v_cndmask_b32_e32 v16, v13, v12, vcc
	s_branch .LBB486_15
.LBB486_14:                             ;   in Loop: Header=BB486_15 Depth=2
	s_or_b64 exec, exec, s[16:17]
	v_add_u32_e32 v15, -1, v15
	v_cmp_eq_u32_e32 vcc, 0, v15
	s_or_b64 s[6:7], vcc, s[6:7]
	v_add_u32_e32 v17, -1, v17
	s_andn2_b64 exec, exec, s[6:7]
	s_cbranch_execz .LBB486_17
.LBB486_15:                             ;   Parent Loop BB486_5 Depth=1
                                        ; =>  This Inner Loop Header: Depth=2
	v_cmp_eq_u32_e32 vcc, 0, v17
	s_and_saveexec_b64 s[16:17], vcc
	s_cbranch_execz .LBB486_14
; %bb.16:                               ;   in Loop: Header=BB486_15 Depth=2
	v_add_f32_e32 v14, v14, v16
	global_store_dwordx2 v[10:11], v[6:7], off offset:16
	s_branch .LBB486_14
.LBB486_17:                             ;   in Loop: Header=BB486_5 Depth=1
	s_or_b64 exec, exec, s[6:7]
	global_load_dword v6, v[8:9], off offset:24
	s_mov_b64 s[6:7], 0
	s_waitcnt vmcnt(0)
	v_cmp_eq_u32_e32 vcc, 0, v6
	s_nop 1
	v_cndmask_b32_e64 v8, 2, 1, vcc
	v_cmp_eq_u32_e32 vcc, 1, v6
	v_mov_b32_e32 v15, v6
	s_nop 0
	v_cndmask_b32_e32 v9, v13, v12, vcc
	s_branch .LBB486_19
.LBB486_18:                             ;   in Loop: Header=BB486_19 Depth=2
	s_or_b64 exec, exec, s[16:17]
	v_add_u32_e32 v8, -1, v8
	v_cmp_eq_u32_e32 vcc, 0, v8
	s_or_b64 s[6:7], vcc, s[6:7]
	v_add_u32_e32 v15, -1, v15
	s_andn2_b64 exec, exec, s[6:7]
	s_cbranch_execz .LBB486_4
.LBB486_19:                             ;   Parent Loop BB486_5 Depth=1
                                        ; =>  This Inner Loop Header: Depth=2
	v_cmp_eq_u32_e32 vcc, 0, v15
	s_and_saveexec_b64 s[16:17], vcc
	s_cbranch_execz .LBB486_18
; %bb.20:                               ;   in Loop: Header=BB486_19 Depth=2
	v_add_f32_e32 v14, v14, v9
	global_store_dwordx2 v[10:11], v[6:7], off offset:24
	s_branch .LBB486_18
.LBB486_21:
	v_mov_b32_e32 v14, 0
.LBB486_22:
	s_and_b32 s13, s12, 3
	s_cmp_eq_u32 s13, 0
	s_mov_b32 s9, 0
	s_cbranch_scc1 .LBB486_29
; %bb.23:
	v_mov_b32_e32 v7, 0
	s_mov_b32 s16, s9
	s_branch .LBB486_25
.LBB486_24:                             ;   in Loop: Header=BB486_25 Depth=1
	s_or_b64 exec, exec, s[4:5]
	s_add_i32 s8, s8, 1
	s_add_i32 s16, s16, 1
	s_cmp_lg_u32 s16, s13
	s_cbranch_scc0 .LBB486_29
.LBB486_25:                             ; =>This Loop Header: Depth=1
                                        ;     Child Loop BB486_27 Depth 2
	v_lshl_add_u64 v[8:9], s[8:9], 3, v[4:5]
	global_load_dword v6, v[8:9], off
	v_add_u32_e32 v8, s8, v0
	v_ashrrev_i32_e32 v9, 31, v8
	s_mov_b64 s[4:5], 0
	s_waitcnt lgkmcnt(0)
	v_lshl_add_u64 v[8:9], v[8:9], 3, s[2:3]
	s_waitcnt vmcnt(0)
	v_cmp_eq_u32_e32 vcc, 0, v6
	s_nop 1
	v_cndmask_b32_e64 v1, 2, 1, vcc
	v_cmp_eq_u32_e32 vcc, 1, v6
	v_mov_b32_e32 v11, v6
	s_nop 0
	v_cndmask_b32_e32 v10, v13, v12, vcc
	s_branch .LBB486_27
.LBB486_26:                             ;   in Loop: Header=BB486_27 Depth=2
	s_or_b64 exec, exec, s[6:7]
	v_add_u32_e32 v1, -1, v1
	v_cmp_eq_u32_e32 vcc, 0, v1
	s_or_b64 s[4:5], vcc, s[4:5]
	v_add_u32_e32 v11, -1, v11
	s_andn2_b64 exec, exec, s[4:5]
	s_cbranch_execz .LBB486_24
.LBB486_27:                             ;   Parent Loop BB486_25 Depth=1
                                        ; =>  This Inner Loop Header: Depth=2
	v_cmp_eq_u32_e32 vcc, 0, v11
	s_and_saveexec_b64 s[6:7], vcc
	s_cbranch_execz .LBB486_26
; %bb.28:                               ;   in Loop: Header=BB486_27 Depth=2
	v_add_f32_e32 v14, v14, v10
	global_store_dwordx2 v[8:9], v[6:7], off
	s_branch .LBB486_26
.LBB486_29:
	s_load_dword s4, s[0:1], 0x3c
	s_waitcnt lgkmcnt(0)
	s_load_dwordx2 s[2:3], s[0:1], 0x40
	s_bitcmp1_b32 s4, 0
	s_cselect_b64 s[4:5], -1, 0
	s_waitcnt lgkmcnt(0)
	v_cvt_f32_f64_e32 v15, s[2:3]
	s_and_b64 vcc, exec, s[4:5]
	s_cbranch_vccz .LBB486_31
; %bb.30:
	v_cmp_lt_f32_e32 vcc, 0, v14
	s_nop 1
	v_cndmask_b32_e32 v1, 1.0, v14, vcc
	v_div_scale_f32 v4, s[2:3], v1, v1, v15
	v_rcp_f32_e32 v5, v4
	s_nop 0
	v_fma_f32 v6, -v4, v5, 1.0
	v_fmac_f32_e32 v5, v6, v5
	v_div_scale_f32 v6, vcc, v15, v1, v15
	v_mul_f32_e32 v7, v6, v5
	v_fma_f32 v8, -v4, v7, v6
	v_fmac_f32_e32 v7, v8, v5
	v_fma_f32 v4, -v4, v7, v6
	v_div_fmas_f32 v4, v4, v5, v7
	v_div_fixup_f32 v15, v4, v1, v15
.LBB486_31:
	s_andn2_b64 vcc, exec, s[14:15]
	s_cbranch_vccnz .LBB486_48
; %bb.32:
	s_load_dwordx2 s[0:1], s[0:1], 0x10
	s_cmp_lt_u32 s12, 4
	s_mov_b32 s2, 0
	s_cbranch_scc1 .LBB486_43
; %bb.33:
	v_ashrrev_i32_e32 v1, 31, v0
	s_waitcnt lgkmcnt(0)
	v_lshl_add_u64 v[4:5], v[0:1], 2, s[0:1]
	v_lshl_add_u64 v[6:7], v[2:3], 3, s[10:11]
	s_and_b32 s2, s12, 0x7ffffffc
	v_lshl_add_u64 v[4:5], v[4:5], 0, 12
	v_lshl_add_u64 v[6:7], v[6:7], 0, 16
	s_mov_b32 s3, 0
	v_mov_b32_e32 v9, 0
	s_branch .LBB486_35
.LBB486_34:                             ;   in Loop: Header=BB486_35 Depth=1
	s_or_b64 exec, exec, s[4:5]
	s_add_i32 s3, s3, 4
	v_lshl_add_u64 v[4:5], v[4:5], 0, 16
	s_cmp_lg_u32 s2, s3
	v_lshl_add_u64 v[6:7], v[6:7], 0, 32
	s_cbranch_scc0 .LBB486_43
.LBB486_35:                             ; =>This Inner Loop Header: Depth=1
	global_load_dwordx2 v[10:11], v[6:7], off offset:-16
	s_waitcnt vmcnt(0)
	v_and_b32_e32 v8, -2, v10
	v_cmp_eq_u64_e32 vcc, 0, v[8:9]
	s_and_saveexec_b64 s[4:5], vcc
	s_cbranch_execz .LBB486_37
; %bb.36:                               ;   in Loop: Header=BB486_35 Depth=1
	v_and_b32_e32 v1, 1, v10
	v_add_u32_e32 v16, s3, v0
	v_cmp_eq_u32_e32 vcc, 1, v1
	v_ashrrev_i32_e32 v17, 31, v16
	v_lshl_add_u64 v[10:11], v[16:17], 2, s[0:1]
	v_cndmask_b32_e32 v1, v13, v12, vcc
	v_mul_f32_e32 v1, v15, v1
	global_store_dword v[10:11], v1, off
.LBB486_37:                             ;   in Loop: Header=BB486_35 Depth=1
	s_or_b64 exec, exec, s[4:5]
	global_load_dwordx2 v[10:11], v[6:7], off offset:-8
	s_waitcnt vmcnt(0)
	v_and_b32_e32 v8, -2, v10
	v_cmp_eq_u64_e32 vcc, 0, v[8:9]
	s_and_saveexec_b64 s[4:5], vcc
	s_cbranch_execz .LBB486_39
; %bb.38:                               ;   in Loop: Header=BB486_35 Depth=1
	v_and_b32_e32 v1, 1, v10
	v_cmp_eq_u32_e32 vcc, 1, v1
	s_nop 1
	v_cndmask_b32_e32 v1, v13, v12, vcc
	v_mul_f32_e32 v1, v15, v1
	global_store_dword v[4:5], v1, off offset:-8
.LBB486_39:                             ;   in Loop: Header=BB486_35 Depth=1
	s_or_b64 exec, exec, s[4:5]
	global_load_dwordx2 v[10:11], v[6:7], off
	s_waitcnt vmcnt(0)
	v_and_b32_e32 v8, -2, v10
	v_cmp_eq_u64_e32 vcc, 0, v[8:9]
	s_and_saveexec_b64 s[4:5], vcc
	s_cbranch_execz .LBB486_41
; %bb.40:                               ;   in Loop: Header=BB486_35 Depth=1
	v_and_b32_e32 v1, 1, v10
	v_cmp_eq_u32_e32 vcc, 1, v1
	s_nop 1
	v_cndmask_b32_e32 v1, v13, v12, vcc
	v_mul_f32_e32 v1, v15, v1
	global_store_dword v[4:5], v1, off offset:-4
.LBB486_41:                             ;   in Loop: Header=BB486_35 Depth=1
	s_or_b64 exec, exec, s[4:5]
	global_load_dwordx2 v[10:11], v[6:7], off offset:8
	s_waitcnt vmcnt(0)
	v_and_b32_e32 v8, -2, v10
	v_cmp_eq_u64_e32 vcc, 0, v[8:9]
	s_and_saveexec_b64 s[4:5], vcc
	s_cbranch_execz .LBB486_34
; %bb.42:                               ;   in Loop: Header=BB486_35 Depth=1
	v_and_b32_e32 v1, 1, v10
	v_cmp_eq_u32_e32 vcc, 1, v1
	s_nop 1
	v_cndmask_b32_e32 v1, v13, v12, vcc
	v_mul_f32_e32 v1, v15, v1
	global_store_dword v[4:5], v1, off
	s_branch .LBB486_34
.LBB486_43:
	s_and_b32 s4, s12, 3
	s_cmp_eq_u32 s4, 0
	s_mov_b32 s3, 0
	s_cbranch_scc1 .LBB486_48
; %bb.44:
	v_add_u32_e32 v0, s2, v0
	s_lshl_b64 s[2:3], s[2:3], 3
	s_add_u32 s2, s10, s2
	s_addc_u32 s3, s11, s3
	v_lshl_add_u64 v[2:3], v[2:3], 3, s[2:3]
	v_mov_b32_e32 v5, 0
	s_branch .LBB486_46
.LBB486_45:                             ;   in Loop: Header=BB486_46 Depth=1
	s_or_b64 exec, exec, s[2:3]
	s_add_i32 s4, s4, -1
	v_add_u32_e32 v0, 1, v0
	s_cmp_lg_u32 s4, 0
	v_lshl_add_u64 v[2:3], v[2:3], 0, 8
	s_cbranch_scc0 .LBB486_48
.LBB486_46:                             ; =>This Inner Loop Header: Depth=1
	global_load_dwordx2 v[6:7], v[2:3], off
	s_waitcnt vmcnt(0)
	v_and_b32_e32 v4, -2, v6
	v_cmp_eq_u64_e32 vcc, 0, v[4:5]
	s_and_saveexec_b64 s[2:3], vcc
	s_cbranch_execz .LBB486_45
; %bb.47:                               ;   in Loop: Header=BB486_46 Depth=1
	v_and_b32_e32 v1, 1, v6
	v_cmp_eq_u32_e32 vcc, 1, v1
	s_nop 1
	v_cndmask_b32_e32 v1, v13, v12, vcc
	v_mul_f32_e32 v4, v15, v1
	v_ashrrev_i32_e32 v1, 31, v0
	s_waitcnt lgkmcnt(0)
	v_lshl_add_u64 v[6:7], v[0:1], 2, s[0:1]
	global_store_dword v[6:7], v4, off
	s_branch .LBB486_45
.LBB486_48:
	s_endpgm
	.section	.rodata,"a",@progbits
	.p2align	6, 0x0
	.amdhsa_kernel _ZN4vllm3moe22topkGatingSoftplusSqrtILi2ELi2ELi4ELi4ELi32ELb1El14__hip_bfloat16EEvPKT6_PKbPfiPT5_PiiiibdPKfPKS9_SF_
		.amdhsa_group_segment_fixed_size 0
		.amdhsa_private_segment_fixed_size 0
		.amdhsa_kernarg_size 96
		.amdhsa_user_sgpr_count 2
		.amdhsa_user_sgpr_dispatch_ptr 0
		.amdhsa_user_sgpr_queue_ptr 0
		.amdhsa_user_sgpr_kernarg_segment_ptr 1
		.amdhsa_user_sgpr_dispatch_id 0
		.amdhsa_user_sgpr_kernarg_preload_length 0
		.amdhsa_user_sgpr_kernarg_preload_offset 0
		.amdhsa_user_sgpr_private_segment_size 0
		.amdhsa_uses_dynamic_stack 0
		.amdhsa_enable_private_segment 0
		.amdhsa_system_sgpr_workgroup_id_x 1
		.amdhsa_system_sgpr_workgroup_id_y 0
		.amdhsa_system_sgpr_workgroup_id_z 0
		.amdhsa_system_sgpr_workgroup_info 0
		.amdhsa_system_vgpr_workitem_id 1
		.amdhsa_next_free_vgpr 18
		.amdhsa_next_free_sgpr 18
		.amdhsa_accum_offset 20
		.amdhsa_reserve_vcc 1
		.amdhsa_float_round_mode_32 0
		.amdhsa_float_round_mode_16_64 0
		.amdhsa_float_denorm_mode_32 3
		.amdhsa_float_denorm_mode_16_64 3
		.amdhsa_dx10_clamp 1
		.amdhsa_ieee_mode 1
		.amdhsa_fp16_overflow 0
		.amdhsa_tg_split 0
		.amdhsa_exception_fp_ieee_invalid_op 0
		.amdhsa_exception_fp_denorm_src 0
		.amdhsa_exception_fp_ieee_div_zero 0
		.amdhsa_exception_fp_ieee_overflow 0
		.amdhsa_exception_fp_ieee_underflow 0
		.amdhsa_exception_fp_ieee_inexact 0
		.amdhsa_exception_int_div_zero 0
	.end_amdhsa_kernel
	.section	.text._ZN4vllm3moe22topkGatingSoftplusSqrtILi2ELi2ELi4ELi4ELi32ELb1El14__hip_bfloat16EEvPKT6_PKbPfiPT5_PiiiibdPKfPKS9_SF_,"axG",@progbits,_ZN4vllm3moe22topkGatingSoftplusSqrtILi2ELi2ELi4ELi4ELi32ELb1El14__hip_bfloat16EEvPKT6_PKbPfiPT5_PiiiibdPKfPKS9_SF_,comdat
.Lfunc_end486:
	.size	_ZN4vllm3moe22topkGatingSoftplusSqrtILi2ELi2ELi4ELi4ELi32ELb1El14__hip_bfloat16EEvPKT6_PKbPfiPT5_PiiiibdPKfPKS9_SF_, .Lfunc_end486-_ZN4vllm3moe22topkGatingSoftplusSqrtILi2ELi2ELi4ELi4ELi32ELb1El14__hip_bfloat16EEvPKT6_PKbPfiPT5_PiiiibdPKfPKS9_SF_
                                        ; -- End function
	.section	.AMDGPU.csdata,"",@progbits
; Kernel info:
; codeLenInByte = 2208
; NumSgprs: 24
; NumVgprs: 18
; NumAgprs: 0
; TotalNumVgprs: 18
; ScratchSize: 0
; MemoryBound: 0
; FloatMode: 240
; IeeeMode: 1
; LDSByteSize: 0 bytes/workgroup (compile time only)
; SGPRBlocks: 2
; VGPRBlocks: 2
; NumSGPRsForWavesPerEU: 24
; NumVGPRsForWavesPerEU: 18
; AccumOffset: 20
; Occupancy: 8
; WaveLimiterHint : 1
; COMPUTE_PGM_RSRC2:SCRATCH_EN: 0
; COMPUTE_PGM_RSRC2:USER_SGPR: 2
; COMPUTE_PGM_RSRC2:TRAP_HANDLER: 0
; COMPUTE_PGM_RSRC2:TGID_X_EN: 1
; COMPUTE_PGM_RSRC2:TGID_Y_EN: 0
; COMPUTE_PGM_RSRC2:TGID_Z_EN: 0
; COMPUTE_PGM_RSRC2:TIDIG_COMP_CNT: 1
; COMPUTE_PGM_RSRC3_GFX90A:ACCUM_OFFSET: 4
; COMPUTE_PGM_RSRC3_GFX90A:TG_SPLIT: 0
	.section	.text._ZN4vllm3moe22topkGatingSoftplusSqrtILi2ELi2ELi4ELi4ELi32ELb0El14__hip_bfloat16EEvPKT6_PKbPfiPT5_PiiiibdPKfPKS9_SF_,"axG",@progbits,_ZN4vllm3moe22topkGatingSoftplusSqrtILi2ELi2ELi4ELi4ELi32ELb0El14__hip_bfloat16EEvPKT6_PKbPfiPT5_PiiiibdPKfPKS9_SF_,comdat
	.protected	_ZN4vllm3moe22topkGatingSoftplusSqrtILi2ELi2ELi4ELi4ELi32ELb0El14__hip_bfloat16EEvPKT6_PKbPfiPT5_PiiiibdPKfPKS9_SF_ ; -- Begin function _ZN4vllm3moe22topkGatingSoftplusSqrtILi2ELi2ELi4ELi4ELi32ELb0El14__hip_bfloat16EEvPKT6_PKbPfiPT5_PiiiibdPKfPKS9_SF_
	.globl	_ZN4vllm3moe22topkGatingSoftplusSqrtILi2ELi2ELi4ELi4ELi32ELb0El14__hip_bfloat16EEvPKT6_PKbPfiPT5_PiiiibdPKfPKS9_SF_
	.p2align	8
	.type	_ZN4vllm3moe22topkGatingSoftplusSqrtILi2ELi2ELi4ELi4ELi32ELb0El14__hip_bfloat16EEvPKT6_PKbPfiPT5_PiiiibdPKfPKS9_SF_,@function
_ZN4vllm3moe22topkGatingSoftplusSqrtILi2ELi2ELi4ELi4ELi32ELb0El14__hip_bfloat16EEvPKT6_PKbPfiPT5_PiiiibdPKfPKS9_SF_: ; @_ZN4vllm3moe22topkGatingSoftplusSqrtILi2ELi2ELi4ELi4ELi32ELb0El14__hip_bfloat16EEvPKT6_PKbPfiPT5_PiiiibdPKfPKS9_SF_
; %bb.0:
	s_load_dword s24, s[0:1], 0x18
	v_bfe_u32 v1, v0, 10, 10
	s_lshl_b32 s2, s2, 7
	v_lshlrev_b32_e32 v1, 5, v1
	v_and_b32_e32 v0, 0x3ff, v0
	v_add3_u32 v0, v1, v0, s2
	s_waitcnt lgkmcnt(0)
	v_cmp_gt_i32_e32 vcc, s24, v0
	s_and_saveexec_b64 s[2:3], vcc
	s_cbranch_execz .LBB487_28
; %bb.1:
	s_load_dwordx4 s[4:7], s[0:1], 0x0
	s_load_dwordx2 s[16:17], s[0:1], 0x10
	s_waitcnt lgkmcnt(0)
	s_cmp_eq_u64 s[6:7], 0
	s_cbranch_scc1 .LBB487_3
; %bb.2:
	v_ashrrev_i32_e32 v1, 31, v0
	v_lshl_add_u64 v[2:3], s[6:7], 0, v[0:1]
	global_load_ubyte v1, v[2:3], off
	s_waitcnt vmcnt(0)
	v_and_b32_e32 v1, 1, v1
	v_cmp_eq_u32_e32 vcc, 1, v1
	s_xor_b64 s[2:3], vcc, -1
	s_orn2_b64 s[18:19], s[2:3], exec
	s_branch .LBB487_4
.LBB487_3:
	s_mov_b64 s[18:19], -1
.LBB487_4:
	v_lshlrev_b32_e32 v4, 1, v0
	v_mov_b32_e32 v2, s4
	v_mov_b32_e32 v3, s5
	v_ashrrev_i32_e32 v5, 31, v4
	v_lshl_add_u64 v[2:3], v[4:5], 1, v[2:3]
	global_load_dword v2, v[2:3], off
	s_mov_b32 s14, 0x800000
	v_mov_b32_e32 v3, 0x4f800000
	s_mov_b32 s7, 0x3f317217
	s_mov_b32 s12, 0x7f800000
	v_mov_b32_e32 v5, 0x41b17218
	s_mov_b32 s6, 0x41a00000
	s_mov_b32 s13, 0xf800000
	s_load_dwordx4 s[8:11], s[0:1], 0x40
	s_waitcnt lgkmcnt(0)
	s_cmp_lg_u64 s[10:11], 0
	s_cselect_b64 s[20:21], -1, 0
	s_and_b64 s[2:3], exec, s[20:21]
	s_waitcnt vmcnt(0)
	v_lshlrev_b32_e32 v4, 16, v2
	v_mul_f32_e32 v1, 0x3fb8aa3b, v4
	v_exp_f32_e32 v1, v1
	s_nop 0
	v_add_f32_e32 v1, 1.0, v1
	v_cmp_gt_f32_e32 vcc, s14, v1
	s_nop 1
	v_cndmask_b32_e32 v6, 1.0, v3, vcc
	v_mul_f32_e32 v1, v1, v6
	v_log_f32_e32 v6, v1
	v_cndmask_b32_e32 v7, 0, v5, vcc
	v_mov_b32_e32 v1, 0x260
	v_mul_f32_e32 v8, 0x3f317217, v6
	v_fma_f32 v8, v6, s7, -v8
	v_fmac_f32_e32 v8, 0x3377d1cf, v6
	v_fmac_f32_e32 v8, 0x3f317217, v6
	v_cmp_lt_f32_e64 vcc, |v6|, s12
	s_nop 1
	v_cndmask_b32_e32 v6, v6, v8, vcc
	v_sub_f32_e32 v6, v6, v7
	v_cmp_lt_f32_e32 vcc, s6, v4
	s_nop 1
	v_cndmask_b32_e32 v4, v6, v4, vcc
	v_mul_f32_e32 v6, 0x4f800000, v4
	v_cmp_gt_f32_e32 vcc, s13, v4
	s_nop 1
	v_cndmask_b32_e32 v4, v4, v6, vcc
	v_sqrt_f32_e32 v6, v4
	s_nop 0
	v_add_u32_e32 v7, -1, v6
	v_add_u32_e32 v8, 1, v6
	v_fma_f32 v9, -v7, v6, v4
	v_fma_f32 v10, -v8, v6, v4
	v_cmp_ge_f32_e64 s[4:5], 0, v9
	s_nop 1
	v_cndmask_b32_e64 v6, v6, v7, s[4:5]
	v_cmp_lt_f32_e64 s[4:5], 0, v10
	s_nop 1
	v_cndmask_b32_e64 v6, v6, v8, s[4:5]
	v_mul_f32_e32 v7, 0x37800000, v6
	v_cndmask_b32_e32 v6, v6, v7, vcc
	v_cmp_class_f32_e32 vcc, v4, v1
	s_nop 1
	v_cndmask_b32_e32 v4, v6, v4, vcc
	s_mov_b64 vcc, s[2:3]
	s_cbranch_vccz .LBB487_6
; %bb.5:
	s_load_dword s2, s[10:11], 0x0
	s_waitcnt lgkmcnt(0)
	v_add_f32_e32 v4, s2, v4
.LBB487_6:
	v_and_b32_e32 v2, 0xffff0000, v2
	v_mul_f32_e32 v6, 0x3fb8aa3b, v2
	v_exp_f32_e32 v6, v6
	s_nop 0
	v_add_f32_e32 v6, 1.0, v6
	v_cmp_gt_f32_e32 vcc, s14, v6
	s_nop 1
	v_cndmask_b32_e32 v3, 1.0, v3, vcc
	v_mul_f32_e32 v3, v6, v3
	v_log_f32_e32 v3, v3
	v_cndmask_b32_e32 v5, 0, v5, vcc
	v_mul_f32_e32 v6, 0x3f317217, v3
	v_fma_f32 v6, v3, s7, -v6
	v_fmac_f32_e32 v6, 0x3377d1cf, v3
	v_fmac_f32_e32 v6, 0x3f317217, v3
	v_cmp_lt_f32_e64 vcc, |v3|, s12
	s_nop 1
	v_cndmask_b32_e32 v3, v3, v6, vcc
	v_sub_f32_e32 v3, v3, v5
	v_cmp_lt_f32_e32 vcc, s6, v2
	s_nop 1
	v_cndmask_b32_e32 v2, v3, v2, vcc
	v_mul_f32_e32 v3, 0x4f800000, v2
	v_cmp_gt_f32_e32 vcc, s13, v2
	s_nop 1
	v_cndmask_b32_e32 v2, v2, v3, vcc
	v_sqrt_f32_e32 v3, v2
	s_nop 0
	v_add_u32_e32 v5, -1, v3
	v_add_u32_e32 v6, 1, v3
	v_fma_f32 v7, -v5, v3, v2
	v_fma_f32 v8, -v6, v3, v2
	v_cmp_ge_f32_e64 s[2:3], 0, v7
	s_nop 1
	v_cndmask_b32_e64 v3, v3, v5, s[2:3]
	v_cmp_lt_f32_e64 s[2:3], 0, v8
	s_nop 1
	v_cndmask_b32_e64 v3, v3, v6, s[2:3]
	v_mul_f32_e32 v5, 0x37800000, v3
	v_cndmask_b32_e32 v3, v3, v5, vcc
	v_cmp_class_f32_e64 s[2:3], v2, v1
	s_andn2_b64 vcc, exec, s[20:21]
	s_nop 0
	v_cndmask_b32_e64 v1, v3, v2, s[2:3]
	s_cbranch_vccnz .LBB487_8
; %bb.7:
	s_load_dword s2, s[10:11], 0x4
	s_waitcnt lgkmcnt(0)
	v_add_f32_e32 v1, s2, v1
.LBB487_8:
	s_load_dwordx4 s[4:7], s[0:1], 0x30
	s_mov_b32 s25, 0
	s_waitcnt lgkmcnt(0)
	s_bitcmp1_b32 s7, 0
	s_cselect_b64 s[2:3], -1, 0
	s_cmp_gt_i32 s4, 0
	s_cselect_b64 s[22:23], -1, 0
	s_and_b64 vcc, exec, s[22:23]
	v_mul_lo_u32 v2, v0, s4
	s_cbranch_vccz .LBB487_15
; %bb.9:
	s_load_dwordx4 s[12:15], s[0:1], 0x20
	v_mov_b32_e32 v3, 0
	v_mov_b32_e32 v5, 0xc61c4000
	s_branch .LBB487_11
.LBB487_10:                             ;   in Loop: Header=BB487_11 Depth=1
	v_add_u32_e32 v8, s25, v2
	v_ashrrev_i32_e32 v9, 31, v8
	v_lshlrev_b64 v[10:11], 2, v[8:9]
	v_cmp_le_i32_e32 vcc, s5, v6
	v_cmp_gt_i32_e64 s[0:1], s6, v6
	v_lshl_add_u64 v[12:13], s[16:17], 0, v[10:11]
	s_and_b64 s[0:1], vcc, s[0:1]
	global_store_dword v[12:13], v7, off
	v_subrev_u32_e32 v12, s5, v6
	v_ashrrev_i32_e32 v13, 31, v12
	s_and_b64 vcc, s[18:19], s[0:1]
	v_cndmask_b32_e32 v13, 0, v13, vcc
	v_cndmask_b32_e32 v12, 2, v12, vcc
	v_add_f32_e32 v7, v3, v7
	s_add_i32 s25, s25, 1
	v_cmp_ne_u32_e32 vcc, 0, v6
	s_waitcnt lgkmcnt(0)
	v_lshl_add_u64 v[8:9], v[8:9], 3, s[12:13]
	v_cndmask_b32_e64 v3, v3, v7, s[2:3]
	s_cmp_lt_i32 s25, s4
	v_cndmask_b32_e32 v7, v5, v4, vcc
	v_cmp_ne_u32_e32 vcc, 1, v6
	global_store_dwordx2 v[8:9], v[12:13], off
	v_lshl_add_u64 v[8:9], s[14:15], 0, v[10:11]
	v_cndmask_b32_e32 v6, v5, v1, vcc
	s_cselect_b64 vcc, -1, 0
	global_store_dword v[8:9], v0, off
	v_cndmask_b32_e32 v1, v1, v6, vcc
	v_cndmask_b32_e32 v4, v4, v7, vcc
	s_cmp_lg_u32 s4, s25
	v_add_u32_e32 v0, s24, v0
	s_cbranch_scc0 .LBB487_16
.LBB487_11:                             ; =>This Inner Loop Header: Depth=1
	v_cmp_gt_f32_e32 vcc, v1, v4
	s_and_b64 s[0:1], exec, s[20:21]
	s_nop 0
	v_cndmask_b32_e32 v8, v4, v1, vcc
	v_cndmask_b32_e64 v6, 0, 1, vcc
	s_mov_b64 vcc, s[0:1]
	s_cbranch_vccz .LBB487_13
; %bb.12:                               ;   in Loop: Header=BB487_11 Depth=1
	v_lshlrev_b32_e32 v7, 2, v6
	global_load_dword v7, v7, s[10:11]
	s_waitcnt vmcnt(0)
	v_sub_f32_e32 v7, v8, v7
	s_cbranch_execnz .LBB487_10
	s_branch .LBB487_14
.LBB487_13:                             ;   in Loop: Header=BB487_11 Depth=1
                                        ; implicit-def: $vgpr7
.LBB487_14:                             ;   in Loop: Header=BB487_11 Depth=1
	v_mov_b32_e32 v7, v8
	s_branch .LBB487_10
.LBB487_15:
	v_mov_b32_e32 v3, 0
.LBB487_16:
	s_andn2_b64 vcc, exec, s[2:3]
	v_cvt_f32_f64_e32 v0, s[8:9]
	s_cbranch_vccnz .LBB487_18
; %bb.17:
	v_cmp_lt_f32_e32 vcc, 0, v3
	s_nop 1
	v_cndmask_b32_e32 v1, 1.0, v3, vcc
	v_div_scale_f32 v3, s[0:1], v1, v1, v0
	v_rcp_f32_e32 v4, v3
	s_nop 0
	v_fma_f32 v5, -v3, v4, 1.0
	v_fmac_f32_e32 v4, v5, v4
	v_div_scale_f32 v5, vcc, v0, v1, v0
	v_mul_f32_e32 v6, v5, v4
	v_fma_f32 v7, -v3, v6, v5
	v_fmac_f32_e32 v6, v7, v4
	v_fma_f32 v3, -v3, v6, v5
	v_div_fmas_f32 v3, v3, v4, v6
	v_div_fixup_f32 v0, v3, v1, v0
.LBB487_18:
	s_andn2_b64 vcc, exec, s[22:23]
	s_cbranch_vccnz .LBB487_28
; %bb.19:
	s_cmp_gt_u32 s4, 3
	v_ashrrev_i32_e32 v3, 31, v2
	s_cbranch_scc0 .LBB487_23
; %bb.20:
	s_and_b32 s0, s4, 0x7ffffffc
	v_lshl_add_u64 v[4:5], v[2:3], 2, s[16:17]
	v_mov_b32_e32 v1, v0
	v_lshl_add_u64 v[4:5], v[4:5], 0, 8
	s_mov_b32 s1, s0
.LBB487_21:                             ; =>This Inner Loop Header: Depth=1
	global_load_dwordx4 v[6:9], v[4:5], off offset:-8
	s_add_i32 s1, s1, -4
	s_cmp_lg_u32 s1, 0
	s_waitcnt vmcnt(0)
	v_pk_mul_f32 v[6:7], v[0:1], v[6:7]
	v_pk_mul_f32 v[8:9], v[0:1], v[8:9]
	global_store_dwordx4 v[4:5], v[6:9], off offset:-8
	v_lshl_add_u64 v[4:5], v[4:5], 0, 16
	s_cbranch_scc1 .LBB487_21
; %bb.22:
	s_cmp_lg_u32 s0, s4
	s_cselect_b64 s[2:3], -1, 0
	s_branch .LBB487_25
.LBB487_23:
	s_mov_b64 s[2:3], 0
                                        ; implicit-def: $sgpr0
	s_cbranch_execz .LBB487_25
; %bb.24:
	s_mov_b64 s[2:3], -1
	s_mov_b32 s0, 0
.LBB487_25:
	s_andn2_b64 vcc, exec, s[2:3]
	s_cbranch_vccnz .LBB487_28
; %bb.26:
	s_mov_b32 s1, 0
	v_lshl_add_u64 v[2:3], v[2:3], 0, s[0:1]
	s_sub_i32 s2, s4, s0
	v_lshl_add_u64 v[2:3], v[2:3], 2, s[16:17]
.LBB487_27:                             ; =>This Inner Loop Header: Depth=1
	global_load_dword v1, v[2:3], off
	s_add_i32 s2, s2, -1
	s_cmp_lg_u32 s2, 0
	s_waitcnt vmcnt(0)
	v_mul_f32_e32 v1, v0, v1
	global_store_dword v[2:3], v1, off
	v_lshl_add_u64 v[2:3], v[2:3], 0, 4
	s_cbranch_scc1 .LBB487_27
.LBB487_28:
	s_endpgm
	.section	.rodata,"a",@progbits
	.p2align	6, 0x0
	.amdhsa_kernel _ZN4vllm3moe22topkGatingSoftplusSqrtILi2ELi2ELi4ELi4ELi32ELb0El14__hip_bfloat16EEvPKT6_PKbPfiPT5_PiiiibdPKfPKS9_SF_
		.amdhsa_group_segment_fixed_size 0
		.amdhsa_private_segment_fixed_size 0
		.amdhsa_kernarg_size 96
		.amdhsa_user_sgpr_count 2
		.amdhsa_user_sgpr_dispatch_ptr 0
		.amdhsa_user_sgpr_queue_ptr 0
		.amdhsa_user_sgpr_kernarg_segment_ptr 1
		.amdhsa_user_sgpr_dispatch_id 0
		.amdhsa_user_sgpr_kernarg_preload_length 0
		.amdhsa_user_sgpr_kernarg_preload_offset 0
		.amdhsa_user_sgpr_private_segment_size 0
		.amdhsa_uses_dynamic_stack 0
		.amdhsa_enable_private_segment 0
		.amdhsa_system_sgpr_workgroup_id_x 1
		.amdhsa_system_sgpr_workgroup_id_y 0
		.amdhsa_system_sgpr_workgroup_id_z 0
		.amdhsa_system_sgpr_workgroup_info 0
		.amdhsa_system_vgpr_workitem_id 1
		.amdhsa_next_free_vgpr 14
		.amdhsa_next_free_sgpr 26
		.amdhsa_accum_offset 16
		.amdhsa_reserve_vcc 1
		.amdhsa_float_round_mode_32 0
		.amdhsa_float_round_mode_16_64 0
		.amdhsa_float_denorm_mode_32 3
		.amdhsa_float_denorm_mode_16_64 3
		.amdhsa_dx10_clamp 1
		.amdhsa_ieee_mode 1
		.amdhsa_fp16_overflow 0
		.amdhsa_tg_split 0
		.amdhsa_exception_fp_ieee_invalid_op 0
		.amdhsa_exception_fp_denorm_src 0
		.amdhsa_exception_fp_ieee_div_zero 0
		.amdhsa_exception_fp_ieee_overflow 0
		.amdhsa_exception_fp_ieee_underflow 0
		.amdhsa_exception_fp_ieee_inexact 0
		.amdhsa_exception_int_div_zero 0
	.end_amdhsa_kernel
	.section	.text._ZN4vllm3moe22topkGatingSoftplusSqrtILi2ELi2ELi4ELi4ELi32ELb0El14__hip_bfloat16EEvPKT6_PKbPfiPT5_PiiiibdPKfPKS9_SF_,"axG",@progbits,_ZN4vllm3moe22topkGatingSoftplusSqrtILi2ELi2ELi4ELi4ELi32ELb0El14__hip_bfloat16EEvPKT6_PKbPfiPT5_PiiiibdPKfPKS9_SF_,comdat
.Lfunc_end487:
	.size	_ZN4vllm3moe22topkGatingSoftplusSqrtILi2ELi2ELi4ELi4ELi32ELb0El14__hip_bfloat16EEvPKT6_PKbPfiPT5_PiiiibdPKfPKS9_SF_, .Lfunc_end487-_ZN4vllm3moe22topkGatingSoftplusSqrtILi2ELi2ELi4ELi4ELi32ELb0El14__hip_bfloat16EEvPKT6_PKbPfiPT5_PiiiibdPKfPKS9_SF_
                                        ; -- End function
	.section	.AMDGPU.csdata,"",@progbits
; Kernel info:
; codeLenInByte = 1396
; NumSgprs: 32
; NumVgprs: 14
; NumAgprs: 0
; TotalNumVgprs: 14
; ScratchSize: 0
; MemoryBound: 0
; FloatMode: 240
; IeeeMode: 1
; LDSByteSize: 0 bytes/workgroup (compile time only)
; SGPRBlocks: 3
; VGPRBlocks: 1
; NumSGPRsForWavesPerEU: 32
; NumVGPRsForWavesPerEU: 14
; AccumOffset: 16
; Occupancy: 8
; WaveLimiterHint : 0
; COMPUTE_PGM_RSRC2:SCRATCH_EN: 0
; COMPUTE_PGM_RSRC2:USER_SGPR: 2
; COMPUTE_PGM_RSRC2:TRAP_HANDLER: 0
; COMPUTE_PGM_RSRC2:TGID_X_EN: 1
; COMPUTE_PGM_RSRC2:TGID_Y_EN: 0
; COMPUTE_PGM_RSRC2:TGID_Z_EN: 0
; COMPUTE_PGM_RSRC2:TIDIG_COMP_CNT: 1
; COMPUTE_PGM_RSRC3_GFX90A:ACCUM_OFFSET: 3
; COMPUTE_PGM_RSRC3_GFX90A:TG_SPLIT: 0
	.section	.text._ZN4vllm3moe22topkGatingSoftplusSqrtILi4ELi4ELi4ELi8ELi64ELb1El14__hip_bfloat16EEvPKT6_PKbPfiPT5_PiiiibdPKfPKS9_SF_,"axG",@progbits,_ZN4vllm3moe22topkGatingSoftplusSqrtILi4ELi4ELi4ELi8ELi64ELb1El14__hip_bfloat16EEvPKT6_PKbPfiPT5_PiiiibdPKfPKS9_SF_,comdat
	.protected	_ZN4vllm3moe22topkGatingSoftplusSqrtILi4ELi4ELi4ELi8ELi64ELb1El14__hip_bfloat16EEvPKT6_PKbPfiPT5_PiiiibdPKfPKS9_SF_ ; -- Begin function _ZN4vllm3moe22topkGatingSoftplusSqrtILi4ELi4ELi4ELi8ELi64ELb1El14__hip_bfloat16EEvPKT6_PKbPfiPT5_PiiiibdPKfPKS9_SF_
	.globl	_ZN4vllm3moe22topkGatingSoftplusSqrtILi4ELi4ELi4ELi8ELi64ELb1El14__hip_bfloat16EEvPKT6_PKbPfiPT5_PiiiibdPKfPKS9_SF_
	.p2align	8
	.type	_ZN4vllm3moe22topkGatingSoftplusSqrtILi4ELi4ELi4ELi8ELi64ELb1El14__hip_bfloat16EEvPKT6_PKbPfiPT5_PiiiibdPKfPKS9_SF_,@function
_ZN4vllm3moe22topkGatingSoftplusSqrtILi4ELi4ELi4ELi8ELi64ELb1El14__hip_bfloat16EEvPKT6_PKbPfiPT5_PiiiibdPKfPKS9_SF_: ; @_ZN4vllm3moe22topkGatingSoftplusSqrtILi4ELi4ELi4ELi8ELi64ELb1El14__hip_bfloat16EEvPKT6_PKbPfiPT5_PiiiibdPKfPKS9_SF_
; %bb.0:
	s_load_dword s3, s[0:1], 0x18
	v_bfe_u32 v1, v0, 10, 10
	s_lshl_b32 s2, s2, 8
	v_lshlrev_b32_e32 v1, 6, v1
	v_and_b32_e32 v0, 0x3ff, v0
	v_add3_u32 v2, v1, v0, s2
	s_waitcnt lgkmcnt(0)
	v_cmp_gt_i32_e32 vcc, s3, v2
	s_and_saveexec_b64 s[2:3], vcc
	s_cbranch_execz .LBB488_56
; %bb.1:
	s_load_dwordx4 s[8:11], s[0:1], 0x50
	s_load_dwordx2 s[2:3], s[0:1], 0x0
	s_load_dword s12, s[0:1], 0x30
	v_lshlrev_b32_e32 v0, 2, v2
	v_ashrrev_i32_e32 v1, 31, v0
	s_waitcnt lgkmcnt(0)
	v_mov_b32_e32 v4, s8
	v_lshl_add_u64 v[0:1], v[0:1], 1, s[2:3]
	v_mov_b32_e32 v5, s9
	v_ashrrev_i32_e32 v3, 31, v2
	global_load_dwordx2 v[0:1], v[0:1], off
	v_lshl_add_u64 v[4:5], v[2:3], 3, v[4:5]
	global_load_dwordx2 v[4:5], v[4:5], off
	s_ashr_i32 s13, s12, 31
	s_mov_b32 s4, 0x800000
	v_mov_b32_e32 v3, 0x4f800000
	v_mov_b32_e32 v8, 0x41b17218
	s_mov_b32 s20, 0x3f317217
	s_mov_b32 s21, 0x7f800000
	;; [unrolled: 1-line block ×4, first 2 shown]
	v_mov_b32_e32 v9, 0x260
	v_cmp_lt_i64_e64 s[18:19], s[12:13], 1
	s_mov_b32 s16, 0
	v_mov_b32_e32 v16, 0
	v_cmp_gt_i64_e64 s[14:15], s[12:13], 0
	v_mul_lo_u32 v2, v2, s12
	s_waitcnt vmcnt(1)
	v_lshlrev_b32_e32 v10, 16, v0
	v_and_b32_e32 v11, 0xffff0000, v0
	v_alignbit_b32 v6, v1, v0, 16
	v_and_b32_e32 v14, 0xffff0000, v1
	s_waitcnt vmcnt(0)
	v_mul_lo_u32 v5, v5, s12
	v_mul_lo_u32 v7, v4, s13
	v_mad_u64_u32 v[0:1], s[2:3], v4, s12, 0
	v_mul_f32_e32 v4, 0x3fb8aa3b, v10
	v_mul_f32_e32 v12, 0x3fb8aa3b, v11
	v_add3_u32 v1, v1, v7, v5
	v_exp_f32_e32 v4, v4
	v_exp_f32_e32 v5, v12
	v_and_b32_e32 v15, 0xffff0000, v6
	v_mul_f32_e32 v6, 0x3fb8aa3b, v14
	v_mul_f32_e32 v12, 0x3fb8aa3b, v15
	v_exp_f32_e32 v7, v6
	v_exp_f32_e32 v6, v12
	v_pk_add_f32 v[4:5], v[4:5], 1.0 op_sel_hi:[1,0]
	v_pk_add_f32 v[6:7], v[6:7], 1.0 op_sel_hi:[1,0]
	v_cmp_gt_f32_e32 vcc, s4, v5
	v_cmp_gt_f32_e64 s[2:3], s4, v4
	s_nop 0
	v_cndmask_b32_e32 v12, 1.0, v3, vcc
	v_cndmask_b32_e64 v13, 1.0, v3, s[2:3]
	v_mul_f32_e32 v5, v5, v12
	v_mul_f32_e32 v4, v4, v13
	v_log_f32_e32 v5, v5
	v_cndmask_b32_e32 v12, 0, v8, vcc
	v_cmp_gt_f32_e32 vcc, s4, v7
	v_log_f32_e32 v4, v4
	v_cndmask_b32_e64 v13, 0, v8, s[2:3]
	v_cndmask_b32_e32 v17, 1.0, v3, vcc
	v_cmp_gt_f32_e64 s[2:3], s4, v6
	v_mul_f32_e32 v7, v7, v17
	v_mul_f32_e32 v17, 0x3f317217, v4
	v_cndmask_b32_e64 v3, 1.0, v3, s[2:3]
	v_mul_f32_e32 v3, v6, v3
	v_log_f32_e32 v6, v7
	v_mul_f32_e32 v7, 0x3f317217, v5
	v_fma_f32 v7, v5, s20, -v7
	v_fma_f32 v17, v4, s20, -v17
	v_fmac_f32_e32 v7, 0x3377d1cf, v5
	v_fmac_f32_e32 v17, 0x3377d1cf, v4
	;; [unrolled: 1-line block ×3, first 2 shown]
	v_cmp_lt_f32_e64 s[4:5], |v5|, s21
	v_fmac_f32_e32 v17, 0x3f317217, v4
	v_mul_f32_e32 v18, 0x3f317217, v6
	v_cndmask_b32_e64 v5, v5, v7, s[4:5]
	v_cmp_lt_f32_e64 s[4:5], |v4|, s21
	v_sub_f32_e32 v5, v5, v12
	v_fma_f32 v18, v6, s20, -v18
	v_cndmask_b32_e64 v4, v4, v17, s[4:5]
	v_sub_f32_e32 v4, v4, v13
	v_cmp_lt_f32_e64 s[4:5], s17, v10
	v_fmac_f32_e32 v18, 0x3377d1cf, v6
	v_fmac_f32_e32 v18, 0x3f317217, v6
	v_cndmask_b32_e64 v4, v4, v10, s[4:5]
	v_cmp_lt_f32_e64 s[4:5], s17, v11
	v_mul_f32_e32 v10, 0x4f800000, v4
	v_cmp_gt_f32_e64 s[6:7], s22, v4
	v_cndmask_b32_e64 v5, v5, v11, s[4:5]
	v_mul_f32_e32 v7, 0x4f800000, v5
	v_cmp_gt_f32_e64 s[4:5], s22, v5
	v_cndmask_b32_e64 v4, v4, v10, s[6:7]
	v_sqrt_f32_e32 v10, v4
	v_cndmask_b32_e64 v5, v5, v7, s[4:5]
	v_sqrt_f32_e32 v7, v5
	v_cmp_lt_f32_e64 s[8:9], |v6|, s21
	v_add_u32_e32 v13, -1, v10
	v_fma_f32 v20, -v13, v10, v4
	v_add_u32_e32 v11, -1, v7
	v_cndmask_b32_e64 v6, v6, v18, s[8:9]
	v_fma_f32 v18, -v11, v7, v5
	v_add_u32_e32 v12, 1, v7
	v_cmp_ge_f32_e64 s[8:9], 0, v18
	v_add_u32_e32 v17, 1, v10
	v_fma_f32 v19, -v12, v7, v5
	v_cndmask_b32_e64 v7, v7, v11, s[8:9]
	v_cmp_ge_f32_e64 s[8:9], 0, v20
	v_log_f32_e32 v3, v3
	v_fma_f32 v21, -v17, v10, v4
	v_cndmask_b32_e64 v10, v10, v13, s[8:9]
	v_cmp_lt_f32_e64 s[8:9], 0, v19
	s_nop 1
	v_cndmask_b32_e64 v7, v7, v12, s[8:9]
	v_cmp_lt_f32_e64 s[8:9], 0, v21
	v_mul_f32_e32 v11, 0x37800000, v7
	v_cndmask_b32_e64 v7, v7, v11, s[4:5]
	v_cndmask_b32_e64 v10, v10, v17, s[8:9]
	v_mul_f32_e32 v12, 0x37800000, v10
	v_cmp_class_f32_e64 s[4:5], v5, v9
	v_cndmask_b32_e64 v10, v10, v12, s[6:7]
	s_nop 0
	v_cndmask_b32_e64 v12, v7, v5, s[4:5]
	v_mul_f32_e32 v5, 0x3f317217, v3
	v_fma_f32 v5, v3, s20, -v5
	v_cmp_class_f32_e64 s[4:5], v4, v9
	v_fmac_f32_e32 v5, 0x3377d1cf, v3
	v_fmac_f32_e32 v5, 0x3f317217, v3
	v_cndmask_b32_e64 v13, v10, v4, s[4:5]
	v_cndmask_b32_e32 v4, 0, v8, vcc
	v_cmp_lt_f32_e64 vcc, |v3|, s21
	v_sub_f32_e32 v4, v6, v4
	s_nop 0
	v_cndmask_b32_e32 v3, v3, v5, vcc
	v_cmp_lt_f32_e32 vcc, s17, v14
	v_cndmask_b32_e64 v5, 0, v8, s[2:3]
	v_sub_f32_e32 v3, v3, v5
	v_cndmask_b32_e32 v4, v4, v14, vcc
	v_mul_f32_e32 v6, 0x4f800000, v4
	v_cmp_gt_f32_e32 vcc, s22, v4
	v_cmp_lt_f32_e64 s[2:3], s17, v15
	s_nop 0
	v_cndmask_b32_e32 v4, v4, v6, vcc
	v_sqrt_f32_e32 v6, v4
	v_cndmask_b32_e64 v3, v3, v15, s[2:3]
	v_add_u32_e32 v5, -1, v6
	v_fma_f32 v7, -v5, v6, v4
	v_cmp_ge_f32_e64 s[2:3], 0, v7
	v_add_u32_e32 v7, 1, v6
	s_nop 0
	v_cndmask_b32_e64 v5, v6, v5, s[2:3]
	v_fma_f32 v6, -v7, v6, v4
	v_cmp_lt_f32_e64 s[2:3], 0, v6
	s_nop 1
	v_cndmask_b32_e64 v5, v5, v7, s[2:3]
	v_mul_f32_e32 v7, 0x4f800000, v3
	v_cmp_gt_f32_e64 s[2:3], s22, v3
	v_mul_f32_e32 v6, 0x37800000, v5
	v_cndmask_b32_e32 v5, v5, v6, vcc
	v_cndmask_b32_e64 v3, v3, v7, s[2:3]
	v_sqrt_f32_e32 v7, v3
	v_cmp_class_f32_e32 vcc, v4, v9
	s_nop 1
	v_cndmask_b32_e32 v14, v5, v4, vcc
	v_add_u32_e32 v4, -1, v7
	v_fma_f32 v5, -v4, v7, v3
	v_cmp_ge_f32_e32 vcc, 0, v5
	v_add_u32_e32 v5, 1, v7
	v_fma_f32 v6, -v5, v7, v3
	v_cndmask_b32_e32 v4, v7, v4, vcc
	v_cmp_lt_f32_e32 vcc, 0, v6
	s_nop 1
	v_cndmask_b32_e32 v4, v4, v5, vcc
	v_mul_f32_e32 v5, 0x37800000, v4
	v_cndmask_b32_e64 v4, v4, v5, s[2:3]
	v_cmp_class_f32_e32 vcc, v3, v9
	s_nop 1
	v_cndmask_b32_e32 v15, v4, v3, vcc
	s_and_b64 vcc, exec, s[18:19]
	s_cbranch_vccnz .LBB488_29
; %bb.2:
	s_load_dwordx2 s[2:3], s[0:1], 0x20
	s_cmp_lt_u32 s12, 4
	v_lshl_add_u64 v[4:5], v[0:1], 3, s[10:11]
	s_cbranch_scc1 .LBB488_21
; %bb.3:
	s_mov_b32 s5, 0
	s_and_b32 s16, s12, 0x7ffffffc
	v_ashrrev_i32_e32 v3, 31, v2
	v_mov_b32_e32 v16, 0
	s_mov_b32 s4, s5
	s_branch .LBB488_5
.LBB488_4:                              ;   in Loop: Header=BB488_5 Depth=1
	s_or_b64 exec, exec, s[6:7]
	s_add_i32 s4, s4, 4
	s_cmp_eq_u32 s4, s16
	s_cbranch_scc1 .LBB488_22
.LBB488_5:                              ; =>This Loop Header: Depth=1
                                        ;     Child Loop BB488_7 Depth 2
                                        ;     Child Loop BB488_11 Depth 2
	;; [unrolled: 1-line block ×4, first 2 shown]
	v_lshl_add_u64 v[6:7], s[4:5], 3, v[4:5]
	global_load_dwordx2 v[8:9], v[6:7], off
	v_add_u32_e32 v10, s4, v2
	v_ashrrev_i32_e32 v11, 31, v10
	s_mov_b64 s[6:7], 0
	s_waitcnt lgkmcnt(0)
	v_lshl_add_u64 v[10:11], v[10:11], 3, s[2:3]
	s_waitcnt vmcnt(0)
	v_cmp_eq_u32_e32 vcc, 1, v8
	s_nop 1
	v_cndmask_b32_e32 v18, v13, v12, vcc
	v_cmp_eq_u32_e32 vcc, 2, v8
	v_min_u32_e32 v17, 3, v8
	v_ashrrev_i32_e32 v9, 31, v8
	v_cndmask_b32_e32 v18, v18, v15, vcc
	v_cmp_eq_u32_e32 vcc, 3, v8
	v_add_u32_e32 v17, 1, v17
	v_mov_b32_e32 v19, v8
	v_cndmask_b32_e32 v18, v18, v14, vcc
	s_branch .LBB488_7
.LBB488_6:                              ;   in Loop: Header=BB488_7 Depth=2
	s_or_b64 exec, exec, s[8:9]
	v_add_u32_e32 v17, -1, v17
	v_cmp_eq_u32_e32 vcc, 0, v17
	s_or_b64 s[6:7], vcc, s[6:7]
	v_add_u32_e32 v19, -1, v19
	s_andn2_b64 exec, exec, s[6:7]
	s_cbranch_execz .LBB488_9
.LBB488_7:                              ;   Parent Loop BB488_5 Depth=1
                                        ; =>  This Inner Loop Header: Depth=2
	v_cmp_eq_u32_e32 vcc, 0, v19
	s_and_saveexec_b64 s[8:9], vcc
	s_cbranch_execz .LBB488_6
; %bb.8:                                ;   in Loop: Header=BB488_7 Depth=2
	v_add_f32_e32 v16, v16, v18
	global_store_dwordx2 v[10:11], v[8:9], off
	s_branch .LBB488_6
.LBB488_9:                              ;   in Loop: Header=BB488_5 Depth=1
	s_or_b64 exec, exec, s[6:7]
	global_load_dwordx2 v[10:11], v[6:7], off offset:8
	s_ashr_i32 s9, s4, 31
	s_mov_b32 s8, s4
	v_lshl_add_u64 v[8:9], s[8:9], 0, v[2:3]
	s_mov_b64 s[6:7], 0
	v_lshl_add_u64 v[8:9], v[8:9], 3, s[2:3]
	s_waitcnt vmcnt(0)
	v_cmp_eq_u32_e32 vcc, 1, v10
	s_nop 1
	v_cndmask_b32_e32 v18, v13, v12, vcc
	v_cmp_eq_u32_e32 vcc, 2, v10
	v_min_u32_e32 v17, 3, v10
	v_ashrrev_i32_e32 v11, 31, v10
	v_cndmask_b32_e32 v18, v18, v15, vcc
	v_cmp_eq_u32_e32 vcc, 3, v10
	v_add_u32_e32 v17, 1, v17
	v_mov_b32_e32 v19, v10
	v_cndmask_b32_e32 v18, v18, v14, vcc
	s_branch .LBB488_11
.LBB488_10:                             ;   in Loop: Header=BB488_11 Depth=2
	s_or_b64 exec, exec, s[8:9]
	v_add_u32_e32 v17, -1, v17
	v_cmp_eq_u32_e32 vcc, 0, v17
	s_or_b64 s[6:7], vcc, s[6:7]
	v_add_u32_e32 v19, -1, v19
	s_andn2_b64 exec, exec, s[6:7]
	s_cbranch_execz .LBB488_13
.LBB488_11:                             ;   Parent Loop BB488_5 Depth=1
                                        ; =>  This Inner Loop Header: Depth=2
	v_cmp_eq_u32_e32 vcc, 0, v19
	s_and_saveexec_b64 s[8:9], vcc
	s_cbranch_execz .LBB488_10
; %bb.12:                               ;   in Loop: Header=BB488_11 Depth=2
	v_add_f32_e32 v16, v16, v18
	global_store_dwordx2 v[8:9], v[10:11], off offset:8
	s_branch .LBB488_10
.LBB488_13:                             ;   in Loop: Header=BB488_5 Depth=1
	s_or_b64 exec, exec, s[6:7]
	global_load_dwordx2 v[10:11], v[6:7], off offset:16
	s_mov_b64 s[6:7], 0
	s_waitcnt vmcnt(0)
	v_cmp_eq_u32_e32 vcc, 1, v10
	s_nop 1
	v_cndmask_b32_e32 v18, v13, v12, vcc
	v_cmp_eq_u32_e32 vcc, 2, v10
	v_min_u32_e32 v17, 3, v10
	v_ashrrev_i32_e32 v11, 31, v10
	v_cndmask_b32_e32 v18, v18, v15, vcc
	v_cmp_eq_u32_e32 vcc, 3, v10
	v_add_u32_e32 v17, 1, v17
	v_mov_b32_e32 v19, v10
	v_cndmask_b32_e32 v18, v18, v14, vcc
	s_branch .LBB488_15
.LBB488_14:                             ;   in Loop: Header=BB488_15 Depth=2
	s_or_b64 exec, exec, s[8:9]
	v_add_u32_e32 v17, -1, v17
	v_cmp_eq_u32_e32 vcc, 0, v17
	s_or_b64 s[6:7], vcc, s[6:7]
	v_add_u32_e32 v19, -1, v19
	s_andn2_b64 exec, exec, s[6:7]
	s_cbranch_execz .LBB488_17
.LBB488_15:                             ;   Parent Loop BB488_5 Depth=1
                                        ; =>  This Inner Loop Header: Depth=2
	v_cmp_eq_u32_e32 vcc, 0, v19
	s_and_saveexec_b64 s[8:9], vcc
	s_cbranch_execz .LBB488_14
; %bb.16:                               ;   in Loop: Header=BB488_15 Depth=2
	v_add_f32_e32 v16, v16, v18
	global_store_dwordx2 v[8:9], v[10:11], off offset:16
	s_branch .LBB488_14
.LBB488_17:                             ;   in Loop: Header=BB488_5 Depth=1
	s_or_b64 exec, exec, s[6:7]
	global_load_dwordx2 v[6:7], v[6:7], off offset:24
	s_mov_b64 s[6:7], 0
	s_waitcnt vmcnt(0)
	v_cmp_eq_u32_e32 vcc, 1, v6
	s_nop 1
	v_cndmask_b32_e32 v11, v13, v12, vcc
	v_cmp_eq_u32_e32 vcc, 2, v6
	v_min_u32_e32 v10, 3, v6
	v_ashrrev_i32_e32 v7, 31, v6
	v_cndmask_b32_e32 v11, v11, v15, vcc
	v_cmp_eq_u32_e32 vcc, 3, v6
	v_add_u32_e32 v10, 1, v10
	v_mov_b32_e32 v17, v6
	v_cndmask_b32_e32 v11, v11, v14, vcc
	s_branch .LBB488_19
.LBB488_18:                             ;   in Loop: Header=BB488_19 Depth=2
	s_or_b64 exec, exec, s[8:9]
	v_add_u32_e32 v10, -1, v10
	v_cmp_eq_u32_e32 vcc, 0, v10
	s_or_b64 s[6:7], vcc, s[6:7]
	v_add_u32_e32 v17, -1, v17
	s_andn2_b64 exec, exec, s[6:7]
	s_cbranch_execz .LBB488_4
.LBB488_19:                             ;   Parent Loop BB488_5 Depth=1
                                        ; =>  This Inner Loop Header: Depth=2
	v_cmp_eq_u32_e32 vcc, 0, v17
	s_and_saveexec_b64 s[8:9], vcc
	s_cbranch_execz .LBB488_18
; %bb.20:                               ;   in Loop: Header=BB488_19 Depth=2
	v_add_f32_e32 v16, v16, v11
	global_store_dwordx2 v[8:9], v[6:7], off offset:24
	s_branch .LBB488_18
.LBB488_21:
	v_mov_b32_e32 v16, 0
.LBB488_22:
	s_and_b32 s8, s12, 3
	s_cmp_eq_u32 s8, 0
	s_mov_b32 s17, 0
	s_cbranch_scc1 .LBB488_29
; %bb.23:
	s_mov_b32 s9, s17
	s_branch .LBB488_25
.LBB488_24:                             ;   in Loop: Header=BB488_25 Depth=1
	s_or_b64 exec, exec, s[4:5]
	s_add_i32 s16, s16, 1
	s_add_i32 s9, s9, 1
	s_cmp_lg_u32 s9, s8
	s_cbranch_scc0 .LBB488_29
.LBB488_25:                             ; =>This Loop Header: Depth=1
                                        ;     Child Loop BB488_27 Depth 2
	v_lshl_add_u64 v[6:7], s[16:17], 3, v[4:5]
	global_load_dwordx2 v[6:7], v[6:7], off
	v_add_u32_e32 v8, s16, v2
	v_ashrrev_i32_e32 v9, 31, v8
	s_mov_b64 s[4:5], 0
	s_waitcnt lgkmcnt(0)
	v_lshl_add_u64 v[8:9], v[8:9], 3, s[2:3]
	s_waitcnt vmcnt(0)
	v_cmp_eq_u32_e32 vcc, 1, v6
	s_nop 1
	v_cndmask_b32_e32 v10, v13, v12, vcc
	v_cmp_eq_u32_e32 vcc, 2, v6
	v_min_u32_e32 v3, 3, v6
	v_ashrrev_i32_e32 v7, 31, v6
	v_cndmask_b32_e32 v10, v10, v15, vcc
	v_cmp_eq_u32_e32 vcc, 3, v6
	v_add_u32_e32 v3, 1, v3
	v_mov_b32_e32 v11, v6
	v_cndmask_b32_e32 v10, v10, v14, vcc
	s_branch .LBB488_27
.LBB488_26:                             ;   in Loop: Header=BB488_27 Depth=2
	s_or_b64 exec, exec, s[6:7]
	v_add_u32_e32 v3, -1, v3
	v_cmp_eq_u32_e32 vcc, 0, v3
	s_or_b64 s[4:5], vcc, s[4:5]
	v_add_u32_e32 v11, -1, v11
	s_andn2_b64 exec, exec, s[4:5]
	s_cbranch_execz .LBB488_24
.LBB488_27:                             ;   Parent Loop BB488_25 Depth=1
                                        ; =>  This Inner Loop Header: Depth=2
	v_cmp_eq_u32_e32 vcc, 0, v11
	s_and_saveexec_b64 s[6:7], vcc
	s_cbranch_execz .LBB488_26
; %bb.28:                               ;   in Loop: Header=BB488_27 Depth=2
	v_add_f32_e32 v16, v16, v10
	global_store_dwordx2 v[8:9], v[6:7], off
	s_branch .LBB488_26
.LBB488_29:
	s_load_dword s4, s[0:1], 0x3c
	s_waitcnt lgkmcnt(0)
	s_load_dwordx2 s[2:3], s[0:1], 0x40
	s_bitcmp1_b32 s4, 0
	s_cselect_b64 s[4:5], -1, 0
	s_waitcnt lgkmcnt(0)
	v_cvt_f32_f64_e32 v8, s[2:3]
	s_and_b64 vcc, exec, s[4:5]
	s_cbranch_vccz .LBB488_31
; %bb.30:
	v_cmp_lt_f32_e32 vcc, 0, v16
	s_nop 1
	v_cndmask_b32_e32 v3, 1.0, v16, vcc
	v_div_scale_f32 v4, s[2:3], v3, v3, v8
	v_rcp_f32_e32 v5, v4
	s_nop 0
	v_fma_f32 v6, -v4, v5, 1.0
	v_fmac_f32_e32 v5, v6, v5
	v_div_scale_f32 v6, vcc, v8, v3, v8
	v_mul_f32_e32 v7, v6, v5
	v_fma_f32 v9, -v4, v7, v6
	v_fmac_f32_e32 v7, v9, v5
	v_fma_f32 v4, -v4, v7, v6
	v_div_fmas_f32 v4, v4, v5, v7
	v_div_fixup_f32 v8, v4, v3, v8
.LBB488_31:
	s_andn2_b64 vcc, exec, s[14:15]
	s_cbranch_vccnz .LBB488_56
; %bb.32:
	s_load_dwordx2 s[0:1], s[0:1], 0x10
	s_cmp_lt_u32 s12, 8
	s_mov_b32 s2, 0
	s_cbranch_scc1 .LBB488_51
; %bb.33:
	v_ashrrev_i32_e32 v3, 31, v2
	s_waitcnt lgkmcnt(0)
	v_lshl_add_u64 v[4:5], v[2:3], 2, s[0:1]
	v_lshl_add_u64 v[6:7], v[0:1], 3, s[10:11]
	s_and_b32 s2, s12, 0x7ffffff8
	v_lshl_add_u64 v[4:5], v[4:5], 0, 28
	v_lshl_add_u64 v[6:7], v[6:7], 0, 56
	s_mov_b32 s3, 0
	s_branch .LBB488_35
.LBB488_34:                             ;   in Loop: Header=BB488_35 Depth=1
	s_or_b64 exec, exec, s[4:5]
	s_add_i32 s3, s3, 8
	v_lshl_add_u64 v[4:5], v[4:5], 0, 32
	s_cmp_eq_u32 s2, s3
	v_lshl_add_u64 v[6:7], v[6:7], 0, 64
	s_cbranch_scc1 .LBB488_51
.LBB488_35:                             ; =>This Inner Loop Header: Depth=1
	global_load_dword v3, v[6:7], off offset:-56
	s_waitcnt vmcnt(0)
	v_cmp_gt_u32_e32 vcc, 4, v3
	s_and_saveexec_b64 s[4:5], vcc
	s_cbranch_execz .LBB488_37
; %bb.36:                               ;   in Loop: Header=BB488_35 Depth=1
	v_cmp_eq_u32_e32 vcc, 1, v3
	v_add_u32_e32 v10, s3, v2
	v_ashrrev_i32_e32 v11, 31, v10
	v_cndmask_b32_e32 v9, v13, v12, vcc
	v_cmp_eq_u32_e32 vcc, 2, v3
	v_lshl_add_u64 v[10:11], v[10:11], 2, s[0:1]
	s_nop 0
	v_cndmask_b32_e32 v9, v9, v15, vcc
	v_cmp_eq_u32_e32 vcc, 3, v3
	s_nop 1
	v_cndmask_b32_e32 v3, v9, v14, vcc
	v_mul_f32_e32 v3, v8, v3
	global_store_dword v[10:11], v3, off
.LBB488_37:                             ;   in Loop: Header=BB488_35 Depth=1
	s_or_b64 exec, exec, s[4:5]
	global_load_dword v3, v[6:7], off offset:-48
	s_waitcnt vmcnt(0)
	v_cmp_gt_u32_e32 vcc, 4, v3
	s_and_saveexec_b64 s[4:5], vcc
	s_cbranch_execz .LBB488_39
; %bb.38:                               ;   in Loop: Header=BB488_35 Depth=1
	v_cmp_eq_u32_e32 vcc, 1, v3
	s_nop 1
	v_cndmask_b32_e32 v9, v13, v12, vcc
	v_cmp_eq_u32_e32 vcc, 2, v3
	s_nop 1
	v_cndmask_b32_e32 v9, v9, v15, vcc
	v_cmp_eq_u32_e32 vcc, 3, v3
	s_nop 1
	v_cndmask_b32_e32 v3, v9, v14, vcc
	v_mul_f32_e32 v3, v8, v3
	global_store_dword v[4:5], v3, off offset:-24
.LBB488_39:                             ;   in Loop: Header=BB488_35 Depth=1
	s_or_b64 exec, exec, s[4:5]
	global_load_dword v3, v[6:7], off offset:-40
	s_waitcnt vmcnt(0)
	v_cmp_gt_u32_e32 vcc, 4, v3
	s_and_saveexec_b64 s[4:5], vcc
	s_cbranch_execz .LBB488_41
; %bb.40:                               ;   in Loop: Header=BB488_35 Depth=1
	v_cmp_eq_u32_e32 vcc, 1, v3
	s_nop 1
	v_cndmask_b32_e32 v9, v13, v12, vcc
	v_cmp_eq_u32_e32 vcc, 2, v3
	s_nop 1
	v_cndmask_b32_e32 v9, v9, v15, vcc
	v_cmp_eq_u32_e32 vcc, 3, v3
	s_nop 1
	v_cndmask_b32_e32 v3, v9, v14, vcc
	v_mul_f32_e32 v3, v8, v3
	global_store_dword v[4:5], v3, off offset:-20
.LBB488_41:                             ;   in Loop: Header=BB488_35 Depth=1
	;; [unrolled: 19-line block ×6, first 2 shown]
	s_or_b64 exec, exec, s[4:5]
	global_load_dword v3, v[6:7], off
	s_waitcnt vmcnt(0)
	v_cmp_gt_u32_e32 vcc, 4, v3
	s_and_saveexec_b64 s[4:5], vcc
	s_cbranch_execz .LBB488_34
; %bb.50:                               ;   in Loop: Header=BB488_35 Depth=1
	v_cmp_eq_u32_e32 vcc, 1, v3
	s_nop 1
	v_cndmask_b32_e32 v9, v13, v12, vcc
	v_cmp_eq_u32_e32 vcc, 2, v3
	s_nop 1
	v_cndmask_b32_e32 v9, v9, v15, vcc
	v_cmp_eq_u32_e32 vcc, 3, v3
	s_nop 1
	v_cndmask_b32_e32 v3, v9, v14, vcc
	v_mul_f32_e32 v3, v8, v3
	global_store_dword v[4:5], v3, off
	s_branch .LBB488_34
.LBB488_51:
	s_and_b32 s4, s12, 7
	s_cmp_eq_u32 s4, 0
	s_mov_b32 s3, 0
	s_cbranch_scc1 .LBB488_56
; %bb.52:
	v_add_u32_e32 v2, s2, v2
	s_lshl_b64 s[2:3], s[2:3], 3
	s_add_u32 s2, s10, s2
	s_addc_u32 s3, s11, s3
	v_lshl_add_u64 v[0:1], v[0:1], 3, s[2:3]
	s_branch .LBB488_54
.LBB488_53:                             ;   in Loop: Header=BB488_54 Depth=1
	s_or_b64 exec, exec, s[2:3]
	s_add_i32 s4, s4, -1
	v_add_u32_e32 v2, 1, v2
	s_cmp_eq_u32 s4, 0
	v_lshl_add_u64 v[0:1], v[0:1], 0, 8
	s_cbranch_scc1 .LBB488_56
.LBB488_54:                             ; =>This Inner Loop Header: Depth=1
	global_load_dword v3, v[0:1], off
	s_waitcnt vmcnt(0)
	v_cmp_gt_u32_e32 vcc, 4, v3
	s_and_saveexec_b64 s[2:3], vcc
	s_cbranch_execz .LBB488_53
; %bb.55:                               ;   in Loop: Header=BB488_54 Depth=1
	v_cmp_eq_u32_e32 vcc, 1, v3
	s_nop 1
	v_cndmask_b32_e32 v4, v13, v12, vcc
	v_cmp_eq_u32_e32 vcc, 2, v3
	s_nop 1
	v_cndmask_b32_e32 v4, v4, v15, vcc
	;; [unrolled: 3-line block ×3, first 2 shown]
	v_mul_f32_e32 v6, v8, v3
	v_ashrrev_i32_e32 v3, 31, v2
	s_waitcnt lgkmcnt(0)
	v_lshl_add_u64 v[4:5], v[2:3], 2, s[0:1]
	global_store_dword v[4:5], v6, off
	s_branch .LBB488_53
.LBB488_56:
	s_endpgm
	.section	.rodata,"a",@progbits
	.p2align	6, 0x0
	.amdhsa_kernel _ZN4vllm3moe22topkGatingSoftplusSqrtILi4ELi4ELi4ELi8ELi64ELb1El14__hip_bfloat16EEvPKT6_PKbPfiPT5_PiiiibdPKfPKS9_SF_
		.amdhsa_group_segment_fixed_size 0
		.amdhsa_private_segment_fixed_size 0
		.amdhsa_kernarg_size 96
		.amdhsa_user_sgpr_count 2
		.amdhsa_user_sgpr_dispatch_ptr 0
		.amdhsa_user_sgpr_queue_ptr 0
		.amdhsa_user_sgpr_kernarg_segment_ptr 1
		.amdhsa_user_sgpr_dispatch_id 0
		.amdhsa_user_sgpr_kernarg_preload_length 0
		.amdhsa_user_sgpr_kernarg_preload_offset 0
		.amdhsa_user_sgpr_private_segment_size 0
		.amdhsa_uses_dynamic_stack 0
		.amdhsa_enable_private_segment 0
		.amdhsa_system_sgpr_workgroup_id_x 1
		.amdhsa_system_sgpr_workgroup_id_y 0
		.amdhsa_system_sgpr_workgroup_id_z 0
		.amdhsa_system_sgpr_workgroup_info 0
		.amdhsa_system_vgpr_workitem_id 1
		.amdhsa_next_free_vgpr 22
		.amdhsa_next_free_sgpr 23
		.amdhsa_accum_offset 24
		.amdhsa_reserve_vcc 1
		.amdhsa_float_round_mode_32 0
		.amdhsa_float_round_mode_16_64 0
		.amdhsa_float_denorm_mode_32 3
		.amdhsa_float_denorm_mode_16_64 3
		.amdhsa_dx10_clamp 1
		.amdhsa_ieee_mode 1
		.amdhsa_fp16_overflow 0
		.amdhsa_tg_split 0
		.amdhsa_exception_fp_ieee_invalid_op 0
		.amdhsa_exception_fp_denorm_src 0
		.amdhsa_exception_fp_ieee_div_zero 0
		.amdhsa_exception_fp_ieee_overflow 0
		.amdhsa_exception_fp_ieee_underflow 0
		.amdhsa_exception_fp_ieee_inexact 0
		.amdhsa_exception_int_div_zero 0
	.end_amdhsa_kernel
	.section	.text._ZN4vllm3moe22topkGatingSoftplusSqrtILi4ELi4ELi4ELi8ELi64ELb1El14__hip_bfloat16EEvPKT6_PKbPfiPT5_PiiiibdPKfPKS9_SF_,"axG",@progbits,_ZN4vllm3moe22topkGatingSoftplusSqrtILi4ELi4ELi4ELi8ELi64ELb1El14__hip_bfloat16EEvPKT6_PKbPfiPT5_PiiiibdPKfPKS9_SF_,comdat
.Lfunc_end488:
	.size	_ZN4vllm3moe22topkGatingSoftplusSqrtILi4ELi4ELi4ELi8ELi64ELb1El14__hip_bfloat16EEvPKT6_PKbPfiPT5_PiiiibdPKfPKS9_SF_, .Lfunc_end488-_ZN4vllm3moe22topkGatingSoftplusSqrtILi4ELi4ELi4ELi8ELi64ELb1El14__hip_bfloat16EEvPKT6_PKbPfiPT5_PiiiibdPKfPKS9_SF_
                                        ; -- End function
	.section	.AMDGPU.csdata,"",@progbits
; Kernel info:
; codeLenInByte = 3052
; NumSgprs: 29
; NumVgprs: 22
; NumAgprs: 0
; TotalNumVgprs: 22
; ScratchSize: 0
; MemoryBound: 0
; FloatMode: 240
; IeeeMode: 1
; LDSByteSize: 0 bytes/workgroup (compile time only)
; SGPRBlocks: 3
; VGPRBlocks: 2
; NumSGPRsForWavesPerEU: 29
; NumVGPRsForWavesPerEU: 22
; AccumOffset: 24
; Occupancy: 8
; WaveLimiterHint : 1
; COMPUTE_PGM_RSRC2:SCRATCH_EN: 0
; COMPUTE_PGM_RSRC2:USER_SGPR: 2
; COMPUTE_PGM_RSRC2:TRAP_HANDLER: 0
; COMPUTE_PGM_RSRC2:TGID_X_EN: 1
; COMPUTE_PGM_RSRC2:TGID_Y_EN: 0
; COMPUTE_PGM_RSRC2:TGID_Z_EN: 0
; COMPUTE_PGM_RSRC2:TIDIG_COMP_CNT: 1
; COMPUTE_PGM_RSRC3_GFX90A:ACCUM_OFFSET: 5
; COMPUTE_PGM_RSRC3_GFX90A:TG_SPLIT: 0
	.section	.text._ZN4vllm3moe22topkGatingSoftplusSqrtILi4ELi4ELi4ELi8ELi64ELb0El14__hip_bfloat16EEvPKT6_PKbPfiPT5_PiiiibdPKfPKS9_SF_,"axG",@progbits,_ZN4vllm3moe22topkGatingSoftplusSqrtILi4ELi4ELi4ELi8ELi64ELb0El14__hip_bfloat16EEvPKT6_PKbPfiPT5_PiiiibdPKfPKS9_SF_,comdat
	.protected	_ZN4vllm3moe22topkGatingSoftplusSqrtILi4ELi4ELi4ELi8ELi64ELb0El14__hip_bfloat16EEvPKT6_PKbPfiPT5_PiiiibdPKfPKS9_SF_ ; -- Begin function _ZN4vllm3moe22topkGatingSoftplusSqrtILi4ELi4ELi4ELi8ELi64ELb0El14__hip_bfloat16EEvPKT6_PKbPfiPT5_PiiiibdPKfPKS9_SF_
	.globl	_ZN4vllm3moe22topkGatingSoftplusSqrtILi4ELi4ELi4ELi8ELi64ELb0El14__hip_bfloat16EEvPKT6_PKbPfiPT5_PiiiibdPKfPKS9_SF_
	.p2align	8
	.type	_ZN4vllm3moe22topkGatingSoftplusSqrtILi4ELi4ELi4ELi8ELi64ELb0El14__hip_bfloat16EEvPKT6_PKbPfiPT5_PiiiibdPKfPKS9_SF_,@function
_ZN4vllm3moe22topkGatingSoftplusSqrtILi4ELi4ELi4ELi8ELi64ELb0El14__hip_bfloat16EEvPKT6_PKbPfiPT5_PiiiibdPKfPKS9_SF_: ; @_ZN4vllm3moe22topkGatingSoftplusSqrtILi4ELi4ELi4ELi8ELi64ELb0El14__hip_bfloat16EEvPKT6_PKbPfiPT5_PiiiibdPKfPKS9_SF_
; %bb.0:
	s_load_dword s24, s[0:1], 0x18
	v_bfe_u32 v1, v0, 10, 10
	s_lshl_b32 s2, s2, 8
	v_lshlrev_b32_e32 v1, 6, v1
	v_and_b32_e32 v0, 0x3ff, v0
	v_add3_u32 v4, v1, v0, s2
	s_waitcnt lgkmcnt(0)
	v_cmp_gt_i32_e32 vcc, s24, v4
	s_and_saveexec_b64 s[2:3], vcc
	s_cbranch_execz .LBB489_32
; %bb.1:
	s_load_dwordx4 s[4:7], s[0:1], 0x0
	s_load_dwordx2 s[20:21], s[0:1], 0x10
	s_waitcnt lgkmcnt(0)
	s_cmp_eq_u64 s[6:7], 0
	s_cbranch_scc1 .LBB489_3
; %bb.2:
	v_ashrrev_i32_e32 v5, 31, v4
	v_lshl_add_u64 v[0:1], s[6:7], 0, v[4:5]
	global_load_ubyte v0, v[0:1], off
	s_waitcnt vmcnt(0)
	v_and_b32_e32 v0, 1, v0
	v_cmp_eq_u32_e32 vcc, 1, v0
	s_xor_b64 s[2:3], vcc, -1
	s_orn2_b64 s[6:7], s[2:3], exec
	s_branch .LBB489_4
.LBB489_3:
	s_mov_b64 s[6:7], -1
.LBB489_4:
	v_lshlrev_b32_e32 v2, 2, v4
	v_mov_b32_e32 v0, s4
	v_mov_b32_e32 v1, s5
	v_ashrrev_i32_e32 v3, 31, v2
	v_lshl_add_u64 v[0:1], v[2:3], 1, v[0:1]
	global_load_dwordx2 v[2:3], v[0:1], off
	s_mov_b32 s18, 0x800000
	v_mov_b32_e32 v5, 0x4f800000
	s_mov_b32 s15, 0x3f317217
	s_mov_b32 s16, 0x7f800000
	v_mov_b32_e32 v6, 0x41b17218
	s_mov_b32 s14, 0x41a00000
	s_mov_b32 s17, 0xf800000
	s_load_dwordx4 s[8:11], s[0:1], 0x40
	s_waitcnt lgkmcnt(0)
	s_cmp_lg_u64 s[10:11], 0
	s_cselect_b64 s[12:13], -1, 0
	s_and_b64 s[2:3], exec, s[12:13]
	s_waitcnt vmcnt(0)
	v_lshlrev_b32_e32 v0, 16, v2
	v_mul_f32_e32 v1, 0x3fb8aa3b, v0
	v_exp_f32_e32 v1, v1
	s_nop 0
	v_add_f32_e32 v1, 1.0, v1
	v_cmp_gt_f32_e32 vcc, s18, v1
	s_nop 1
	v_cndmask_b32_e32 v7, 1.0, v5, vcc
	v_mul_f32_e32 v1, v1, v7
	v_log_f32_e32 v7, v1
	v_cndmask_b32_e32 v8, 0, v6, vcc
	v_mov_b32_e32 v1, 0x260
	v_mul_f32_e32 v9, 0x3f317217, v7
	v_fma_f32 v9, v7, s15, -v9
	v_fmac_f32_e32 v9, 0x3377d1cf, v7
	v_fmac_f32_e32 v9, 0x3f317217, v7
	v_cmp_lt_f32_e64 vcc, |v7|, s16
	s_nop 1
	v_cndmask_b32_e32 v7, v7, v9, vcc
	v_sub_f32_e32 v7, v7, v8
	v_cmp_lt_f32_e32 vcc, s14, v0
	s_nop 1
	v_cndmask_b32_e32 v0, v7, v0, vcc
	v_mul_f32_e32 v7, 0x4f800000, v0
	v_cmp_gt_f32_e32 vcc, s17, v0
	s_nop 1
	v_cndmask_b32_e32 v0, v0, v7, vcc
	v_sqrt_f32_e32 v7, v0
	s_nop 0
	v_add_u32_e32 v8, -1, v7
	v_add_u32_e32 v9, 1, v7
	v_fma_f32 v10, -v8, v7, v0
	v_fma_f32 v11, -v9, v7, v0
	v_cmp_ge_f32_e64 s[4:5], 0, v10
	s_nop 1
	v_cndmask_b32_e64 v7, v7, v8, s[4:5]
	v_cmp_lt_f32_e64 s[4:5], 0, v11
	s_nop 1
	v_cndmask_b32_e64 v7, v7, v9, s[4:5]
	v_mul_f32_e32 v8, 0x37800000, v7
	v_cndmask_b32_e32 v7, v7, v8, vcc
	v_cmp_class_f32_e32 vcc, v0, v1
	s_nop 1
	v_cndmask_b32_e32 v0, v7, v0, vcc
	s_mov_b64 vcc, s[2:3]
	s_cbranch_vccz .LBB489_6
; %bb.5:
	s_load_dword s2, s[10:11], 0x0
	s_waitcnt lgkmcnt(0)
	v_add_f32_e32 v0, s2, v0
.LBB489_6:
	v_and_b32_e32 v7, 0xffff0000, v2
	v_mul_f32_e32 v8, 0x3fb8aa3b, v7
	v_exp_f32_e32 v8, v8
	s_nop 0
	v_add_f32_e32 v8, 1.0, v8
	v_cmp_gt_f32_e32 vcc, s18, v8
	s_nop 1
	v_cndmask_b32_e32 v5, 1.0, v5, vcc
	v_mul_f32_e32 v5, v8, v5
	v_log_f32_e32 v5, v5
	v_cndmask_b32_e32 v6, 0, v6, vcc
	v_mul_f32_e32 v8, 0x3f317217, v5
	v_fma_f32 v8, v5, s15, -v8
	v_fmac_f32_e32 v8, 0x3377d1cf, v5
	v_fmac_f32_e32 v8, 0x3f317217, v5
	v_cmp_lt_f32_e64 vcc, |v5|, s16
	s_nop 1
	v_cndmask_b32_e32 v5, v5, v8, vcc
	v_sub_f32_e32 v5, v5, v6
	v_cmp_lt_f32_e32 vcc, s14, v7
	s_nop 1
	v_cndmask_b32_e32 v5, v5, v7, vcc
	v_mul_f32_e32 v6, 0x4f800000, v5
	v_cmp_gt_f32_e32 vcc, s17, v5
	s_nop 1
	v_cndmask_b32_e32 v5, v5, v6, vcc
	v_sqrt_f32_e32 v6, v5
	v_cmp_class_f32_e64 s[4:5], v5, v1
	v_add_u32_e32 v7, -1, v6
	v_add_u32_e32 v8, 1, v6
	v_fma_f32 v9, -v7, v6, v5
	v_fma_f32 v10, -v8, v6, v5
	v_cmp_ge_f32_e64 s[2:3], 0, v9
	s_nop 1
	v_cndmask_b32_e64 v6, v6, v7, s[2:3]
	v_cmp_lt_f32_e64 s[2:3], 0, v10
	s_nop 1
	v_cndmask_b32_e64 v6, v6, v8, s[2:3]
	v_mul_f32_e32 v7, 0x37800000, v6
	v_cndmask_b32_e32 v6, v6, v7, vcc
	v_cndmask_b32_e64 v7, 0, 1, s[12:13]
	v_cmp_ne_u32_e64 s[2:3], 1, v7
	s_andn2_b64 vcc, exec, s[12:13]
	v_cndmask_b32_e64 v1, v6, v5, s[4:5]
	s_cbranch_vccnz .LBB489_8
; %bb.7:
	s_load_dword s4, s[10:11], 0x4
	s_waitcnt lgkmcnt(0)
	v_add_f32_e32 v1, s4, v1
.LBB489_8:
	v_alignbit_b32 v2, v3, v2, 16
	v_and_b32_e32 v2, 0xffff0000, v2
	v_mul_f32_e32 v5, 0x3fb8aa3b, v2
	v_exp_f32_e32 v5, v5
	s_mov_b32 s16, 0x800000
	v_mov_b32_e32 v6, 0x4f800000
	s_mov_b32 s13, 0x3f317217
	v_add_f32_e32 v5, 1.0, v5
	v_cmp_gt_f32_e32 vcc, s16, v5
	s_mov_b32 s14, 0x7f800000
	s_mov_b32 s12, 0x41a00000
	v_cndmask_b32_e32 v7, 1.0, v6, vcc
	v_mul_f32_e32 v5, v5, v7
	v_log_f32_e32 v5, v5
	s_mov_b32 s15, 0xf800000
	v_mul_f32_e32 v7, 0x3f317217, v5
	v_fma_f32 v7, v5, s13, -v7
	v_fmac_f32_e32 v7, 0x3377d1cf, v5
	v_fmac_f32_e32 v7, 0x3f317217, v5
	v_cmp_lt_f32_e64 s[4:5], |v5|, s14
	s_nop 1
	v_cndmask_b32_e64 v5, v5, v7, s[4:5]
	v_mov_b32_e32 v7, 0x41b17218
	v_cndmask_b32_e32 v8, 0, v7, vcc
	v_sub_f32_e32 v5, v5, v8
	v_cmp_lt_f32_e32 vcc, s12, v2
	s_nop 1
	v_cndmask_b32_e32 v2, v5, v2, vcc
	v_mul_f32_e32 v5, 0x4f800000, v2
	v_cmp_gt_f32_e32 vcc, s15, v2
	s_nop 1
	v_cndmask_b32_e32 v2, v2, v5, vcc
	v_sqrt_f32_e32 v5, v2
	s_nop 0
	v_add_u32_e32 v8, -1, v5
	v_fma_f32 v9, -v8, v5, v2
	v_cmp_ge_f32_e64 s[4:5], 0, v9
	v_add_u32_e32 v9, 1, v5
	s_nop 0
	v_cndmask_b32_e64 v8, v5, v8, s[4:5]
	v_fma_f32 v5, -v9, v5, v2
	v_cmp_lt_f32_e64 s[4:5], 0, v5
	s_nop 1
	v_cndmask_b32_e64 v5, v8, v9, s[4:5]
	v_mul_f32_e32 v8, 0x37800000, v5
	v_cndmask_b32_e32 v8, v5, v8, vcc
	v_mov_b32_e32 v5, 0x260
	v_cmp_class_f32_e64 s[4:5], v2, v5
	s_and_b64 vcc, exec, s[2:3]
	s_nop 0
	v_cndmask_b32_e64 v2, v8, v2, s[4:5]
	s_cbranch_vccnz .LBB489_10
; %bb.9:
	s_load_dword s4, s[10:11], 0x8
	s_waitcnt lgkmcnt(0)
	v_add_f32_e32 v2, s4, v2
.LBB489_10:
	v_and_b32_e32 v3, 0xffff0000, v3
	v_mul_f32_e32 v8, 0x3fb8aa3b, v3
	v_exp_f32_e32 v8, v8
	s_nop 0
	v_add_f32_e32 v8, 1.0, v8
	v_cmp_gt_f32_e32 vcc, s16, v8
	s_nop 1
	v_cndmask_b32_e32 v6, 1.0, v6, vcc
	v_mul_f32_e32 v6, v8, v6
	v_log_f32_e32 v6, v6
	v_cndmask_b32_e32 v7, 0, v7, vcc
	v_mul_f32_e32 v8, 0x3f317217, v6
	v_fma_f32 v8, v6, s13, -v8
	v_fmac_f32_e32 v8, 0x3377d1cf, v6
	v_fmac_f32_e32 v8, 0x3f317217, v6
	v_cmp_lt_f32_e64 vcc, |v6|, s14
	s_nop 1
	v_cndmask_b32_e32 v6, v6, v8, vcc
	v_sub_f32_e32 v6, v6, v7
	v_cmp_lt_f32_e32 vcc, s12, v3
	s_nop 1
	v_cndmask_b32_e32 v3, v6, v3, vcc
	v_mul_f32_e32 v6, 0x4f800000, v3
	v_cmp_gt_f32_e32 vcc, s15, v3
	s_nop 1
	v_cndmask_b32_e32 v3, v3, v6, vcc
	v_sqrt_f32_e32 v6, v3
	s_nop 0
	v_add_u32_e32 v7, -1, v6
	v_add_u32_e32 v8, 1, v6
	v_fma_f32 v9, -v7, v6, v3
	v_fma_f32 v10, -v8, v6, v3
	v_cmp_ge_f32_e64 s[4:5], 0, v9
	s_nop 1
	v_cndmask_b32_e64 v6, v6, v7, s[4:5]
	v_cmp_lt_f32_e64 s[4:5], 0, v10
	s_nop 1
	v_cndmask_b32_e64 v6, v6, v8, s[4:5]
	v_mul_f32_e32 v7, 0x37800000, v6
	v_cndmask_b32_e32 v6, v6, v7, vcc
	v_cmp_class_f32_e64 s[4:5], v3, v5
	s_and_b64 vcc, exec, s[2:3]
	s_nop 0
	v_cndmask_b32_e64 v3, v6, v3, s[4:5]
	s_cbranch_vccnz .LBB489_12
; %bb.11:
	s_load_dword s4, s[10:11], 0xc
	s_waitcnt lgkmcnt(0)
	v_add_f32_e32 v3, s4, v3
.LBB489_12:
	s_load_dwordx4 s[12:15], s[0:1], 0x30
	s_mov_b32 s25, 0
	s_waitcnt lgkmcnt(0)
	s_bitcmp1_b32 s15, 0
	s_cselect_b64 s[4:5], -1, 0
	s_cmp_gt_i32 s12, 0
	s_cselect_b64 s[22:23], -1, 0
	s_and_b64 vcc, exec, s[22:23]
	v_mul_lo_u32 v6, v4, s12
	s_cbranch_vccz .LBB489_19
; %bb.13:
	s_load_dwordx4 s[16:19], s[0:1], 0x20
	v_mov_b32_e32 v5, 0
	v_mov_b32_e32 v7, 0xc61c4000
	s_branch .LBB489_15
.LBB489_14:                             ;   in Loop: Header=BB489_15 Depth=1
	v_add_f32_e32 v8, v5, v8
	v_cndmask_b32_e64 v5, v5, v8, s[4:5]
	s_cmp_lg_u32 s12, s25
	v_add_u32_e32 v4, s24, v4
	s_cbranch_scc0 .LBB489_20
.LBB489_15:                             ; =>This Inner Loop Header: Depth=1
	v_cmp_gt_f32_e32 vcc, v1, v0
	s_nop 1
	v_cndmask_b32_e32 v9, v0, v1, vcc
	v_cndmask_b32_e64 v8, 0, 1, vcc
	v_cmp_gt_f32_e32 vcc, v2, v9
	s_nop 1
	v_cndmask_b32_e32 v10, v9, v2, vcc
	v_cndmask_b32_e64 v8, v8, 2, vcc
	v_cmp_gt_f32_e64 s[0:1], v3, v10
	s_and_b64 vcc, exec, s[2:3]
	s_nop 0
	v_cndmask_b32_e64 v9, v8, 3, s[0:1]
	v_cndmask_b32_e64 v8, v10, v3, s[0:1]
	s_cbranch_vccnz .LBB489_17
; %bb.16:                               ;   in Loop: Header=BB489_15 Depth=1
	v_lshlrev_b32_e32 v10, 2, v9
	global_load_dword v10, v10, s[10:11]
	s_waitcnt vmcnt(0)
	v_sub_f32_e32 v8, v8, v10
.LBB489_17:                             ;   in Loop: Header=BB489_15 Depth=1
	v_add_u32_e32 v10, s25, v6
	v_ashrrev_i32_e32 v11, 31, v10
	v_lshlrev_b64 v[12:13], 2, v[10:11]
	v_cmp_le_i32_e32 vcc, s13, v9
	v_cmp_gt_i32_e64 s[0:1], s14, v9
	v_lshl_add_u64 v[14:15], s[20:21], 0, v[12:13]
	s_and_b64 s[0:1], vcc, s[0:1]
	global_store_dword v[14:15], v8, off
	v_subrev_u32_e32 v14, s13, v9
	v_ashrrev_i32_e32 v15, 31, v14
	s_and_b64 vcc, s[6:7], s[0:1]
	v_cndmask_b32_e32 v15, 0, v15, vcc
	v_cndmask_b32_e32 v14, 4, v14, vcc
	s_waitcnt lgkmcnt(0)
	v_lshl_add_u64 v[10:11], v[10:11], 3, s[16:17]
	s_add_i32 s25, s25, 1
	global_store_dwordx2 v[10:11], v[14:15], off
	v_lshl_add_u64 v[10:11], s[18:19], 0, v[12:13]
	s_cmp_ge_i32 s25, s12
	global_store_dword v[10:11], v4, off
	s_cbranch_scc1 .LBB489_14
; %bb.18:                               ;   in Loop: Header=BB489_15 Depth=1
	v_cmp_ne_u32_e32 vcc, 3, v9
	s_nop 1
	v_cndmask_b32_e32 v3, v7, v3, vcc
	v_cmp_ne_u32_e32 vcc, 2, v9
	s_nop 1
	v_cndmask_b32_e32 v2, v7, v2, vcc
	;; [unrolled: 3-line block ×4, first 2 shown]
	s_branch .LBB489_14
.LBB489_19:
	v_mov_b32_e32 v5, 0
.LBB489_20:
	s_andn2_b64 vcc, exec, s[4:5]
	v_cvt_f32_f64_e32 v0, s[8:9]
	s_cbranch_vccnz .LBB489_22
; %bb.21:
	v_cmp_lt_f32_e32 vcc, 0, v5
	s_nop 1
	v_cndmask_b32_e32 v1, 1.0, v5, vcc
	v_div_scale_f32 v2, s[0:1], v1, v1, v0
	v_rcp_f32_e32 v3, v2
	s_nop 0
	v_fma_f32 v4, -v2, v3, 1.0
	v_fmac_f32_e32 v3, v4, v3
	v_div_scale_f32 v4, vcc, v0, v1, v0
	v_mul_f32_e32 v5, v4, v3
	v_fma_f32 v7, -v2, v5, v4
	v_fmac_f32_e32 v5, v7, v3
	v_fma_f32 v2, -v2, v5, v4
	v_div_fmas_f32 v2, v2, v3, v5
	v_div_fixup_f32 v0, v2, v1, v0
.LBB489_22:
	s_andn2_b64 vcc, exec, s[22:23]
	s_cbranch_vccnz .LBB489_32
; %bb.23:
	s_cmp_gt_u32 s12, 3
	v_ashrrev_i32_e32 v7, 31, v6
	s_cbranch_scc0 .LBB489_27
; %bb.24:
	s_and_b32 s0, s12, 0x7ffffffc
	v_lshl_add_u64 v[2:3], v[6:7], 2, s[20:21]
	v_mov_b32_e32 v1, v0
	v_lshl_add_u64 v[2:3], v[2:3], 0, 8
	s_mov_b32 s1, s0
.LBB489_25:                             ; =>This Inner Loop Header: Depth=1
	global_load_dwordx4 v[8:11], v[2:3], off offset:-8
	s_add_i32 s1, s1, -4
	s_cmp_lg_u32 s1, 0
	s_waitcnt vmcnt(0)
	v_pk_mul_f32 v[8:9], v[0:1], v[8:9]
	v_pk_mul_f32 v[10:11], v[0:1], v[10:11]
	global_store_dwordx4 v[2:3], v[8:11], off offset:-8
	v_lshl_add_u64 v[2:3], v[2:3], 0, 16
	s_cbranch_scc1 .LBB489_25
; %bb.26:
	s_cmp_lg_u32 s0, s12
	s_cselect_b64 s[2:3], -1, 0
	s_branch .LBB489_29
.LBB489_27:
	s_mov_b64 s[2:3], 0
                                        ; implicit-def: $sgpr0
	s_cbranch_execz .LBB489_29
; %bb.28:
	s_mov_b64 s[2:3], -1
	s_mov_b32 s0, 0
.LBB489_29:
	s_andn2_b64 vcc, exec, s[2:3]
	s_cbranch_vccnz .LBB489_32
; %bb.30:
	s_mov_b32 s1, 0
	v_lshl_add_u64 v[2:3], v[6:7], 0, s[0:1]
	s_sub_i32 s2, s12, s0
	v_lshl_add_u64 v[2:3], v[2:3], 2, s[20:21]
.LBB489_31:                             ; =>This Inner Loop Header: Depth=1
	global_load_dword v1, v[2:3], off
	s_add_i32 s2, s2, -1
	s_cmp_lg_u32 s2, 0
	s_waitcnt vmcnt(0)
	v_mul_f32_e32 v1, v0, v1
	global_store_dword v[2:3], v1, off
	v_lshl_add_u64 v[2:3], v[2:3], 0, 4
	s_cbranch_scc1 .LBB489_31
.LBB489_32:
	s_endpgm
	.section	.rodata,"a",@progbits
	.p2align	6, 0x0
	.amdhsa_kernel _ZN4vllm3moe22topkGatingSoftplusSqrtILi4ELi4ELi4ELi8ELi64ELb0El14__hip_bfloat16EEvPKT6_PKbPfiPT5_PiiiibdPKfPKS9_SF_
		.amdhsa_group_segment_fixed_size 0
		.amdhsa_private_segment_fixed_size 0
		.amdhsa_kernarg_size 96
		.amdhsa_user_sgpr_count 2
		.amdhsa_user_sgpr_dispatch_ptr 0
		.amdhsa_user_sgpr_queue_ptr 0
		.amdhsa_user_sgpr_kernarg_segment_ptr 1
		.amdhsa_user_sgpr_dispatch_id 0
		.amdhsa_user_sgpr_kernarg_preload_length 0
		.amdhsa_user_sgpr_kernarg_preload_offset 0
		.amdhsa_user_sgpr_private_segment_size 0
		.amdhsa_uses_dynamic_stack 0
		.amdhsa_enable_private_segment 0
		.amdhsa_system_sgpr_workgroup_id_x 1
		.amdhsa_system_sgpr_workgroup_id_y 0
		.amdhsa_system_sgpr_workgroup_id_z 0
		.amdhsa_system_sgpr_workgroup_info 0
		.amdhsa_system_vgpr_workitem_id 1
		.amdhsa_next_free_vgpr 16
		.amdhsa_next_free_sgpr 26
		.amdhsa_accum_offset 16
		.amdhsa_reserve_vcc 1
		.amdhsa_float_round_mode_32 0
		.amdhsa_float_round_mode_16_64 0
		.amdhsa_float_denorm_mode_32 3
		.amdhsa_float_denorm_mode_16_64 3
		.amdhsa_dx10_clamp 1
		.amdhsa_ieee_mode 1
		.amdhsa_fp16_overflow 0
		.amdhsa_tg_split 0
		.amdhsa_exception_fp_ieee_invalid_op 0
		.amdhsa_exception_fp_denorm_src 0
		.amdhsa_exception_fp_ieee_div_zero 0
		.amdhsa_exception_fp_ieee_overflow 0
		.amdhsa_exception_fp_ieee_underflow 0
		.amdhsa_exception_fp_ieee_inexact 0
		.amdhsa_exception_int_div_zero 0
	.end_amdhsa_kernel
	.section	.text._ZN4vllm3moe22topkGatingSoftplusSqrtILi4ELi4ELi4ELi8ELi64ELb0El14__hip_bfloat16EEvPKT6_PKbPfiPT5_PiiiibdPKfPKS9_SF_,"axG",@progbits,_ZN4vllm3moe22topkGatingSoftplusSqrtILi4ELi4ELi4ELi8ELi64ELb0El14__hip_bfloat16EEvPKT6_PKbPfiPT5_PiiiibdPKfPKS9_SF_,comdat
.Lfunc_end489:
	.size	_ZN4vllm3moe22topkGatingSoftplusSqrtILi4ELi4ELi4ELi8ELi64ELb0El14__hip_bfloat16EEvPKT6_PKbPfiPT5_PiiiibdPKfPKS9_SF_, .Lfunc_end489-_ZN4vllm3moe22topkGatingSoftplusSqrtILi4ELi4ELi4ELi8ELi64ELb0El14__hip_bfloat16EEvPKT6_PKbPfiPT5_PiiiibdPKfPKS9_SF_
                                        ; -- End function
	.section	.AMDGPU.csdata,"",@progbits
; Kernel info:
; codeLenInByte = 2056
; NumSgprs: 32
; NumVgprs: 16
; NumAgprs: 0
; TotalNumVgprs: 16
; ScratchSize: 0
; MemoryBound: 0
; FloatMode: 240
; IeeeMode: 1
; LDSByteSize: 0 bytes/workgroup (compile time only)
; SGPRBlocks: 3
; VGPRBlocks: 1
; NumSGPRsForWavesPerEU: 32
; NumVGPRsForWavesPerEU: 16
; AccumOffset: 16
; Occupancy: 8
; WaveLimiterHint : 0
; COMPUTE_PGM_RSRC2:SCRATCH_EN: 0
; COMPUTE_PGM_RSRC2:USER_SGPR: 2
; COMPUTE_PGM_RSRC2:TRAP_HANDLER: 0
; COMPUTE_PGM_RSRC2:TGID_X_EN: 1
; COMPUTE_PGM_RSRC2:TGID_Y_EN: 0
; COMPUTE_PGM_RSRC2:TGID_Z_EN: 0
; COMPUTE_PGM_RSRC2:TIDIG_COMP_CNT: 1
; COMPUTE_PGM_RSRC3_GFX90A:ACCUM_OFFSET: 3
; COMPUTE_PGM_RSRC3_GFX90A:TG_SPLIT: 0
	.section	.text._ZN4vllm3moe22topkGatingSoftplusSqrtILi4ELi4ELi4ELi8ELi32ELb1El14__hip_bfloat16EEvPKT6_PKbPfiPT5_PiiiibdPKfPKS9_SF_,"axG",@progbits,_ZN4vllm3moe22topkGatingSoftplusSqrtILi4ELi4ELi4ELi8ELi32ELb1El14__hip_bfloat16EEvPKT6_PKbPfiPT5_PiiiibdPKfPKS9_SF_,comdat
	.protected	_ZN4vllm3moe22topkGatingSoftplusSqrtILi4ELi4ELi4ELi8ELi32ELb1El14__hip_bfloat16EEvPKT6_PKbPfiPT5_PiiiibdPKfPKS9_SF_ ; -- Begin function _ZN4vllm3moe22topkGatingSoftplusSqrtILi4ELi4ELi4ELi8ELi32ELb1El14__hip_bfloat16EEvPKT6_PKbPfiPT5_PiiiibdPKfPKS9_SF_
	.globl	_ZN4vllm3moe22topkGatingSoftplusSqrtILi4ELi4ELi4ELi8ELi32ELb1El14__hip_bfloat16EEvPKT6_PKbPfiPT5_PiiiibdPKfPKS9_SF_
	.p2align	8
	.type	_ZN4vllm3moe22topkGatingSoftplusSqrtILi4ELi4ELi4ELi8ELi32ELb1El14__hip_bfloat16EEvPKT6_PKbPfiPT5_PiiiibdPKfPKS9_SF_,@function
_ZN4vllm3moe22topkGatingSoftplusSqrtILi4ELi4ELi4ELi8ELi32ELb1El14__hip_bfloat16EEvPKT6_PKbPfiPT5_PiiiibdPKfPKS9_SF_: ; @_ZN4vllm3moe22topkGatingSoftplusSqrtILi4ELi4ELi4ELi8ELi32ELb1El14__hip_bfloat16EEvPKT6_PKbPfiPT5_PiiiibdPKfPKS9_SF_
; %bb.0:
	s_load_dword s3, s[0:1], 0x18
	v_bfe_u32 v1, v0, 10, 10
	s_lshl_b32 s2, s2, 7
	v_lshlrev_b32_e32 v1, 5, v1
	v_and_b32_e32 v0, 0x3ff, v0
	v_add3_u32 v2, v1, v0, s2
	s_waitcnt lgkmcnt(0)
	v_cmp_gt_i32_e32 vcc, s3, v2
	s_and_saveexec_b64 s[2:3], vcc
	s_cbranch_execz .LBB490_56
; %bb.1:
	s_load_dwordx4 s[8:11], s[0:1], 0x50
	s_load_dwordx2 s[2:3], s[0:1], 0x0
	s_load_dword s12, s[0:1], 0x30
	v_lshlrev_b32_e32 v0, 2, v2
	v_ashrrev_i32_e32 v1, 31, v0
	s_waitcnt lgkmcnt(0)
	v_mov_b32_e32 v4, s8
	v_lshl_add_u64 v[0:1], v[0:1], 1, s[2:3]
	v_mov_b32_e32 v5, s9
	v_ashrrev_i32_e32 v3, 31, v2
	global_load_dwordx2 v[0:1], v[0:1], off
	v_lshl_add_u64 v[4:5], v[2:3], 3, v[4:5]
	global_load_dwordx2 v[4:5], v[4:5], off
	s_ashr_i32 s13, s12, 31
	s_mov_b32 s4, 0x800000
	v_mov_b32_e32 v3, 0x4f800000
	v_mov_b32_e32 v8, 0x41b17218
	s_mov_b32 s20, 0x3f317217
	s_mov_b32 s21, 0x7f800000
	;; [unrolled: 1-line block ×4, first 2 shown]
	v_mov_b32_e32 v9, 0x260
	v_cmp_lt_i64_e64 s[18:19], s[12:13], 1
	s_mov_b32 s16, 0
	v_mov_b32_e32 v16, 0
	v_cmp_gt_i64_e64 s[14:15], s[12:13], 0
	v_mul_lo_u32 v2, v2, s12
	s_waitcnt vmcnt(1)
	v_lshlrev_b32_e32 v10, 16, v0
	v_and_b32_e32 v11, 0xffff0000, v0
	v_alignbit_b32 v6, v1, v0, 16
	v_and_b32_e32 v14, 0xffff0000, v1
	s_waitcnt vmcnt(0)
	v_mul_lo_u32 v5, v5, s12
	v_mul_lo_u32 v7, v4, s13
	v_mad_u64_u32 v[0:1], s[2:3], v4, s12, 0
	v_mul_f32_e32 v4, 0x3fb8aa3b, v10
	v_mul_f32_e32 v12, 0x3fb8aa3b, v11
	v_add3_u32 v1, v1, v7, v5
	v_exp_f32_e32 v4, v4
	v_exp_f32_e32 v5, v12
	v_and_b32_e32 v15, 0xffff0000, v6
	v_mul_f32_e32 v6, 0x3fb8aa3b, v14
	v_mul_f32_e32 v12, 0x3fb8aa3b, v15
	v_exp_f32_e32 v7, v6
	v_exp_f32_e32 v6, v12
	v_pk_add_f32 v[4:5], v[4:5], 1.0 op_sel_hi:[1,0]
	v_pk_add_f32 v[6:7], v[6:7], 1.0 op_sel_hi:[1,0]
	v_cmp_gt_f32_e32 vcc, s4, v5
	v_cmp_gt_f32_e64 s[2:3], s4, v4
	s_nop 0
	v_cndmask_b32_e32 v12, 1.0, v3, vcc
	v_cndmask_b32_e64 v13, 1.0, v3, s[2:3]
	v_mul_f32_e32 v5, v5, v12
	v_mul_f32_e32 v4, v4, v13
	v_log_f32_e32 v5, v5
	v_cndmask_b32_e32 v12, 0, v8, vcc
	v_cmp_gt_f32_e32 vcc, s4, v7
	v_log_f32_e32 v4, v4
	v_cndmask_b32_e64 v13, 0, v8, s[2:3]
	v_cndmask_b32_e32 v17, 1.0, v3, vcc
	v_cmp_gt_f32_e64 s[2:3], s4, v6
	v_mul_f32_e32 v7, v7, v17
	v_mul_f32_e32 v17, 0x3f317217, v4
	v_cndmask_b32_e64 v3, 1.0, v3, s[2:3]
	v_mul_f32_e32 v3, v6, v3
	v_log_f32_e32 v6, v7
	v_mul_f32_e32 v7, 0x3f317217, v5
	v_fma_f32 v7, v5, s20, -v7
	v_fma_f32 v17, v4, s20, -v17
	v_fmac_f32_e32 v7, 0x3377d1cf, v5
	v_fmac_f32_e32 v17, 0x3377d1cf, v4
	v_fmac_f32_e32 v7, 0x3f317217, v5
	v_cmp_lt_f32_e64 s[4:5], |v5|, s21
	v_fmac_f32_e32 v17, 0x3f317217, v4
	v_mul_f32_e32 v18, 0x3f317217, v6
	v_cndmask_b32_e64 v5, v5, v7, s[4:5]
	v_cmp_lt_f32_e64 s[4:5], |v4|, s21
	v_sub_f32_e32 v5, v5, v12
	v_fma_f32 v18, v6, s20, -v18
	v_cndmask_b32_e64 v4, v4, v17, s[4:5]
	v_sub_f32_e32 v4, v4, v13
	v_cmp_lt_f32_e64 s[4:5], s17, v10
	v_fmac_f32_e32 v18, 0x3377d1cf, v6
	v_fmac_f32_e32 v18, 0x3f317217, v6
	v_cndmask_b32_e64 v4, v4, v10, s[4:5]
	v_cmp_lt_f32_e64 s[4:5], s17, v11
	v_mul_f32_e32 v10, 0x4f800000, v4
	v_cmp_gt_f32_e64 s[6:7], s22, v4
	v_cndmask_b32_e64 v5, v5, v11, s[4:5]
	v_mul_f32_e32 v7, 0x4f800000, v5
	v_cmp_gt_f32_e64 s[4:5], s22, v5
	v_cndmask_b32_e64 v4, v4, v10, s[6:7]
	v_sqrt_f32_e32 v10, v4
	v_cndmask_b32_e64 v5, v5, v7, s[4:5]
	v_sqrt_f32_e32 v7, v5
	v_cmp_lt_f32_e64 s[8:9], |v6|, s21
	v_add_u32_e32 v13, -1, v10
	v_fma_f32 v20, -v13, v10, v4
	v_add_u32_e32 v11, -1, v7
	v_cndmask_b32_e64 v6, v6, v18, s[8:9]
	v_fma_f32 v18, -v11, v7, v5
	v_add_u32_e32 v12, 1, v7
	v_cmp_ge_f32_e64 s[8:9], 0, v18
	v_add_u32_e32 v17, 1, v10
	v_fma_f32 v19, -v12, v7, v5
	v_cndmask_b32_e64 v7, v7, v11, s[8:9]
	v_cmp_ge_f32_e64 s[8:9], 0, v20
	v_log_f32_e32 v3, v3
	v_fma_f32 v21, -v17, v10, v4
	v_cndmask_b32_e64 v10, v10, v13, s[8:9]
	v_cmp_lt_f32_e64 s[8:9], 0, v19
	s_nop 1
	v_cndmask_b32_e64 v7, v7, v12, s[8:9]
	v_cmp_lt_f32_e64 s[8:9], 0, v21
	v_mul_f32_e32 v11, 0x37800000, v7
	v_cndmask_b32_e64 v7, v7, v11, s[4:5]
	v_cndmask_b32_e64 v10, v10, v17, s[8:9]
	v_mul_f32_e32 v12, 0x37800000, v10
	v_cmp_class_f32_e64 s[4:5], v5, v9
	v_cndmask_b32_e64 v10, v10, v12, s[6:7]
	s_nop 0
	v_cndmask_b32_e64 v12, v7, v5, s[4:5]
	v_mul_f32_e32 v5, 0x3f317217, v3
	v_fma_f32 v5, v3, s20, -v5
	v_cmp_class_f32_e64 s[4:5], v4, v9
	v_fmac_f32_e32 v5, 0x3377d1cf, v3
	v_fmac_f32_e32 v5, 0x3f317217, v3
	v_cndmask_b32_e64 v13, v10, v4, s[4:5]
	v_cndmask_b32_e32 v4, 0, v8, vcc
	v_cmp_lt_f32_e64 vcc, |v3|, s21
	v_sub_f32_e32 v4, v6, v4
	s_nop 0
	v_cndmask_b32_e32 v3, v3, v5, vcc
	v_cmp_lt_f32_e32 vcc, s17, v14
	v_cndmask_b32_e64 v5, 0, v8, s[2:3]
	v_sub_f32_e32 v3, v3, v5
	v_cndmask_b32_e32 v4, v4, v14, vcc
	v_mul_f32_e32 v6, 0x4f800000, v4
	v_cmp_gt_f32_e32 vcc, s22, v4
	v_cmp_lt_f32_e64 s[2:3], s17, v15
	s_nop 0
	v_cndmask_b32_e32 v4, v4, v6, vcc
	v_sqrt_f32_e32 v6, v4
	v_cndmask_b32_e64 v3, v3, v15, s[2:3]
	v_add_u32_e32 v5, -1, v6
	v_fma_f32 v7, -v5, v6, v4
	v_cmp_ge_f32_e64 s[2:3], 0, v7
	v_add_u32_e32 v7, 1, v6
	s_nop 0
	v_cndmask_b32_e64 v5, v6, v5, s[2:3]
	v_fma_f32 v6, -v7, v6, v4
	v_cmp_lt_f32_e64 s[2:3], 0, v6
	s_nop 1
	v_cndmask_b32_e64 v5, v5, v7, s[2:3]
	v_mul_f32_e32 v7, 0x4f800000, v3
	v_cmp_gt_f32_e64 s[2:3], s22, v3
	v_mul_f32_e32 v6, 0x37800000, v5
	v_cndmask_b32_e32 v5, v5, v6, vcc
	v_cndmask_b32_e64 v3, v3, v7, s[2:3]
	v_sqrt_f32_e32 v7, v3
	v_cmp_class_f32_e32 vcc, v4, v9
	s_nop 1
	v_cndmask_b32_e32 v14, v5, v4, vcc
	v_add_u32_e32 v4, -1, v7
	v_fma_f32 v5, -v4, v7, v3
	v_cmp_ge_f32_e32 vcc, 0, v5
	v_add_u32_e32 v5, 1, v7
	v_fma_f32 v6, -v5, v7, v3
	v_cndmask_b32_e32 v4, v7, v4, vcc
	v_cmp_lt_f32_e32 vcc, 0, v6
	s_nop 1
	v_cndmask_b32_e32 v4, v4, v5, vcc
	v_mul_f32_e32 v5, 0x37800000, v4
	v_cndmask_b32_e64 v4, v4, v5, s[2:3]
	v_cmp_class_f32_e32 vcc, v3, v9
	s_nop 1
	v_cndmask_b32_e32 v15, v4, v3, vcc
	s_and_b64 vcc, exec, s[18:19]
	s_cbranch_vccnz .LBB490_29
; %bb.2:
	s_load_dwordx2 s[2:3], s[0:1], 0x20
	s_cmp_lt_u32 s12, 4
	v_lshl_add_u64 v[4:5], v[0:1], 3, s[10:11]
	s_cbranch_scc1 .LBB490_21
; %bb.3:
	s_mov_b32 s5, 0
	s_and_b32 s16, s12, 0x7ffffffc
	v_ashrrev_i32_e32 v3, 31, v2
	v_mov_b32_e32 v16, 0
	s_mov_b32 s4, s5
	s_branch .LBB490_5
.LBB490_4:                              ;   in Loop: Header=BB490_5 Depth=1
	s_or_b64 exec, exec, s[6:7]
	s_add_i32 s4, s4, 4
	s_cmp_eq_u32 s4, s16
	s_cbranch_scc1 .LBB490_22
.LBB490_5:                              ; =>This Loop Header: Depth=1
                                        ;     Child Loop BB490_7 Depth 2
                                        ;     Child Loop BB490_11 Depth 2
	;; [unrolled: 1-line block ×4, first 2 shown]
	v_lshl_add_u64 v[6:7], s[4:5], 3, v[4:5]
	global_load_dwordx2 v[8:9], v[6:7], off
	v_add_u32_e32 v10, s4, v2
	v_ashrrev_i32_e32 v11, 31, v10
	s_mov_b64 s[6:7], 0
	s_waitcnt lgkmcnt(0)
	v_lshl_add_u64 v[10:11], v[10:11], 3, s[2:3]
	s_waitcnt vmcnt(0)
	v_cmp_eq_u32_e32 vcc, 1, v8
	s_nop 1
	v_cndmask_b32_e32 v18, v13, v12, vcc
	v_cmp_eq_u32_e32 vcc, 2, v8
	v_min_u32_e32 v17, 3, v8
	v_ashrrev_i32_e32 v9, 31, v8
	v_cndmask_b32_e32 v18, v18, v15, vcc
	v_cmp_eq_u32_e32 vcc, 3, v8
	v_add_u32_e32 v17, 1, v17
	v_mov_b32_e32 v19, v8
	v_cndmask_b32_e32 v18, v18, v14, vcc
	s_branch .LBB490_7
.LBB490_6:                              ;   in Loop: Header=BB490_7 Depth=2
	s_or_b64 exec, exec, s[8:9]
	v_add_u32_e32 v17, -1, v17
	v_cmp_eq_u32_e32 vcc, 0, v17
	s_or_b64 s[6:7], vcc, s[6:7]
	v_add_u32_e32 v19, -1, v19
	s_andn2_b64 exec, exec, s[6:7]
	s_cbranch_execz .LBB490_9
.LBB490_7:                              ;   Parent Loop BB490_5 Depth=1
                                        ; =>  This Inner Loop Header: Depth=2
	v_cmp_eq_u32_e32 vcc, 0, v19
	s_and_saveexec_b64 s[8:9], vcc
	s_cbranch_execz .LBB490_6
; %bb.8:                                ;   in Loop: Header=BB490_7 Depth=2
	v_add_f32_e32 v16, v16, v18
	global_store_dwordx2 v[10:11], v[8:9], off
	s_branch .LBB490_6
.LBB490_9:                              ;   in Loop: Header=BB490_5 Depth=1
	s_or_b64 exec, exec, s[6:7]
	global_load_dwordx2 v[10:11], v[6:7], off offset:8
	s_ashr_i32 s9, s4, 31
	s_mov_b32 s8, s4
	v_lshl_add_u64 v[8:9], s[8:9], 0, v[2:3]
	s_mov_b64 s[6:7], 0
	v_lshl_add_u64 v[8:9], v[8:9], 3, s[2:3]
	s_waitcnt vmcnt(0)
	v_cmp_eq_u32_e32 vcc, 1, v10
	s_nop 1
	v_cndmask_b32_e32 v18, v13, v12, vcc
	v_cmp_eq_u32_e32 vcc, 2, v10
	v_min_u32_e32 v17, 3, v10
	v_ashrrev_i32_e32 v11, 31, v10
	v_cndmask_b32_e32 v18, v18, v15, vcc
	v_cmp_eq_u32_e32 vcc, 3, v10
	v_add_u32_e32 v17, 1, v17
	v_mov_b32_e32 v19, v10
	v_cndmask_b32_e32 v18, v18, v14, vcc
	s_branch .LBB490_11
.LBB490_10:                             ;   in Loop: Header=BB490_11 Depth=2
	s_or_b64 exec, exec, s[8:9]
	v_add_u32_e32 v17, -1, v17
	v_cmp_eq_u32_e32 vcc, 0, v17
	s_or_b64 s[6:7], vcc, s[6:7]
	v_add_u32_e32 v19, -1, v19
	s_andn2_b64 exec, exec, s[6:7]
	s_cbranch_execz .LBB490_13
.LBB490_11:                             ;   Parent Loop BB490_5 Depth=1
                                        ; =>  This Inner Loop Header: Depth=2
	v_cmp_eq_u32_e32 vcc, 0, v19
	s_and_saveexec_b64 s[8:9], vcc
	s_cbranch_execz .LBB490_10
; %bb.12:                               ;   in Loop: Header=BB490_11 Depth=2
	v_add_f32_e32 v16, v16, v18
	global_store_dwordx2 v[8:9], v[10:11], off offset:8
	s_branch .LBB490_10
.LBB490_13:                             ;   in Loop: Header=BB490_5 Depth=1
	s_or_b64 exec, exec, s[6:7]
	global_load_dwordx2 v[10:11], v[6:7], off offset:16
	s_mov_b64 s[6:7], 0
	s_waitcnt vmcnt(0)
	v_cmp_eq_u32_e32 vcc, 1, v10
	s_nop 1
	v_cndmask_b32_e32 v18, v13, v12, vcc
	v_cmp_eq_u32_e32 vcc, 2, v10
	v_min_u32_e32 v17, 3, v10
	v_ashrrev_i32_e32 v11, 31, v10
	v_cndmask_b32_e32 v18, v18, v15, vcc
	v_cmp_eq_u32_e32 vcc, 3, v10
	v_add_u32_e32 v17, 1, v17
	v_mov_b32_e32 v19, v10
	v_cndmask_b32_e32 v18, v18, v14, vcc
	s_branch .LBB490_15
.LBB490_14:                             ;   in Loop: Header=BB490_15 Depth=2
	s_or_b64 exec, exec, s[8:9]
	v_add_u32_e32 v17, -1, v17
	v_cmp_eq_u32_e32 vcc, 0, v17
	s_or_b64 s[6:7], vcc, s[6:7]
	v_add_u32_e32 v19, -1, v19
	s_andn2_b64 exec, exec, s[6:7]
	s_cbranch_execz .LBB490_17
.LBB490_15:                             ;   Parent Loop BB490_5 Depth=1
                                        ; =>  This Inner Loop Header: Depth=2
	v_cmp_eq_u32_e32 vcc, 0, v19
	s_and_saveexec_b64 s[8:9], vcc
	s_cbranch_execz .LBB490_14
; %bb.16:                               ;   in Loop: Header=BB490_15 Depth=2
	v_add_f32_e32 v16, v16, v18
	global_store_dwordx2 v[8:9], v[10:11], off offset:16
	s_branch .LBB490_14
.LBB490_17:                             ;   in Loop: Header=BB490_5 Depth=1
	s_or_b64 exec, exec, s[6:7]
	global_load_dwordx2 v[6:7], v[6:7], off offset:24
	s_mov_b64 s[6:7], 0
	s_waitcnt vmcnt(0)
	v_cmp_eq_u32_e32 vcc, 1, v6
	s_nop 1
	v_cndmask_b32_e32 v11, v13, v12, vcc
	v_cmp_eq_u32_e32 vcc, 2, v6
	v_min_u32_e32 v10, 3, v6
	v_ashrrev_i32_e32 v7, 31, v6
	v_cndmask_b32_e32 v11, v11, v15, vcc
	v_cmp_eq_u32_e32 vcc, 3, v6
	v_add_u32_e32 v10, 1, v10
	v_mov_b32_e32 v17, v6
	v_cndmask_b32_e32 v11, v11, v14, vcc
	s_branch .LBB490_19
.LBB490_18:                             ;   in Loop: Header=BB490_19 Depth=2
	s_or_b64 exec, exec, s[8:9]
	v_add_u32_e32 v10, -1, v10
	v_cmp_eq_u32_e32 vcc, 0, v10
	s_or_b64 s[6:7], vcc, s[6:7]
	v_add_u32_e32 v17, -1, v17
	s_andn2_b64 exec, exec, s[6:7]
	s_cbranch_execz .LBB490_4
.LBB490_19:                             ;   Parent Loop BB490_5 Depth=1
                                        ; =>  This Inner Loop Header: Depth=2
	v_cmp_eq_u32_e32 vcc, 0, v17
	s_and_saveexec_b64 s[8:9], vcc
	s_cbranch_execz .LBB490_18
; %bb.20:                               ;   in Loop: Header=BB490_19 Depth=2
	v_add_f32_e32 v16, v16, v11
	global_store_dwordx2 v[8:9], v[6:7], off offset:24
	s_branch .LBB490_18
.LBB490_21:
	v_mov_b32_e32 v16, 0
.LBB490_22:
	s_and_b32 s8, s12, 3
	s_cmp_eq_u32 s8, 0
	s_mov_b32 s17, 0
	s_cbranch_scc1 .LBB490_29
; %bb.23:
	s_mov_b32 s9, s17
	s_branch .LBB490_25
.LBB490_24:                             ;   in Loop: Header=BB490_25 Depth=1
	s_or_b64 exec, exec, s[4:5]
	s_add_i32 s16, s16, 1
	s_add_i32 s9, s9, 1
	s_cmp_lg_u32 s9, s8
	s_cbranch_scc0 .LBB490_29
.LBB490_25:                             ; =>This Loop Header: Depth=1
                                        ;     Child Loop BB490_27 Depth 2
	v_lshl_add_u64 v[6:7], s[16:17], 3, v[4:5]
	global_load_dwordx2 v[6:7], v[6:7], off
	v_add_u32_e32 v8, s16, v2
	v_ashrrev_i32_e32 v9, 31, v8
	s_mov_b64 s[4:5], 0
	s_waitcnt lgkmcnt(0)
	v_lshl_add_u64 v[8:9], v[8:9], 3, s[2:3]
	s_waitcnt vmcnt(0)
	v_cmp_eq_u32_e32 vcc, 1, v6
	s_nop 1
	v_cndmask_b32_e32 v10, v13, v12, vcc
	v_cmp_eq_u32_e32 vcc, 2, v6
	v_min_u32_e32 v3, 3, v6
	v_ashrrev_i32_e32 v7, 31, v6
	v_cndmask_b32_e32 v10, v10, v15, vcc
	v_cmp_eq_u32_e32 vcc, 3, v6
	v_add_u32_e32 v3, 1, v3
	v_mov_b32_e32 v11, v6
	v_cndmask_b32_e32 v10, v10, v14, vcc
	s_branch .LBB490_27
.LBB490_26:                             ;   in Loop: Header=BB490_27 Depth=2
	s_or_b64 exec, exec, s[6:7]
	v_add_u32_e32 v3, -1, v3
	v_cmp_eq_u32_e32 vcc, 0, v3
	s_or_b64 s[4:5], vcc, s[4:5]
	v_add_u32_e32 v11, -1, v11
	s_andn2_b64 exec, exec, s[4:5]
	s_cbranch_execz .LBB490_24
.LBB490_27:                             ;   Parent Loop BB490_25 Depth=1
                                        ; =>  This Inner Loop Header: Depth=2
	v_cmp_eq_u32_e32 vcc, 0, v11
	s_and_saveexec_b64 s[6:7], vcc
	s_cbranch_execz .LBB490_26
; %bb.28:                               ;   in Loop: Header=BB490_27 Depth=2
	v_add_f32_e32 v16, v16, v10
	global_store_dwordx2 v[8:9], v[6:7], off
	s_branch .LBB490_26
.LBB490_29:
	s_load_dword s4, s[0:1], 0x3c
	s_waitcnt lgkmcnt(0)
	s_load_dwordx2 s[2:3], s[0:1], 0x40
	s_bitcmp1_b32 s4, 0
	s_cselect_b64 s[4:5], -1, 0
	s_waitcnt lgkmcnt(0)
	v_cvt_f32_f64_e32 v8, s[2:3]
	s_and_b64 vcc, exec, s[4:5]
	s_cbranch_vccz .LBB490_31
; %bb.30:
	v_cmp_lt_f32_e32 vcc, 0, v16
	s_nop 1
	v_cndmask_b32_e32 v3, 1.0, v16, vcc
	v_div_scale_f32 v4, s[2:3], v3, v3, v8
	v_rcp_f32_e32 v5, v4
	s_nop 0
	v_fma_f32 v6, -v4, v5, 1.0
	v_fmac_f32_e32 v5, v6, v5
	v_div_scale_f32 v6, vcc, v8, v3, v8
	v_mul_f32_e32 v7, v6, v5
	v_fma_f32 v9, -v4, v7, v6
	v_fmac_f32_e32 v7, v9, v5
	v_fma_f32 v4, -v4, v7, v6
	v_div_fmas_f32 v4, v4, v5, v7
	v_div_fixup_f32 v8, v4, v3, v8
.LBB490_31:
	s_andn2_b64 vcc, exec, s[14:15]
	s_cbranch_vccnz .LBB490_56
; %bb.32:
	s_load_dwordx2 s[0:1], s[0:1], 0x10
	s_cmp_lt_u32 s12, 8
	s_mov_b32 s2, 0
	s_cbranch_scc1 .LBB490_51
; %bb.33:
	v_ashrrev_i32_e32 v3, 31, v2
	s_waitcnt lgkmcnt(0)
	v_lshl_add_u64 v[4:5], v[2:3], 2, s[0:1]
	v_lshl_add_u64 v[6:7], v[0:1], 3, s[10:11]
	s_and_b32 s2, s12, 0x7ffffff8
	v_lshl_add_u64 v[4:5], v[4:5], 0, 28
	v_lshl_add_u64 v[6:7], v[6:7], 0, 56
	s_mov_b32 s3, 0
	s_branch .LBB490_35
.LBB490_34:                             ;   in Loop: Header=BB490_35 Depth=1
	s_or_b64 exec, exec, s[4:5]
	s_add_i32 s3, s3, 8
	v_lshl_add_u64 v[4:5], v[4:5], 0, 32
	s_cmp_eq_u32 s2, s3
	v_lshl_add_u64 v[6:7], v[6:7], 0, 64
	s_cbranch_scc1 .LBB490_51
.LBB490_35:                             ; =>This Inner Loop Header: Depth=1
	global_load_dword v3, v[6:7], off offset:-56
	s_waitcnt vmcnt(0)
	v_cmp_gt_u32_e32 vcc, 4, v3
	s_and_saveexec_b64 s[4:5], vcc
	s_cbranch_execz .LBB490_37
; %bb.36:                               ;   in Loop: Header=BB490_35 Depth=1
	v_cmp_eq_u32_e32 vcc, 1, v3
	v_add_u32_e32 v10, s3, v2
	v_ashrrev_i32_e32 v11, 31, v10
	v_cndmask_b32_e32 v9, v13, v12, vcc
	v_cmp_eq_u32_e32 vcc, 2, v3
	v_lshl_add_u64 v[10:11], v[10:11], 2, s[0:1]
	s_nop 0
	v_cndmask_b32_e32 v9, v9, v15, vcc
	v_cmp_eq_u32_e32 vcc, 3, v3
	s_nop 1
	v_cndmask_b32_e32 v3, v9, v14, vcc
	v_mul_f32_e32 v3, v8, v3
	global_store_dword v[10:11], v3, off
.LBB490_37:                             ;   in Loop: Header=BB490_35 Depth=1
	s_or_b64 exec, exec, s[4:5]
	global_load_dword v3, v[6:7], off offset:-48
	s_waitcnt vmcnt(0)
	v_cmp_gt_u32_e32 vcc, 4, v3
	s_and_saveexec_b64 s[4:5], vcc
	s_cbranch_execz .LBB490_39
; %bb.38:                               ;   in Loop: Header=BB490_35 Depth=1
	v_cmp_eq_u32_e32 vcc, 1, v3
	s_nop 1
	v_cndmask_b32_e32 v9, v13, v12, vcc
	v_cmp_eq_u32_e32 vcc, 2, v3
	s_nop 1
	v_cndmask_b32_e32 v9, v9, v15, vcc
	v_cmp_eq_u32_e32 vcc, 3, v3
	s_nop 1
	v_cndmask_b32_e32 v3, v9, v14, vcc
	v_mul_f32_e32 v3, v8, v3
	global_store_dword v[4:5], v3, off offset:-24
.LBB490_39:                             ;   in Loop: Header=BB490_35 Depth=1
	s_or_b64 exec, exec, s[4:5]
	global_load_dword v3, v[6:7], off offset:-40
	s_waitcnt vmcnt(0)
	v_cmp_gt_u32_e32 vcc, 4, v3
	s_and_saveexec_b64 s[4:5], vcc
	s_cbranch_execz .LBB490_41
; %bb.40:                               ;   in Loop: Header=BB490_35 Depth=1
	v_cmp_eq_u32_e32 vcc, 1, v3
	s_nop 1
	v_cndmask_b32_e32 v9, v13, v12, vcc
	v_cmp_eq_u32_e32 vcc, 2, v3
	s_nop 1
	v_cndmask_b32_e32 v9, v9, v15, vcc
	v_cmp_eq_u32_e32 vcc, 3, v3
	s_nop 1
	v_cndmask_b32_e32 v3, v9, v14, vcc
	v_mul_f32_e32 v3, v8, v3
	global_store_dword v[4:5], v3, off offset:-20
.LBB490_41:                             ;   in Loop: Header=BB490_35 Depth=1
	;; [unrolled: 19-line block ×6, first 2 shown]
	s_or_b64 exec, exec, s[4:5]
	global_load_dword v3, v[6:7], off
	s_waitcnt vmcnt(0)
	v_cmp_gt_u32_e32 vcc, 4, v3
	s_and_saveexec_b64 s[4:5], vcc
	s_cbranch_execz .LBB490_34
; %bb.50:                               ;   in Loop: Header=BB490_35 Depth=1
	v_cmp_eq_u32_e32 vcc, 1, v3
	s_nop 1
	v_cndmask_b32_e32 v9, v13, v12, vcc
	v_cmp_eq_u32_e32 vcc, 2, v3
	s_nop 1
	v_cndmask_b32_e32 v9, v9, v15, vcc
	;; [unrolled: 3-line block ×3, first 2 shown]
	v_mul_f32_e32 v3, v8, v3
	global_store_dword v[4:5], v3, off
	s_branch .LBB490_34
.LBB490_51:
	s_and_b32 s4, s12, 7
	s_cmp_eq_u32 s4, 0
	s_mov_b32 s3, 0
	s_cbranch_scc1 .LBB490_56
; %bb.52:
	v_add_u32_e32 v2, s2, v2
	s_lshl_b64 s[2:3], s[2:3], 3
	s_add_u32 s2, s10, s2
	s_addc_u32 s3, s11, s3
	v_lshl_add_u64 v[0:1], v[0:1], 3, s[2:3]
	s_branch .LBB490_54
.LBB490_53:                             ;   in Loop: Header=BB490_54 Depth=1
	s_or_b64 exec, exec, s[2:3]
	s_add_i32 s4, s4, -1
	v_add_u32_e32 v2, 1, v2
	s_cmp_eq_u32 s4, 0
	v_lshl_add_u64 v[0:1], v[0:1], 0, 8
	s_cbranch_scc1 .LBB490_56
.LBB490_54:                             ; =>This Inner Loop Header: Depth=1
	global_load_dword v3, v[0:1], off
	s_waitcnt vmcnt(0)
	v_cmp_gt_u32_e32 vcc, 4, v3
	s_and_saveexec_b64 s[2:3], vcc
	s_cbranch_execz .LBB490_53
; %bb.55:                               ;   in Loop: Header=BB490_54 Depth=1
	v_cmp_eq_u32_e32 vcc, 1, v3
	s_nop 1
	v_cndmask_b32_e32 v4, v13, v12, vcc
	v_cmp_eq_u32_e32 vcc, 2, v3
	s_nop 1
	v_cndmask_b32_e32 v4, v4, v15, vcc
	;; [unrolled: 3-line block ×3, first 2 shown]
	v_mul_f32_e32 v6, v8, v3
	v_ashrrev_i32_e32 v3, 31, v2
	s_waitcnt lgkmcnt(0)
	v_lshl_add_u64 v[4:5], v[2:3], 2, s[0:1]
	global_store_dword v[4:5], v6, off
	s_branch .LBB490_53
.LBB490_56:
	s_endpgm
	.section	.rodata,"a",@progbits
	.p2align	6, 0x0
	.amdhsa_kernel _ZN4vllm3moe22topkGatingSoftplusSqrtILi4ELi4ELi4ELi8ELi32ELb1El14__hip_bfloat16EEvPKT6_PKbPfiPT5_PiiiibdPKfPKS9_SF_
		.amdhsa_group_segment_fixed_size 0
		.amdhsa_private_segment_fixed_size 0
		.amdhsa_kernarg_size 96
		.amdhsa_user_sgpr_count 2
		.amdhsa_user_sgpr_dispatch_ptr 0
		.amdhsa_user_sgpr_queue_ptr 0
		.amdhsa_user_sgpr_kernarg_segment_ptr 1
		.amdhsa_user_sgpr_dispatch_id 0
		.amdhsa_user_sgpr_kernarg_preload_length 0
		.amdhsa_user_sgpr_kernarg_preload_offset 0
		.amdhsa_user_sgpr_private_segment_size 0
		.amdhsa_uses_dynamic_stack 0
		.amdhsa_enable_private_segment 0
		.amdhsa_system_sgpr_workgroup_id_x 1
		.amdhsa_system_sgpr_workgroup_id_y 0
		.amdhsa_system_sgpr_workgroup_id_z 0
		.amdhsa_system_sgpr_workgroup_info 0
		.amdhsa_system_vgpr_workitem_id 1
		.amdhsa_next_free_vgpr 22
		.amdhsa_next_free_sgpr 23
		.amdhsa_accum_offset 24
		.amdhsa_reserve_vcc 1
		.amdhsa_float_round_mode_32 0
		.amdhsa_float_round_mode_16_64 0
		.amdhsa_float_denorm_mode_32 3
		.amdhsa_float_denorm_mode_16_64 3
		.amdhsa_dx10_clamp 1
		.amdhsa_ieee_mode 1
		.amdhsa_fp16_overflow 0
		.amdhsa_tg_split 0
		.amdhsa_exception_fp_ieee_invalid_op 0
		.amdhsa_exception_fp_denorm_src 0
		.amdhsa_exception_fp_ieee_div_zero 0
		.amdhsa_exception_fp_ieee_overflow 0
		.amdhsa_exception_fp_ieee_underflow 0
		.amdhsa_exception_fp_ieee_inexact 0
		.amdhsa_exception_int_div_zero 0
	.end_amdhsa_kernel
	.section	.text._ZN4vllm3moe22topkGatingSoftplusSqrtILi4ELi4ELi4ELi8ELi32ELb1El14__hip_bfloat16EEvPKT6_PKbPfiPT5_PiiiibdPKfPKS9_SF_,"axG",@progbits,_ZN4vllm3moe22topkGatingSoftplusSqrtILi4ELi4ELi4ELi8ELi32ELb1El14__hip_bfloat16EEvPKT6_PKbPfiPT5_PiiiibdPKfPKS9_SF_,comdat
.Lfunc_end490:
	.size	_ZN4vllm3moe22topkGatingSoftplusSqrtILi4ELi4ELi4ELi8ELi32ELb1El14__hip_bfloat16EEvPKT6_PKbPfiPT5_PiiiibdPKfPKS9_SF_, .Lfunc_end490-_ZN4vllm3moe22topkGatingSoftplusSqrtILi4ELi4ELi4ELi8ELi32ELb1El14__hip_bfloat16EEvPKT6_PKbPfiPT5_PiiiibdPKfPKS9_SF_
                                        ; -- End function
	.section	.AMDGPU.csdata,"",@progbits
; Kernel info:
; codeLenInByte = 3052
; NumSgprs: 29
; NumVgprs: 22
; NumAgprs: 0
; TotalNumVgprs: 22
; ScratchSize: 0
; MemoryBound: 0
; FloatMode: 240
; IeeeMode: 1
; LDSByteSize: 0 bytes/workgroup (compile time only)
; SGPRBlocks: 3
; VGPRBlocks: 2
; NumSGPRsForWavesPerEU: 29
; NumVGPRsForWavesPerEU: 22
; AccumOffset: 24
; Occupancy: 8
; WaveLimiterHint : 1
; COMPUTE_PGM_RSRC2:SCRATCH_EN: 0
; COMPUTE_PGM_RSRC2:USER_SGPR: 2
; COMPUTE_PGM_RSRC2:TRAP_HANDLER: 0
; COMPUTE_PGM_RSRC2:TGID_X_EN: 1
; COMPUTE_PGM_RSRC2:TGID_Y_EN: 0
; COMPUTE_PGM_RSRC2:TGID_Z_EN: 0
; COMPUTE_PGM_RSRC2:TIDIG_COMP_CNT: 1
; COMPUTE_PGM_RSRC3_GFX90A:ACCUM_OFFSET: 5
; COMPUTE_PGM_RSRC3_GFX90A:TG_SPLIT: 0
	.section	.text._ZN4vllm3moe22topkGatingSoftplusSqrtILi4ELi4ELi4ELi8ELi32ELb0El14__hip_bfloat16EEvPKT6_PKbPfiPT5_PiiiibdPKfPKS9_SF_,"axG",@progbits,_ZN4vllm3moe22topkGatingSoftplusSqrtILi4ELi4ELi4ELi8ELi32ELb0El14__hip_bfloat16EEvPKT6_PKbPfiPT5_PiiiibdPKfPKS9_SF_,comdat
	.protected	_ZN4vllm3moe22topkGatingSoftplusSqrtILi4ELi4ELi4ELi8ELi32ELb0El14__hip_bfloat16EEvPKT6_PKbPfiPT5_PiiiibdPKfPKS9_SF_ ; -- Begin function _ZN4vllm3moe22topkGatingSoftplusSqrtILi4ELi4ELi4ELi8ELi32ELb0El14__hip_bfloat16EEvPKT6_PKbPfiPT5_PiiiibdPKfPKS9_SF_
	.globl	_ZN4vllm3moe22topkGatingSoftplusSqrtILi4ELi4ELi4ELi8ELi32ELb0El14__hip_bfloat16EEvPKT6_PKbPfiPT5_PiiiibdPKfPKS9_SF_
	.p2align	8
	.type	_ZN4vllm3moe22topkGatingSoftplusSqrtILi4ELi4ELi4ELi8ELi32ELb0El14__hip_bfloat16EEvPKT6_PKbPfiPT5_PiiiibdPKfPKS9_SF_,@function
_ZN4vllm3moe22topkGatingSoftplusSqrtILi4ELi4ELi4ELi8ELi32ELb0El14__hip_bfloat16EEvPKT6_PKbPfiPT5_PiiiibdPKfPKS9_SF_: ; @_ZN4vllm3moe22topkGatingSoftplusSqrtILi4ELi4ELi4ELi8ELi32ELb0El14__hip_bfloat16EEvPKT6_PKbPfiPT5_PiiiibdPKfPKS9_SF_
; %bb.0:
	s_load_dword s24, s[0:1], 0x18
	v_bfe_u32 v1, v0, 10, 10
	s_lshl_b32 s2, s2, 7
	v_lshlrev_b32_e32 v1, 5, v1
	v_and_b32_e32 v0, 0x3ff, v0
	v_add3_u32 v4, v1, v0, s2
	s_waitcnt lgkmcnt(0)
	v_cmp_gt_i32_e32 vcc, s24, v4
	s_and_saveexec_b64 s[2:3], vcc
	s_cbranch_execz .LBB491_32
; %bb.1:
	s_load_dwordx4 s[4:7], s[0:1], 0x0
	s_load_dwordx2 s[20:21], s[0:1], 0x10
	s_waitcnt lgkmcnt(0)
	s_cmp_eq_u64 s[6:7], 0
	s_cbranch_scc1 .LBB491_3
; %bb.2:
	v_ashrrev_i32_e32 v5, 31, v4
	v_lshl_add_u64 v[0:1], s[6:7], 0, v[4:5]
	global_load_ubyte v0, v[0:1], off
	s_waitcnt vmcnt(0)
	v_and_b32_e32 v0, 1, v0
	v_cmp_eq_u32_e32 vcc, 1, v0
	s_xor_b64 s[2:3], vcc, -1
	s_orn2_b64 s[6:7], s[2:3], exec
	s_branch .LBB491_4
.LBB491_3:
	s_mov_b64 s[6:7], -1
.LBB491_4:
	v_lshlrev_b32_e32 v2, 2, v4
	v_mov_b32_e32 v0, s4
	v_mov_b32_e32 v1, s5
	v_ashrrev_i32_e32 v3, 31, v2
	v_lshl_add_u64 v[0:1], v[2:3], 1, v[0:1]
	global_load_dwordx2 v[2:3], v[0:1], off
	s_mov_b32 s18, 0x800000
	v_mov_b32_e32 v5, 0x4f800000
	s_mov_b32 s15, 0x3f317217
	s_mov_b32 s16, 0x7f800000
	v_mov_b32_e32 v6, 0x41b17218
	s_mov_b32 s14, 0x41a00000
	s_mov_b32 s17, 0xf800000
	s_load_dwordx4 s[8:11], s[0:1], 0x40
	s_waitcnt lgkmcnt(0)
	s_cmp_lg_u64 s[10:11], 0
	s_cselect_b64 s[12:13], -1, 0
	s_and_b64 s[2:3], exec, s[12:13]
	s_waitcnt vmcnt(0)
	v_lshlrev_b32_e32 v0, 16, v2
	v_mul_f32_e32 v1, 0x3fb8aa3b, v0
	v_exp_f32_e32 v1, v1
	s_nop 0
	v_add_f32_e32 v1, 1.0, v1
	v_cmp_gt_f32_e32 vcc, s18, v1
	s_nop 1
	v_cndmask_b32_e32 v7, 1.0, v5, vcc
	v_mul_f32_e32 v1, v1, v7
	v_log_f32_e32 v7, v1
	v_cndmask_b32_e32 v8, 0, v6, vcc
	v_mov_b32_e32 v1, 0x260
	v_mul_f32_e32 v9, 0x3f317217, v7
	v_fma_f32 v9, v7, s15, -v9
	v_fmac_f32_e32 v9, 0x3377d1cf, v7
	v_fmac_f32_e32 v9, 0x3f317217, v7
	v_cmp_lt_f32_e64 vcc, |v7|, s16
	s_nop 1
	v_cndmask_b32_e32 v7, v7, v9, vcc
	v_sub_f32_e32 v7, v7, v8
	v_cmp_lt_f32_e32 vcc, s14, v0
	s_nop 1
	v_cndmask_b32_e32 v0, v7, v0, vcc
	v_mul_f32_e32 v7, 0x4f800000, v0
	v_cmp_gt_f32_e32 vcc, s17, v0
	s_nop 1
	v_cndmask_b32_e32 v0, v0, v7, vcc
	v_sqrt_f32_e32 v7, v0
	s_nop 0
	v_add_u32_e32 v8, -1, v7
	v_add_u32_e32 v9, 1, v7
	v_fma_f32 v10, -v8, v7, v0
	v_fma_f32 v11, -v9, v7, v0
	v_cmp_ge_f32_e64 s[4:5], 0, v10
	s_nop 1
	v_cndmask_b32_e64 v7, v7, v8, s[4:5]
	v_cmp_lt_f32_e64 s[4:5], 0, v11
	s_nop 1
	v_cndmask_b32_e64 v7, v7, v9, s[4:5]
	v_mul_f32_e32 v8, 0x37800000, v7
	v_cndmask_b32_e32 v7, v7, v8, vcc
	v_cmp_class_f32_e32 vcc, v0, v1
	s_nop 1
	v_cndmask_b32_e32 v0, v7, v0, vcc
	s_mov_b64 vcc, s[2:3]
	s_cbranch_vccz .LBB491_6
; %bb.5:
	s_load_dword s2, s[10:11], 0x0
	s_waitcnt lgkmcnt(0)
	v_add_f32_e32 v0, s2, v0
.LBB491_6:
	v_and_b32_e32 v7, 0xffff0000, v2
	v_mul_f32_e32 v8, 0x3fb8aa3b, v7
	v_exp_f32_e32 v8, v8
	s_nop 0
	v_add_f32_e32 v8, 1.0, v8
	v_cmp_gt_f32_e32 vcc, s18, v8
	s_nop 1
	v_cndmask_b32_e32 v5, 1.0, v5, vcc
	v_mul_f32_e32 v5, v8, v5
	v_log_f32_e32 v5, v5
	v_cndmask_b32_e32 v6, 0, v6, vcc
	v_mul_f32_e32 v8, 0x3f317217, v5
	v_fma_f32 v8, v5, s15, -v8
	v_fmac_f32_e32 v8, 0x3377d1cf, v5
	v_fmac_f32_e32 v8, 0x3f317217, v5
	v_cmp_lt_f32_e64 vcc, |v5|, s16
	s_nop 1
	v_cndmask_b32_e32 v5, v5, v8, vcc
	v_sub_f32_e32 v5, v5, v6
	v_cmp_lt_f32_e32 vcc, s14, v7
	s_nop 1
	v_cndmask_b32_e32 v5, v5, v7, vcc
	v_mul_f32_e32 v6, 0x4f800000, v5
	v_cmp_gt_f32_e32 vcc, s17, v5
	s_nop 1
	v_cndmask_b32_e32 v5, v5, v6, vcc
	v_sqrt_f32_e32 v6, v5
	v_cmp_class_f32_e64 s[4:5], v5, v1
	v_add_u32_e32 v7, -1, v6
	v_add_u32_e32 v8, 1, v6
	v_fma_f32 v9, -v7, v6, v5
	v_fma_f32 v10, -v8, v6, v5
	v_cmp_ge_f32_e64 s[2:3], 0, v9
	s_nop 1
	v_cndmask_b32_e64 v6, v6, v7, s[2:3]
	v_cmp_lt_f32_e64 s[2:3], 0, v10
	s_nop 1
	v_cndmask_b32_e64 v6, v6, v8, s[2:3]
	v_mul_f32_e32 v7, 0x37800000, v6
	v_cndmask_b32_e32 v6, v6, v7, vcc
	v_cndmask_b32_e64 v7, 0, 1, s[12:13]
	v_cmp_ne_u32_e64 s[2:3], 1, v7
	s_andn2_b64 vcc, exec, s[12:13]
	v_cndmask_b32_e64 v1, v6, v5, s[4:5]
	s_cbranch_vccnz .LBB491_8
; %bb.7:
	s_load_dword s4, s[10:11], 0x4
	s_waitcnt lgkmcnt(0)
	v_add_f32_e32 v1, s4, v1
.LBB491_8:
	v_alignbit_b32 v2, v3, v2, 16
	v_and_b32_e32 v2, 0xffff0000, v2
	v_mul_f32_e32 v5, 0x3fb8aa3b, v2
	v_exp_f32_e32 v5, v5
	s_mov_b32 s16, 0x800000
	v_mov_b32_e32 v6, 0x4f800000
	s_mov_b32 s13, 0x3f317217
	v_add_f32_e32 v5, 1.0, v5
	v_cmp_gt_f32_e32 vcc, s16, v5
	s_mov_b32 s14, 0x7f800000
	s_mov_b32 s12, 0x41a00000
	v_cndmask_b32_e32 v7, 1.0, v6, vcc
	v_mul_f32_e32 v5, v5, v7
	v_log_f32_e32 v5, v5
	s_mov_b32 s15, 0xf800000
	v_mul_f32_e32 v7, 0x3f317217, v5
	v_fma_f32 v7, v5, s13, -v7
	v_fmac_f32_e32 v7, 0x3377d1cf, v5
	v_fmac_f32_e32 v7, 0x3f317217, v5
	v_cmp_lt_f32_e64 s[4:5], |v5|, s14
	s_nop 1
	v_cndmask_b32_e64 v5, v5, v7, s[4:5]
	v_mov_b32_e32 v7, 0x41b17218
	v_cndmask_b32_e32 v8, 0, v7, vcc
	v_sub_f32_e32 v5, v5, v8
	v_cmp_lt_f32_e32 vcc, s12, v2
	s_nop 1
	v_cndmask_b32_e32 v2, v5, v2, vcc
	v_mul_f32_e32 v5, 0x4f800000, v2
	v_cmp_gt_f32_e32 vcc, s15, v2
	s_nop 1
	v_cndmask_b32_e32 v2, v2, v5, vcc
	v_sqrt_f32_e32 v5, v2
	s_nop 0
	v_add_u32_e32 v8, -1, v5
	v_fma_f32 v9, -v8, v5, v2
	v_cmp_ge_f32_e64 s[4:5], 0, v9
	v_add_u32_e32 v9, 1, v5
	s_nop 0
	v_cndmask_b32_e64 v8, v5, v8, s[4:5]
	v_fma_f32 v5, -v9, v5, v2
	v_cmp_lt_f32_e64 s[4:5], 0, v5
	s_nop 1
	v_cndmask_b32_e64 v5, v8, v9, s[4:5]
	v_mul_f32_e32 v8, 0x37800000, v5
	v_cndmask_b32_e32 v8, v5, v8, vcc
	v_mov_b32_e32 v5, 0x260
	v_cmp_class_f32_e64 s[4:5], v2, v5
	s_and_b64 vcc, exec, s[2:3]
	s_nop 0
	v_cndmask_b32_e64 v2, v8, v2, s[4:5]
	s_cbranch_vccnz .LBB491_10
; %bb.9:
	s_load_dword s4, s[10:11], 0x8
	s_waitcnt lgkmcnt(0)
	v_add_f32_e32 v2, s4, v2
.LBB491_10:
	v_and_b32_e32 v3, 0xffff0000, v3
	v_mul_f32_e32 v8, 0x3fb8aa3b, v3
	v_exp_f32_e32 v8, v8
	s_nop 0
	v_add_f32_e32 v8, 1.0, v8
	v_cmp_gt_f32_e32 vcc, s16, v8
	s_nop 1
	v_cndmask_b32_e32 v6, 1.0, v6, vcc
	v_mul_f32_e32 v6, v8, v6
	v_log_f32_e32 v6, v6
	v_cndmask_b32_e32 v7, 0, v7, vcc
	v_mul_f32_e32 v8, 0x3f317217, v6
	v_fma_f32 v8, v6, s13, -v8
	v_fmac_f32_e32 v8, 0x3377d1cf, v6
	v_fmac_f32_e32 v8, 0x3f317217, v6
	v_cmp_lt_f32_e64 vcc, |v6|, s14
	s_nop 1
	v_cndmask_b32_e32 v6, v6, v8, vcc
	v_sub_f32_e32 v6, v6, v7
	v_cmp_lt_f32_e32 vcc, s12, v3
	s_nop 1
	v_cndmask_b32_e32 v3, v6, v3, vcc
	v_mul_f32_e32 v6, 0x4f800000, v3
	v_cmp_gt_f32_e32 vcc, s15, v3
	s_nop 1
	v_cndmask_b32_e32 v3, v3, v6, vcc
	v_sqrt_f32_e32 v6, v3
	s_nop 0
	v_add_u32_e32 v7, -1, v6
	v_add_u32_e32 v8, 1, v6
	v_fma_f32 v9, -v7, v6, v3
	v_fma_f32 v10, -v8, v6, v3
	v_cmp_ge_f32_e64 s[4:5], 0, v9
	s_nop 1
	v_cndmask_b32_e64 v6, v6, v7, s[4:5]
	v_cmp_lt_f32_e64 s[4:5], 0, v10
	s_nop 1
	v_cndmask_b32_e64 v6, v6, v8, s[4:5]
	v_mul_f32_e32 v7, 0x37800000, v6
	v_cndmask_b32_e32 v6, v6, v7, vcc
	v_cmp_class_f32_e64 s[4:5], v3, v5
	s_and_b64 vcc, exec, s[2:3]
	s_nop 0
	v_cndmask_b32_e64 v3, v6, v3, s[4:5]
	s_cbranch_vccnz .LBB491_12
; %bb.11:
	s_load_dword s4, s[10:11], 0xc
	s_waitcnt lgkmcnt(0)
	v_add_f32_e32 v3, s4, v3
.LBB491_12:
	s_load_dwordx4 s[12:15], s[0:1], 0x30
	s_mov_b32 s25, 0
	s_waitcnt lgkmcnt(0)
	s_bitcmp1_b32 s15, 0
	s_cselect_b64 s[4:5], -1, 0
	s_cmp_gt_i32 s12, 0
	s_cselect_b64 s[22:23], -1, 0
	s_and_b64 vcc, exec, s[22:23]
	v_mul_lo_u32 v6, v4, s12
	s_cbranch_vccz .LBB491_19
; %bb.13:
	s_load_dwordx4 s[16:19], s[0:1], 0x20
	v_mov_b32_e32 v5, 0
	v_mov_b32_e32 v7, 0xc61c4000
	s_branch .LBB491_15
.LBB491_14:                             ;   in Loop: Header=BB491_15 Depth=1
	v_add_f32_e32 v8, v5, v8
	v_cndmask_b32_e64 v5, v5, v8, s[4:5]
	s_cmp_lg_u32 s12, s25
	v_add_u32_e32 v4, s24, v4
	s_cbranch_scc0 .LBB491_20
.LBB491_15:                             ; =>This Inner Loop Header: Depth=1
	v_cmp_gt_f32_e32 vcc, v1, v0
	s_nop 1
	v_cndmask_b32_e32 v9, v0, v1, vcc
	v_cndmask_b32_e64 v8, 0, 1, vcc
	v_cmp_gt_f32_e32 vcc, v2, v9
	s_nop 1
	v_cndmask_b32_e32 v10, v9, v2, vcc
	v_cndmask_b32_e64 v8, v8, 2, vcc
	v_cmp_gt_f32_e64 s[0:1], v3, v10
	s_and_b64 vcc, exec, s[2:3]
	s_nop 0
	v_cndmask_b32_e64 v9, v8, 3, s[0:1]
	v_cndmask_b32_e64 v8, v10, v3, s[0:1]
	s_cbranch_vccnz .LBB491_17
; %bb.16:                               ;   in Loop: Header=BB491_15 Depth=1
	v_lshlrev_b32_e32 v10, 2, v9
	global_load_dword v10, v10, s[10:11]
	s_waitcnt vmcnt(0)
	v_sub_f32_e32 v8, v8, v10
.LBB491_17:                             ;   in Loop: Header=BB491_15 Depth=1
	v_add_u32_e32 v10, s25, v6
	v_ashrrev_i32_e32 v11, 31, v10
	v_lshlrev_b64 v[12:13], 2, v[10:11]
	v_cmp_le_i32_e32 vcc, s13, v9
	v_cmp_gt_i32_e64 s[0:1], s14, v9
	v_lshl_add_u64 v[14:15], s[20:21], 0, v[12:13]
	s_and_b64 s[0:1], vcc, s[0:1]
	global_store_dword v[14:15], v8, off
	v_subrev_u32_e32 v14, s13, v9
	v_ashrrev_i32_e32 v15, 31, v14
	s_and_b64 vcc, s[6:7], s[0:1]
	v_cndmask_b32_e32 v15, 0, v15, vcc
	v_cndmask_b32_e32 v14, 4, v14, vcc
	s_waitcnt lgkmcnt(0)
	v_lshl_add_u64 v[10:11], v[10:11], 3, s[16:17]
	s_add_i32 s25, s25, 1
	global_store_dwordx2 v[10:11], v[14:15], off
	v_lshl_add_u64 v[10:11], s[18:19], 0, v[12:13]
	s_cmp_ge_i32 s25, s12
	global_store_dword v[10:11], v4, off
	s_cbranch_scc1 .LBB491_14
; %bb.18:                               ;   in Loop: Header=BB491_15 Depth=1
	v_cmp_ne_u32_e32 vcc, 3, v9
	s_nop 1
	v_cndmask_b32_e32 v3, v7, v3, vcc
	v_cmp_ne_u32_e32 vcc, 2, v9
	s_nop 1
	v_cndmask_b32_e32 v2, v7, v2, vcc
	;; [unrolled: 3-line block ×4, first 2 shown]
	s_branch .LBB491_14
.LBB491_19:
	v_mov_b32_e32 v5, 0
.LBB491_20:
	s_andn2_b64 vcc, exec, s[4:5]
	v_cvt_f32_f64_e32 v0, s[8:9]
	s_cbranch_vccnz .LBB491_22
; %bb.21:
	v_cmp_lt_f32_e32 vcc, 0, v5
	s_nop 1
	v_cndmask_b32_e32 v1, 1.0, v5, vcc
	v_div_scale_f32 v2, s[0:1], v1, v1, v0
	v_rcp_f32_e32 v3, v2
	s_nop 0
	v_fma_f32 v4, -v2, v3, 1.0
	v_fmac_f32_e32 v3, v4, v3
	v_div_scale_f32 v4, vcc, v0, v1, v0
	v_mul_f32_e32 v5, v4, v3
	v_fma_f32 v7, -v2, v5, v4
	v_fmac_f32_e32 v5, v7, v3
	v_fma_f32 v2, -v2, v5, v4
	v_div_fmas_f32 v2, v2, v3, v5
	v_div_fixup_f32 v0, v2, v1, v0
.LBB491_22:
	s_andn2_b64 vcc, exec, s[22:23]
	s_cbranch_vccnz .LBB491_32
; %bb.23:
	s_cmp_gt_u32 s12, 3
	v_ashrrev_i32_e32 v7, 31, v6
	s_cbranch_scc0 .LBB491_27
; %bb.24:
	s_and_b32 s0, s12, 0x7ffffffc
	v_lshl_add_u64 v[2:3], v[6:7], 2, s[20:21]
	v_mov_b32_e32 v1, v0
	v_lshl_add_u64 v[2:3], v[2:3], 0, 8
	s_mov_b32 s1, s0
.LBB491_25:                             ; =>This Inner Loop Header: Depth=1
	global_load_dwordx4 v[8:11], v[2:3], off offset:-8
	s_add_i32 s1, s1, -4
	s_cmp_lg_u32 s1, 0
	s_waitcnt vmcnt(0)
	v_pk_mul_f32 v[8:9], v[0:1], v[8:9]
	v_pk_mul_f32 v[10:11], v[0:1], v[10:11]
	global_store_dwordx4 v[2:3], v[8:11], off offset:-8
	v_lshl_add_u64 v[2:3], v[2:3], 0, 16
	s_cbranch_scc1 .LBB491_25
; %bb.26:
	s_cmp_lg_u32 s0, s12
	s_cselect_b64 s[2:3], -1, 0
	s_branch .LBB491_29
.LBB491_27:
	s_mov_b64 s[2:3], 0
                                        ; implicit-def: $sgpr0
	s_cbranch_execz .LBB491_29
; %bb.28:
	s_mov_b64 s[2:3], -1
	s_mov_b32 s0, 0
.LBB491_29:
	s_andn2_b64 vcc, exec, s[2:3]
	s_cbranch_vccnz .LBB491_32
; %bb.30:
	s_mov_b32 s1, 0
	v_lshl_add_u64 v[2:3], v[6:7], 0, s[0:1]
	s_sub_i32 s2, s12, s0
	v_lshl_add_u64 v[2:3], v[2:3], 2, s[20:21]
.LBB491_31:                             ; =>This Inner Loop Header: Depth=1
	global_load_dword v1, v[2:3], off
	s_add_i32 s2, s2, -1
	s_cmp_lg_u32 s2, 0
	s_waitcnt vmcnt(0)
	v_mul_f32_e32 v1, v0, v1
	global_store_dword v[2:3], v1, off
	v_lshl_add_u64 v[2:3], v[2:3], 0, 4
	s_cbranch_scc1 .LBB491_31
.LBB491_32:
	s_endpgm
	.section	.rodata,"a",@progbits
	.p2align	6, 0x0
	.amdhsa_kernel _ZN4vllm3moe22topkGatingSoftplusSqrtILi4ELi4ELi4ELi8ELi32ELb0El14__hip_bfloat16EEvPKT6_PKbPfiPT5_PiiiibdPKfPKS9_SF_
		.amdhsa_group_segment_fixed_size 0
		.amdhsa_private_segment_fixed_size 0
		.amdhsa_kernarg_size 96
		.amdhsa_user_sgpr_count 2
		.amdhsa_user_sgpr_dispatch_ptr 0
		.amdhsa_user_sgpr_queue_ptr 0
		.amdhsa_user_sgpr_kernarg_segment_ptr 1
		.amdhsa_user_sgpr_dispatch_id 0
		.amdhsa_user_sgpr_kernarg_preload_length 0
		.amdhsa_user_sgpr_kernarg_preload_offset 0
		.amdhsa_user_sgpr_private_segment_size 0
		.amdhsa_uses_dynamic_stack 0
		.amdhsa_enable_private_segment 0
		.amdhsa_system_sgpr_workgroup_id_x 1
		.amdhsa_system_sgpr_workgroup_id_y 0
		.amdhsa_system_sgpr_workgroup_id_z 0
		.amdhsa_system_sgpr_workgroup_info 0
		.amdhsa_system_vgpr_workitem_id 1
		.amdhsa_next_free_vgpr 16
		.amdhsa_next_free_sgpr 26
		.amdhsa_accum_offset 16
		.amdhsa_reserve_vcc 1
		.amdhsa_float_round_mode_32 0
		.amdhsa_float_round_mode_16_64 0
		.amdhsa_float_denorm_mode_32 3
		.amdhsa_float_denorm_mode_16_64 3
		.amdhsa_dx10_clamp 1
		.amdhsa_ieee_mode 1
		.amdhsa_fp16_overflow 0
		.amdhsa_tg_split 0
		.amdhsa_exception_fp_ieee_invalid_op 0
		.amdhsa_exception_fp_denorm_src 0
		.amdhsa_exception_fp_ieee_div_zero 0
		.amdhsa_exception_fp_ieee_overflow 0
		.amdhsa_exception_fp_ieee_underflow 0
		.amdhsa_exception_fp_ieee_inexact 0
		.amdhsa_exception_int_div_zero 0
	.end_amdhsa_kernel
	.section	.text._ZN4vllm3moe22topkGatingSoftplusSqrtILi4ELi4ELi4ELi8ELi32ELb0El14__hip_bfloat16EEvPKT6_PKbPfiPT5_PiiiibdPKfPKS9_SF_,"axG",@progbits,_ZN4vllm3moe22topkGatingSoftplusSqrtILi4ELi4ELi4ELi8ELi32ELb0El14__hip_bfloat16EEvPKT6_PKbPfiPT5_PiiiibdPKfPKS9_SF_,comdat
.Lfunc_end491:
	.size	_ZN4vllm3moe22topkGatingSoftplusSqrtILi4ELi4ELi4ELi8ELi32ELb0El14__hip_bfloat16EEvPKT6_PKbPfiPT5_PiiiibdPKfPKS9_SF_, .Lfunc_end491-_ZN4vllm3moe22topkGatingSoftplusSqrtILi4ELi4ELi4ELi8ELi32ELb0El14__hip_bfloat16EEvPKT6_PKbPfiPT5_PiiiibdPKfPKS9_SF_
                                        ; -- End function
	.section	.AMDGPU.csdata,"",@progbits
; Kernel info:
; codeLenInByte = 2056
; NumSgprs: 32
; NumVgprs: 16
; NumAgprs: 0
; TotalNumVgprs: 16
; ScratchSize: 0
; MemoryBound: 0
; FloatMode: 240
; IeeeMode: 1
; LDSByteSize: 0 bytes/workgroup (compile time only)
; SGPRBlocks: 3
; VGPRBlocks: 1
; NumSGPRsForWavesPerEU: 32
; NumVGPRsForWavesPerEU: 16
; AccumOffset: 16
; Occupancy: 8
; WaveLimiterHint : 0
; COMPUTE_PGM_RSRC2:SCRATCH_EN: 0
; COMPUTE_PGM_RSRC2:USER_SGPR: 2
; COMPUTE_PGM_RSRC2:TRAP_HANDLER: 0
; COMPUTE_PGM_RSRC2:TGID_X_EN: 1
; COMPUTE_PGM_RSRC2:TGID_Y_EN: 0
; COMPUTE_PGM_RSRC2:TGID_Z_EN: 0
; COMPUTE_PGM_RSRC2:TIDIG_COMP_CNT: 1
; COMPUTE_PGM_RSRC3_GFX90A:ACCUM_OFFSET: 3
; COMPUTE_PGM_RSRC3_GFX90A:TG_SPLIT: 0
	.section	.text._ZN4vllm3moe22topkGatingSoftplusSqrtILi8ELi8ELi4ELi16ELi64ELb1El14__hip_bfloat16EEvPKT6_PKbPfiPT5_PiiiibdPKfPKS9_SF_,"axG",@progbits,_ZN4vllm3moe22topkGatingSoftplusSqrtILi8ELi8ELi4ELi16ELi64ELb1El14__hip_bfloat16EEvPKT6_PKbPfiPT5_PiiiibdPKfPKS9_SF_,comdat
	.protected	_ZN4vllm3moe22topkGatingSoftplusSqrtILi8ELi8ELi4ELi16ELi64ELb1El14__hip_bfloat16EEvPKT6_PKbPfiPT5_PiiiibdPKfPKS9_SF_ ; -- Begin function _ZN4vllm3moe22topkGatingSoftplusSqrtILi8ELi8ELi4ELi16ELi64ELb1El14__hip_bfloat16EEvPKT6_PKbPfiPT5_PiiiibdPKfPKS9_SF_
	.globl	_ZN4vllm3moe22topkGatingSoftplusSqrtILi8ELi8ELi4ELi16ELi64ELb1El14__hip_bfloat16EEvPKT6_PKbPfiPT5_PiiiibdPKfPKS9_SF_
	.p2align	8
	.type	_ZN4vllm3moe22topkGatingSoftplusSqrtILi8ELi8ELi4ELi16ELi64ELb1El14__hip_bfloat16EEvPKT6_PKbPfiPT5_PiiiibdPKfPKS9_SF_,@function
_ZN4vllm3moe22topkGatingSoftplusSqrtILi8ELi8ELi4ELi16ELi64ELb1El14__hip_bfloat16EEvPKT6_PKbPfiPT5_PiiiibdPKfPKS9_SF_: ; @_ZN4vllm3moe22topkGatingSoftplusSqrtILi8ELi8ELi4ELi16ELi64ELb1El14__hip_bfloat16EEvPKT6_PKbPfiPT5_PiiiibdPKfPKS9_SF_
; %bb.0:
	s_load_dword s3, s[0:1], 0x18
	v_bfe_u32 v1, v0, 10, 10
	s_lshl_b32 s2, s2, 8
	v_lshlrev_b32_e32 v1, 6, v1
	v_and_b32_e32 v0, 0x3ff, v0
	v_add3_u32 v4, v1, v0, s2
	s_waitcnt lgkmcnt(0)
	v_cmp_gt_i32_e32 vcc, s3, v4
	s_and_saveexec_b64 s[2:3], vcc
	s_cbranch_execz .LBB492_56
; %bb.1:
	s_load_dwordx4 s[8:11], s[0:1], 0x50
	s_load_dwordx2 s[2:3], s[0:1], 0x0
	s_load_dword s12, s[0:1], 0x30
	v_lshlrev_b32_e32 v0, 3, v4
	v_ashrrev_i32_e32 v1, 31, v0
	s_waitcnt lgkmcnt(0)
	v_mov_b32_e32 v6, s8
	v_lshl_add_u64 v[0:1], v[0:1], 1, s[2:3]
	global_load_dwordx4 v[0:3], v[0:1], off
	v_mov_b32_e32 v7, s9
	v_ashrrev_i32_e32 v5, 31, v4
	v_lshl_add_u64 v[6:7], v[4:5], 3, v[6:7]
	global_load_dwordx2 v[6:7], v[6:7], off
	s_ashr_i32 s13, s12, 31
	s_mov_b32 s21, 0x800000
	v_mov_b32_e32 v5, 0x4f800000
	s_mov_b32 s19, 0x3f317217
	s_mov_b32 s20, 0x7f800000
	v_mov_b32_e32 v19, 0x41b17218
	s_mov_b32 s15, 0x41a00000
	s_mov_b32 s18, 0xf800000
	v_mov_b32_e32 v20, 0x260
	v_cmp_lt_i64_e64 s[16:17], s[12:13], 1
	s_mov_b32 s14, 0
	v_mov_b32_e32 v18, 0
	v_cmp_gt_i64_e64 s[8:9], s[12:13], 0
	s_waitcnt vmcnt(1)
	v_and_b32_e32 v12, 0xffff0000, v0
	v_lshlrev_b32_e32 v13, 16, v0
	v_and_b32_e32 v14, 0xffff0000, v1
	v_lshlrev_b32_e32 v15, 16, v1
	v_mul_f32_e32 v0, 0x3fb8aa3b, v13
	v_mul_f32_e32 v1, 0x3fb8aa3b, v12
	v_exp_f32_e32 v8, v0
	v_exp_f32_e32 v9, v1
	v_mul_f32_e32 v10, 0x3fb8aa3b, v15
	v_mul_f32_e32 v11, 0x3fb8aa3b, v14
	v_exp_f32_e32 v10, v10
	v_exp_f32_e32 v11, v11
	s_waitcnt vmcnt(0)
	v_mul_lo_u32 v7, v7, s12
	v_mul_lo_u32 v16, v6, s13
	v_mad_u64_u32 v[0:1], s[2:3], v6, s12, 0
	v_add3_u32 v1, v1, v16, v7
	v_pk_add_f32 v[6:7], v[8:9], 1.0 op_sel_hi:[1,0]
	v_pk_add_f32 v[8:9], v[10:11], 1.0 op_sel_hi:[1,0]
	v_cmp_gt_f32_e32 vcc, s21, v7
	v_cmp_gt_f32_e64 s[2:3], s21, v6
	v_cmp_gt_f32_e64 s[6:7], s21, v8
	v_cndmask_b32_e32 v10, 1.0, v5, vcc
	v_cndmask_b32_e64 v11, 1.0, v5, s[2:3]
	v_mul_f32_e32 v7, v7, v10
	v_mul_f32_e32 v6, v6, v11
	v_log_f32_e32 v7, v7
	v_log_f32_e32 v6, v6
	v_cndmask_b32_e64 v17, 1.0, v5, s[6:7]
	v_mul_f32_e32 v8, v8, v17
	v_mul_f32_e32 v17, 0x3f317217, v7
	;; [unrolled: 1-line block ×3, first 2 shown]
	v_fma_f32 v17, v7, s19, -v17
	v_fma_f32 v21, v6, s19, -v21
	v_fmac_f32_e32 v17, 0x3377d1cf, v7
	v_cndmask_b32_e32 v10, 0, v19, vcc
	v_fmac_f32_e32 v21, 0x3377d1cf, v6
	v_fmac_f32_e32 v17, 0x3f317217, v7
	v_cmp_lt_f32_e64 vcc, |v7|, s20
	v_fmac_f32_e32 v21, 0x3f317217, v6
	v_cmp_gt_f32_e64 s[4:5], s21, v9
	v_cndmask_b32_e32 v7, v7, v17, vcc
	v_cmp_lt_f32_e64 vcc, |v6|, s20
	v_cndmask_b32_e64 v11, 0, v19, s[2:3]
	v_cndmask_b32_e64 v16, 1.0, v5, s[4:5]
	v_cndmask_b32_e32 v6, v6, v21, vcc
	v_sub_f32_e32 v6, v6, v11
	v_cmp_lt_f32_e32 vcc, s15, v13
	v_mul_f32_e32 v9, v9, v16
	v_sub_f32_e32 v7, v7, v10
	v_cndmask_b32_e32 v6, v6, v13, vcc
	v_cmp_lt_f32_e32 vcc, s15, v12
	v_log_f32_e32 v9, v9
	v_mul_f32_e32 v11, 0x4f800000, v6
	v_cndmask_b32_e32 v7, v7, v12, vcc
	v_mul_f32_e32 v10, 0x4f800000, v7
	v_cmp_gt_f32_e32 vcc, s18, v7
	v_cmp_gt_f32_e64 s[2:3], s18, v6
	v_mul_f32_e32 v22, 0x3f317217, v9
	v_cndmask_b32_e32 v7, v7, v10, vcc
	v_cndmask_b32_e64 v6, v6, v11, s[2:3]
	v_sqrt_f32_e32 v10, v7
	v_sqrt_f32_e32 v11, v6
	v_fma_f32 v22, v9, s19, -v22
	v_fmac_f32_e32 v22, 0x3377d1cf, v9
	v_cndmask_b32_e64 v16, 0, v19, s[4:5]
	v_fmac_f32_e32 v22, 0x3f317217, v9
	v_cmp_lt_f32_e64 s[4:5], |v9|, s20
	v_add_u32_e32 v12, -1, v10
	v_add_u32_e32 v17, -1, v11
	v_cndmask_b32_e64 v9, v9, v22, s[4:5]
	v_fma_f32 v22, -v12, v10, v7
	v_add_u32_e32 v13, 1, v10
	v_fma_f32 v24, -v17, v11, v6
	v_cmp_ge_f32_e64 s[4:5], 0, v22
	v_add_u32_e32 v21, 1, v11
	v_fma_f32 v23, -v13, v10, v7
	v_cndmask_b32_e64 v10, v10, v12, s[4:5]
	v_cmp_ge_f32_e64 s[4:5], 0, v24
	v_log_f32_e32 v8, v8
	v_fma_f32 v25, -v21, v11, v6
	v_cndmask_b32_e64 v11, v11, v17, s[4:5]
	v_cmp_lt_f32_e64 s[4:5], 0, v23
	s_nop 1
	v_cndmask_b32_e64 v10, v10, v13, s[4:5]
	v_mul_f32_e32 v12, 0x37800000, v10
	v_cmp_lt_f32_e64 s[4:5], 0, v25
	v_cndmask_b32_e32 v10, v10, v12, vcc
	v_cmp_class_f32_e32 vcc, v7, v20
	v_cndmask_b32_e64 v11, v11, v21, s[4:5]
	v_mul_f32_e32 v13, 0x37800000, v11
	v_cndmask_b32_e32 v12, v10, v7, vcc
	v_mul_f32_e32 v7, 0x3f317217, v8
	v_fma_f32 v7, v8, s19, -v7
	v_cndmask_b32_e64 v11, v11, v13, s[2:3]
	v_cmp_class_f32_e32 vcc, v6, v20
	v_fmac_f32_e32 v7, 0x3377d1cf, v8
	v_fmac_f32_e32 v7, 0x3f317217, v8
	v_cndmask_b32_e32 v13, v11, v6, vcc
	v_cmp_lt_f32_e64 vcc, |v8|, s20
	v_sub_f32_e32 v6, v9, v16
	v_cmp_lt_f32_e64 s[2:3], s15, v15
	v_cndmask_b32_e32 v7, v8, v7, vcc
	v_cmp_lt_f32_e32 vcc, s15, v14
	v_cndmask_b32_e64 v8, 0, v19, s[6:7]
	v_sub_f32_e32 v7, v7, v8
	v_cndmask_b32_e32 v6, v6, v14, vcc
	v_mul_f32_e32 v9, 0x4f800000, v6
	v_cmp_gt_f32_e32 vcc, s18, v6
	v_cndmask_b32_e64 v7, v7, v15, s[2:3]
	v_and_b32_e32 v16, 0xffff0000, v2
	v_cndmask_b32_e32 v6, v6, v9, vcc
	v_sqrt_f32_e32 v9, v6
	v_lshlrev_b32_e32 v2, 16, v2
	v_add_u32_e32 v8, -1, v9
	v_fma_f32 v10, -v8, v9, v6
	v_cmp_ge_f32_e64 s[2:3], 0, v10
	v_add_u32_e32 v10, 1, v9
	s_nop 0
	v_cndmask_b32_e64 v8, v9, v8, s[2:3]
	v_fma_f32 v9, -v10, v9, v6
	v_cmp_lt_f32_e64 s[2:3], 0, v9
	s_nop 1
	v_cndmask_b32_e64 v8, v8, v10, s[2:3]
	v_mul_f32_e32 v10, 0x4f800000, v7
	v_cmp_gt_f32_e64 s[2:3], s18, v7
	v_mul_f32_e32 v9, 0x37800000, v8
	v_cndmask_b32_e32 v8, v8, v9, vcc
	v_cndmask_b32_e64 v10, v7, v10, s[2:3]
	v_sqrt_f32_e32 v7, v10
	v_cmp_class_f32_e32 vcc, v6, v20
	v_add_u32_e32 v9, 1, v7
	s_nop 0
	v_cndmask_b32_e32 v14, v8, v6, vcc
	v_add_u32_e32 v6, -1, v7
	v_fma_f32 v8, -v6, v7, v10
	v_cmp_ge_f32_e32 vcc, 0, v8
	v_fma_f32 v11, -v9, v7, v10
	s_nop 0
	v_cndmask_b32_e32 v8, v7, v6, vcc
	v_mul_f32_e32 v6, 0x3fb8aa3b, v2
	v_mul_f32_e32 v7, 0x3fb8aa3b, v16
	v_exp_f32_e32 v6, v6
	v_exp_f32_e32 v7, v7
	v_cmp_lt_f32_e32 vcc, 0, v11
	v_pk_add_f32 v[6:7], v[6:7], 1.0 op_sel_hi:[1,0]
	s_nop 0
	v_cndmask_b32_e32 v8, v8, v9, vcc
	v_cmp_gt_f32_e32 vcc, s21, v7
	v_mul_f32_e32 v9, 0x37800000, v8
	v_cndmask_b32_e64 v8, v8, v9, s[2:3]
	v_cndmask_b32_e32 v11, 1.0, v5, vcc
	v_mul_f32_e32 v7, v7, v11
	v_log_f32_e32 v7, v7
	v_cmp_class_f32_e64 s[2:3], v10, v20
	v_lshlrev_b32_e32 v11, 16, v3
	v_cmp_lt_f32_e64 s[4:5], |v7|, s20
	v_cndmask_b32_e64 v15, v8, v10, s[2:3]
	v_cmp_gt_f32_e64 s[2:3], s21, v6
	v_mul_f32_e32 v8, 0x3f317217, v7
	v_fma_f32 v8, v7, s19, -v8
	v_cndmask_b32_e64 v9, 1.0, v5, s[2:3]
	v_mul_f32_e32 v6, v6, v9
	v_log_f32_e32 v6, v6
	v_fmac_f32_e32 v8, 0x3377d1cf, v7
	v_fmac_f32_e32 v8, 0x3f317217, v7
	v_cndmask_b32_e64 v7, v7, v8, s[4:5]
	v_cndmask_b32_e32 v8, 0, v19, vcc
	v_sub_f32_e32 v7, v7, v8
	v_mul_f32_e32 v8, 0x3f317217, v6
	v_fma_f32 v8, v6, s19, -v8
	v_fmac_f32_e32 v8, 0x3377d1cf, v6
	v_fmac_f32_e32 v8, 0x3f317217, v6
	v_cmp_lt_f32_e64 vcc, |v6|, s20
	v_and_b32_e32 v10, 0xffff0000, v3
	v_mul_f32_e32 v3, 0x3fb8aa3b, v10
	v_cndmask_b32_e32 v6, v6, v8, vcc
	v_cmp_lt_f32_e32 vcc, s15, v16
	v_cndmask_b32_e64 v8, 0, v19, s[2:3]
	v_sub_f32_e32 v6, v6, v8
	v_cndmask_b32_e32 v7, v7, v16, vcc
	v_mul_f32_e32 v9, 0x4f800000, v7
	v_cmp_gt_f32_e32 vcc, s18, v7
	v_cmp_lt_f32_e64 s[2:3], s15, v2
	v_exp_f32_e32 v3, v3
	v_cndmask_b32_e32 v7, v7, v9, vcc
	v_sqrt_f32_e32 v9, v7
	v_cndmask_b32_e64 v2, v6, v2, s[2:3]
	v_add_u32_e32 v6, -1, v9
	v_fma_f32 v8, -v6, v9, v7
	v_cmp_ge_f32_e64 s[2:3], 0, v8
	v_add_u32_e32 v8, 1, v9
	s_nop 0
	v_cndmask_b32_e64 v6, v9, v6, s[2:3]
	v_fma_f32 v9, -v8, v9, v7
	v_cmp_lt_f32_e64 s[2:3], 0, v9
	v_mul_f32_e32 v9, 0x4f800000, v2
	s_nop 0
	v_cndmask_b32_e64 v6, v6, v8, s[2:3]
	v_cmp_gt_f32_e64 s[2:3], s18, v2
	v_mul_f32_e32 v8, 0x37800000, v6
	v_cndmask_b32_e32 v6, v6, v8, vcc
	v_cndmask_b32_e64 v9, v2, v9, s[2:3]
	v_sqrt_f32_e32 v2, v9
	v_cmp_class_f32_e32 vcc, v7, v20
	s_nop 1
	v_cndmask_b32_e32 v16, v6, v7, vcc
	v_add_u32_e32 v6, -1, v2
	v_fma_f32 v7, -v6, v2, v9
	v_cmp_ge_f32_e32 vcc, 0, v7
	v_add_u32_e32 v7, 1, v2
	v_fma_f32 v8, -v7, v2, v9
	v_cndmask_b32_e32 v6, v2, v6, vcc
	v_mul_f32_e32 v2, 0x3fb8aa3b, v11
	v_exp_f32_e32 v2, v2
	v_cmp_lt_f32_e32 vcc, 0, v8
	v_pk_add_f32 v[2:3], v[2:3], 1.0 op_sel_hi:[1,0]
	s_nop 0
	v_cndmask_b32_e32 v6, v6, v7, vcc
	v_cmp_gt_f32_e32 vcc, s21, v3
	v_mul_f32_e32 v7, 0x37800000, v6
	v_cndmask_b32_e64 v6, v6, v7, s[2:3]
	v_cndmask_b32_e32 v8, 1.0, v5, vcc
	v_mul_f32_e32 v3, v3, v8
	v_log_f32_e32 v3, v3
	v_cmp_class_f32_e64 s[2:3], v9, v20
	v_cmp_lt_f32_e64 s[4:5], |v3|, s20
	s_nop 0
	v_cndmask_b32_e64 v17, v6, v9, s[2:3]
	v_cmp_gt_f32_e64 s[2:3], s21, v2
	v_mul_f32_e32 v6, 0x3f317217, v3
	v_fma_f32 v6, v3, s19, -v6
	v_cndmask_b32_e64 v5, 1.0, v5, s[2:3]
	v_mul_f32_e32 v2, v2, v5
	v_log_f32_e32 v2, v2
	v_fmac_f32_e32 v6, 0x3377d1cf, v3
	v_fmac_f32_e32 v6, 0x3f317217, v3
	v_cndmask_b32_e64 v3, v3, v6, s[4:5]
	v_cndmask_b32_e32 v5, 0, v19, vcc
	v_sub_f32_e32 v3, v3, v5
	v_mul_f32_e32 v5, 0x3f317217, v2
	v_fma_f32 v5, v2, s19, -v5
	v_fmac_f32_e32 v5, 0x3377d1cf, v2
	v_fmac_f32_e32 v5, 0x3f317217, v2
	v_cmp_lt_f32_e64 vcc, |v2|, s20
	s_nop 1
	v_cndmask_b32_e32 v2, v2, v5, vcc
	v_cmp_lt_f32_e32 vcc, s15, v10
	v_cndmask_b32_e64 v5, 0, v19, s[2:3]
	v_sub_f32_e32 v2, v2, v5
	v_cndmask_b32_e32 v3, v3, v10, vcc
	v_mul_f32_e32 v6, 0x4f800000, v3
	v_cmp_gt_f32_e32 vcc, s18, v3
	v_cmp_lt_f32_e64 s[2:3], s15, v11
	s_nop 0
	v_cndmask_b32_e32 v3, v3, v6, vcc
	v_sqrt_f32_e32 v6, v3
	v_cndmask_b32_e64 v2, v2, v11, s[2:3]
	v_add_u32_e32 v5, -1, v6
	v_fma_f32 v7, -v5, v6, v3
	v_cmp_ge_f32_e64 s[2:3], 0, v7
	v_add_u32_e32 v7, 1, v6
	s_nop 0
	v_cndmask_b32_e64 v5, v6, v5, s[2:3]
	v_fma_f32 v6, -v7, v6, v3
	v_cmp_lt_f32_e64 s[2:3], 0, v6
	s_nop 1
	v_cndmask_b32_e64 v5, v5, v7, s[2:3]
	v_mul_f32_e32 v7, 0x4f800000, v2
	v_cmp_gt_f32_e64 s[2:3], s18, v2
	v_mul_f32_e32 v6, 0x37800000, v5
	v_cndmask_b32_e32 v5, v5, v6, vcc
	v_cndmask_b32_e64 v2, v2, v7, s[2:3]
	v_sqrt_f32_e32 v7, v2
	v_cmp_class_f32_e32 vcc, v3, v20
	s_nop 1
	v_cndmask_b32_e32 v19, v5, v3, vcc
	v_add_u32_e32 v3, -1, v7
	v_fma_f32 v5, -v3, v7, v2
	v_cmp_ge_f32_e32 vcc, 0, v5
	v_add_u32_e32 v5, 1, v7
	v_fma_f32 v6, -v5, v7, v2
	v_cndmask_b32_e32 v3, v7, v3, vcc
	v_cmp_lt_f32_e32 vcc, 0, v6
	s_nop 1
	v_cndmask_b32_e32 v3, v3, v5, vcc
	v_mul_f32_e32 v5, 0x37800000, v3
	v_cndmask_b32_e64 v3, v3, v5, s[2:3]
	v_cmp_class_f32_e32 vcc, v2, v20
	s_nop 1
	v_cndmask_b32_e32 v20, v3, v2, vcc
	s_and_b64 vcc, exec, s[16:17]
	v_mul_lo_u32 v2, v4, s12
	s_cbranch_vccnz .LBB492_29
; %bb.2:
	s_load_dwordx2 s[2:3], s[0:1], 0x20
	s_cmp_lt_u32 s12, 4
	v_lshl_add_u64 v[4:5], v[0:1], 3, s[10:11]
	s_cbranch_scc1 .LBB492_21
; %bb.3:
	s_mov_b32 s5, 0
	s_and_b32 s14, s12, 0x7ffffffc
	v_ashrrev_i32_e32 v3, 31, v2
	v_mov_b32_e32 v18, 0
	s_mov_b32 s4, s5
	s_branch .LBB492_5
.LBB492_4:                              ;   in Loop: Header=BB492_5 Depth=1
	s_or_b64 exec, exec, s[6:7]
	s_add_i32 s4, s4, 4
	s_cmp_eq_u32 s4, s14
	s_cbranch_scc1 .LBB492_22
.LBB492_5:                              ; =>This Loop Header: Depth=1
                                        ;     Child Loop BB492_7 Depth 2
                                        ;     Child Loop BB492_11 Depth 2
	;; [unrolled: 1-line block ×4, first 2 shown]
	v_lshl_add_u64 v[6:7], s[4:5], 3, v[4:5]
	global_load_dwordx2 v[8:9], v[6:7], off
	v_add_u32_e32 v10, s4, v2
	v_ashrrev_i32_e32 v11, 31, v10
	s_mov_b64 s[6:7], 0
	s_waitcnt lgkmcnt(0)
	v_lshl_add_u64 v[10:11], v[10:11], 3, s[2:3]
	s_waitcnt vmcnt(0)
	v_cmp_eq_u32_e32 vcc, 1, v8
	s_nop 1
	v_cndmask_b32_e32 v22, v13, v12, vcc
	v_cmp_eq_u32_e32 vcc, 2, v8
	v_min_u32_e32 v21, 7, v8
	v_ashrrev_i32_e32 v9, 31, v8
	v_cndmask_b32_e32 v22, v22, v15, vcc
	v_cmp_eq_u32_e32 vcc, 3, v8
	v_add_u32_e32 v21, 1, v21
	v_mov_b32_e32 v23, v8
	v_cndmask_b32_e32 v22, v22, v14, vcc
	v_cmp_eq_u32_e32 vcc, 4, v8
	s_nop 1
	v_cndmask_b32_e32 v22, v22, v17, vcc
	v_cmp_eq_u32_e32 vcc, 5, v8
	s_nop 1
	;; [unrolled: 3-line block ×4, first 2 shown]
	v_cndmask_b32_e32 v22, v22, v19, vcc
	s_branch .LBB492_7
.LBB492_6:                              ;   in Loop: Header=BB492_7 Depth=2
	s_or_b64 exec, exec, s[16:17]
	v_add_u32_e32 v21, -1, v21
	v_cmp_eq_u32_e32 vcc, 0, v21
	s_or_b64 s[6:7], vcc, s[6:7]
	v_add_u32_e32 v23, -1, v23
	s_andn2_b64 exec, exec, s[6:7]
	s_cbranch_execz .LBB492_9
.LBB492_7:                              ;   Parent Loop BB492_5 Depth=1
                                        ; =>  This Inner Loop Header: Depth=2
	v_cmp_eq_u32_e32 vcc, 0, v23
	s_and_saveexec_b64 s[16:17], vcc
	s_cbranch_execz .LBB492_6
; %bb.8:                                ;   in Loop: Header=BB492_7 Depth=2
	v_add_f32_e32 v18, v18, v22
	global_store_dwordx2 v[10:11], v[8:9], off
	s_branch .LBB492_6
.LBB492_9:                              ;   in Loop: Header=BB492_5 Depth=1
	s_or_b64 exec, exec, s[6:7]
	global_load_dwordx2 v[10:11], v[6:7], off offset:8
	s_ashr_i32 s17, s4, 31
	s_mov_b32 s16, s4
	v_lshl_add_u64 v[8:9], s[16:17], 0, v[2:3]
	s_mov_b64 s[6:7], 0
	v_lshl_add_u64 v[8:9], v[8:9], 3, s[2:3]
	s_waitcnt vmcnt(0)
	v_cmp_eq_u32_e32 vcc, 1, v10
	s_nop 1
	v_cndmask_b32_e32 v22, v13, v12, vcc
	v_cmp_eq_u32_e32 vcc, 2, v10
	v_min_u32_e32 v21, 7, v10
	v_ashrrev_i32_e32 v11, 31, v10
	v_cndmask_b32_e32 v22, v22, v15, vcc
	v_cmp_eq_u32_e32 vcc, 3, v10
	v_add_u32_e32 v21, 1, v21
	v_mov_b32_e32 v23, v10
	v_cndmask_b32_e32 v22, v22, v14, vcc
	v_cmp_eq_u32_e32 vcc, 4, v10
	s_nop 1
	v_cndmask_b32_e32 v22, v22, v17, vcc
	v_cmp_eq_u32_e32 vcc, 5, v10
	s_nop 1
	;; [unrolled: 3-line block ×4, first 2 shown]
	v_cndmask_b32_e32 v22, v22, v19, vcc
	s_branch .LBB492_11
.LBB492_10:                             ;   in Loop: Header=BB492_11 Depth=2
	s_or_b64 exec, exec, s[16:17]
	v_add_u32_e32 v21, -1, v21
	v_cmp_eq_u32_e32 vcc, 0, v21
	s_or_b64 s[6:7], vcc, s[6:7]
	v_add_u32_e32 v23, -1, v23
	s_andn2_b64 exec, exec, s[6:7]
	s_cbranch_execz .LBB492_13
.LBB492_11:                             ;   Parent Loop BB492_5 Depth=1
                                        ; =>  This Inner Loop Header: Depth=2
	v_cmp_eq_u32_e32 vcc, 0, v23
	s_and_saveexec_b64 s[16:17], vcc
	s_cbranch_execz .LBB492_10
; %bb.12:                               ;   in Loop: Header=BB492_11 Depth=2
	v_add_f32_e32 v18, v18, v22
	global_store_dwordx2 v[8:9], v[10:11], off offset:8
	s_branch .LBB492_10
.LBB492_13:                             ;   in Loop: Header=BB492_5 Depth=1
	s_or_b64 exec, exec, s[6:7]
	global_load_dwordx2 v[10:11], v[6:7], off offset:16
	s_mov_b64 s[6:7], 0
	s_waitcnt vmcnt(0)
	v_cmp_eq_u32_e32 vcc, 1, v10
	s_nop 1
	v_cndmask_b32_e32 v22, v13, v12, vcc
	v_cmp_eq_u32_e32 vcc, 2, v10
	v_min_u32_e32 v21, 7, v10
	v_ashrrev_i32_e32 v11, 31, v10
	v_cndmask_b32_e32 v22, v22, v15, vcc
	v_cmp_eq_u32_e32 vcc, 3, v10
	v_add_u32_e32 v21, 1, v21
	v_mov_b32_e32 v23, v10
	v_cndmask_b32_e32 v22, v22, v14, vcc
	v_cmp_eq_u32_e32 vcc, 4, v10
	s_nop 1
	v_cndmask_b32_e32 v22, v22, v17, vcc
	v_cmp_eq_u32_e32 vcc, 5, v10
	s_nop 1
	;; [unrolled: 3-line block ×4, first 2 shown]
	v_cndmask_b32_e32 v22, v22, v19, vcc
	s_branch .LBB492_15
.LBB492_14:                             ;   in Loop: Header=BB492_15 Depth=2
	s_or_b64 exec, exec, s[16:17]
	v_add_u32_e32 v21, -1, v21
	v_cmp_eq_u32_e32 vcc, 0, v21
	s_or_b64 s[6:7], vcc, s[6:7]
	v_add_u32_e32 v23, -1, v23
	s_andn2_b64 exec, exec, s[6:7]
	s_cbranch_execz .LBB492_17
.LBB492_15:                             ;   Parent Loop BB492_5 Depth=1
                                        ; =>  This Inner Loop Header: Depth=2
	v_cmp_eq_u32_e32 vcc, 0, v23
	s_and_saveexec_b64 s[16:17], vcc
	s_cbranch_execz .LBB492_14
; %bb.16:                               ;   in Loop: Header=BB492_15 Depth=2
	v_add_f32_e32 v18, v18, v22
	global_store_dwordx2 v[8:9], v[10:11], off offset:16
	s_branch .LBB492_14
.LBB492_17:                             ;   in Loop: Header=BB492_5 Depth=1
	s_or_b64 exec, exec, s[6:7]
	global_load_dwordx2 v[6:7], v[6:7], off offset:24
	s_mov_b64 s[6:7], 0
	s_waitcnt vmcnt(0)
	v_cmp_eq_u32_e32 vcc, 1, v6
	s_nop 1
	v_cndmask_b32_e32 v11, v13, v12, vcc
	v_cmp_eq_u32_e32 vcc, 2, v6
	v_min_u32_e32 v10, 7, v6
	v_ashrrev_i32_e32 v7, 31, v6
	v_cndmask_b32_e32 v11, v11, v15, vcc
	v_cmp_eq_u32_e32 vcc, 3, v6
	v_add_u32_e32 v10, 1, v10
	v_mov_b32_e32 v21, v6
	v_cndmask_b32_e32 v11, v11, v14, vcc
	v_cmp_eq_u32_e32 vcc, 4, v6
	s_nop 1
	v_cndmask_b32_e32 v11, v11, v17, vcc
	v_cmp_eq_u32_e32 vcc, 5, v6
	s_nop 1
	;; [unrolled: 3-line block ×4, first 2 shown]
	v_cndmask_b32_e32 v11, v11, v19, vcc
	s_branch .LBB492_19
.LBB492_18:                             ;   in Loop: Header=BB492_19 Depth=2
	s_or_b64 exec, exec, s[16:17]
	v_add_u32_e32 v10, -1, v10
	v_cmp_eq_u32_e32 vcc, 0, v10
	s_or_b64 s[6:7], vcc, s[6:7]
	v_add_u32_e32 v21, -1, v21
	s_andn2_b64 exec, exec, s[6:7]
	s_cbranch_execz .LBB492_4
.LBB492_19:                             ;   Parent Loop BB492_5 Depth=1
                                        ; =>  This Inner Loop Header: Depth=2
	v_cmp_eq_u32_e32 vcc, 0, v21
	s_and_saveexec_b64 s[16:17], vcc
	s_cbranch_execz .LBB492_18
; %bb.20:                               ;   in Loop: Header=BB492_19 Depth=2
	v_add_f32_e32 v18, v18, v11
	global_store_dwordx2 v[8:9], v[6:7], off offset:24
	s_branch .LBB492_18
.LBB492_21:
	v_mov_b32_e32 v18, 0
.LBB492_22:
	s_and_b32 s13, s12, 3
	s_cmp_eq_u32 s13, 0
	s_mov_b32 s15, 0
	s_cbranch_scc1 .LBB492_29
; %bb.23:
	s_mov_b32 s16, s15
	s_branch .LBB492_25
.LBB492_24:                             ;   in Loop: Header=BB492_25 Depth=1
	s_or_b64 exec, exec, s[4:5]
	s_add_i32 s14, s14, 1
	s_add_i32 s16, s16, 1
	s_cmp_lg_u32 s16, s13
	s_cbranch_scc0 .LBB492_29
.LBB492_25:                             ; =>This Loop Header: Depth=1
                                        ;     Child Loop BB492_27 Depth 2
	v_lshl_add_u64 v[6:7], s[14:15], 3, v[4:5]
	global_load_dwordx2 v[6:7], v[6:7], off
	v_add_u32_e32 v8, s14, v2
	v_ashrrev_i32_e32 v9, 31, v8
	s_mov_b64 s[4:5], 0
	s_waitcnt lgkmcnt(0)
	v_lshl_add_u64 v[8:9], v[8:9], 3, s[2:3]
	s_waitcnt vmcnt(0)
	v_cmp_eq_u32_e32 vcc, 1, v6
	s_nop 1
	v_cndmask_b32_e32 v10, v13, v12, vcc
	v_cmp_eq_u32_e32 vcc, 2, v6
	v_min_u32_e32 v3, 7, v6
	v_ashrrev_i32_e32 v7, 31, v6
	v_cndmask_b32_e32 v10, v10, v15, vcc
	v_cmp_eq_u32_e32 vcc, 3, v6
	v_add_u32_e32 v3, 1, v3
	v_mov_b32_e32 v11, v6
	v_cndmask_b32_e32 v10, v10, v14, vcc
	v_cmp_eq_u32_e32 vcc, 4, v6
	s_nop 1
	v_cndmask_b32_e32 v10, v10, v17, vcc
	v_cmp_eq_u32_e32 vcc, 5, v6
	s_nop 1
	;; [unrolled: 3-line block ×4, first 2 shown]
	v_cndmask_b32_e32 v10, v10, v19, vcc
	s_branch .LBB492_27
.LBB492_26:                             ;   in Loop: Header=BB492_27 Depth=2
	s_or_b64 exec, exec, s[6:7]
	v_add_u32_e32 v3, -1, v3
	v_cmp_eq_u32_e32 vcc, 0, v3
	s_or_b64 s[4:5], vcc, s[4:5]
	v_add_u32_e32 v11, -1, v11
	s_andn2_b64 exec, exec, s[4:5]
	s_cbranch_execz .LBB492_24
.LBB492_27:                             ;   Parent Loop BB492_25 Depth=1
                                        ; =>  This Inner Loop Header: Depth=2
	v_cmp_eq_u32_e32 vcc, 0, v11
	s_and_saveexec_b64 s[6:7], vcc
	s_cbranch_execz .LBB492_26
; %bb.28:                               ;   in Loop: Header=BB492_27 Depth=2
	v_add_f32_e32 v18, v18, v10
	global_store_dwordx2 v[8:9], v[6:7], off
	s_branch .LBB492_26
.LBB492_29:
	s_load_dword s4, s[0:1], 0x3c
	s_waitcnt lgkmcnt(0)
	s_load_dwordx2 s[2:3], s[0:1], 0x40
	s_bitcmp1_b32 s4, 0
	s_cselect_b64 s[4:5], -1, 0
	s_waitcnt lgkmcnt(0)
	v_cvt_f32_f64_e32 v8, s[2:3]
	s_and_b64 vcc, exec, s[4:5]
	s_cbranch_vccz .LBB492_31
; %bb.30:
	v_cmp_lt_f32_e32 vcc, 0, v18
	s_nop 1
	v_cndmask_b32_e32 v3, 1.0, v18, vcc
	v_div_scale_f32 v4, s[2:3], v3, v3, v8
	v_rcp_f32_e32 v5, v4
	s_nop 0
	v_fma_f32 v6, -v4, v5, 1.0
	v_fmac_f32_e32 v5, v6, v5
	v_div_scale_f32 v6, vcc, v8, v3, v8
	v_mul_f32_e32 v7, v6, v5
	v_fma_f32 v9, -v4, v7, v6
	v_fmac_f32_e32 v7, v9, v5
	v_fma_f32 v4, -v4, v7, v6
	v_div_fmas_f32 v4, v4, v5, v7
	v_div_fixup_f32 v8, v4, v3, v8
.LBB492_31:
	s_andn2_b64 vcc, exec, s[8:9]
	s_cbranch_vccnz .LBB492_56
; %bb.32:
	s_load_dwordx2 s[0:1], s[0:1], 0x10
	s_cmp_lt_u32 s12, 8
	s_mov_b32 s2, 0
	s_cbranch_scc1 .LBB492_51
; %bb.33:
	v_ashrrev_i32_e32 v3, 31, v2
	s_waitcnt lgkmcnt(0)
	v_lshl_add_u64 v[4:5], v[2:3], 2, s[0:1]
	v_lshl_add_u64 v[6:7], v[0:1], 3, s[10:11]
	s_and_b32 s2, s12, 0x7ffffff8
	v_lshl_add_u64 v[4:5], v[4:5], 0, 28
	v_lshl_add_u64 v[6:7], v[6:7], 0, 56
	s_mov_b32 s3, 0
	s_branch .LBB492_35
.LBB492_34:                             ;   in Loop: Header=BB492_35 Depth=1
	s_or_b64 exec, exec, s[4:5]
	s_add_i32 s3, s3, 8
	v_lshl_add_u64 v[4:5], v[4:5], 0, 32
	s_cmp_eq_u32 s2, s3
	v_lshl_add_u64 v[6:7], v[6:7], 0, 64
	s_cbranch_scc1 .LBB492_51
.LBB492_35:                             ; =>This Inner Loop Header: Depth=1
	global_load_dword v3, v[6:7], off offset:-56
	s_waitcnt vmcnt(0)
	v_cmp_gt_u32_e32 vcc, 8, v3
	s_and_saveexec_b64 s[4:5], vcc
	s_cbranch_execz .LBB492_37
; %bb.36:                               ;   in Loop: Header=BB492_35 Depth=1
	v_cmp_eq_u32_e32 vcc, 1, v3
	v_add_u32_e32 v10, s3, v2
	v_ashrrev_i32_e32 v11, 31, v10
	v_cndmask_b32_e32 v9, v13, v12, vcc
	v_cmp_eq_u32_e32 vcc, 2, v3
	v_lshl_add_u64 v[10:11], v[10:11], 2, s[0:1]
	s_nop 0
	v_cndmask_b32_e32 v9, v9, v15, vcc
	v_cmp_eq_u32_e32 vcc, 3, v3
	s_nop 1
	v_cndmask_b32_e32 v9, v9, v14, vcc
	v_cmp_eq_u32_e32 vcc, 4, v3
	;; [unrolled: 3-line block ×5, first 2 shown]
	s_nop 1
	v_cndmask_b32_e32 v3, v9, v19, vcc
	v_mul_f32_e32 v3, v8, v3
	global_store_dword v[10:11], v3, off
.LBB492_37:                             ;   in Loop: Header=BB492_35 Depth=1
	s_or_b64 exec, exec, s[4:5]
	global_load_dword v3, v[6:7], off offset:-48
	s_waitcnt vmcnt(0)
	v_cmp_gt_u32_e32 vcc, 8, v3
	s_and_saveexec_b64 s[4:5], vcc
	s_cbranch_execz .LBB492_39
; %bb.38:                               ;   in Loop: Header=BB492_35 Depth=1
	v_cmp_eq_u32_e32 vcc, 1, v3
	s_nop 1
	v_cndmask_b32_e32 v9, v13, v12, vcc
	v_cmp_eq_u32_e32 vcc, 2, v3
	s_nop 1
	v_cndmask_b32_e32 v9, v9, v15, vcc
	v_cmp_eq_u32_e32 vcc, 3, v3
	s_nop 1
	v_cndmask_b32_e32 v9, v9, v14, vcc
	v_cmp_eq_u32_e32 vcc, 4, v3
	s_nop 1
	v_cndmask_b32_e32 v9, v9, v17, vcc
	v_cmp_eq_u32_e32 vcc, 5, v3
	s_nop 1
	v_cndmask_b32_e32 v9, v9, v16, vcc
	v_cmp_eq_u32_e32 vcc, 6, v3
	s_nop 1
	v_cndmask_b32_e32 v9, v9, v20, vcc
	v_cmp_eq_u32_e32 vcc, 7, v3
	s_nop 1
	v_cndmask_b32_e32 v3, v9, v19, vcc
	v_mul_f32_e32 v3, v8, v3
	global_store_dword v[4:5], v3, off offset:-24
.LBB492_39:                             ;   in Loop: Header=BB492_35 Depth=1
	s_or_b64 exec, exec, s[4:5]
	global_load_dword v3, v[6:7], off offset:-40
	s_waitcnt vmcnt(0)
	v_cmp_gt_u32_e32 vcc, 8, v3
	s_and_saveexec_b64 s[4:5], vcc
	s_cbranch_execz .LBB492_41
; %bb.40:                               ;   in Loop: Header=BB492_35 Depth=1
	v_cmp_eq_u32_e32 vcc, 1, v3
	s_nop 1
	v_cndmask_b32_e32 v9, v13, v12, vcc
	v_cmp_eq_u32_e32 vcc, 2, v3
	s_nop 1
	v_cndmask_b32_e32 v9, v9, v15, vcc
	v_cmp_eq_u32_e32 vcc, 3, v3
	s_nop 1
	v_cndmask_b32_e32 v9, v9, v14, vcc
	v_cmp_eq_u32_e32 vcc, 4, v3
	s_nop 1
	v_cndmask_b32_e32 v9, v9, v17, vcc
	v_cmp_eq_u32_e32 vcc, 5, v3
	s_nop 1
	v_cndmask_b32_e32 v9, v9, v16, vcc
	v_cmp_eq_u32_e32 vcc, 6, v3
	s_nop 1
	v_cndmask_b32_e32 v9, v9, v20, vcc
	v_cmp_eq_u32_e32 vcc, 7, v3
	s_nop 1
	v_cndmask_b32_e32 v3, v9, v19, vcc
	v_mul_f32_e32 v3, v8, v3
	global_store_dword v[4:5], v3, off offset:-20
.LBB492_41:                             ;   in Loop: Header=BB492_35 Depth=1
	;; [unrolled: 31-line block ×6, first 2 shown]
	s_or_b64 exec, exec, s[4:5]
	global_load_dword v3, v[6:7], off
	s_waitcnt vmcnt(0)
	v_cmp_gt_u32_e32 vcc, 8, v3
	s_and_saveexec_b64 s[4:5], vcc
	s_cbranch_execz .LBB492_34
; %bb.50:                               ;   in Loop: Header=BB492_35 Depth=1
	v_cmp_eq_u32_e32 vcc, 1, v3
	s_nop 1
	v_cndmask_b32_e32 v9, v13, v12, vcc
	v_cmp_eq_u32_e32 vcc, 2, v3
	s_nop 1
	v_cndmask_b32_e32 v9, v9, v15, vcc
	v_cmp_eq_u32_e32 vcc, 3, v3
	s_nop 1
	v_cndmask_b32_e32 v9, v9, v14, vcc
	v_cmp_eq_u32_e32 vcc, 4, v3
	s_nop 1
	v_cndmask_b32_e32 v9, v9, v17, vcc
	v_cmp_eq_u32_e32 vcc, 5, v3
	s_nop 1
	v_cndmask_b32_e32 v9, v9, v16, vcc
	v_cmp_eq_u32_e32 vcc, 6, v3
	s_nop 1
	v_cndmask_b32_e32 v9, v9, v20, vcc
	v_cmp_eq_u32_e32 vcc, 7, v3
	s_nop 1
	v_cndmask_b32_e32 v3, v9, v19, vcc
	v_mul_f32_e32 v3, v8, v3
	global_store_dword v[4:5], v3, off
	s_branch .LBB492_34
.LBB492_51:
	s_and_b32 s4, s12, 7
	s_cmp_eq_u32 s4, 0
	s_mov_b32 s3, 0
	s_cbranch_scc1 .LBB492_56
; %bb.52:
	v_add_u32_e32 v2, s2, v2
	s_lshl_b64 s[2:3], s[2:3], 3
	s_add_u32 s2, s10, s2
	s_addc_u32 s3, s11, s3
	v_lshl_add_u64 v[0:1], v[0:1], 3, s[2:3]
	s_branch .LBB492_54
.LBB492_53:                             ;   in Loop: Header=BB492_54 Depth=1
	s_or_b64 exec, exec, s[2:3]
	s_add_i32 s4, s4, -1
	v_add_u32_e32 v2, 1, v2
	s_cmp_eq_u32 s4, 0
	v_lshl_add_u64 v[0:1], v[0:1], 0, 8
	s_cbranch_scc1 .LBB492_56
.LBB492_54:                             ; =>This Inner Loop Header: Depth=1
	global_load_dword v3, v[0:1], off
	s_waitcnt vmcnt(0)
	v_cmp_gt_u32_e32 vcc, 8, v3
	s_and_saveexec_b64 s[2:3], vcc
	s_cbranch_execz .LBB492_53
; %bb.55:                               ;   in Loop: Header=BB492_54 Depth=1
	v_cmp_eq_u32_e32 vcc, 1, v3
	s_nop 1
	v_cndmask_b32_e32 v4, v13, v12, vcc
	v_cmp_eq_u32_e32 vcc, 2, v3
	s_nop 1
	v_cndmask_b32_e32 v4, v4, v15, vcc
	;; [unrolled: 3-line block ×7, first 2 shown]
	v_mul_f32_e32 v6, v8, v3
	v_ashrrev_i32_e32 v3, 31, v2
	s_waitcnt lgkmcnt(0)
	v_lshl_add_u64 v[4:5], v[2:3], 2, s[0:1]
	global_store_dword v[4:5], v6, off
	s_branch .LBB492_53
.LBB492_56:
	s_endpgm
	.section	.rodata,"a",@progbits
	.p2align	6, 0x0
	.amdhsa_kernel _ZN4vllm3moe22topkGatingSoftplusSqrtILi8ELi8ELi4ELi16ELi64ELb1El14__hip_bfloat16EEvPKT6_PKbPfiPT5_PiiiibdPKfPKS9_SF_
		.amdhsa_group_segment_fixed_size 0
		.amdhsa_private_segment_fixed_size 0
		.amdhsa_kernarg_size 96
		.amdhsa_user_sgpr_count 2
		.amdhsa_user_sgpr_dispatch_ptr 0
		.amdhsa_user_sgpr_queue_ptr 0
		.amdhsa_user_sgpr_kernarg_segment_ptr 1
		.amdhsa_user_sgpr_dispatch_id 0
		.amdhsa_user_sgpr_kernarg_preload_length 0
		.amdhsa_user_sgpr_kernarg_preload_offset 0
		.amdhsa_user_sgpr_private_segment_size 0
		.amdhsa_uses_dynamic_stack 0
		.amdhsa_enable_private_segment 0
		.amdhsa_system_sgpr_workgroup_id_x 1
		.amdhsa_system_sgpr_workgroup_id_y 0
		.amdhsa_system_sgpr_workgroup_id_z 0
		.amdhsa_system_sgpr_workgroup_info 0
		.amdhsa_system_vgpr_workitem_id 1
		.amdhsa_next_free_vgpr 26
		.amdhsa_next_free_sgpr 22
		.amdhsa_accum_offset 28
		.amdhsa_reserve_vcc 1
		.amdhsa_float_round_mode_32 0
		.amdhsa_float_round_mode_16_64 0
		.amdhsa_float_denorm_mode_32 3
		.amdhsa_float_denorm_mode_16_64 3
		.amdhsa_dx10_clamp 1
		.amdhsa_ieee_mode 1
		.amdhsa_fp16_overflow 0
		.amdhsa_tg_split 0
		.amdhsa_exception_fp_ieee_invalid_op 0
		.amdhsa_exception_fp_denorm_src 0
		.amdhsa_exception_fp_ieee_div_zero 0
		.amdhsa_exception_fp_ieee_overflow 0
		.amdhsa_exception_fp_ieee_underflow 0
		.amdhsa_exception_fp_ieee_inexact 0
		.amdhsa_exception_int_div_zero 0
	.end_amdhsa_kernel
	.section	.text._ZN4vllm3moe22topkGatingSoftplusSqrtILi8ELi8ELi4ELi16ELi64ELb1El14__hip_bfloat16EEvPKT6_PKbPfiPT5_PiiiibdPKfPKS9_SF_,"axG",@progbits,_ZN4vllm3moe22topkGatingSoftplusSqrtILi8ELi8ELi4ELi16ELi64ELb1El14__hip_bfloat16EEvPKT6_PKbPfiPT5_PiiiibdPKfPKS9_SF_,comdat
.Lfunc_end492:
	.size	_ZN4vllm3moe22topkGatingSoftplusSqrtILi8ELi8ELi4ELi16ELi64ELb1El14__hip_bfloat16EEvPKT6_PKbPfiPT5_PiiiibdPKfPKS9_SF_, .Lfunc_end492-_ZN4vllm3moe22topkGatingSoftplusSqrtILi8ELi8ELi4ELi16ELi64ELb1El14__hip_bfloat16EEvPKT6_PKbPfiPT5_PiiiibdPKfPKS9_SF_
                                        ; -- End function
	.section	.AMDGPU.csdata,"",@progbits
; Kernel info:
; codeLenInByte = 4536
; NumSgprs: 28
; NumVgprs: 26
; NumAgprs: 0
; TotalNumVgprs: 26
; ScratchSize: 0
; MemoryBound: 0
; FloatMode: 240
; IeeeMode: 1
; LDSByteSize: 0 bytes/workgroup (compile time only)
; SGPRBlocks: 3
; VGPRBlocks: 3
; NumSGPRsForWavesPerEU: 28
; NumVGPRsForWavesPerEU: 26
; AccumOffset: 28
; Occupancy: 8
; WaveLimiterHint : 1
; COMPUTE_PGM_RSRC2:SCRATCH_EN: 0
; COMPUTE_PGM_RSRC2:USER_SGPR: 2
; COMPUTE_PGM_RSRC2:TRAP_HANDLER: 0
; COMPUTE_PGM_RSRC2:TGID_X_EN: 1
; COMPUTE_PGM_RSRC2:TGID_Y_EN: 0
; COMPUTE_PGM_RSRC2:TGID_Z_EN: 0
; COMPUTE_PGM_RSRC2:TIDIG_COMP_CNT: 1
; COMPUTE_PGM_RSRC3_GFX90A:ACCUM_OFFSET: 6
; COMPUTE_PGM_RSRC3_GFX90A:TG_SPLIT: 0
	.section	.text._ZN4vllm3moe22topkGatingSoftplusSqrtILi8ELi8ELi4ELi16ELi64ELb0El14__hip_bfloat16EEvPKT6_PKbPfiPT5_PiiiibdPKfPKS9_SF_,"axG",@progbits,_ZN4vllm3moe22topkGatingSoftplusSqrtILi8ELi8ELi4ELi16ELi64ELb0El14__hip_bfloat16EEvPKT6_PKbPfiPT5_PiiiibdPKfPKS9_SF_,comdat
	.protected	_ZN4vllm3moe22topkGatingSoftplusSqrtILi8ELi8ELi4ELi16ELi64ELb0El14__hip_bfloat16EEvPKT6_PKbPfiPT5_PiiiibdPKfPKS9_SF_ ; -- Begin function _ZN4vllm3moe22topkGatingSoftplusSqrtILi8ELi8ELi4ELi16ELi64ELb0El14__hip_bfloat16EEvPKT6_PKbPfiPT5_PiiiibdPKfPKS9_SF_
	.globl	_ZN4vllm3moe22topkGatingSoftplusSqrtILi8ELi8ELi4ELi16ELi64ELb0El14__hip_bfloat16EEvPKT6_PKbPfiPT5_PiiiibdPKfPKS9_SF_
	.p2align	8
	.type	_ZN4vllm3moe22topkGatingSoftplusSqrtILi8ELi8ELi4ELi16ELi64ELb0El14__hip_bfloat16EEvPKT6_PKbPfiPT5_PiiiibdPKfPKS9_SF_,@function
_ZN4vllm3moe22topkGatingSoftplusSqrtILi8ELi8ELi4ELi16ELi64ELb0El14__hip_bfloat16EEvPKT6_PKbPfiPT5_PiiiibdPKfPKS9_SF_: ; @_ZN4vllm3moe22topkGatingSoftplusSqrtILi8ELi8ELi4ELi16ELi64ELb0El14__hip_bfloat16EEvPKT6_PKbPfiPT5_PiiiibdPKfPKS9_SF_
; %bb.0:
	s_load_dword s24, s[0:1], 0x18
	v_bfe_u32 v1, v0, 10, 10
	s_lshl_b32 s2, s2, 8
	v_lshlrev_b32_e32 v1, 6, v1
	v_and_b32_e32 v0, 0x3ff, v0
	v_add3_u32 v8, v1, v0, s2
	s_waitcnt lgkmcnt(0)
	v_cmp_gt_i32_e32 vcc, s24, v8
	s_and_saveexec_b64 s[2:3], vcc
	s_cbranch_execz .LBB493_40
; %bb.1:
	s_load_dwordx4 s[4:7], s[0:1], 0x0
	s_load_dwordx2 s[20:21], s[0:1], 0x10
	s_waitcnt lgkmcnt(0)
	s_cmp_eq_u64 s[6:7], 0
	s_cbranch_scc1 .LBB493_3
; %bb.2:
	v_ashrrev_i32_e32 v9, 31, v8
	v_lshl_add_u64 v[0:1], s[6:7], 0, v[8:9]
	global_load_ubyte v0, v[0:1], off
	s_waitcnt vmcnt(0)
	v_and_b32_e32 v0, 1, v0
	v_cmp_eq_u32_e32 vcc, 1, v0
	s_xor_b64 s[2:3], vcc, -1
	s_orn2_b64 s[6:7], s[2:3], exec
	s_branch .LBB493_4
.LBB493_3:
	s_mov_b64 s[6:7], -1
.LBB493_4:
	v_lshlrev_b32_e32 v2, 3, v8
	v_mov_b32_e32 v0, s4
	v_mov_b32_e32 v1, s5
	v_ashrrev_i32_e32 v3, 31, v2
	v_lshl_add_u64 v[0:1], v[2:3], 1, v[0:1]
	global_load_dwordx4 v[4:7], v[0:1], off
	s_mov_b32 s18, 0x800000
	v_mov_b32_e32 v2, 0x4f800000
	s_mov_b32 s15, 0x3f317217
	s_mov_b32 s16, 0x7f800000
	v_mov_b32_e32 v3, 0x41b17218
	s_mov_b32 s14, 0x41a00000
	s_mov_b32 s17, 0xf800000
	s_load_dwordx4 s[8:11], s[0:1], 0x40
	s_waitcnt lgkmcnt(0)
	s_cmp_lg_u64 s[10:11], 0
	s_cselect_b64 s[12:13], -1, 0
	s_and_b64 s[2:3], exec, s[12:13]
	s_waitcnt vmcnt(0)
	v_lshlrev_b32_e32 v0, 16, v4
	v_mul_f32_e32 v1, 0x3fb8aa3b, v0
	v_exp_f32_e32 v1, v1
	s_nop 0
	v_add_f32_e32 v1, 1.0, v1
	v_cmp_gt_f32_e32 vcc, s18, v1
	s_nop 1
	v_cndmask_b32_e32 v9, 1.0, v2, vcc
	v_mul_f32_e32 v1, v1, v9
	v_log_f32_e32 v9, v1
	v_cndmask_b32_e32 v10, 0, v3, vcc
	v_mov_b32_e32 v1, 0x260
	v_mul_f32_e32 v11, 0x3f317217, v9
	v_fma_f32 v11, v9, s15, -v11
	v_fmac_f32_e32 v11, 0x3377d1cf, v9
	v_fmac_f32_e32 v11, 0x3f317217, v9
	v_cmp_lt_f32_e64 vcc, |v9|, s16
	s_nop 1
	v_cndmask_b32_e32 v9, v9, v11, vcc
	v_sub_f32_e32 v9, v9, v10
	v_cmp_lt_f32_e32 vcc, s14, v0
	s_nop 1
	v_cndmask_b32_e32 v0, v9, v0, vcc
	v_mul_f32_e32 v9, 0x4f800000, v0
	v_cmp_gt_f32_e32 vcc, s17, v0
	s_nop 1
	v_cndmask_b32_e32 v0, v0, v9, vcc
	v_sqrt_f32_e32 v9, v0
	s_nop 0
	v_add_u32_e32 v10, -1, v9
	v_add_u32_e32 v11, 1, v9
	v_fma_f32 v12, -v10, v9, v0
	v_fma_f32 v13, -v11, v9, v0
	v_cmp_ge_f32_e64 s[4:5], 0, v12
	s_nop 1
	v_cndmask_b32_e64 v9, v9, v10, s[4:5]
	v_cmp_lt_f32_e64 s[4:5], 0, v13
	s_nop 1
	v_cndmask_b32_e64 v9, v9, v11, s[4:5]
	v_mul_f32_e32 v10, 0x37800000, v9
	v_cndmask_b32_e32 v9, v9, v10, vcc
	v_cmp_class_f32_e32 vcc, v0, v1
	s_nop 1
	v_cndmask_b32_e32 v0, v9, v0, vcc
	s_mov_b64 vcc, s[2:3]
	s_cbranch_vccz .LBB493_6
; %bb.5:
	s_load_dword s2, s[10:11], 0x0
	s_waitcnt lgkmcnt(0)
	v_add_f32_e32 v0, s2, v0
.LBB493_6:
	v_and_b32_e32 v4, 0xffff0000, v4
	v_mul_f32_e32 v9, 0x3fb8aa3b, v4
	v_exp_f32_e32 v9, v9
	s_nop 0
	v_add_f32_e32 v9, 1.0, v9
	v_cmp_gt_f32_e32 vcc, s18, v9
	s_nop 1
	v_cndmask_b32_e32 v2, 1.0, v2, vcc
	v_mul_f32_e32 v2, v9, v2
	v_log_f32_e32 v2, v2
	v_cndmask_b32_e32 v3, 0, v3, vcc
	v_mul_f32_e32 v9, 0x3f317217, v2
	v_fma_f32 v9, v2, s15, -v9
	v_fmac_f32_e32 v9, 0x3377d1cf, v2
	v_fmac_f32_e32 v9, 0x3f317217, v2
	v_cmp_lt_f32_e64 vcc, |v2|, s16
	s_nop 1
	v_cndmask_b32_e32 v2, v2, v9, vcc
	v_sub_f32_e32 v2, v2, v3
	v_cmp_lt_f32_e32 vcc, s14, v4
	s_nop 1
	v_cndmask_b32_e32 v2, v2, v4, vcc
	v_mul_f32_e32 v3, 0x4f800000, v2
	v_cmp_gt_f32_e32 vcc, s17, v2
	s_nop 1
	v_cndmask_b32_e32 v2, v2, v3, vcc
	v_sqrt_f32_e32 v3, v2
	v_cmp_class_f32_e64 s[4:5], v2, v1
	v_add_u32_e32 v4, -1, v3
	v_add_u32_e32 v9, 1, v3
	v_fma_f32 v10, -v4, v3, v2
	v_fma_f32 v11, -v9, v3, v2
	v_cmp_ge_f32_e64 s[2:3], 0, v10
	s_nop 1
	v_cndmask_b32_e64 v3, v3, v4, s[2:3]
	v_cmp_lt_f32_e64 s[2:3], 0, v11
	s_nop 1
	v_cndmask_b32_e64 v3, v3, v9, s[2:3]
	v_mul_f32_e32 v4, 0x37800000, v3
	v_cndmask_b32_e32 v3, v3, v4, vcc
	v_cndmask_b32_e64 v4, 0, 1, s[12:13]
	v_cmp_ne_u32_e64 s[2:3], 1, v4
	s_andn2_b64 vcc, exec, s[12:13]
	v_cndmask_b32_e64 v1, v3, v2, s[4:5]
	s_cbranch_vccnz .LBB493_8
; %bb.7:
	s_load_dword s4, s[10:11], 0x4
	s_waitcnt lgkmcnt(0)
	v_add_f32_e32 v1, s4, v1
.LBB493_8:
	v_lshlrev_b32_e32 v2, 16, v5
	v_mul_f32_e32 v3, 0x3fb8aa3b, v2
	v_exp_f32_e32 v3, v3
	s_mov_b32 s16, 0x800000
	v_mov_b32_e32 v4, 0x4f800000
	s_mov_b32 s13, 0x3f317217
	v_add_f32_e32 v3, 1.0, v3
	v_cmp_gt_f32_e32 vcc, s16, v3
	s_mov_b32 s14, 0x7f800000
	s_mov_b32 s12, 0x41a00000
	v_cndmask_b32_e32 v9, 1.0, v4, vcc
	v_mul_f32_e32 v3, v3, v9
	v_log_f32_e32 v3, v3
	s_mov_b32 s15, 0xf800000
	v_mul_f32_e32 v9, 0x3f317217, v3
	v_fma_f32 v9, v3, s13, -v9
	v_fmac_f32_e32 v9, 0x3377d1cf, v3
	v_fmac_f32_e32 v9, 0x3f317217, v3
	v_cmp_lt_f32_e64 s[4:5], |v3|, s14
	s_nop 1
	v_cndmask_b32_e64 v3, v3, v9, s[4:5]
	v_mov_b32_e32 v9, 0x41b17218
	v_cndmask_b32_e32 v10, 0, v9, vcc
	v_sub_f32_e32 v3, v3, v10
	v_cmp_lt_f32_e32 vcc, s12, v2
	s_nop 1
	v_cndmask_b32_e32 v2, v3, v2, vcc
	v_mul_f32_e32 v3, 0x4f800000, v2
	v_cmp_gt_f32_e32 vcc, s15, v2
	s_nop 1
	v_cndmask_b32_e32 v2, v2, v3, vcc
	v_sqrt_f32_e32 v3, v2
	s_nop 0
	v_add_u32_e32 v10, -1, v3
	v_fma_f32 v11, -v10, v3, v2
	v_cmp_ge_f32_e64 s[4:5], 0, v11
	v_add_u32_e32 v11, 1, v3
	s_nop 0
	v_cndmask_b32_e64 v10, v3, v10, s[4:5]
	v_fma_f32 v3, -v11, v3, v2
	v_cmp_lt_f32_e64 s[4:5], 0, v3
	s_nop 1
	v_cndmask_b32_e64 v3, v10, v11, s[4:5]
	v_mul_f32_e32 v10, 0x37800000, v3
	v_cndmask_b32_e32 v10, v3, v10, vcc
	v_mov_b32_e32 v3, 0x260
	v_cmp_class_f32_e64 s[4:5], v2, v3
	s_and_b64 vcc, exec, s[2:3]
	s_nop 0
	v_cndmask_b32_e64 v2, v10, v2, s[4:5]
	s_cbranch_vccnz .LBB493_10
; %bb.9:
	s_load_dword s4, s[10:11], 0x8
	s_waitcnt lgkmcnt(0)
	v_add_f32_e32 v2, s4, v2
.LBB493_10:
	v_and_b32_e32 v5, 0xffff0000, v5
	v_mul_f32_e32 v10, 0x3fb8aa3b, v5
	v_exp_f32_e32 v10, v10
	s_nop 0
	v_add_f32_e32 v10, 1.0, v10
	v_cmp_gt_f32_e32 vcc, s16, v10
	s_nop 1
	v_cndmask_b32_e32 v4, 1.0, v4, vcc
	v_mul_f32_e32 v4, v10, v4
	v_log_f32_e32 v4, v4
	v_cndmask_b32_e32 v9, 0, v9, vcc
	v_mul_f32_e32 v10, 0x3f317217, v4
	v_fma_f32 v10, v4, s13, -v10
	v_fmac_f32_e32 v10, 0x3377d1cf, v4
	v_fmac_f32_e32 v10, 0x3f317217, v4
	v_cmp_lt_f32_e64 vcc, |v4|, s14
	s_nop 1
	v_cndmask_b32_e32 v4, v4, v10, vcc
	v_sub_f32_e32 v4, v4, v9
	v_cmp_lt_f32_e32 vcc, s12, v5
	s_nop 1
	v_cndmask_b32_e32 v4, v4, v5, vcc
	v_mul_f32_e32 v5, 0x4f800000, v4
	v_cmp_gt_f32_e32 vcc, s15, v4
	s_nop 1
	v_cndmask_b32_e32 v4, v4, v5, vcc
	v_sqrt_f32_e32 v5, v4
	s_nop 0
	v_add_u32_e32 v9, -1, v5
	v_add_u32_e32 v10, 1, v5
	v_fma_f32 v11, -v9, v5, v4
	v_fma_f32 v12, -v10, v5, v4
	v_cmp_ge_f32_e64 s[4:5], 0, v11
	s_nop 1
	v_cndmask_b32_e64 v5, v5, v9, s[4:5]
	v_cmp_lt_f32_e64 s[4:5], 0, v12
	s_nop 1
	v_cndmask_b32_e64 v5, v5, v10, s[4:5]
	v_mul_f32_e32 v9, 0x37800000, v5
	v_cndmask_b32_e32 v5, v5, v9, vcc
	v_cmp_class_f32_e64 s[4:5], v4, v3
	s_and_b64 vcc, exec, s[2:3]
	s_nop 0
	v_cndmask_b32_e64 v3, v5, v4, s[4:5]
	s_cbranch_vccnz .LBB493_12
; %bb.11:
	s_load_dword s4, s[10:11], 0xc
	s_waitcnt lgkmcnt(0)
	v_add_f32_e32 v3, s4, v3
.LBB493_12:
	v_lshlrev_b32_e32 v4, 16, v6
	v_mul_f32_e32 v5, 0x3fb8aa3b, v4
	v_exp_f32_e32 v5, v5
	v_mov_b32_e32 v9, 0x4f800000
	v_add_f32_e32 v5, 1.0, v5
	v_cmp_gt_f32_e32 vcc, s16, v5
	s_nop 1
	v_cndmask_b32_e32 v10, 1.0, v9, vcc
	v_mul_f32_e32 v5, v5, v10
	v_log_f32_e32 v5, v5
	s_nop 0
	v_mul_f32_e32 v10, 0x3f317217, v5
	v_fma_f32 v10, v5, s13, -v10
	v_fmac_f32_e32 v10, 0x3377d1cf, v5
	v_fmac_f32_e32 v10, 0x3f317217, v5
	v_cmp_lt_f32_e64 s[4:5], |v5|, s14
	s_nop 1
	v_cndmask_b32_e64 v5, v5, v10, s[4:5]
	v_mov_b32_e32 v10, 0x41b17218
	v_cndmask_b32_e32 v11, 0, v10, vcc
	v_sub_f32_e32 v5, v5, v11
	v_cmp_lt_f32_e32 vcc, s12, v4
	s_nop 1
	v_cndmask_b32_e32 v4, v5, v4, vcc
	v_mul_f32_e32 v5, 0x4f800000, v4
	v_cmp_gt_f32_e32 vcc, s15, v4
	s_nop 1
	v_cndmask_b32_e32 v4, v4, v5, vcc
	v_sqrt_f32_e32 v5, v4
	s_nop 0
	v_add_u32_e32 v11, -1, v5
	v_fma_f32 v12, -v11, v5, v4
	v_cmp_ge_f32_e64 s[4:5], 0, v12
	v_add_u32_e32 v12, 1, v5
	s_nop 0
	v_cndmask_b32_e64 v11, v5, v11, s[4:5]
	v_fma_f32 v5, -v12, v5, v4
	v_cmp_lt_f32_e64 s[4:5], 0, v5
	s_nop 1
	v_cndmask_b32_e64 v5, v11, v12, s[4:5]
	v_mul_f32_e32 v11, 0x37800000, v5
	v_cndmask_b32_e32 v11, v5, v11, vcc
	v_mov_b32_e32 v5, 0x260
	v_cmp_class_f32_e64 s[4:5], v4, v5
	s_and_b64 vcc, exec, s[2:3]
	s_nop 0
	v_cndmask_b32_e64 v4, v11, v4, s[4:5]
	s_cbranch_vccnz .LBB493_14
; %bb.13:
	s_load_dword s4, s[10:11], 0x10
	s_waitcnt lgkmcnt(0)
	v_add_f32_e32 v4, s4, v4
.LBB493_14:
	v_and_b32_e32 v6, 0xffff0000, v6
	v_mul_f32_e32 v11, 0x3fb8aa3b, v6
	v_exp_f32_e32 v11, v11
	s_nop 0
	v_add_f32_e32 v11, 1.0, v11
	v_cmp_gt_f32_e32 vcc, s16, v11
	s_nop 1
	v_cndmask_b32_e32 v9, 1.0, v9, vcc
	v_mul_f32_e32 v9, v11, v9
	v_log_f32_e32 v9, v9
	v_cndmask_b32_e32 v10, 0, v10, vcc
	v_mul_f32_e32 v11, 0x3f317217, v9
	v_fma_f32 v11, v9, s13, -v11
	v_fmac_f32_e32 v11, 0x3377d1cf, v9
	v_fmac_f32_e32 v11, 0x3f317217, v9
	v_cmp_lt_f32_e64 vcc, |v9|, s14
	s_nop 1
	v_cndmask_b32_e32 v9, v9, v11, vcc
	v_sub_f32_e32 v9, v9, v10
	v_cmp_lt_f32_e32 vcc, s12, v6
	s_nop 1
	v_cndmask_b32_e32 v6, v9, v6, vcc
	v_mul_f32_e32 v9, 0x4f800000, v6
	v_cmp_gt_f32_e32 vcc, s15, v6
	s_nop 1
	v_cndmask_b32_e32 v6, v6, v9, vcc
	v_sqrt_f32_e32 v9, v6
	s_nop 0
	v_add_u32_e32 v10, -1, v9
	v_add_u32_e32 v11, 1, v9
	v_fma_f32 v12, -v10, v9, v6
	v_fma_f32 v13, -v11, v9, v6
	v_cmp_ge_f32_e64 s[4:5], 0, v12
	s_nop 1
	v_cndmask_b32_e64 v9, v9, v10, s[4:5]
	v_cmp_lt_f32_e64 s[4:5], 0, v13
	s_nop 1
	v_cndmask_b32_e64 v9, v9, v11, s[4:5]
	v_mul_f32_e32 v10, 0x37800000, v9
	v_cndmask_b32_e32 v9, v9, v10, vcc
	v_cmp_class_f32_e64 s[4:5], v6, v5
	s_and_b64 vcc, exec, s[2:3]
	s_nop 0
	v_cndmask_b32_e64 v5, v9, v6, s[4:5]
	s_cbranch_vccnz .LBB493_16
; %bb.15:
	s_load_dword s4, s[10:11], 0x14
	s_waitcnt lgkmcnt(0)
	v_add_f32_e32 v5, s4, v5
.LBB493_16:
	v_lshlrev_b32_e32 v6, 16, v7
	v_mul_f32_e32 v9, 0x3fb8aa3b, v6
	v_exp_f32_e32 v9, v9
	v_mov_b32_e32 v10, 0x4f800000
	v_add_f32_e32 v9, 1.0, v9
	v_cmp_gt_f32_e32 vcc, s16, v9
	s_nop 1
	v_cndmask_b32_e32 v11, 1.0, v10, vcc
	v_mul_f32_e32 v9, v9, v11
	v_log_f32_e32 v9, v9
	s_nop 0
	v_mul_f32_e32 v11, 0x3f317217, v9
	v_fma_f32 v11, v9, s13, -v11
	v_fmac_f32_e32 v11, 0x3377d1cf, v9
	v_fmac_f32_e32 v11, 0x3f317217, v9
	v_cmp_lt_f32_e64 s[4:5], |v9|, s14
	s_nop 1
	v_cndmask_b32_e64 v9, v9, v11, s[4:5]
	v_mov_b32_e32 v11, 0x41b17218
	v_cndmask_b32_e32 v12, 0, v11, vcc
	v_sub_f32_e32 v9, v9, v12
	v_cmp_lt_f32_e32 vcc, s12, v6
	s_nop 1
	v_cndmask_b32_e32 v6, v9, v6, vcc
	v_mul_f32_e32 v9, 0x4f800000, v6
	v_cmp_gt_f32_e32 vcc, s15, v6
	s_nop 1
	v_cndmask_b32_e32 v6, v6, v9, vcc
	v_sqrt_f32_e32 v9, v6
	s_nop 0
	v_add_u32_e32 v12, -1, v9
	v_fma_f32 v13, -v12, v9, v6
	v_cmp_ge_f32_e64 s[4:5], 0, v13
	v_add_u32_e32 v13, 1, v9
	s_nop 0
	v_cndmask_b32_e64 v12, v9, v12, s[4:5]
	v_fma_f32 v9, -v13, v9, v6
	v_cmp_lt_f32_e64 s[4:5], 0, v9
	s_nop 1
	v_cndmask_b32_e64 v9, v12, v13, s[4:5]
	v_mul_f32_e32 v12, 0x37800000, v9
	v_cndmask_b32_e32 v12, v9, v12, vcc
	v_mov_b32_e32 v9, 0x260
	v_cmp_class_f32_e64 s[4:5], v6, v9
	s_and_b64 vcc, exec, s[2:3]
	s_nop 0
	v_cndmask_b32_e64 v6, v12, v6, s[4:5]
	s_cbranch_vccnz .LBB493_18
; %bb.17:
	s_load_dword s4, s[10:11], 0x18
	s_waitcnt lgkmcnt(0)
	v_add_f32_e32 v6, s4, v6
.LBB493_18:
	v_and_b32_e32 v7, 0xffff0000, v7
	v_mul_f32_e32 v12, 0x3fb8aa3b, v7
	v_exp_f32_e32 v12, v12
	s_nop 0
	v_add_f32_e32 v12, 1.0, v12
	v_cmp_gt_f32_e32 vcc, s16, v12
	s_nop 1
	v_cndmask_b32_e32 v10, 1.0, v10, vcc
	v_mul_f32_e32 v10, v12, v10
	v_log_f32_e32 v10, v10
	v_cndmask_b32_e32 v11, 0, v11, vcc
	v_mul_f32_e32 v12, 0x3f317217, v10
	v_fma_f32 v12, v10, s13, -v12
	v_fmac_f32_e32 v12, 0x3377d1cf, v10
	v_fmac_f32_e32 v12, 0x3f317217, v10
	v_cmp_lt_f32_e64 vcc, |v10|, s14
	s_nop 1
	v_cndmask_b32_e32 v10, v10, v12, vcc
	v_sub_f32_e32 v10, v10, v11
	v_cmp_lt_f32_e32 vcc, s12, v7
	s_nop 1
	v_cndmask_b32_e32 v7, v10, v7, vcc
	v_mul_f32_e32 v10, 0x4f800000, v7
	v_cmp_gt_f32_e32 vcc, s15, v7
	s_nop 1
	v_cndmask_b32_e32 v7, v7, v10, vcc
	v_sqrt_f32_e32 v10, v7
	s_nop 0
	v_add_u32_e32 v11, -1, v10
	v_add_u32_e32 v12, 1, v10
	v_fma_f32 v13, -v11, v10, v7
	v_fma_f32 v14, -v12, v10, v7
	v_cmp_ge_f32_e64 s[4:5], 0, v13
	s_nop 1
	v_cndmask_b32_e64 v10, v10, v11, s[4:5]
	v_cmp_lt_f32_e64 s[4:5], 0, v14
	s_nop 1
	v_cndmask_b32_e64 v10, v10, v12, s[4:5]
	v_mul_f32_e32 v11, 0x37800000, v10
	v_cndmask_b32_e32 v10, v10, v11, vcc
	v_cmp_class_f32_e64 s[4:5], v7, v9
	s_and_b64 vcc, exec, s[2:3]
	s_nop 0
	v_cndmask_b32_e64 v7, v10, v7, s[4:5]
	s_cbranch_vccnz .LBB493_20
; %bb.19:
	s_load_dword s4, s[10:11], 0x1c
	s_waitcnt lgkmcnt(0)
	v_add_f32_e32 v7, s4, v7
.LBB493_20:
	s_load_dwordx4 s[12:15], s[0:1], 0x30
	s_mov_b32 s25, 0
	s_waitcnt lgkmcnt(0)
	s_bitcmp1_b32 s15, 0
	s_cselect_b64 s[4:5], -1, 0
	s_cmp_gt_i32 s12, 0
	s_cselect_b64 s[22:23], -1, 0
	s_and_b64 vcc, exec, s[22:23]
	v_mul_lo_u32 v10, v8, s12
	s_cbranch_vccz .LBB493_27
; %bb.21:
	s_load_dwordx4 s[16:19], s[0:1], 0x20
	v_mov_b32_e32 v13, 0
	v_mov_b32_e32 v11, 0xc61c4000
	;; [unrolled: 1-line block ×3, first 2 shown]
	s_branch .LBB493_23
.LBB493_22:                             ;   in Loop: Header=BB493_23 Depth=1
	v_add_f32_e32 v12, v9, v14
	v_cndmask_b32_e64 v9, v9, v12, s[4:5]
	s_cmp_lg_u32 s12, s25
	v_add_u32_e32 v8, s24, v8
	s_cbranch_scc0 .LBB493_28
.LBB493_23:                             ; =>This Inner Loop Header: Depth=1
	v_cmp_gt_f32_e32 vcc, v1, v0
	s_nop 1
	v_cndmask_b32_e32 v14, v0, v1, vcc
	v_cndmask_b32_e64 v12, 0, 1, vcc
	v_cmp_gt_f32_e32 vcc, v2, v14
	s_nop 1
	v_cndmask_b32_e32 v14, v14, v2, vcc
	v_cndmask_b32_e64 v12, v12, 2, vcc
	;; [unrolled: 4-line block ×6, first 2 shown]
	v_cmp_gt_f32_e64 s[0:1], v7, v14
	s_and_b64 vcc, exec, s[2:3]
	s_nop 0
	v_cndmask_b32_e64 v12, v12, 7, s[0:1]
	v_cndmask_b32_e64 v14, v14, v7, s[0:1]
	s_cbranch_vccnz .LBB493_25
; %bb.24:                               ;   in Loop: Header=BB493_23 Depth=1
	v_lshl_add_u64 v[16:17], v[12:13], 2, s[10:11]
	global_load_dword v15, v[16:17], off
	s_waitcnt vmcnt(0)
	v_sub_f32_e32 v14, v14, v15
.LBB493_25:                             ;   in Loop: Header=BB493_23 Depth=1
	v_add_u32_e32 v16, s25, v10
	v_ashrrev_i32_e32 v17, 31, v16
	v_cmp_le_i32_e32 vcc, s13, v12
	v_cmp_gt_i32_e64 s[0:1], s14, v12
	v_lshlrev_b64 v[18:19], 2, v[16:17]
	s_and_b64 s[0:1], vcc, s[0:1]
	v_lshl_add_u64 v[20:21], s[20:21], 0, v[18:19]
	v_subrev_u32_e32 v15, s13, v12
	global_store_dword v[20:21], v14, off
	v_ashrrev_i32_e32 v20, 31, v15
	s_and_b64 vcc, s[6:7], s[0:1]
	v_cndmask_b32_e32 v21, 0, v20, vcc
	v_cndmask_b32_e32 v20, 8, v15, vcc
	s_waitcnt lgkmcnt(0)
	v_lshl_add_u64 v[16:17], v[16:17], 3, s[16:17]
	s_add_i32 s25, s25, 1
	global_store_dwordx2 v[16:17], v[20:21], off
	v_lshl_add_u64 v[16:17], s[18:19], 0, v[18:19]
	s_cmp_ge_i32 s25, s12
	global_store_dword v[16:17], v8, off
	s_cbranch_scc1 .LBB493_22
; %bb.26:                               ;   in Loop: Header=BB493_23 Depth=1
	v_cmp_ne_u32_e32 vcc, 7, v12
	s_nop 1
	v_cndmask_b32_e32 v7, v11, v7, vcc
	v_cmp_ne_u32_e32 vcc, 6, v12
	s_nop 1
	v_cndmask_b32_e32 v6, v11, v6, vcc
	;; [unrolled: 3-line block ×8, first 2 shown]
	s_branch .LBB493_22
.LBB493_27:
	v_mov_b32_e32 v9, 0
.LBB493_28:
	s_andn2_b64 vcc, exec, s[4:5]
	v_cvt_f32_f64_e32 v0, s[8:9]
	s_cbranch_vccnz .LBB493_30
; %bb.29:
	v_cmp_lt_f32_e32 vcc, 0, v9
	s_nop 1
	v_cndmask_b32_e32 v1, 1.0, v9, vcc
	v_div_scale_f32 v2, s[0:1], v1, v1, v0
	v_rcp_f32_e32 v3, v2
	s_nop 0
	v_fma_f32 v4, -v2, v3, 1.0
	v_fmac_f32_e32 v3, v4, v3
	v_div_scale_f32 v4, vcc, v0, v1, v0
	v_mul_f32_e32 v5, v4, v3
	v_fma_f32 v6, -v2, v5, v4
	v_fmac_f32_e32 v5, v6, v3
	v_fma_f32 v2, -v2, v5, v4
	v_div_fmas_f32 v2, v2, v3, v5
	v_div_fixup_f32 v0, v2, v1, v0
.LBB493_30:
	s_andn2_b64 vcc, exec, s[22:23]
	s_cbranch_vccnz .LBB493_40
; %bb.31:
	s_cmp_gt_u32 s12, 3
	v_ashrrev_i32_e32 v11, 31, v10
	s_cbranch_scc0 .LBB493_35
; %bb.32:
	s_and_b32 s0, s12, 0x7ffffffc
	v_lshl_add_u64 v[2:3], v[10:11], 2, s[20:21]
	v_mov_b32_e32 v1, v0
	v_lshl_add_u64 v[2:3], v[2:3], 0, 8
	s_mov_b32 s1, s0
.LBB493_33:                             ; =>This Inner Loop Header: Depth=1
	global_load_dwordx4 v[4:7], v[2:3], off offset:-8
	s_add_i32 s1, s1, -4
	s_cmp_lg_u32 s1, 0
	s_waitcnt vmcnt(0)
	v_pk_mul_f32 v[4:5], v[0:1], v[4:5]
	v_pk_mul_f32 v[6:7], v[0:1], v[6:7]
	global_store_dwordx4 v[2:3], v[4:7], off offset:-8
	v_lshl_add_u64 v[2:3], v[2:3], 0, 16
	s_cbranch_scc1 .LBB493_33
; %bb.34:
	s_cmp_lg_u32 s0, s12
	s_cselect_b64 s[2:3], -1, 0
	s_branch .LBB493_37
.LBB493_35:
	s_mov_b64 s[2:3], 0
                                        ; implicit-def: $sgpr0
	s_cbranch_execz .LBB493_37
; %bb.36:
	s_mov_b64 s[2:3], -1
	s_mov_b32 s0, 0
.LBB493_37:
	s_andn2_b64 vcc, exec, s[2:3]
	s_cbranch_vccnz .LBB493_40
; %bb.38:
	s_mov_b32 s1, 0
	v_lshl_add_u64 v[2:3], v[10:11], 0, s[0:1]
	s_sub_i32 s2, s12, s0
	v_lshl_add_u64 v[2:3], v[2:3], 2, s[20:21]
.LBB493_39:                             ; =>This Inner Loop Header: Depth=1
	global_load_dword v1, v[2:3], off
	s_add_i32 s2, s2, -1
	s_cmp_lg_u32 s2, 0
	s_waitcnt vmcnt(0)
	v_mul_f32_e32 v1, v0, v1
	global_store_dword v[2:3], v1, off
	v_lshl_add_u64 v[2:3], v[2:3], 0, 4
	s_cbranch_scc1 .LBB493_39
.LBB493_40:
	s_endpgm
	.section	.rodata,"a",@progbits
	.p2align	6, 0x0
	.amdhsa_kernel _ZN4vllm3moe22topkGatingSoftplusSqrtILi8ELi8ELi4ELi16ELi64ELb0El14__hip_bfloat16EEvPKT6_PKbPfiPT5_PiiiibdPKfPKS9_SF_
		.amdhsa_group_segment_fixed_size 0
		.amdhsa_private_segment_fixed_size 0
		.amdhsa_kernarg_size 96
		.amdhsa_user_sgpr_count 2
		.amdhsa_user_sgpr_dispatch_ptr 0
		.amdhsa_user_sgpr_queue_ptr 0
		.amdhsa_user_sgpr_kernarg_segment_ptr 1
		.amdhsa_user_sgpr_dispatch_id 0
		.amdhsa_user_sgpr_kernarg_preload_length 0
		.amdhsa_user_sgpr_kernarg_preload_offset 0
		.amdhsa_user_sgpr_private_segment_size 0
		.amdhsa_uses_dynamic_stack 0
		.amdhsa_enable_private_segment 0
		.amdhsa_system_sgpr_workgroup_id_x 1
		.amdhsa_system_sgpr_workgroup_id_y 0
		.amdhsa_system_sgpr_workgroup_id_z 0
		.amdhsa_system_sgpr_workgroup_info 0
		.amdhsa_system_vgpr_workitem_id 1
		.amdhsa_next_free_vgpr 22
		.amdhsa_next_free_sgpr 26
		.amdhsa_accum_offset 24
		.amdhsa_reserve_vcc 1
		.amdhsa_float_round_mode_32 0
		.amdhsa_float_round_mode_16_64 0
		.amdhsa_float_denorm_mode_32 3
		.amdhsa_float_denorm_mode_16_64 3
		.amdhsa_dx10_clamp 1
		.amdhsa_ieee_mode 1
		.amdhsa_fp16_overflow 0
		.amdhsa_tg_split 0
		.amdhsa_exception_fp_ieee_invalid_op 0
		.amdhsa_exception_fp_denorm_src 0
		.amdhsa_exception_fp_ieee_div_zero 0
		.amdhsa_exception_fp_ieee_overflow 0
		.amdhsa_exception_fp_ieee_underflow 0
		.amdhsa_exception_fp_ieee_inexact 0
		.amdhsa_exception_int_div_zero 0
	.end_amdhsa_kernel
	.section	.text._ZN4vllm3moe22topkGatingSoftplusSqrtILi8ELi8ELi4ELi16ELi64ELb0El14__hip_bfloat16EEvPKT6_PKbPfiPT5_PiiiibdPKfPKS9_SF_,"axG",@progbits,_ZN4vllm3moe22topkGatingSoftplusSqrtILi8ELi8ELi4ELi16ELi64ELb0El14__hip_bfloat16EEvPKT6_PKbPfiPT5_PiiiibdPKfPKS9_SF_,comdat
.Lfunc_end493:
	.size	_ZN4vllm3moe22topkGatingSoftplusSqrtILi8ELi8ELi4ELi16ELi64ELb0El14__hip_bfloat16EEvPKT6_PKbPfiPT5_PiiiibdPKfPKS9_SF_, .Lfunc_end493-_ZN4vllm3moe22topkGatingSoftplusSqrtILi8ELi8ELi4ELi16ELi64ELb0El14__hip_bfloat16EEvPKT6_PKbPfiPT5_PiiiibdPKfPKS9_SF_
                                        ; -- End function
	.section	.AMDGPU.csdata,"",@progbits
; Kernel info:
; codeLenInByte = 3284
; NumSgprs: 32
; NumVgprs: 22
; NumAgprs: 0
; TotalNumVgprs: 22
; ScratchSize: 0
; MemoryBound: 0
; FloatMode: 240
; IeeeMode: 1
; LDSByteSize: 0 bytes/workgroup (compile time only)
; SGPRBlocks: 3
; VGPRBlocks: 2
; NumSGPRsForWavesPerEU: 32
; NumVGPRsForWavesPerEU: 22
; AccumOffset: 24
; Occupancy: 8
; WaveLimiterHint : 0
; COMPUTE_PGM_RSRC2:SCRATCH_EN: 0
; COMPUTE_PGM_RSRC2:USER_SGPR: 2
; COMPUTE_PGM_RSRC2:TRAP_HANDLER: 0
; COMPUTE_PGM_RSRC2:TGID_X_EN: 1
; COMPUTE_PGM_RSRC2:TGID_Y_EN: 0
; COMPUTE_PGM_RSRC2:TGID_Z_EN: 0
; COMPUTE_PGM_RSRC2:TIDIG_COMP_CNT: 1
; COMPUTE_PGM_RSRC3_GFX90A:ACCUM_OFFSET: 5
; COMPUTE_PGM_RSRC3_GFX90A:TG_SPLIT: 0
	.section	.text._ZN4vllm3moe22topkGatingSoftplusSqrtILi8ELi8ELi4ELi16ELi32ELb1El14__hip_bfloat16EEvPKT6_PKbPfiPT5_PiiiibdPKfPKS9_SF_,"axG",@progbits,_ZN4vllm3moe22topkGatingSoftplusSqrtILi8ELi8ELi4ELi16ELi32ELb1El14__hip_bfloat16EEvPKT6_PKbPfiPT5_PiiiibdPKfPKS9_SF_,comdat
	.protected	_ZN4vllm3moe22topkGatingSoftplusSqrtILi8ELi8ELi4ELi16ELi32ELb1El14__hip_bfloat16EEvPKT6_PKbPfiPT5_PiiiibdPKfPKS9_SF_ ; -- Begin function _ZN4vllm3moe22topkGatingSoftplusSqrtILi8ELi8ELi4ELi16ELi32ELb1El14__hip_bfloat16EEvPKT6_PKbPfiPT5_PiiiibdPKfPKS9_SF_
	.globl	_ZN4vllm3moe22topkGatingSoftplusSqrtILi8ELi8ELi4ELi16ELi32ELb1El14__hip_bfloat16EEvPKT6_PKbPfiPT5_PiiiibdPKfPKS9_SF_
	.p2align	8
	.type	_ZN4vllm3moe22topkGatingSoftplusSqrtILi8ELi8ELi4ELi16ELi32ELb1El14__hip_bfloat16EEvPKT6_PKbPfiPT5_PiiiibdPKfPKS9_SF_,@function
_ZN4vllm3moe22topkGatingSoftplusSqrtILi8ELi8ELi4ELi16ELi32ELb1El14__hip_bfloat16EEvPKT6_PKbPfiPT5_PiiiibdPKfPKS9_SF_: ; @_ZN4vllm3moe22topkGatingSoftplusSqrtILi8ELi8ELi4ELi16ELi32ELb1El14__hip_bfloat16EEvPKT6_PKbPfiPT5_PiiiibdPKfPKS9_SF_
; %bb.0:
	s_load_dword s3, s[0:1], 0x18
	v_bfe_u32 v1, v0, 10, 10
	s_lshl_b32 s2, s2, 7
	v_lshlrev_b32_e32 v1, 5, v1
	v_and_b32_e32 v0, 0x3ff, v0
	v_add3_u32 v4, v1, v0, s2
	s_waitcnt lgkmcnt(0)
	v_cmp_gt_i32_e32 vcc, s3, v4
	s_and_saveexec_b64 s[2:3], vcc
	s_cbranch_execz .LBB494_56
; %bb.1:
	s_load_dwordx4 s[8:11], s[0:1], 0x50
	s_load_dwordx2 s[2:3], s[0:1], 0x0
	s_load_dword s12, s[0:1], 0x30
	v_lshlrev_b32_e32 v0, 3, v4
	v_ashrrev_i32_e32 v1, 31, v0
	s_waitcnt lgkmcnt(0)
	v_mov_b32_e32 v6, s8
	v_lshl_add_u64 v[0:1], v[0:1], 1, s[2:3]
	global_load_dwordx4 v[0:3], v[0:1], off
	v_mov_b32_e32 v7, s9
	v_ashrrev_i32_e32 v5, 31, v4
	v_lshl_add_u64 v[6:7], v[4:5], 3, v[6:7]
	global_load_dwordx2 v[6:7], v[6:7], off
	s_ashr_i32 s13, s12, 31
	s_mov_b32 s21, 0x800000
	v_mov_b32_e32 v5, 0x4f800000
	s_mov_b32 s19, 0x3f317217
	s_mov_b32 s20, 0x7f800000
	v_mov_b32_e32 v19, 0x41b17218
	s_mov_b32 s15, 0x41a00000
	s_mov_b32 s18, 0xf800000
	v_mov_b32_e32 v20, 0x260
	v_cmp_lt_i64_e64 s[16:17], s[12:13], 1
	s_mov_b32 s14, 0
	v_mov_b32_e32 v18, 0
	v_cmp_gt_i64_e64 s[8:9], s[12:13], 0
	s_waitcnt vmcnt(1)
	v_and_b32_e32 v12, 0xffff0000, v0
	v_lshlrev_b32_e32 v13, 16, v0
	v_and_b32_e32 v14, 0xffff0000, v1
	v_lshlrev_b32_e32 v15, 16, v1
	v_mul_f32_e32 v0, 0x3fb8aa3b, v13
	v_mul_f32_e32 v1, 0x3fb8aa3b, v12
	v_exp_f32_e32 v8, v0
	v_exp_f32_e32 v9, v1
	v_mul_f32_e32 v10, 0x3fb8aa3b, v15
	v_mul_f32_e32 v11, 0x3fb8aa3b, v14
	v_exp_f32_e32 v10, v10
	v_exp_f32_e32 v11, v11
	s_waitcnt vmcnt(0)
	v_mul_lo_u32 v7, v7, s12
	v_mul_lo_u32 v16, v6, s13
	v_mad_u64_u32 v[0:1], s[2:3], v6, s12, 0
	v_add3_u32 v1, v1, v16, v7
	v_pk_add_f32 v[6:7], v[8:9], 1.0 op_sel_hi:[1,0]
	v_pk_add_f32 v[8:9], v[10:11], 1.0 op_sel_hi:[1,0]
	v_cmp_gt_f32_e32 vcc, s21, v7
	v_cmp_gt_f32_e64 s[2:3], s21, v6
	v_cmp_gt_f32_e64 s[6:7], s21, v8
	v_cndmask_b32_e32 v10, 1.0, v5, vcc
	v_cndmask_b32_e64 v11, 1.0, v5, s[2:3]
	v_mul_f32_e32 v7, v7, v10
	v_mul_f32_e32 v6, v6, v11
	v_log_f32_e32 v7, v7
	v_log_f32_e32 v6, v6
	v_cndmask_b32_e64 v17, 1.0, v5, s[6:7]
	v_mul_f32_e32 v8, v8, v17
	v_mul_f32_e32 v17, 0x3f317217, v7
	;; [unrolled: 1-line block ×3, first 2 shown]
	v_fma_f32 v17, v7, s19, -v17
	v_fma_f32 v21, v6, s19, -v21
	v_fmac_f32_e32 v17, 0x3377d1cf, v7
	v_cndmask_b32_e32 v10, 0, v19, vcc
	v_fmac_f32_e32 v21, 0x3377d1cf, v6
	v_fmac_f32_e32 v17, 0x3f317217, v7
	v_cmp_lt_f32_e64 vcc, |v7|, s20
	v_fmac_f32_e32 v21, 0x3f317217, v6
	v_cmp_gt_f32_e64 s[4:5], s21, v9
	v_cndmask_b32_e32 v7, v7, v17, vcc
	v_cmp_lt_f32_e64 vcc, |v6|, s20
	v_cndmask_b32_e64 v11, 0, v19, s[2:3]
	v_cndmask_b32_e64 v16, 1.0, v5, s[4:5]
	v_cndmask_b32_e32 v6, v6, v21, vcc
	v_sub_f32_e32 v6, v6, v11
	v_cmp_lt_f32_e32 vcc, s15, v13
	v_mul_f32_e32 v9, v9, v16
	v_sub_f32_e32 v7, v7, v10
	v_cndmask_b32_e32 v6, v6, v13, vcc
	v_cmp_lt_f32_e32 vcc, s15, v12
	v_log_f32_e32 v9, v9
	v_mul_f32_e32 v11, 0x4f800000, v6
	v_cndmask_b32_e32 v7, v7, v12, vcc
	v_mul_f32_e32 v10, 0x4f800000, v7
	v_cmp_gt_f32_e32 vcc, s18, v7
	v_cmp_gt_f32_e64 s[2:3], s18, v6
	v_mul_f32_e32 v22, 0x3f317217, v9
	v_cndmask_b32_e32 v7, v7, v10, vcc
	v_cndmask_b32_e64 v6, v6, v11, s[2:3]
	v_sqrt_f32_e32 v10, v7
	v_sqrt_f32_e32 v11, v6
	v_fma_f32 v22, v9, s19, -v22
	v_fmac_f32_e32 v22, 0x3377d1cf, v9
	v_cndmask_b32_e64 v16, 0, v19, s[4:5]
	v_fmac_f32_e32 v22, 0x3f317217, v9
	v_cmp_lt_f32_e64 s[4:5], |v9|, s20
	v_add_u32_e32 v12, -1, v10
	v_add_u32_e32 v17, -1, v11
	v_cndmask_b32_e64 v9, v9, v22, s[4:5]
	v_fma_f32 v22, -v12, v10, v7
	v_add_u32_e32 v13, 1, v10
	v_fma_f32 v24, -v17, v11, v6
	v_cmp_ge_f32_e64 s[4:5], 0, v22
	v_add_u32_e32 v21, 1, v11
	v_fma_f32 v23, -v13, v10, v7
	v_cndmask_b32_e64 v10, v10, v12, s[4:5]
	v_cmp_ge_f32_e64 s[4:5], 0, v24
	v_log_f32_e32 v8, v8
	v_fma_f32 v25, -v21, v11, v6
	v_cndmask_b32_e64 v11, v11, v17, s[4:5]
	v_cmp_lt_f32_e64 s[4:5], 0, v23
	s_nop 1
	v_cndmask_b32_e64 v10, v10, v13, s[4:5]
	v_mul_f32_e32 v12, 0x37800000, v10
	v_cmp_lt_f32_e64 s[4:5], 0, v25
	v_cndmask_b32_e32 v10, v10, v12, vcc
	v_cmp_class_f32_e32 vcc, v7, v20
	v_cndmask_b32_e64 v11, v11, v21, s[4:5]
	v_mul_f32_e32 v13, 0x37800000, v11
	v_cndmask_b32_e32 v12, v10, v7, vcc
	v_mul_f32_e32 v7, 0x3f317217, v8
	v_fma_f32 v7, v8, s19, -v7
	v_cndmask_b32_e64 v11, v11, v13, s[2:3]
	v_cmp_class_f32_e32 vcc, v6, v20
	v_fmac_f32_e32 v7, 0x3377d1cf, v8
	v_fmac_f32_e32 v7, 0x3f317217, v8
	v_cndmask_b32_e32 v13, v11, v6, vcc
	v_cmp_lt_f32_e64 vcc, |v8|, s20
	v_sub_f32_e32 v6, v9, v16
	v_cmp_lt_f32_e64 s[2:3], s15, v15
	v_cndmask_b32_e32 v7, v8, v7, vcc
	v_cmp_lt_f32_e32 vcc, s15, v14
	v_cndmask_b32_e64 v8, 0, v19, s[6:7]
	v_sub_f32_e32 v7, v7, v8
	v_cndmask_b32_e32 v6, v6, v14, vcc
	v_mul_f32_e32 v9, 0x4f800000, v6
	v_cmp_gt_f32_e32 vcc, s18, v6
	v_cndmask_b32_e64 v7, v7, v15, s[2:3]
	v_and_b32_e32 v16, 0xffff0000, v2
	v_cndmask_b32_e32 v6, v6, v9, vcc
	v_sqrt_f32_e32 v9, v6
	v_lshlrev_b32_e32 v2, 16, v2
	v_add_u32_e32 v8, -1, v9
	v_fma_f32 v10, -v8, v9, v6
	v_cmp_ge_f32_e64 s[2:3], 0, v10
	v_add_u32_e32 v10, 1, v9
	s_nop 0
	v_cndmask_b32_e64 v8, v9, v8, s[2:3]
	v_fma_f32 v9, -v10, v9, v6
	v_cmp_lt_f32_e64 s[2:3], 0, v9
	s_nop 1
	v_cndmask_b32_e64 v8, v8, v10, s[2:3]
	v_mul_f32_e32 v10, 0x4f800000, v7
	v_cmp_gt_f32_e64 s[2:3], s18, v7
	v_mul_f32_e32 v9, 0x37800000, v8
	v_cndmask_b32_e32 v8, v8, v9, vcc
	v_cndmask_b32_e64 v10, v7, v10, s[2:3]
	v_sqrt_f32_e32 v7, v10
	v_cmp_class_f32_e32 vcc, v6, v20
	v_add_u32_e32 v9, 1, v7
	s_nop 0
	v_cndmask_b32_e32 v14, v8, v6, vcc
	v_add_u32_e32 v6, -1, v7
	v_fma_f32 v8, -v6, v7, v10
	v_cmp_ge_f32_e32 vcc, 0, v8
	v_fma_f32 v11, -v9, v7, v10
	s_nop 0
	v_cndmask_b32_e32 v8, v7, v6, vcc
	v_mul_f32_e32 v6, 0x3fb8aa3b, v2
	v_mul_f32_e32 v7, 0x3fb8aa3b, v16
	v_exp_f32_e32 v6, v6
	v_exp_f32_e32 v7, v7
	v_cmp_lt_f32_e32 vcc, 0, v11
	v_pk_add_f32 v[6:7], v[6:7], 1.0 op_sel_hi:[1,0]
	s_nop 0
	v_cndmask_b32_e32 v8, v8, v9, vcc
	v_cmp_gt_f32_e32 vcc, s21, v7
	v_mul_f32_e32 v9, 0x37800000, v8
	v_cndmask_b32_e64 v8, v8, v9, s[2:3]
	v_cndmask_b32_e32 v11, 1.0, v5, vcc
	v_mul_f32_e32 v7, v7, v11
	v_log_f32_e32 v7, v7
	v_cmp_class_f32_e64 s[2:3], v10, v20
	v_lshlrev_b32_e32 v11, 16, v3
	v_cmp_lt_f32_e64 s[4:5], |v7|, s20
	v_cndmask_b32_e64 v15, v8, v10, s[2:3]
	v_cmp_gt_f32_e64 s[2:3], s21, v6
	v_mul_f32_e32 v8, 0x3f317217, v7
	v_fma_f32 v8, v7, s19, -v8
	v_cndmask_b32_e64 v9, 1.0, v5, s[2:3]
	v_mul_f32_e32 v6, v6, v9
	v_log_f32_e32 v6, v6
	v_fmac_f32_e32 v8, 0x3377d1cf, v7
	v_fmac_f32_e32 v8, 0x3f317217, v7
	v_cndmask_b32_e64 v7, v7, v8, s[4:5]
	v_cndmask_b32_e32 v8, 0, v19, vcc
	v_sub_f32_e32 v7, v7, v8
	v_mul_f32_e32 v8, 0x3f317217, v6
	v_fma_f32 v8, v6, s19, -v8
	v_fmac_f32_e32 v8, 0x3377d1cf, v6
	v_fmac_f32_e32 v8, 0x3f317217, v6
	v_cmp_lt_f32_e64 vcc, |v6|, s20
	v_and_b32_e32 v10, 0xffff0000, v3
	v_mul_f32_e32 v3, 0x3fb8aa3b, v10
	v_cndmask_b32_e32 v6, v6, v8, vcc
	v_cmp_lt_f32_e32 vcc, s15, v16
	v_cndmask_b32_e64 v8, 0, v19, s[2:3]
	v_sub_f32_e32 v6, v6, v8
	v_cndmask_b32_e32 v7, v7, v16, vcc
	v_mul_f32_e32 v9, 0x4f800000, v7
	v_cmp_gt_f32_e32 vcc, s18, v7
	v_cmp_lt_f32_e64 s[2:3], s15, v2
	v_exp_f32_e32 v3, v3
	v_cndmask_b32_e32 v7, v7, v9, vcc
	v_sqrt_f32_e32 v9, v7
	v_cndmask_b32_e64 v2, v6, v2, s[2:3]
	v_add_u32_e32 v6, -1, v9
	v_fma_f32 v8, -v6, v9, v7
	v_cmp_ge_f32_e64 s[2:3], 0, v8
	v_add_u32_e32 v8, 1, v9
	s_nop 0
	v_cndmask_b32_e64 v6, v9, v6, s[2:3]
	v_fma_f32 v9, -v8, v9, v7
	v_cmp_lt_f32_e64 s[2:3], 0, v9
	v_mul_f32_e32 v9, 0x4f800000, v2
	s_nop 0
	v_cndmask_b32_e64 v6, v6, v8, s[2:3]
	v_cmp_gt_f32_e64 s[2:3], s18, v2
	v_mul_f32_e32 v8, 0x37800000, v6
	v_cndmask_b32_e32 v6, v6, v8, vcc
	v_cndmask_b32_e64 v9, v2, v9, s[2:3]
	v_sqrt_f32_e32 v2, v9
	v_cmp_class_f32_e32 vcc, v7, v20
	s_nop 1
	v_cndmask_b32_e32 v16, v6, v7, vcc
	v_add_u32_e32 v6, -1, v2
	v_fma_f32 v7, -v6, v2, v9
	v_cmp_ge_f32_e32 vcc, 0, v7
	v_add_u32_e32 v7, 1, v2
	v_fma_f32 v8, -v7, v2, v9
	v_cndmask_b32_e32 v6, v2, v6, vcc
	v_mul_f32_e32 v2, 0x3fb8aa3b, v11
	v_exp_f32_e32 v2, v2
	v_cmp_lt_f32_e32 vcc, 0, v8
	v_pk_add_f32 v[2:3], v[2:3], 1.0 op_sel_hi:[1,0]
	s_nop 0
	v_cndmask_b32_e32 v6, v6, v7, vcc
	v_cmp_gt_f32_e32 vcc, s21, v3
	v_mul_f32_e32 v7, 0x37800000, v6
	v_cndmask_b32_e64 v6, v6, v7, s[2:3]
	v_cndmask_b32_e32 v8, 1.0, v5, vcc
	v_mul_f32_e32 v3, v3, v8
	v_log_f32_e32 v3, v3
	v_cmp_class_f32_e64 s[2:3], v9, v20
	v_cmp_lt_f32_e64 s[4:5], |v3|, s20
	s_nop 0
	v_cndmask_b32_e64 v17, v6, v9, s[2:3]
	v_cmp_gt_f32_e64 s[2:3], s21, v2
	v_mul_f32_e32 v6, 0x3f317217, v3
	v_fma_f32 v6, v3, s19, -v6
	v_cndmask_b32_e64 v5, 1.0, v5, s[2:3]
	v_mul_f32_e32 v2, v2, v5
	v_log_f32_e32 v2, v2
	v_fmac_f32_e32 v6, 0x3377d1cf, v3
	v_fmac_f32_e32 v6, 0x3f317217, v3
	v_cndmask_b32_e64 v3, v3, v6, s[4:5]
	v_cndmask_b32_e32 v5, 0, v19, vcc
	v_sub_f32_e32 v3, v3, v5
	v_mul_f32_e32 v5, 0x3f317217, v2
	v_fma_f32 v5, v2, s19, -v5
	v_fmac_f32_e32 v5, 0x3377d1cf, v2
	v_fmac_f32_e32 v5, 0x3f317217, v2
	v_cmp_lt_f32_e64 vcc, |v2|, s20
	s_nop 1
	v_cndmask_b32_e32 v2, v2, v5, vcc
	v_cmp_lt_f32_e32 vcc, s15, v10
	v_cndmask_b32_e64 v5, 0, v19, s[2:3]
	v_sub_f32_e32 v2, v2, v5
	v_cndmask_b32_e32 v3, v3, v10, vcc
	v_mul_f32_e32 v6, 0x4f800000, v3
	v_cmp_gt_f32_e32 vcc, s18, v3
	v_cmp_lt_f32_e64 s[2:3], s15, v11
	s_nop 0
	v_cndmask_b32_e32 v3, v3, v6, vcc
	v_sqrt_f32_e32 v6, v3
	v_cndmask_b32_e64 v2, v2, v11, s[2:3]
	v_add_u32_e32 v5, -1, v6
	v_fma_f32 v7, -v5, v6, v3
	v_cmp_ge_f32_e64 s[2:3], 0, v7
	v_add_u32_e32 v7, 1, v6
	s_nop 0
	v_cndmask_b32_e64 v5, v6, v5, s[2:3]
	v_fma_f32 v6, -v7, v6, v3
	v_cmp_lt_f32_e64 s[2:3], 0, v6
	s_nop 1
	v_cndmask_b32_e64 v5, v5, v7, s[2:3]
	v_mul_f32_e32 v7, 0x4f800000, v2
	v_cmp_gt_f32_e64 s[2:3], s18, v2
	v_mul_f32_e32 v6, 0x37800000, v5
	v_cndmask_b32_e32 v5, v5, v6, vcc
	v_cndmask_b32_e64 v2, v2, v7, s[2:3]
	v_sqrt_f32_e32 v7, v2
	v_cmp_class_f32_e32 vcc, v3, v20
	s_nop 1
	v_cndmask_b32_e32 v19, v5, v3, vcc
	v_add_u32_e32 v3, -1, v7
	v_fma_f32 v5, -v3, v7, v2
	v_cmp_ge_f32_e32 vcc, 0, v5
	v_add_u32_e32 v5, 1, v7
	v_fma_f32 v6, -v5, v7, v2
	v_cndmask_b32_e32 v3, v7, v3, vcc
	v_cmp_lt_f32_e32 vcc, 0, v6
	s_nop 1
	v_cndmask_b32_e32 v3, v3, v5, vcc
	v_mul_f32_e32 v5, 0x37800000, v3
	v_cndmask_b32_e64 v3, v3, v5, s[2:3]
	v_cmp_class_f32_e32 vcc, v2, v20
	s_nop 1
	v_cndmask_b32_e32 v20, v3, v2, vcc
	s_and_b64 vcc, exec, s[16:17]
	v_mul_lo_u32 v2, v4, s12
	s_cbranch_vccnz .LBB494_29
; %bb.2:
	s_load_dwordx2 s[2:3], s[0:1], 0x20
	s_cmp_lt_u32 s12, 4
	v_lshl_add_u64 v[4:5], v[0:1], 3, s[10:11]
	s_cbranch_scc1 .LBB494_21
; %bb.3:
	s_mov_b32 s5, 0
	s_and_b32 s14, s12, 0x7ffffffc
	v_ashrrev_i32_e32 v3, 31, v2
	v_mov_b32_e32 v18, 0
	s_mov_b32 s4, s5
	s_branch .LBB494_5
.LBB494_4:                              ;   in Loop: Header=BB494_5 Depth=1
	s_or_b64 exec, exec, s[6:7]
	s_add_i32 s4, s4, 4
	s_cmp_eq_u32 s4, s14
	s_cbranch_scc1 .LBB494_22
.LBB494_5:                              ; =>This Loop Header: Depth=1
                                        ;     Child Loop BB494_7 Depth 2
                                        ;     Child Loop BB494_11 Depth 2
	;; [unrolled: 1-line block ×4, first 2 shown]
	v_lshl_add_u64 v[6:7], s[4:5], 3, v[4:5]
	global_load_dwordx2 v[8:9], v[6:7], off
	v_add_u32_e32 v10, s4, v2
	v_ashrrev_i32_e32 v11, 31, v10
	s_mov_b64 s[6:7], 0
	s_waitcnt lgkmcnt(0)
	v_lshl_add_u64 v[10:11], v[10:11], 3, s[2:3]
	s_waitcnt vmcnt(0)
	v_cmp_eq_u32_e32 vcc, 1, v8
	s_nop 1
	v_cndmask_b32_e32 v22, v13, v12, vcc
	v_cmp_eq_u32_e32 vcc, 2, v8
	v_min_u32_e32 v21, 7, v8
	v_ashrrev_i32_e32 v9, 31, v8
	v_cndmask_b32_e32 v22, v22, v15, vcc
	v_cmp_eq_u32_e32 vcc, 3, v8
	v_add_u32_e32 v21, 1, v21
	v_mov_b32_e32 v23, v8
	v_cndmask_b32_e32 v22, v22, v14, vcc
	v_cmp_eq_u32_e32 vcc, 4, v8
	s_nop 1
	v_cndmask_b32_e32 v22, v22, v17, vcc
	v_cmp_eq_u32_e32 vcc, 5, v8
	s_nop 1
	;; [unrolled: 3-line block ×4, first 2 shown]
	v_cndmask_b32_e32 v22, v22, v19, vcc
	s_branch .LBB494_7
.LBB494_6:                              ;   in Loop: Header=BB494_7 Depth=2
	s_or_b64 exec, exec, s[16:17]
	v_add_u32_e32 v21, -1, v21
	v_cmp_eq_u32_e32 vcc, 0, v21
	s_or_b64 s[6:7], vcc, s[6:7]
	v_add_u32_e32 v23, -1, v23
	s_andn2_b64 exec, exec, s[6:7]
	s_cbranch_execz .LBB494_9
.LBB494_7:                              ;   Parent Loop BB494_5 Depth=1
                                        ; =>  This Inner Loop Header: Depth=2
	v_cmp_eq_u32_e32 vcc, 0, v23
	s_and_saveexec_b64 s[16:17], vcc
	s_cbranch_execz .LBB494_6
; %bb.8:                                ;   in Loop: Header=BB494_7 Depth=2
	v_add_f32_e32 v18, v18, v22
	global_store_dwordx2 v[10:11], v[8:9], off
	s_branch .LBB494_6
.LBB494_9:                              ;   in Loop: Header=BB494_5 Depth=1
	s_or_b64 exec, exec, s[6:7]
	global_load_dwordx2 v[10:11], v[6:7], off offset:8
	s_ashr_i32 s17, s4, 31
	s_mov_b32 s16, s4
	v_lshl_add_u64 v[8:9], s[16:17], 0, v[2:3]
	s_mov_b64 s[6:7], 0
	v_lshl_add_u64 v[8:9], v[8:9], 3, s[2:3]
	s_waitcnt vmcnt(0)
	v_cmp_eq_u32_e32 vcc, 1, v10
	s_nop 1
	v_cndmask_b32_e32 v22, v13, v12, vcc
	v_cmp_eq_u32_e32 vcc, 2, v10
	v_min_u32_e32 v21, 7, v10
	v_ashrrev_i32_e32 v11, 31, v10
	v_cndmask_b32_e32 v22, v22, v15, vcc
	v_cmp_eq_u32_e32 vcc, 3, v10
	v_add_u32_e32 v21, 1, v21
	v_mov_b32_e32 v23, v10
	v_cndmask_b32_e32 v22, v22, v14, vcc
	v_cmp_eq_u32_e32 vcc, 4, v10
	s_nop 1
	v_cndmask_b32_e32 v22, v22, v17, vcc
	v_cmp_eq_u32_e32 vcc, 5, v10
	s_nop 1
	;; [unrolled: 3-line block ×4, first 2 shown]
	v_cndmask_b32_e32 v22, v22, v19, vcc
	s_branch .LBB494_11
.LBB494_10:                             ;   in Loop: Header=BB494_11 Depth=2
	s_or_b64 exec, exec, s[16:17]
	v_add_u32_e32 v21, -1, v21
	v_cmp_eq_u32_e32 vcc, 0, v21
	s_or_b64 s[6:7], vcc, s[6:7]
	v_add_u32_e32 v23, -1, v23
	s_andn2_b64 exec, exec, s[6:7]
	s_cbranch_execz .LBB494_13
.LBB494_11:                             ;   Parent Loop BB494_5 Depth=1
                                        ; =>  This Inner Loop Header: Depth=2
	v_cmp_eq_u32_e32 vcc, 0, v23
	s_and_saveexec_b64 s[16:17], vcc
	s_cbranch_execz .LBB494_10
; %bb.12:                               ;   in Loop: Header=BB494_11 Depth=2
	v_add_f32_e32 v18, v18, v22
	global_store_dwordx2 v[8:9], v[10:11], off offset:8
	s_branch .LBB494_10
.LBB494_13:                             ;   in Loop: Header=BB494_5 Depth=1
	s_or_b64 exec, exec, s[6:7]
	global_load_dwordx2 v[10:11], v[6:7], off offset:16
	s_mov_b64 s[6:7], 0
	s_waitcnt vmcnt(0)
	v_cmp_eq_u32_e32 vcc, 1, v10
	s_nop 1
	v_cndmask_b32_e32 v22, v13, v12, vcc
	v_cmp_eq_u32_e32 vcc, 2, v10
	v_min_u32_e32 v21, 7, v10
	v_ashrrev_i32_e32 v11, 31, v10
	v_cndmask_b32_e32 v22, v22, v15, vcc
	v_cmp_eq_u32_e32 vcc, 3, v10
	v_add_u32_e32 v21, 1, v21
	v_mov_b32_e32 v23, v10
	v_cndmask_b32_e32 v22, v22, v14, vcc
	v_cmp_eq_u32_e32 vcc, 4, v10
	s_nop 1
	v_cndmask_b32_e32 v22, v22, v17, vcc
	v_cmp_eq_u32_e32 vcc, 5, v10
	s_nop 1
	v_cndmask_b32_e32 v22, v22, v16, vcc
	v_cmp_eq_u32_e32 vcc, 6, v10
	s_nop 1
	v_cndmask_b32_e32 v22, v22, v20, vcc
	v_cmp_eq_u32_e32 vcc, 7, v10
	s_nop 1
	v_cndmask_b32_e32 v22, v22, v19, vcc
	s_branch .LBB494_15
.LBB494_14:                             ;   in Loop: Header=BB494_15 Depth=2
	s_or_b64 exec, exec, s[16:17]
	v_add_u32_e32 v21, -1, v21
	v_cmp_eq_u32_e32 vcc, 0, v21
	s_or_b64 s[6:7], vcc, s[6:7]
	v_add_u32_e32 v23, -1, v23
	s_andn2_b64 exec, exec, s[6:7]
	s_cbranch_execz .LBB494_17
.LBB494_15:                             ;   Parent Loop BB494_5 Depth=1
                                        ; =>  This Inner Loop Header: Depth=2
	v_cmp_eq_u32_e32 vcc, 0, v23
	s_and_saveexec_b64 s[16:17], vcc
	s_cbranch_execz .LBB494_14
; %bb.16:                               ;   in Loop: Header=BB494_15 Depth=2
	v_add_f32_e32 v18, v18, v22
	global_store_dwordx2 v[8:9], v[10:11], off offset:16
	s_branch .LBB494_14
.LBB494_17:                             ;   in Loop: Header=BB494_5 Depth=1
	s_or_b64 exec, exec, s[6:7]
	global_load_dwordx2 v[6:7], v[6:7], off offset:24
	s_mov_b64 s[6:7], 0
	s_waitcnt vmcnt(0)
	v_cmp_eq_u32_e32 vcc, 1, v6
	s_nop 1
	v_cndmask_b32_e32 v11, v13, v12, vcc
	v_cmp_eq_u32_e32 vcc, 2, v6
	v_min_u32_e32 v10, 7, v6
	v_ashrrev_i32_e32 v7, 31, v6
	v_cndmask_b32_e32 v11, v11, v15, vcc
	v_cmp_eq_u32_e32 vcc, 3, v6
	v_add_u32_e32 v10, 1, v10
	v_mov_b32_e32 v21, v6
	v_cndmask_b32_e32 v11, v11, v14, vcc
	v_cmp_eq_u32_e32 vcc, 4, v6
	s_nop 1
	v_cndmask_b32_e32 v11, v11, v17, vcc
	v_cmp_eq_u32_e32 vcc, 5, v6
	s_nop 1
	;; [unrolled: 3-line block ×4, first 2 shown]
	v_cndmask_b32_e32 v11, v11, v19, vcc
	s_branch .LBB494_19
.LBB494_18:                             ;   in Loop: Header=BB494_19 Depth=2
	s_or_b64 exec, exec, s[16:17]
	v_add_u32_e32 v10, -1, v10
	v_cmp_eq_u32_e32 vcc, 0, v10
	s_or_b64 s[6:7], vcc, s[6:7]
	v_add_u32_e32 v21, -1, v21
	s_andn2_b64 exec, exec, s[6:7]
	s_cbranch_execz .LBB494_4
.LBB494_19:                             ;   Parent Loop BB494_5 Depth=1
                                        ; =>  This Inner Loop Header: Depth=2
	v_cmp_eq_u32_e32 vcc, 0, v21
	s_and_saveexec_b64 s[16:17], vcc
	s_cbranch_execz .LBB494_18
; %bb.20:                               ;   in Loop: Header=BB494_19 Depth=2
	v_add_f32_e32 v18, v18, v11
	global_store_dwordx2 v[8:9], v[6:7], off offset:24
	s_branch .LBB494_18
.LBB494_21:
	v_mov_b32_e32 v18, 0
.LBB494_22:
	s_and_b32 s13, s12, 3
	s_cmp_eq_u32 s13, 0
	s_mov_b32 s15, 0
	s_cbranch_scc1 .LBB494_29
; %bb.23:
	s_mov_b32 s16, s15
	s_branch .LBB494_25
.LBB494_24:                             ;   in Loop: Header=BB494_25 Depth=1
	s_or_b64 exec, exec, s[4:5]
	s_add_i32 s14, s14, 1
	s_add_i32 s16, s16, 1
	s_cmp_lg_u32 s16, s13
	s_cbranch_scc0 .LBB494_29
.LBB494_25:                             ; =>This Loop Header: Depth=1
                                        ;     Child Loop BB494_27 Depth 2
	v_lshl_add_u64 v[6:7], s[14:15], 3, v[4:5]
	global_load_dwordx2 v[6:7], v[6:7], off
	v_add_u32_e32 v8, s14, v2
	v_ashrrev_i32_e32 v9, 31, v8
	s_mov_b64 s[4:5], 0
	s_waitcnt lgkmcnt(0)
	v_lshl_add_u64 v[8:9], v[8:9], 3, s[2:3]
	s_waitcnt vmcnt(0)
	v_cmp_eq_u32_e32 vcc, 1, v6
	s_nop 1
	v_cndmask_b32_e32 v10, v13, v12, vcc
	v_cmp_eq_u32_e32 vcc, 2, v6
	v_min_u32_e32 v3, 7, v6
	v_ashrrev_i32_e32 v7, 31, v6
	v_cndmask_b32_e32 v10, v10, v15, vcc
	v_cmp_eq_u32_e32 vcc, 3, v6
	v_add_u32_e32 v3, 1, v3
	v_mov_b32_e32 v11, v6
	v_cndmask_b32_e32 v10, v10, v14, vcc
	v_cmp_eq_u32_e32 vcc, 4, v6
	s_nop 1
	v_cndmask_b32_e32 v10, v10, v17, vcc
	v_cmp_eq_u32_e32 vcc, 5, v6
	s_nop 1
	;; [unrolled: 3-line block ×4, first 2 shown]
	v_cndmask_b32_e32 v10, v10, v19, vcc
	s_branch .LBB494_27
.LBB494_26:                             ;   in Loop: Header=BB494_27 Depth=2
	s_or_b64 exec, exec, s[6:7]
	v_add_u32_e32 v3, -1, v3
	v_cmp_eq_u32_e32 vcc, 0, v3
	s_or_b64 s[4:5], vcc, s[4:5]
	v_add_u32_e32 v11, -1, v11
	s_andn2_b64 exec, exec, s[4:5]
	s_cbranch_execz .LBB494_24
.LBB494_27:                             ;   Parent Loop BB494_25 Depth=1
                                        ; =>  This Inner Loop Header: Depth=2
	v_cmp_eq_u32_e32 vcc, 0, v11
	s_and_saveexec_b64 s[6:7], vcc
	s_cbranch_execz .LBB494_26
; %bb.28:                               ;   in Loop: Header=BB494_27 Depth=2
	v_add_f32_e32 v18, v18, v10
	global_store_dwordx2 v[8:9], v[6:7], off
	s_branch .LBB494_26
.LBB494_29:
	s_load_dword s4, s[0:1], 0x3c
	s_waitcnt lgkmcnt(0)
	s_load_dwordx2 s[2:3], s[0:1], 0x40
	s_bitcmp1_b32 s4, 0
	s_cselect_b64 s[4:5], -1, 0
	s_waitcnt lgkmcnt(0)
	v_cvt_f32_f64_e32 v8, s[2:3]
	s_and_b64 vcc, exec, s[4:5]
	s_cbranch_vccz .LBB494_31
; %bb.30:
	v_cmp_lt_f32_e32 vcc, 0, v18
	s_nop 1
	v_cndmask_b32_e32 v3, 1.0, v18, vcc
	v_div_scale_f32 v4, s[2:3], v3, v3, v8
	v_rcp_f32_e32 v5, v4
	s_nop 0
	v_fma_f32 v6, -v4, v5, 1.0
	v_fmac_f32_e32 v5, v6, v5
	v_div_scale_f32 v6, vcc, v8, v3, v8
	v_mul_f32_e32 v7, v6, v5
	v_fma_f32 v9, -v4, v7, v6
	v_fmac_f32_e32 v7, v9, v5
	v_fma_f32 v4, -v4, v7, v6
	v_div_fmas_f32 v4, v4, v5, v7
	v_div_fixup_f32 v8, v4, v3, v8
.LBB494_31:
	s_andn2_b64 vcc, exec, s[8:9]
	s_cbranch_vccnz .LBB494_56
; %bb.32:
	s_load_dwordx2 s[0:1], s[0:1], 0x10
	s_cmp_lt_u32 s12, 8
	s_mov_b32 s2, 0
	s_cbranch_scc1 .LBB494_51
; %bb.33:
	v_ashrrev_i32_e32 v3, 31, v2
	s_waitcnt lgkmcnt(0)
	v_lshl_add_u64 v[4:5], v[2:3], 2, s[0:1]
	v_lshl_add_u64 v[6:7], v[0:1], 3, s[10:11]
	s_and_b32 s2, s12, 0x7ffffff8
	v_lshl_add_u64 v[4:5], v[4:5], 0, 28
	v_lshl_add_u64 v[6:7], v[6:7], 0, 56
	s_mov_b32 s3, 0
	s_branch .LBB494_35
.LBB494_34:                             ;   in Loop: Header=BB494_35 Depth=1
	s_or_b64 exec, exec, s[4:5]
	s_add_i32 s3, s3, 8
	v_lshl_add_u64 v[4:5], v[4:5], 0, 32
	s_cmp_eq_u32 s2, s3
	v_lshl_add_u64 v[6:7], v[6:7], 0, 64
	s_cbranch_scc1 .LBB494_51
.LBB494_35:                             ; =>This Inner Loop Header: Depth=1
	global_load_dword v3, v[6:7], off offset:-56
	s_waitcnt vmcnt(0)
	v_cmp_gt_u32_e32 vcc, 8, v3
	s_and_saveexec_b64 s[4:5], vcc
	s_cbranch_execz .LBB494_37
; %bb.36:                               ;   in Loop: Header=BB494_35 Depth=1
	v_cmp_eq_u32_e32 vcc, 1, v3
	v_add_u32_e32 v10, s3, v2
	v_ashrrev_i32_e32 v11, 31, v10
	v_cndmask_b32_e32 v9, v13, v12, vcc
	v_cmp_eq_u32_e32 vcc, 2, v3
	v_lshl_add_u64 v[10:11], v[10:11], 2, s[0:1]
	s_nop 0
	v_cndmask_b32_e32 v9, v9, v15, vcc
	v_cmp_eq_u32_e32 vcc, 3, v3
	s_nop 1
	v_cndmask_b32_e32 v9, v9, v14, vcc
	v_cmp_eq_u32_e32 vcc, 4, v3
	;; [unrolled: 3-line block ×5, first 2 shown]
	s_nop 1
	v_cndmask_b32_e32 v3, v9, v19, vcc
	v_mul_f32_e32 v3, v8, v3
	global_store_dword v[10:11], v3, off
.LBB494_37:                             ;   in Loop: Header=BB494_35 Depth=1
	s_or_b64 exec, exec, s[4:5]
	global_load_dword v3, v[6:7], off offset:-48
	s_waitcnt vmcnt(0)
	v_cmp_gt_u32_e32 vcc, 8, v3
	s_and_saveexec_b64 s[4:5], vcc
	s_cbranch_execz .LBB494_39
; %bb.38:                               ;   in Loop: Header=BB494_35 Depth=1
	v_cmp_eq_u32_e32 vcc, 1, v3
	s_nop 1
	v_cndmask_b32_e32 v9, v13, v12, vcc
	v_cmp_eq_u32_e32 vcc, 2, v3
	s_nop 1
	v_cndmask_b32_e32 v9, v9, v15, vcc
	v_cmp_eq_u32_e32 vcc, 3, v3
	s_nop 1
	v_cndmask_b32_e32 v9, v9, v14, vcc
	v_cmp_eq_u32_e32 vcc, 4, v3
	s_nop 1
	v_cndmask_b32_e32 v9, v9, v17, vcc
	v_cmp_eq_u32_e32 vcc, 5, v3
	s_nop 1
	v_cndmask_b32_e32 v9, v9, v16, vcc
	v_cmp_eq_u32_e32 vcc, 6, v3
	s_nop 1
	v_cndmask_b32_e32 v9, v9, v20, vcc
	v_cmp_eq_u32_e32 vcc, 7, v3
	s_nop 1
	v_cndmask_b32_e32 v3, v9, v19, vcc
	v_mul_f32_e32 v3, v8, v3
	global_store_dword v[4:5], v3, off offset:-24
.LBB494_39:                             ;   in Loop: Header=BB494_35 Depth=1
	s_or_b64 exec, exec, s[4:5]
	global_load_dword v3, v[6:7], off offset:-40
	s_waitcnt vmcnt(0)
	v_cmp_gt_u32_e32 vcc, 8, v3
	s_and_saveexec_b64 s[4:5], vcc
	s_cbranch_execz .LBB494_41
; %bb.40:                               ;   in Loop: Header=BB494_35 Depth=1
	v_cmp_eq_u32_e32 vcc, 1, v3
	s_nop 1
	v_cndmask_b32_e32 v9, v13, v12, vcc
	v_cmp_eq_u32_e32 vcc, 2, v3
	s_nop 1
	v_cndmask_b32_e32 v9, v9, v15, vcc
	v_cmp_eq_u32_e32 vcc, 3, v3
	s_nop 1
	v_cndmask_b32_e32 v9, v9, v14, vcc
	v_cmp_eq_u32_e32 vcc, 4, v3
	s_nop 1
	v_cndmask_b32_e32 v9, v9, v17, vcc
	v_cmp_eq_u32_e32 vcc, 5, v3
	s_nop 1
	v_cndmask_b32_e32 v9, v9, v16, vcc
	v_cmp_eq_u32_e32 vcc, 6, v3
	s_nop 1
	v_cndmask_b32_e32 v9, v9, v20, vcc
	v_cmp_eq_u32_e32 vcc, 7, v3
	s_nop 1
	v_cndmask_b32_e32 v3, v9, v19, vcc
	v_mul_f32_e32 v3, v8, v3
	global_store_dword v[4:5], v3, off offset:-20
.LBB494_41:                             ;   in Loop: Header=BB494_35 Depth=1
	;; [unrolled: 31-line block ×6, first 2 shown]
	s_or_b64 exec, exec, s[4:5]
	global_load_dword v3, v[6:7], off
	s_waitcnt vmcnt(0)
	v_cmp_gt_u32_e32 vcc, 8, v3
	s_and_saveexec_b64 s[4:5], vcc
	s_cbranch_execz .LBB494_34
; %bb.50:                               ;   in Loop: Header=BB494_35 Depth=1
	v_cmp_eq_u32_e32 vcc, 1, v3
	s_nop 1
	v_cndmask_b32_e32 v9, v13, v12, vcc
	v_cmp_eq_u32_e32 vcc, 2, v3
	s_nop 1
	v_cndmask_b32_e32 v9, v9, v15, vcc
	;; [unrolled: 3-line block ×7, first 2 shown]
	v_mul_f32_e32 v3, v8, v3
	global_store_dword v[4:5], v3, off
	s_branch .LBB494_34
.LBB494_51:
	s_and_b32 s4, s12, 7
	s_cmp_eq_u32 s4, 0
	s_mov_b32 s3, 0
	s_cbranch_scc1 .LBB494_56
; %bb.52:
	v_add_u32_e32 v2, s2, v2
	s_lshl_b64 s[2:3], s[2:3], 3
	s_add_u32 s2, s10, s2
	s_addc_u32 s3, s11, s3
	v_lshl_add_u64 v[0:1], v[0:1], 3, s[2:3]
	s_branch .LBB494_54
.LBB494_53:                             ;   in Loop: Header=BB494_54 Depth=1
	s_or_b64 exec, exec, s[2:3]
	s_add_i32 s4, s4, -1
	v_add_u32_e32 v2, 1, v2
	s_cmp_eq_u32 s4, 0
	v_lshl_add_u64 v[0:1], v[0:1], 0, 8
	s_cbranch_scc1 .LBB494_56
.LBB494_54:                             ; =>This Inner Loop Header: Depth=1
	global_load_dword v3, v[0:1], off
	s_waitcnt vmcnt(0)
	v_cmp_gt_u32_e32 vcc, 8, v3
	s_and_saveexec_b64 s[2:3], vcc
	s_cbranch_execz .LBB494_53
; %bb.55:                               ;   in Loop: Header=BB494_54 Depth=1
	v_cmp_eq_u32_e32 vcc, 1, v3
	s_nop 1
	v_cndmask_b32_e32 v4, v13, v12, vcc
	v_cmp_eq_u32_e32 vcc, 2, v3
	s_nop 1
	v_cndmask_b32_e32 v4, v4, v15, vcc
	;; [unrolled: 3-line block ×7, first 2 shown]
	v_mul_f32_e32 v6, v8, v3
	v_ashrrev_i32_e32 v3, 31, v2
	s_waitcnt lgkmcnt(0)
	v_lshl_add_u64 v[4:5], v[2:3], 2, s[0:1]
	global_store_dword v[4:5], v6, off
	s_branch .LBB494_53
.LBB494_56:
	s_endpgm
	.section	.rodata,"a",@progbits
	.p2align	6, 0x0
	.amdhsa_kernel _ZN4vllm3moe22topkGatingSoftplusSqrtILi8ELi8ELi4ELi16ELi32ELb1El14__hip_bfloat16EEvPKT6_PKbPfiPT5_PiiiibdPKfPKS9_SF_
		.amdhsa_group_segment_fixed_size 0
		.amdhsa_private_segment_fixed_size 0
		.amdhsa_kernarg_size 96
		.amdhsa_user_sgpr_count 2
		.amdhsa_user_sgpr_dispatch_ptr 0
		.amdhsa_user_sgpr_queue_ptr 0
		.amdhsa_user_sgpr_kernarg_segment_ptr 1
		.amdhsa_user_sgpr_dispatch_id 0
		.amdhsa_user_sgpr_kernarg_preload_length 0
		.amdhsa_user_sgpr_kernarg_preload_offset 0
		.amdhsa_user_sgpr_private_segment_size 0
		.amdhsa_uses_dynamic_stack 0
		.amdhsa_enable_private_segment 0
		.amdhsa_system_sgpr_workgroup_id_x 1
		.amdhsa_system_sgpr_workgroup_id_y 0
		.amdhsa_system_sgpr_workgroup_id_z 0
		.amdhsa_system_sgpr_workgroup_info 0
		.amdhsa_system_vgpr_workitem_id 1
		.amdhsa_next_free_vgpr 26
		.amdhsa_next_free_sgpr 22
		.amdhsa_accum_offset 28
		.amdhsa_reserve_vcc 1
		.amdhsa_float_round_mode_32 0
		.amdhsa_float_round_mode_16_64 0
		.amdhsa_float_denorm_mode_32 3
		.amdhsa_float_denorm_mode_16_64 3
		.amdhsa_dx10_clamp 1
		.amdhsa_ieee_mode 1
		.amdhsa_fp16_overflow 0
		.amdhsa_tg_split 0
		.amdhsa_exception_fp_ieee_invalid_op 0
		.amdhsa_exception_fp_denorm_src 0
		.amdhsa_exception_fp_ieee_div_zero 0
		.amdhsa_exception_fp_ieee_overflow 0
		.amdhsa_exception_fp_ieee_underflow 0
		.amdhsa_exception_fp_ieee_inexact 0
		.amdhsa_exception_int_div_zero 0
	.end_amdhsa_kernel
	.section	.text._ZN4vllm3moe22topkGatingSoftplusSqrtILi8ELi8ELi4ELi16ELi32ELb1El14__hip_bfloat16EEvPKT6_PKbPfiPT5_PiiiibdPKfPKS9_SF_,"axG",@progbits,_ZN4vllm3moe22topkGatingSoftplusSqrtILi8ELi8ELi4ELi16ELi32ELb1El14__hip_bfloat16EEvPKT6_PKbPfiPT5_PiiiibdPKfPKS9_SF_,comdat
.Lfunc_end494:
	.size	_ZN4vllm3moe22topkGatingSoftplusSqrtILi8ELi8ELi4ELi16ELi32ELb1El14__hip_bfloat16EEvPKT6_PKbPfiPT5_PiiiibdPKfPKS9_SF_, .Lfunc_end494-_ZN4vllm3moe22topkGatingSoftplusSqrtILi8ELi8ELi4ELi16ELi32ELb1El14__hip_bfloat16EEvPKT6_PKbPfiPT5_PiiiibdPKfPKS9_SF_
                                        ; -- End function
	.section	.AMDGPU.csdata,"",@progbits
; Kernel info:
; codeLenInByte = 4536
; NumSgprs: 28
; NumVgprs: 26
; NumAgprs: 0
; TotalNumVgprs: 26
; ScratchSize: 0
; MemoryBound: 0
; FloatMode: 240
; IeeeMode: 1
; LDSByteSize: 0 bytes/workgroup (compile time only)
; SGPRBlocks: 3
; VGPRBlocks: 3
; NumSGPRsForWavesPerEU: 28
; NumVGPRsForWavesPerEU: 26
; AccumOffset: 28
; Occupancy: 8
; WaveLimiterHint : 1
; COMPUTE_PGM_RSRC2:SCRATCH_EN: 0
; COMPUTE_PGM_RSRC2:USER_SGPR: 2
; COMPUTE_PGM_RSRC2:TRAP_HANDLER: 0
; COMPUTE_PGM_RSRC2:TGID_X_EN: 1
; COMPUTE_PGM_RSRC2:TGID_Y_EN: 0
; COMPUTE_PGM_RSRC2:TGID_Z_EN: 0
; COMPUTE_PGM_RSRC2:TIDIG_COMP_CNT: 1
; COMPUTE_PGM_RSRC3_GFX90A:ACCUM_OFFSET: 6
; COMPUTE_PGM_RSRC3_GFX90A:TG_SPLIT: 0
	.section	.text._ZN4vllm3moe22topkGatingSoftplusSqrtILi8ELi8ELi4ELi16ELi32ELb0El14__hip_bfloat16EEvPKT6_PKbPfiPT5_PiiiibdPKfPKS9_SF_,"axG",@progbits,_ZN4vllm3moe22topkGatingSoftplusSqrtILi8ELi8ELi4ELi16ELi32ELb0El14__hip_bfloat16EEvPKT6_PKbPfiPT5_PiiiibdPKfPKS9_SF_,comdat
	.protected	_ZN4vllm3moe22topkGatingSoftplusSqrtILi8ELi8ELi4ELi16ELi32ELb0El14__hip_bfloat16EEvPKT6_PKbPfiPT5_PiiiibdPKfPKS9_SF_ ; -- Begin function _ZN4vllm3moe22topkGatingSoftplusSqrtILi8ELi8ELi4ELi16ELi32ELb0El14__hip_bfloat16EEvPKT6_PKbPfiPT5_PiiiibdPKfPKS9_SF_
	.globl	_ZN4vllm3moe22topkGatingSoftplusSqrtILi8ELi8ELi4ELi16ELi32ELb0El14__hip_bfloat16EEvPKT6_PKbPfiPT5_PiiiibdPKfPKS9_SF_
	.p2align	8
	.type	_ZN4vllm3moe22topkGatingSoftplusSqrtILi8ELi8ELi4ELi16ELi32ELb0El14__hip_bfloat16EEvPKT6_PKbPfiPT5_PiiiibdPKfPKS9_SF_,@function
_ZN4vllm3moe22topkGatingSoftplusSqrtILi8ELi8ELi4ELi16ELi32ELb0El14__hip_bfloat16EEvPKT6_PKbPfiPT5_PiiiibdPKfPKS9_SF_: ; @_ZN4vllm3moe22topkGatingSoftplusSqrtILi8ELi8ELi4ELi16ELi32ELb0El14__hip_bfloat16EEvPKT6_PKbPfiPT5_PiiiibdPKfPKS9_SF_
; %bb.0:
	s_load_dword s24, s[0:1], 0x18
	v_bfe_u32 v1, v0, 10, 10
	s_lshl_b32 s2, s2, 7
	v_lshlrev_b32_e32 v1, 5, v1
	v_and_b32_e32 v0, 0x3ff, v0
	v_add3_u32 v8, v1, v0, s2
	s_waitcnt lgkmcnt(0)
	v_cmp_gt_i32_e32 vcc, s24, v8
	s_and_saveexec_b64 s[2:3], vcc
	s_cbranch_execz .LBB495_40
; %bb.1:
	s_load_dwordx4 s[4:7], s[0:1], 0x0
	s_load_dwordx2 s[20:21], s[0:1], 0x10
	s_waitcnt lgkmcnt(0)
	s_cmp_eq_u64 s[6:7], 0
	s_cbranch_scc1 .LBB495_3
; %bb.2:
	v_ashrrev_i32_e32 v9, 31, v8
	v_lshl_add_u64 v[0:1], s[6:7], 0, v[8:9]
	global_load_ubyte v0, v[0:1], off
	s_waitcnt vmcnt(0)
	v_and_b32_e32 v0, 1, v0
	v_cmp_eq_u32_e32 vcc, 1, v0
	s_xor_b64 s[2:3], vcc, -1
	s_orn2_b64 s[6:7], s[2:3], exec
	s_branch .LBB495_4
.LBB495_3:
	s_mov_b64 s[6:7], -1
.LBB495_4:
	v_lshlrev_b32_e32 v2, 3, v8
	v_mov_b32_e32 v0, s4
	v_mov_b32_e32 v1, s5
	v_ashrrev_i32_e32 v3, 31, v2
	v_lshl_add_u64 v[0:1], v[2:3], 1, v[0:1]
	global_load_dwordx4 v[4:7], v[0:1], off
	s_mov_b32 s18, 0x800000
	v_mov_b32_e32 v2, 0x4f800000
	s_mov_b32 s15, 0x3f317217
	s_mov_b32 s16, 0x7f800000
	v_mov_b32_e32 v3, 0x41b17218
	s_mov_b32 s14, 0x41a00000
	s_mov_b32 s17, 0xf800000
	s_load_dwordx4 s[8:11], s[0:1], 0x40
	s_waitcnt lgkmcnt(0)
	s_cmp_lg_u64 s[10:11], 0
	s_cselect_b64 s[12:13], -1, 0
	s_and_b64 s[2:3], exec, s[12:13]
	s_waitcnt vmcnt(0)
	v_lshlrev_b32_e32 v0, 16, v4
	v_mul_f32_e32 v1, 0x3fb8aa3b, v0
	v_exp_f32_e32 v1, v1
	s_nop 0
	v_add_f32_e32 v1, 1.0, v1
	v_cmp_gt_f32_e32 vcc, s18, v1
	s_nop 1
	v_cndmask_b32_e32 v9, 1.0, v2, vcc
	v_mul_f32_e32 v1, v1, v9
	v_log_f32_e32 v9, v1
	v_cndmask_b32_e32 v10, 0, v3, vcc
	v_mov_b32_e32 v1, 0x260
	v_mul_f32_e32 v11, 0x3f317217, v9
	v_fma_f32 v11, v9, s15, -v11
	v_fmac_f32_e32 v11, 0x3377d1cf, v9
	v_fmac_f32_e32 v11, 0x3f317217, v9
	v_cmp_lt_f32_e64 vcc, |v9|, s16
	s_nop 1
	v_cndmask_b32_e32 v9, v9, v11, vcc
	v_sub_f32_e32 v9, v9, v10
	v_cmp_lt_f32_e32 vcc, s14, v0
	s_nop 1
	v_cndmask_b32_e32 v0, v9, v0, vcc
	v_mul_f32_e32 v9, 0x4f800000, v0
	v_cmp_gt_f32_e32 vcc, s17, v0
	s_nop 1
	v_cndmask_b32_e32 v0, v0, v9, vcc
	v_sqrt_f32_e32 v9, v0
	s_nop 0
	v_add_u32_e32 v10, -1, v9
	v_add_u32_e32 v11, 1, v9
	v_fma_f32 v12, -v10, v9, v0
	v_fma_f32 v13, -v11, v9, v0
	v_cmp_ge_f32_e64 s[4:5], 0, v12
	s_nop 1
	v_cndmask_b32_e64 v9, v9, v10, s[4:5]
	v_cmp_lt_f32_e64 s[4:5], 0, v13
	s_nop 1
	v_cndmask_b32_e64 v9, v9, v11, s[4:5]
	v_mul_f32_e32 v10, 0x37800000, v9
	v_cndmask_b32_e32 v9, v9, v10, vcc
	v_cmp_class_f32_e32 vcc, v0, v1
	s_nop 1
	v_cndmask_b32_e32 v0, v9, v0, vcc
	s_mov_b64 vcc, s[2:3]
	s_cbranch_vccz .LBB495_6
; %bb.5:
	s_load_dword s2, s[10:11], 0x0
	s_waitcnt lgkmcnt(0)
	v_add_f32_e32 v0, s2, v0
.LBB495_6:
	v_and_b32_e32 v4, 0xffff0000, v4
	v_mul_f32_e32 v9, 0x3fb8aa3b, v4
	v_exp_f32_e32 v9, v9
	s_nop 0
	v_add_f32_e32 v9, 1.0, v9
	v_cmp_gt_f32_e32 vcc, s18, v9
	s_nop 1
	v_cndmask_b32_e32 v2, 1.0, v2, vcc
	v_mul_f32_e32 v2, v9, v2
	v_log_f32_e32 v2, v2
	v_cndmask_b32_e32 v3, 0, v3, vcc
	v_mul_f32_e32 v9, 0x3f317217, v2
	v_fma_f32 v9, v2, s15, -v9
	v_fmac_f32_e32 v9, 0x3377d1cf, v2
	v_fmac_f32_e32 v9, 0x3f317217, v2
	v_cmp_lt_f32_e64 vcc, |v2|, s16
	s_nop 1
	v_cndmask_b32_e32 v2, v2, v9, vcc
	v_sub_f32_e32 v2, v2, v3
	v_cmp_lt_f32_e32 vcc, s14, v4
	s_nop 1
	v_cndmask_b32_e32 v2, v2, v4, vcc
	v_mul_f32_e32 v3, 0x4f800000, v2
	v_cmp_gt_f32_e32 vcc, s17, v2
	s_nop 1
	v_cndmask_b32_e32 v2, v2, v3, vcc
	v_sqrt_f32_e32 v3, v2
	v_cmp_class_f32_e64 s[4:5], v2, v1
	v_add_u32_e32 v4, -1, v3
	v_add_u32_e32 v9, 1, v3
	v_fma_f32 v10, -v4, v3, v2
	v_fma_f32 v11, -v9, v3, v2
	v_cmp_ge_f32_e64 s[2:3], 0, v10
	s_nop 1
	v_cndmask_b32_e64 v3, v3, v4, s[2:3]
	v_cmp_lt_f32_e64 s[2:3], 0, v11
	s_nop 1
	v_cndmask_b32_e64 v3, v3, v9, s[2:3]
	v_mul_f32_e32 v4, 0x37800000, v3
	v_cndmask_b32_e32 v3, v3, v4, vcc
	v_cndmask_b32_e64 v4, 0, 1, s[12:13]
	v_cmp_ne_u32_e64 s[2:3], 1, v4
	s_andn2_b64 vcc, exec, s[12:13]
	v_cndmask_b32_e64 v1, v3, v2, s[4:5]
	s_cbranch_vccnz .LBB495_8
; %bb.7:
	s_load_dword s4, s[10:11], 0x4
	s_waitcnt lgkmcnt(0)
	v_add_f32_e32 v1, s4, v1
.LBB495_8:
	v_lshlrev_b32_e32 v2, 16, v5
	v_mul_f32_e32 v3, 0x3fb8aa3b, v2
	v_exp_f32_e32 v3, v3
	s_mov_b32 s16, 0x800000
	v_mov_b32_e32 v4, 0x4f800000
	s_mov_b32 s13, 0x3f317217
	v_add_f32_e32 v3, 1.0, v3
	v_cmp_gt_f32_e32 vcc, s16, v3
	s_mov_b32 s14, 0x7f800000
	s_mov_b32 s12, 0x41a00000
	v_cndmask_b32_e32 v9, 1.0, v4, vcc
	v_mul_f32_e32 v3, v3, v9
	v_log_f32_e32 v3, v3
	s_mov_b32 s15, 0xf800000
	v_mul_f32_e32 v9, 0x3f317217, v3
	v_fma_f32 v9, v3, s13, -v9
	v_fmac_f32_e32 v9, 0x3377d1cf, v3
	v_fmac_f32_e32 v9, 0x3f317217, v3
	v_cmp_lt_f32_e64 s[4:5], |v3|, s14
	s_nop 1
	v_cndmask_b32_e64 v3, v3, v9, s[4:5]
	v_mov_b32_e32 v9, 0x41b17218
	v_cndmask_b32_e32 v10, 0, v9, vcc
	v_sub_f32_e32 v3, v3, v10
	v_cmp_lt_f32_e32 vcc, s12, v2
	s_nop 1
	v_cndmask_b32_e32 v2, v3, v2, vcc
	v_mul_f32_e32 v3, 0x4f800000, v2
	v_cmp_gt_f32_e32 vcc, s15, v2
	s_nop 1
	v_cndmask_b32_e32 v2, v2, v3, vcc
	v_sqrt_f32_e32 v3, v2
	s_nop 0
	v_add_u32_e32 v10, -1, v3
	v_fma_f32 v11, -v10, v3, v2
	v_cmp_ge_f32_e64 s[4:5], 0, v11
	v_add_u32_e32 v11, 1, v3
	s_nop 0
	v_cndmask_b32_e64 v10, v3, v10, s[4:5]
	v_fma_f32 v3, -v11, v3, v2
	v_cmp_lt_f32_e64 s[4:5], 0, v3
	s_nop 1
	v_cndmask_b32_e64 v3, v10, v11, s[4:5]
	v_mul_f32_e32 v10, 0x37800000, v3
	v_cndmask_b32_e32 v10, v3, v10, vcc
	v_mov_b32_e32 v3, 0x260
	v_cmp_class_f32_e64 s[4:5], v2, v3
	s_and_b64 vcc, exec, s[2:3]
	s_nop 0
	v_cndmask_b32_e64 v2, v10, v2, s[4:5]
	s_cbranch_vccnz .LBB495_10
; %bb.9:
	s_load_dword s4, s[10:11], 0x8
	s_waitcnt lgkmcnt(0)
	v_add_f32_e32 v2, s4, v2
.LBB495_10:
	v_and_b32_e32 v5, 0xffff0000, v5
	v_mul_f32_e32 v10, 0x3fb8aa3b, v5
	v_exp_f32_e32 v10, v10
	s_nop 0
	v_add_f32_e32 v10, 1.0, v10
	v_cmp_gt_f32_e32 vcc, s16, v10
	s_nop 1
	v_cndmask_b32_e32 v4, 1.0, v4, vcc
	v_mul_f32_e32 v4, v10, v4
	v_log_f32_e32 v4, v4
	v_cndmask_b32_e32 v9, 0, v9, vcc
	v_mul_f32_e32 v10, 0x3f317217, v4
	v_fma_f32 v10, v4, s13, -v10
	v_fmac_f32_e32 v10, 0x3377d1cf, v4
	v_fmac_f32_e32 v10, 0x3f317217, v4
	v_cmp_lt_f32_e64 vcc, |v4|, s14
	s_nop 1
	v_cndmask_b32_e32 v4, v4, v10, vcc
	v_sub_f32_e32 v4, v4, v9
	v_cmp_lt_f32_e32 vcc, s12, v5
	s_nop 1
	v_cndmask_b32_e32 v4, v4, v5, vcc
	v_mul_f32_e32 v5, 0x4f800000, v4
	v_cmp_gt_f32_e32 vcc, s15, v4
	s_nop 1
	v_cndmask_b32_e32 v4, v4, v5, vcc
	v_sqrt_f32_e32 v5, v4
	s_nop 0
	v_add_u32_e32 v9, -1, v5
	v_add_u32_e32 v10, 1, v5
	v_fma_f32 v11, -v9, v5, v4
	v_fma_f32 v12, -v10, v5, v4
	v_cmp_ge_f32_e64 s[4:5], 0, v11
	s_nop 1
	v_cndmask_b32_e64 v5, v5, v9, s[4:5]
	v_cmp_lt_f32_e64 s[4:5], 0, v12
	s_nop 1
	v_cndmask_b32_e64 v5, v5, v10, s[4:5]
	v_mul_f32_e32 v9, 0x37800000, v5
	v_cndmask_b32_e32 v5, v5, v9, vcc
	v_cmp_class_f32_e64 s[4:5], v4, v3
	s_and_b64 vcc, exec, s[2:3]
	s_nop 0
	v_cndmask_b32_e64 v3, v5, v4, s[4:5]
	s_cbranch_vccnz .LBB495_12
; %bb.11:
	s_load_dword s4, s[10:11], 0xc
	s_waitcnt lgkmcnt(0)
	v_add_f32_e32 v3, s4, v3
.LBB495_12:
	v_lshlrev_b32_e32 v4, 16, v6
	v_mul_f32_e32 v5, 0x3fb8aa3b, v4
	v_exp_f32_e32 v5, v5
	v_mov_b32_e32 v9, 0x4f800000
	v_add_f32_e32 v5, 1.0, v5
	v_cmp_gt_f32_e32 vcc, s16, v5
	s_nop 1
	v_cndmask_b32_e32 v10, 1.0, v9, vcc
	v_mul_f32_e32 v5, v5, v10
	v_log_f32_e32 v5, v5
	s_nop 0
	v_mul_f32_e32 v10, 0x3f317217, v5
	v_fma_f32 v10, v5, s13, -v10
	v_fmac_f32_e32 v10, 0x3377d1cf, v5
	v_fmac_f32_e32 v10, 0x3f317217, v5
	v_cmp_lt_f32_e64 s[4:5], |v5|, s14
	s_nop 1
	v_cndmask_b32_e64 v5, v5, v10, s[4:5]
	v_mov_b32_e32 v10, 0x41b17218
	v_cndmask_b32_e32 v11, 0, v10, vcc
	v_sub_f32_e32 v5, v5, v11
	v_cmp_lt_f32_e32 vcc, s12, v4
	s_nop 1
	v_cndmask_b32_e32 v4, v5, v4, vcc
	v_mul_f32_e32 v5, 0x4f800000, v4
	v_cmp_gt_f32_e32 vcc, s15, v4
	s_nop 1
	v_cndmask_b32_e32 v4, v4, v5, vcc
	v_sqrt_f32_e32 v5, v4
	s_nop 0
	v_add_u32_e32 v11, -1, v5
	v_fma_f32 v12, -v11, v5, v4
	v_cmp_ge_f32_e64 s[4:5], 0, v12
	v_add_u32_e32 v12, 1, v5
	s_nop 0
	v_cndmask_b32_e64 v11, v5, v11, s[4:5]
	v_fma_f32 v5, -v12, v5, v4
	v_cmp_lt_f32_e64 s[4:5], 0, v5
	s_nop 1
	v_cndmask_b32_e64 v5, v11, v12, s[4:5]
	v_mul_f32_e32 v11, 0x37800000, v5
	v_cndmask_b32_e32 v11, v5, v11, vcc
	v_mov_b32_e32 v5, 0x260
	v_cmp_class_f32_e64 s[4:5], v4, v5
	s_and_b64 vcc, exec, s[2:3]
	s_nop 0
	v_cndmask_b32_e64 v4, v11, v4, s[4:5]
	s_cbranch_vccnz .LBB495_14
; %bb.13:
	s_load_dword s4, s[10:11], 0x10
	s_waitcnt lgkmcnt(0)
	v_add_f32_e32 v4, s4, v4
.LBB495_14:
	v_and_b32_e32 v6, 0xffff0000, v6
	v_mul_f32_e32 v11, 0x3fb8aa3b, v6
	v_exp_f32_e32 v11, v11
	s_nop 0
	v_add_f32_e32 v11, 1.0, v11
	v_cmp_gt_f32_e32 vcc, s16, v11
	s_nop 1
	v_cndmask_b32_e32 v9, 1.0, v9, vcc
	v_mul_f32_e32 v9, v11, v9
	v_log_f32_e32 v9, v9
	v_cndmask_b32_e32 v10, 0, v10, vcc
	v_mul_f32_e32 v11, 0x3f317217, v9
	v_fma_f32 v11, v9, s13, -v11
	v_fmac_f32_e32 v11, 0x3377d1cf, v9
	v_fmac_f32_e32 v11, 0x3f317217, v9
	v_cmp_lt_f32_e64 vcc, |v9|, s14
	s_nop 1
	v_cndmask_b32_e32 v9, v9, v11, vcc
	v_sub_f32_e32 v9, v9, v10
	v_cmp_lt_f32_e32 vcc, s12, v6
	s_nop 1
	v_cndmask_b32_e32 v6, v9, v6, vcc
	v_mul_f32_e32 v9, 0x4f800000, v6
	v_cmp_gt_f32_e32 vcc, s15, v6
	s_nop 1
	v_cndmask_b32_e32 v6, v6, v9, vcc
	v_sqrt_f32_e32 v9, v6
	s_nop 0
	v_add_u32_e32 v10, -1, v9
	v_add_u32_e32 v11, 1, v9
	v_fma_f32 v12, -v10, v9, v6
	v_fma_f32 v13, -v11, v9, v6
	v_cmp_ge_f32_e64 s[4:5], 0, v12
	s_nop 1
	v_cndmask_b32_e64 v9, v9, v10, s[4:5]
	v_cmp_lt_f32_e64 s[4:5], 0, v13
	s_nop 1
	v_cndmask_b32_e64 v9, v9, v11, s[4:5]
	v_mul_f32_e32 v10, 0x37800000, v9
	v_cndmask_b32_e32 v9, v9, v10, vcc
	v_cmp_class_f32_e64 s[4:5], v6, v5
	s_and_b64 vcc, exec, s[2:3]
	s_nop 0
	v_cndmask_b32_e64 v5, v9, v6, s[4:5]
	s_cbranch_vccnz .LBB495_16
; %bb.15:
	s_load_dword s4, s[10:11], 0x14
	s_waitcnt lgkmcnt(0)
	v_add_f32_e32 v5, s4, v5
.LBB495_16:
	v_lshlrev_b32_e32 v6, 16, v7
	v_mul_f32_e32 v9, 0x3fb8aa3b, v6
	v_exp_f32_e32 v9, v9
	v_mov_b32_e32 v10, 0x4f800000
	v_add_f32_e32 v9, 1.0, v9
	v_cmp_gt_f32_e32 vcc, s16, v9
	s_nop 1
	v_cndmask_b32_e32 v11, 1.0, v10, vcc
	v_mul_f32_e32 v9, v9, v11
	v_log_f32_e32 v9, v9
	s_nop 0
	v_mul_f32_e32 v11, 0x3f317217, v9
	v_fma_f32 v11, v9, s13, -v11
	v_fmac_f32_e32 v11, 0x3377d1cf, v9
	v_fmac_f32_e32 v11, 0x3f317217, v9
	v_cmp_lt_f32_e64 s[4:5], |v9|, s14
	s_nop 1
	v_cndmask_b32_e64 v9, v9, v11, s[4:5]
	v_mov_b32_e32 v11, 0x41b17218
	v_cndmask_b32_e32 v12, 0, v11, vcc
	v_sub_f32_e32 v9, v9, v12
	v_cmp_lt_f32_e32 vcc, s12, v6
	s_nop 1
	v_cndmask_b32_e32 v6, v9, v6, vcc
	v_mul_f32_e32 v9, 0x4f800000, v6
	v_cmp_gt_f32_e32 vcc, s15, v6
	s_nop 1
	v_cndmask_b32_e32 v6, v6, v9, vcc
	v_sqrt_f32_e32 v9, v6
	s_nop 0
	v_add_u32_e32 v12, -1, v9
	v_fma_f32 v13, -v12, v9, v6
	v_cmp_ge_f32_e64 s[4:5], 0, v13
	v_add_u32_e32 v13, 1, v9
	s_nop 0
	v_cndmask_b32_e64 v12, v9, v12, s[4:5]
	v_fma_f32 v9, -v13, v9, v6
	v_cmp_lt_f32_e64 s[4:5], 0, v9
	s_nop 1
	v_cndmask_b32_e64 v9, v12, v13, s[4:5]
	v_mul_f32_e32 v12, 0x37800000, v9
	v_cndmask_b32_e32 v12, v9, v12, vcc
	v_mov_b32_e32 v9, 0x260
	v_cmp_class_f32_e64 s[4:5], v6, v9
	s_and_b64 vcc, exec, s[2:3]
	s_nop 0
	v_cndmask_b32_e64 v6, v12, v6, s[4:5]
	s_cbranch_vccnz .LBB495_18
; %bb.17:
	s_load_dword s4, s[10:11], 0x18
	s_waitcnt lgkmcnt(0)
	v_add_f32_e32 v6, s4, v6
.LBB495_18:
	v_and_b32_e32 v7, 0xffff0000, v7
	v_mul_f32_e32 v12, 0x3fb8aa3b, v7
	v_exp_f32_e32 v12, v12
	s_nop 0
	v_add_f32_e32 v12, 1.0, v12
	v_cmp_gt_f32_e32 vcc, s16, v12
	s_nop 1
	v_cndmask_b32_e32 v10, 1.0, v10, vcc
	v_mul_f32_e32 v10, v12, v10
	v_log_f32_e32 v10, v10
	v_cndmask_b32_e32 v11, 0, v11, vcc
	v_mul_f32_e32 v12, 0x3f317217, v10
	v_fma_f32 v12, v10, s13, -v12
	v_fmac_f32_e32 v12, 0x3377d1cf, v10
	v_fmac_f32_e32 v12, 0x3f317217, v10
	v_cmp_lt_f32_e64 vcc, |v10|, s14
	s_nop 1
	v_cndmask_b32_e32 v10, v10, v12, vcc
	v_sub_f32_e32 v10, v10, v11
	v_cmp_lt_f32_e32 vcc, s12, v7
	s_nop 1
	v_cndmask_b32_e32 v7, v10, v7, vcc
	v_mul_f32_e32 v10, 0x4f800000, v7
	v_cmp_gt_f32_e32 vcc, s15, v7
	s_nop 1
	v_cndmask_b32_e32 v7, v7, v10, vcc
	v_sqrt_f32_e32 v10, v7
	s_nop 0
	v_add_u32_e32 v11, -1, v10
	v_add_u32_e32 v12, 1, v10
	v_fma_f32 v13, -v11, v10, v7
	v_fma_f32 v14, -v12, v10, v7
	v_cmp_ge_f32_e64 s[4:5], 0, v13
	s_nop 1
	v_cndmask_b32_e64 v10, v10, v11, s[4:5]
	v_cmp_lt_f32_e64 s[4:5], 0, v14
	s_nop 1
	v_cndmask_b32_e64 v10, v10, v12, s[4:5]
	v_mul_f32_e32 v11, 0x37800000, v10
	v_cndmask_b32_e32 v10, v10, v11, vcc
	v_cmp_class_f32_e64 s[4:5], v7, v9
	s_and_b64 vcc, exec, s[2:3]
	s_nop 0
	v_cndmask_b32_e64 v7, v10, v7, s[4:5]
	s_cbranch_vccnz .LBB495_20
; %bb.19:
	s_load_dword s4, s[10:11], 0x1c
	s_waitcnt lgkmcnt(0)
	v_add_f32_e32 v7, s4, v7
.LBB495_20:
	s_load_dwordx4 s[12:15], s[0:1], 0x30
	s_mov_b32 s25, 0
	s_waitcnt lgkmcnt(0)
	s_bitcmp1_b32 s15, 0
	s_cselect_b64 s[4:5], -1, 0
	s_cmp_gt_i32 s12, 0
	s_cselect_b64 s[22:23], -1, 0
	s_and_b64 vcc, exec, s[22:23]
	v_mul_lo_u32 v10, v8, s12
	s_cbranch_vccz .LBB495_27
; %bb.21:
	s_load_dwordx4 s[16:19], s[0:1], 0x20
	v_mov_b32_e32 v13, 0
	v_mov_b32_e32 v11, 0xc61c4000
	;; [unrolled: 1-line block ×3, first 2 shown]
	s_branch .LBB495_23
.LBB495_22:                             ;   in Loop: Header=BB495_23 Depth=1
	v_add_f32_e32 v12, v9, v14
	v_cndmask_b32_e64 v9, v9, v12, s[4:5]
	s_cmp_lg_u32 s12, s25
	v_add_u32_e32 v8, s24, v8
	s_cbranch_scc0 .LBB495_28
.LBB495_23:                             ; =>This Inner Loop Header: Depth=1
	v_cmp_gt_f32_e32 vcc, v1, v0
	s_nop 1
	v_cndmask_b32_e32 v14, v0, v1, vcc
	v_cndmask_b32_e64 v12, 0, 1, vcc
	v_cmp_gt_f32_e32 vcc, v2, v14
	s_nop 1
	v_cndmask_b32_e32 v14, v14, v2, vcc
	v_cndmask_b32_e64 v12, v12, 2, vcc
	;; [unrolled: 4-line block ×6, first 2 shown]
	v_cmp_gt_f32_e64 s[0:1], v7, v14
	s_and_b64 vcc, exec, s[2:3]
	s_nop 0
	v_cndmask_b32_e64 v12, v12, 7, s[0:1]
	v_cndmask_b32_e64 v14, v14, v7, s[0:1]
	s_cbranch_vccnz .LBB495_25
; %bb.24:                               ;   in Loop: Header=BB495_23 Depth=1
	v_lshl_add_u64 v[16:17], v[12:13], 2, s[10:11]
	global_load_dword v15, v[16:17], off
	s_waitcnt vmcnt(0)
	v_sub_f32_e32 v14, v14, v15
.LBB495_25:                             ;   in Loop: Header=BB495_23 Depth=1
	v_add_u32_e32 v16, s25, v10
	v_ashrrev_i32_e32 v17, 31, v16
	v_cmp_le_i32_e32 vcc, s13, v12
	v_cmp_gt_i32_e64 s[0:1], s14, v12
	v_lshlrev_b64 v[18:19], 2, v[16:17]
	s_and_b64 s[0:1], vcc, s[0:1]
	v_lshl_add_u64 v[20:21], s[20:21], 0, v[18:19]
	v_subrev_u32_e32 v15, s13, v12
	global_store_dword v[20:21], v14, off
	v_ashrrev_i32_e32 v20, 31, v15
	s_and_b64 vcc, s[6:7], s[0:1]
	v_cndmask_b32_e32 v21, 0, v20, vcc
	v_cndmask_b32_e32 v20, 8, v15, vcc
	s_waitcnt lgkmcnt(0)
	v_lshl_add_u64 v[16:17], v[16:17], 3, s[16:17]
	s_add_i32 s25, s25, 1
	global_store_dwordx2 v[16:17], v[20:21], off
	v_lshl_add_u64 v[16:17], s[18:19], 0, v[18:19]
	s_cmp_ge_i32 s25, s12
	global_store_dword v[16:17], v8, off
	s_cbranch_scc1 .LBB495_22
; %bb.26:                               ;   in Loop: Header=BB495_23 Depth=1
	v_cmp_ne_u32_e32 vcc, 7, v12
	s_nop 1
	v_cndmask_b32_e32 v7, v11, v7, vcc
	v_cmp_ne_u32_e32 vcc, 6, v12
	s_nop 1
	v_cndmask_b32_e32 v6, v11, v6, vcc
	;; [unrolled: 3-line block ×8, first 2 shown]
	s_branch .LBB495_22
.LBB495_27:
	v_mov_b32_e32 v9, 0
.LBB495_28:
	s_andn2_b64 vcc, exec, s[4:5]
	v_cvt_f32_f64_e32 v0, s[8:9]
	s_cbranch_vccnz .LBB495_30
; %bb.29:
	v_cmp_lt_f32_e32 vcc, 0, v9
	s_nop 1
	v_cndmask_b32_e32 v1, 1.0, v9, vcc
	v_div_scale_f32 v2, s[0:1], v1, v1, v0
	v_rcp_f32_e32 v3, v2
	s_nop 0
	v_fma_f32 v4, -v2, v3, 1.0
	v_fmac_f32_e32 v3, v4, v3
	v_div_scale_f32 v4, vcc, v0, v1, v0
	v_mul_f32_e32 v5, v4, v3
	v_fma_f32 v6, -v2, v5, v4
	v_fmac_f32_e32 v5, v6, v3
	v_fma_f32 v2, -v2, v5, v4
	v_div_fmas_f32 v2, v2, v3, v5
	v_div_fixup_f32 v0, v2, v1, v0
.LBB495_30:
	s_andn2_b64 vcc, exec, s[22:23]
	s_cbranch_vccnz .LBB495_40
; %bb.31:
	s_cmp_gt_u32 s12, 3
	v_ashrrev_i32_e32 v11, 31, v10
	s_cbranch_scc0 .LBB495_35
; %bb.32:
	s_and_b32 s0, s12, 0x7ffffffc
	v_lshl_add_u64 v[2:3], v[10:11], 2, s[20:21]
	v_mov_b32_e32 v1, v0
	v_lshl_add_u64 v[2:3], v[2:3], 0, 8
	s_mov_b32 s1, s0
.LBB495_33:                             ; =>This Inner Loop Header: Depth=1
	global_load_dwordx4 v[4:7], v[2:3], off offset:-8
	s_add_i32 s1, s1, -4
	s_cmp_lg_u32 s1, 0
	s_waitcnt vmcnt(0)
	v_pk_mul_f32 v[4:5], v[0:1], v[4:5]
	v_pk_mul_f32 v[6:7], v[0:1], v[6:7]
	global_store_dwordx4 v[2:3], v[4:7], off offset:-8
	v_lshl_add_u64 v[2:3], v[2:3], 0, 16
	s_cbranch_scc1 .LBB495_33
; %bb.34:
	s_cmp_lg_u32 s0, s12
	s_cselect_b64 s[2:3], -1, 0
	s_branch .LBB495_37
.LBB495_35:
	s_mov_b64 s[2:3], 0
                                        ; implicit-def: $sgpr0
	s_cbranch_execz .LBB495_37
; %bb.36:
	s_mov_b64 s[2:3], -1
	s_mov_b32 s0, 0
.LBB495_37:
	s_andn2_b64 vcc, exec, s[2:3]
	s_cbranch_vccnz .LBB495_40
; %bb.38:
	s_mov_b32 s1, 0
	v_lshl_add_u64 v[2:3], v[10:11], 0, s[0:1]
	s_sub_i32 s2, s12, s0
	v_lshl_add_u64 v[2:3], v[2:3], 2, s[20:21]
.LBB495_39:                             ; =>This Inner Loop Header: Depth=1
	global_load_dword v1, v[2:3], off
	s_add_i32 s2, s2, -1
	s_cmp_lg_u32 s2, 0
	s_waitcnt vmcnt(0)
	v_mul_f32_e32 v1, v0, v1
	global_store_dword v[2:3], v1, off
	v_lshl_add_u64 v[2:3], v[2:3], 0, 4
	s_cbranch_scc1 .LBB495_39
.LBB495_40:
	s_endpgm
	.section	.rodata,"a",@progbits
	.p2align	6, 0x0
	.amdhsa_kernel _ZN4vllm3moe22topkGatingSoftplusSqrtILi8ELi8ELi4ELi16ELi32ELb0El14__hip_bfloat16EEvPKT6_PKbPfiPT5_PiiiibdPKfPKS9_SF_
		.amdhsa_group_segment_fixed_size 0
		.amdhsa_private_segment_fixed_size 0
		.amdhsa_kernarg_size 96
		.amdhsa_user_sgpr_count 2
		.amdhsa_user_sgpr_dispatch_ptr 0
		.amdhsa_user_sgpr_queue_ptr 0
		.amdhsa_user_sgpr_kernarg_segment_ptr 1
		.amdhsa_user_sgpr_dispatch_id 0
		.amdhsa_user_sgpr_kernarg_preload_length 0
		.amdhsa_user_sgpr_kernarg_preload_offset 0
		.amdhsa_user_sgpr_private_segment_size 0
		.amdhsa_uses_dynamic_stack 0
		.amdhsa_enable_private_segment 0
		.amdhsa_system_sgpr_workgroup_id_x 1
		.amdhsa_system_sgpr_workgroup_id_y 0
		.amdhsa_system_sgpr_workgroup_id_z 0
		.amdhsa_system_sgpr_workgroup_info 0
		.amdhsa_system_vgpr_workitem_id 1
		.amdhsa_next_free_vgpr 22
		.amdhsa_next_free_sgpr 26
		.amdhsa_accum_offset 24
		.amdhsa_reserve_vcc 1
		.amdhsa_float_round_mode_32 0
		.amdhsa_float_round_mode_16_64 0
		.amdhsa_float_denorm_mode_32 3
		.amdhsa_float_denorm_mode_16_64 3
		.amdhsa_dx10_clamp 1
		.amdhsa_ieee_mode 1
		.amdhsa_fp16_overflow 0
		.amdhsa_tg_split 0
		.amdhsa_exception_fp_ieee_invalid_op 0
		.amdhsa_exception_fp_denorm_src 0
		.amdhsa_exception_fp_ieee_div_zero 0
		.amdhsa_exception_fp_ieee_overflow 0
		.amdhsa_exception_fp_ieee_underflow 0
		.amdhsa_exception_fp_ieee_inexact 0
		.amdhsa_exception_int_div_zero 0
	.end_amdhsa_kernel
	.section	.text._ZN4vllm3moe22topkGatingSoftplusSqrtILi8ELi8ELi4ELi16ELi32ELb0El14__hip_bfloat16EEvPKT6_PKbPfiPT5_PiiiibdPKfPKS9_SF_,"axG",@progbits,_ZN4vllm3moe22topkGatingSoftplusSqrtILi8ELi8ELi4ELi16ELi32ELb0El14__hip_bfloat16EEvPKT6_PKbPfiPT5_PiiiibdPKfPKS9_SF_,comdat
.Lfunc_end495:
	.size	_ZN4vllm3moe22topkGatingSoftplusSqrtILi8ELi8ELi4ELi16ELi32ELb0El14__hip_bfloat16EEvPKT6_PKbPfiPT5_PiiiibdPKfPKS9_SF_, .Lfunc_end495-_ZN4vllm3moe22topkGatingSoftplusSqrtILi8ELi8ELi4ELi16ELi32ELb0El14__hip_bfloat16EEvPKT6_PKbPfiPT5_PiiiibdPKfPKS9_SF_
                                        ; -- End function
	.section	.AMDGPU.csdata,"",@progbits
; Kernel info:
; codeLenInByte = 3284
; NumSgprs: 32
; NumVgprs: 22
; NumAgprs: 0
; TotalNumVgprs: 22
; ScratchSize: 0
; MemoryBound: 0
; FloatMode: 240
; IeeeMode: 1
; LDSByteSize: 0 bytes/workgroup (compile time only)
; SGPRBlocks: 3
; VGPRBlocks: 2
; NumSGPRsForWavesPerEU: 32
; NumVGPRsForWavesPerEU: 22
; AccumOffset: 24
; Occupancy: 8
; WaveLimiterHint : 0
; COMPUTE_PGM_RSRC2:SCRATCH_EN: 0
; COMPUTE_PGM_RSRC2:USER_SGPR: 2
; COMPUTE_PGM_RSRC2:TRAP_HANDLER: 0
; COMPUTE_PGM_RSRC2:TGID_X_EN: 1
; COMPUTE_PGM_RSRC2:TGID_Y_EN: 0
; COMPUTE_PGM_RSRC2:TGID_Z_EN: 0
; COMPUTE_PGM_RSRC2:TIDIG_COMP_CNT: 1
; COMPUTE_PGM_RSRC3_GFX90A:ACCUM_OFFSET: 5
; COMPUTE_PGM_RSRC3_GFX90A:TG_SPLIT: 0
	.section	.text._ZN4vllm3moe22topkGatingSoftplusSqrtILi8ELi16ELi4ELi16ELi64ELb1El14__hip_bfloat16EEvPKT6_PKbPfiPT5_PiiiibdPKfPKS9_SF_,"axG",@progbits,_ZN4vllm3moe22topkGatingSoftplusSqrtILi8ELi16ELi4ELi16ELi64ELb1El14__hip_bfloat16EEvPKT6_PKbPfiPT5_PiiiibdPKfPKS9_SF_,comdat
	.protected	_ZN4vllm3moe22topkGatingSoftplusSqrtILi8ELi16ELi4ELi16ELi64ELb1El14__hip_bfloat16EEvPKT6_PKbPfiPT5_PiiiibdPKfPKS9_SF_ ; -- Begin function _ZN4vllm3moe22topkGatingSoftplusSqrtILi8ELi16ELi4ELi16ELi64ELb1El14__hip_bfloat16EEvPKT6_PKbPfiPT5_PiiiibdPKfPKS9_SF_
	.globl	_ZN4vllm3moe22topkGatingSoftplusSqrtILi8ELi16ELi4ELi16ELi64ELb1El14__hip_bfloat16EEvPKT6_PKbPfiPT5_PiiiibdPKfPKS9_SF_
	.p2align	8
	.type	_ZN4vllm3moe22topkGatingSoftplusSqrtILi8ELi16ELi4ELi16ELi64ELb1El14__hip_bfloat16EEvPKT6_PKbPfiPT5_PiiiibdPKfPKS9_SF_,@function
_ZN4vllm3moe22topkGatingSoftplusSqrtILi8ELi16ELi4ELi16ELi64ELb1El14__hip_bfloat16EEvPKT6_PKbPfiPT5_PiiiibdPKfPKS9_SF_: ; @_ZN4vllm3moe22topkGatingSoftplusSqrtILi8ELi16ELi4ELi16ELi64ELb1El14__hip_bfloat16EEvPKT6_PKbPfiPT5_PiiiibdPKfPKS9_SF_
; %bb.0:
	s_load_dword s3, s[0:1], 0x18
	v_bfe_u32 v1, v0, 10, 10
	v_and_b32_e32 v8, 0x3ff, v0
	s_lshl_b32 s2, s2, 7
	v_lshlrev_b32_e32 v1, 5, v1
	v_lshrrev_b32_e32 v0, 1, v8
	v_add3_u32 v6, s2, v1, v0
	s_waitcnt lgkmcnt(0)
	v_cmp_gt_i32_e32 vcc, s3, v6
	s_and_saveexec_b64 s[2:3], vcc
	s_cbranch_execz .LBB496_31
; %bb.1:
	s_load_dwordx4 s[8:11], s[0:1], 0x50
	s_load_dwordx2 s[2:3], s[0:1], 0x0
	s_load_dword s12, s[0:1], 0x30
	v_lshlrev_b32_e32 v0, 4, v6
	v_lshlrev_b32_e32 v4, 3, v8
	v_ashrrev_i32_e32 v1, 31, v0
	v_and_b32_e32 v12, 8, v4
	s_waitcnt lgkmcnt(0)
	v_mov_b32_e32 v2, s8
	v_mov_b32_e32 v3, s9
	v_lshl_add_u64 v[0:1], v[0:1], 1, s[2:3]
	v_lshlrev_b32_e32 v4, 1, v12
	v_mov_b32_e32 v5, 0
	v_ashrrev_i32_e32 v7, 31, v6
	v_lshl_add_u64 v[2:3], v[6:7], 3, v[2:3]
	v_lshl_add_u64 v[0:1], v[0:1], 0, v[4:5]
	global_load_dwordx2 v[10:11], v[2:3], off
	s_ashr_i32 s13, s12, 31
	global_load_dwordx4 v[0:3], v[0:1], off
	s_mov_b32 s23, 0x800000
	v_mov_b32_e32 v4, 0x4f800000
	s_mov_b32 s21, 0x3f317217
	s_mov_b32 s22, 0x7f800000
	v_mov_b32_e32 v7, 0x41b17218
	s_mov_b32 s17, 0x41a00000
	s_mov_b32 s20, 0xf800000
	v_mov_b32_e32 v9, 0x260
	v_cmp_lt_i64_e64 s[18:19], s[12:13], 1
	s_mov_b32 s16, 0
	v_cmp_gt_i64_e64 s[14:15], s[12:13], 0
	s_waitcnt vmcnt(1)
	v_mul_lo_u32 v11, v11, s12
	v_mul_lo_u32 v13, v10, s13
	s_waitcnt vmcnt(0)
	v_and_b32_e32 v18, 0xffff0000, v0
	v_lshlrev_b32_e32 v19, 16, v0
	v_and_b32_e32 v20, 0xffff0000, v1
	v_lshlrev_b32_e32 v21, 16, v1
	v_mul_f32_e32 v0, 0x3fb8aa3b, v19
	v_mul_f32_e32 v1, 0x3fb8aa3b, v18
	v_exp_f32_e32 v14, v0
	v_exp_f32_e32 v15, v1
	v_mul_f32_e32 v16, 0x3fb8aa3b, v21
	v_mul_f32_e32 v17, 0x3fb8aa3b, v20
	v_exp_f32_e32 v16, v16
	v_exp_f32_e32 v17, v17
	v_mad_u64_u32 v[0:1], s[2:3], v10, s12, 0
	v_add3_u32 v1, v1, v13, v11
	v_pk_add_f32 v[10:11], v[14:15], 1.0 op_sel_hi:[1,0]
	v_pk_add_f32 v[14:15], v[16:17], 1.0 op_sel_hi:[1,0]
	v_cmp_gt_f32_e32 vcc, s23, v11
	v_cmp_gt_f32_e64 s[2:3], s23, v10
	v_cmp_gt_f32_e64 s[6:7], s23, v14
	v_cndmask_b32_e32 v13, 1.0, v4, vcc
	v_cndmask_b32_e64 v16, 1.0, v4, s[2:3]
	v_mul_f32_e32 v11, v11, v13
	v_mul_f32_e32 v10, v10, v16
	v_log_f32_e32 v11, v11
	v_log_f32_e32 v10, v10
	v_cmp_gt_f32_e64 s[4:5], s23, v15
	v_cndmask_b32_e64 v22, 1.0, v4, s[6:7]
	v_mul_f32_e32 v14, v14, v22
	v_cndmask_b32_e64 v17, 1.0, v4, s[4:5]
	v_mul_f32_e32 v15, v15, v17
	v_log_f32_e32 v22, v14
	v_mul_f32_e32 v14, 0x3f317217, v11
	v_log_f32_e32 v17, v15
	v_mul_f32_e32 v15, 0x3f317217, v10
	v_fma_f32 v14, v11, s21, -v14
	v_fma_f32 v15, v10, s21, -v15
	v_fmac_f32_e32 v14, 0x3377d1cf, v11
	v_cndmask_b32_e32 v13, 0, v7, vcc
	v_fmac_f32_e32 v15, 0x3377d1cf, v10
	v_fmac_f32_e32 v14, 0x3f317217, v11
	v_cmp_lt_f32_e64 vcc, |v11|, s22
	v_fmac_f32_e32 v15, 0x3f317217, v10
	v_cndmask_b32_e64 v16, 0, v7, s[2:3]
	v_cndmask_b32_e32 v11, v11, v14, vcc
	v_cmp_lt_f32_e64 vcc, |v10|, s22
	v_sub_f32_e32 v11, v11, v13
	v_mul_f32_e32 v23, 0x3f317217, v17
	v_cndmask_b32_e32 v10, v10, v15, vcc
	v_sub_f32_e32 v10, v10, v16
	v_cmp_lt_f32_e32 vcc, s17, v19
	v_fma_f32 v23, v17, s21, -v23
	v_fmac_f32_e32 v23, 0x3377d1cf, v17
	v_cndmask_b32_e32 v10, v10, v19, vcc
	v_cmp_lt_f32_e32 vcc, s17, v18
	v_mul_f32_e32 v14, 0x4f800000, v10
	v_cmp_gt_f32_e64 s[2:3], s20, v10
	v_cndmask_b32_e32 v11, v11, v18, vcc
	v_mul_f32_e32 v13, 0x4f800000, v11
	v_cmp_gt_f32_e32 vcc, s20, v11
	v_cndmask_b32_e64 v10, v10, v14, s[2:3]
	v_sqrt_f32_e32 v14, v10
	v_cndmask_b32_e32 v11, v11, v13, vcc
	v_sqrt_f32_e32 v13, v11
	v_fmac_f32_e32 v23, 0x3f317217, v17
	v_add_u32_e32 v18, -1, v14
	v_fma_f32 v26, -v18, v14, v10
	v_add_u32_e32 v15, -1, v13
	v_fma_f32 v24, -v15, v13, v11
	v_add_u32_e32 v16, 1, v13
	v_cmp_ge_f32_e64 s[8:9], 0, v24
	v_add_u32_e32 v19, 1, v14
	v_fma_f32 v25, -v16, v13, v11
	v_cndmask_b32_e64 v13, v13, v15, s[8:9]
	v_cmp_ge_f32_e64 s[8:9], 0, v26
	v_fma_f32 v27, -v19, v14, v10
	s_nop 0
	v_cndmask_b32_e64 v14, v14, v18, s[8:9]
	v_cmp_lt_f32_e64 s[8:9], 0, v25
	s_nop 1
	v_cndmask_b32_e64 v13, v13, v16, s[8:9]
	v_cmp_lt_f32_e64 s[8:9], 0, v27
	v_mul_f32_e32 v15, 0x37800000, v13
	v_cndmask_b32_e32 v13, v13, v15, vcc
	v_cndmask_b32_e64 v14, v14, v19, s[8:9]
	v_mul_f32_e32 v16, 0x37800000, v14
	v_cmp_class_f32_e32 vcc, v11, v9
	v_cndmask_b32_e64 v14, v14, v16, s[2:3]
	v_cmp_lt_f32_e64 s[2:3], s17, v21
	v_cndmask_b32_e32 v15, v13, v11, vcc
	v_cmp_class_f32_e32 vcc, v10, v9
	v_cndmask_b32_e64 v11, 0, v7, s[4:5]
	v_cndmask_b32_e64 v13, 0, v7, s[6:7]
	v_cndmask_b32_e32 v14, v14, v10, vcc
	v_cmp_lt_f32_e64 vcc, |v17|, s22
	s_nop 1
	v_cndmask_b32_e32 v10, v17, v23, vcc
	v_sub_f32_e32 v10, v10, v11
	v_mul_f32_e32 v11, 0x3f317217, v22
	v_fma_f32 v11, v22, s21, -v11
	v_fmac_f32_e32 v11, 0x3377d1cf, v22
	v_fmac_f32_e32 v11, 0x3f317217, v22
	v_cmp_lt_f32_e64 vcc, |v22|, s22
	s_nop 1
	v_cndmask_b32_e32 v11, v22, v11, vcc
	v_cmp_lt_f32_e32 vcc, s17, v20
	v_sub_f32_e32 v11, v11, v13
	v_cndmask_b32_e64 v11, v11, v21, s[2:3]
	v_cndmask_b32_e32 v10, v10, v20, vcc
	v_mul_f32_e32 v16, 0x4f800000, v10
	v_cmp_gt_f32_e32 vcc, s20, v10
	v_and_b32_e32 v20, 0xffff0000, v2
	v_lshlrev_b32_e32 v2, 16, v2
	v_cndmask_b32_e32 v10, v10, v16, vcc
	v_sqrt_f32_e32 v16, v10
	s_nop 0
	v_add_u32_e32 v13, -1, v16
	v_fma_f32 v17, -v13, v16, v10
	v_cmp_ge_f32_e64 s[2:3], 0, v17
	v_add_u32_e32 v17, 1, v16
	s_nop 0
	v_cndmask_b32_e64 v13, v16, v13, s[2:3]
	v_fma_f32 v16, -v17, v16, v10
	v_cmp_lt_f32_e64 s[2:3], 0, v16
	s_nop 1
	v_cndmask_b32_e64 v13, v13, v17, s[2:3]
	v_mul_f32_e32 v17, 0x4f800000, v11
	v_cmp_gt_f32_e64 s[2:3], s20, v11
	v_mul_f32_e32 v16, 0x37800000, v13
	v_cndmask_b32_e32 v13, v13, v16, vcc
	v_cndmask_b32_e64 v18, v11, v17, s[2:3]
	v_sqrt_f32_e32 v11, v18
	v_cmp_class_f32_e32 vcc, v10, v9
	v_add_u32_e32 v16, 1, v11
	s_nop 0
	v_cndmask_b32_e32 v17, v13, v10, vcc
	v_add_u32_e32 v10, -1, v11
	v_fma_f32 v13, -v10, v11, v18
	v_cmp_ge_f32_e32 vcc, 0, v13
	v_fma_f32 v19, -v16, v11, v18
	s_nop 0
	v_cndmask_b32_e32 v13, v11, v10, vcc
	v_mul_f32_e32 v10, 0x3fb8aa3b, v2
	v_mul_f32_e32 v11, 0x3fb8aa3b, v20
	v_exp_f32_e32 v10, v10
	v_exp_f32_e32 v11, v11
	v_cmp_lt_f32_e32 vcc, 0, v19
	v_pk_add_f32 v[10:11], v[10:11], 1.0 op_sel_hi:[1,0]
	s_nop 0
	v_cndmask_b32_e32 v13, v13, v16, vcc
	v_mul_f32_e32 v16, 0x37800000, v13
	v_cmp_gt_f32_e32 vcc, s23, v11
	v_cndmask_b32_e64 v13, v13, v16, s[2:3]
	v_cmp_class_f32_e64 s[2:3], v18, v9
	v_cndmask_b32_e32 v16, 1.0, v4, vcc
	v_mul_f32_e32 v11, v11, v16
	v_log_f32_e32 v11, v11
	v_cndmask_b32_e64 v16, v13, v18, s[2:3]
	v_cmp_gt_f32_e64 s[2:3], s23, v10
	scratch_store_dwordx4 off, v[14:17], off
	v_mul_f32_e32 v13, 0x3f317217, v11
	v_fma_f32 v13, v11, s21, -v13
	v_cndmask_b32_e64 v14, 1.0, v4, s[2:3]
	v_mul_f32_e32 v10, v10, v14
	v_log_f32_e32 v10, v10
	v_fmac_f32_e32 v13, 0x3377d1cf, v11
	v_fmac_f32_e32 v13, 0x3f317217, v11
	v_cmp_lt_f32_e64 s[4:5], |v11|, s22
	v_and_b32_e32 v16, 0xffff0000, v3
	v_lshlrev_b32_e32 v17, 16, v3
	v_cndmask_b32_e64 v11, v11, v13, s[4:5]
	v_cndmask_b32_e32 v13, 0, v7, vcc
	v_sub_f32_e32 v11, v11, v13
	v_mul_f32_e32 v13, 0x3f317217, v10
	v_fma_f32 v13, v10, s21, -v13
	v_fmac_f32_e32 v13, 0x3377d1cf, v10
	v_fmac_f32_e32 v13, 0x3f317217, v10
	v_cmp_lt_f32_e64 vcc, |v10|, s22
	v_mul_f32_e32 v3, 0x3fb8aa3b, v16
	v_exp_f32_e32 v3, v3
	v_cndmask_b32_e32 v10, v10, v13, vcc
	v_cmp_lt_f32_e32 vcc, s17, v20
	v_cndmask_b32_e64 v13, 0, v7, s[2:3]
	v_sub_f32_e32 v10, v10, v13
	v_cndmask_b32_e32 v11, v11, v20, vcc
	v_mul_f32_e32 v14, 0x4f800000, v11
	v_cmp_gt_f32_e32 vcc, s20, v11
	v_cmp_lt_f32_e64 s[2:3], s17, v2
	s_nop 0
	v_cndmask_b32_e32 v11, v11, v14, vcc
	v_sqrt_f32_e32 v14, v11
	v_cndmask_b32_e64 v2, v10, v2, s[2:3]
	v_add_u32_e32 v10, -1, v14
	v_fma_f32 v13, -v10, v14, v11
	v_cmp_ge_f32_e64 s[2:3], 0, v13
	v_add_u32_e32 v13, 1, v14
	s_nop 0
	v_cndmask_b32_e64 v10, v14, v10, s[2:3]
	v_fma_f32 v14, -v13, v14, v11
	v_cmp_lt_f32_e64 s[2:3], 0, v14
	v_mul_f32_e32 v14, 0x4f800000, v2
	s_nop 0
	v_cndmask_b32_e64 v10, v10, v13, s[2:3]
	v_cmp_gt_f32_e64 s[2:3], s20, v2
	v_mul_f32_e32 v13, 0x37800000, v10
	v_cndmask_b32_e32 v10, v10, v13, vcc
	v_cndmask_b32_e64 v14, v2, v14, s[2:3]
	v_sqrt_f32_e32 v2, v14
	v_cmp_class_f32_e32 vcc, v11, v9
	s_nop 1
	v_cndmask_b32_e32 v15, v10, v11, vcc
	v_add_u32_e32 v10, -1, v2
	v_fma_f32 v11, -v10, v2, v14
	v_cmp_ge_f32_e32 vcc, 0, v11
	v_add_u32_e32 v11, 1, v2
	v_fma_f32 v13, -v11, v2, v14
	v_cndmask_b32_e32 v10, v2, v10, vcc
	v_mul_f32_e32 v2, 0x3fb8aa3b, v17
	v_exp_f32_e32 v2, v2
	v_cmp_lt_f32_e32 vcc, 0, v13
	v_pk_add_f32 v[2:3], v[2:3], 1.0 op_sel_hi:[1,0]
	s_nop 0
	v_cndmask_b32_e32 v10, v10, v11, vcc
	v_cmp_gt_f32_e32 vcc, s23, v3
	v_mul_f32_e32 v11, 0x37800000, v10
	v_cndmask_b32_e64 v10, v10, v11, s[2:3]
	v_cndmask_b32_e32 v13, 1.0, v4, vcc
	v_mul_f32_e32 v3, v3, v13
	v_log_f32_e32 v3, v3
	v_cmp_class_f32_e64 s[2:3], v14, v9
	v_cmp_lt_f32_e64 s[4:5], |v3|, s22
	s_nop 0
	v_cndmask_b32_e64 v14, v10, v14, s[2:3]
	v_cmp_gt_f32_e64 s[2:3], s23, v2
	v_mul_f32_e32 v10, 0x3f317217, v3
	v_fma_f32 v10, v3, s21, -v10
	v_cndmask_b32_e64 v4, 1.0, v4, s[2:3]
	v_mul_f32_e32 v2, v2, v4
	v_log_f32_e32 v2, v2
	v_fmac_f32_e32 v10, 0x3377d1cf, v3
	v_fmac_f32_e32 v10, 0x3f317217, v3
	v_cndmask_b32_e64 v3, v3, v10, s[4:5]
	v_cndmask_b32_e32 v4, 0, v7, vcc
	v_sub_f32_e32 v3, v3, v4
	v_mul_f32_e32 v4, 0x3f317217, v2
	v_fma_f32 v4, v2, s21, -v4
	v_fmac_f32_e32 v4, 0x3377d1cf, v2
	v_fmac_f32_e32 v4, 0x3f317217, v2
	v_cmp_lt_f32_e64 vcc, |v2|, s22
	s_nop 1
	v_cndmask_b32_e32 v2, v2, v4, vcc
	v_cmp_lt_f32_e32 vcc, s17, v16
	v_cndmask_b32_e64 v4, 0, v7, s[2:3]
	v_sub_f32_e32 v2, v2, v4
	v_cndmask_b32_e32 v3, v3, v16, vcc
	v_mul_f32_e32 v7, 0x4f800000, v3
	v_cmp_gt_f32_e32 vcc, s20, v3
	v_cmp_lt_f32_e64 s[2:3], s17, v17
	s_nop 0
	v_cndmask_b32_e32 v3, v3, v7, vcc
	v_sqrt_f32_e32 v7, v3
	v_cndmask_b32_e64 v2, v2, v17, s[2:3]
	v_add_u32_e32 v4, -1, v7
	v_fma_f32 v10, -v4, v7, v3
	v_cmp_ge_f32_e64 s[2:3], 0, v10
	v_add_u32_e32 v10, 1, v7
	s_nop 0
	v_cndmask_b32_e64 v4, v7, v4, s[2:3]
	v_fma_f32 v7, -v10, v7, v3
	v_cmp_lt_f32_e64 s[2:3], 0, v7
	s_nop 1
	v_cndmask_b32_e64 v4, v4, v10, s[2:3]
	v_mul_f32_e32 v10, 0x4f800000, v2
	v_cmp_gt_f32_e64 s[2:3], s20, v2
	v_mul_f32_e32 v7, 0x37800000, v4
	v_cndmask_b32_e32 v4, v4, v7, vcc
	v_cndmask_b32_e64 v2, v2, v10, s[2:3]
	v_sqrt_f32_e32 v10, v2
	v_cmp_class_f32_e32 vcc, v3, v9
	s_nop 1
	v_cndmask_b32_e32 v17, v4, v3, vcc
	v_add_u32_e32 v3, -1, v10
	v_fma_f32 v4, -v3, v10, v2
	v_cmp_ge_f32_e32 vcc, 0, v4
	v_add_u32_e32 v4, 1, v10
	v_fma_f32 v7, -v4, v10, v2
	v_cndmask_b32_e32 v3, v10, v3, vcc
	v_cmp_lt_f32_e32 vcc, 0, v7
	s_nop 1
	v_cndmask_b32_e32 v3, v3, v4, vcc
	v_mul_f32_e32 v4, 0x37800000, v3
	v_cndmask_b32_e64 v3, v3, v4, s[2:3]
	v_cmp_class_f32_e32 vcc, v2, v9
	s_nop 1
	v_cndmask_b32_e32 v16, v3, v2, vcc
	v_lshl_add_u64 v[2:3], v[0:1], 3, s[10:11]
	s_and_b64 vcc, exec, s[18:19]
	v_mul_lo_u32 v0, v6, s12
	scratch_store_dwordx4 off, v[14:17], off offset:16
	s_cbranch_vccnz .LBB496_28
; %bb.2:
	s_load_dwordx2 s[4:5], s[0:1], 0x20
	s_cmp_lt_u32 s12, 4
	v_and_b32_e32 v4, 1, v8
	s_cbranch_scc1 .LBB496_21
; %bb.3:
	v_lshlrev_b32_e32 v5, 3, v4
	s_mov_b32 s7, 0
	s_and_b32 s16, s12, 0x7ffffffc
	v_ashrrev_i32_e32 v1, 31, v0
	v_sub_u32_e32 v13, 0, v5
	v_mov_b32_e32 v5, 0
	s_mov_b32 s6, s7
	s_branch .LBB496_5
.LBB496_4:                              ;   in Loop: Header=BB496_5 Depth=1
	s_or_b64 exec, exec, s[8:9]
	s_add_i32 s6, s6, 4
	s_cmp_eq_u32 s6, s16
	s_cbranch_scc1 .LBB496_21
.LBB496_5:                              ; =>This Loop Header: Depth=1
                                        ;     Child Loop BB496_7 Depth 2
                                        ;     Child Loop BB496_11 Depth 2
	;; [unrolled: 1-line block ×4, first 2 shown]
	v_lshl_add_u64 v[6:7], s[6:7], 3, v[2:3]
	global_load_dwordx2 v[8:9], v[6:7], off
	v_add_u32_e32 v10, s6, v0
	v_ashrrev_i32_e32 v11, 31, v10
	v_mov_b32_e32 v14, 0
	s_mov_b64 s[8:9], 0
	s_waitcnt lgkmcnt(0)
	v_lshl_add_u64 v[10:11], v[10:11], 3, s[4:5]
	s_mov_b32 s13, 0
	s_waitcnt vmcnt(0)
	v_ashrrev_i32_e32 v9, 31, v8
	v_add_u32_e32 v15, v13, v8
	s_branch .LBB496_7
.LBB496_6:                              ;   in Loop: Header=BB496_7 Depth=2
	s_or_b64 exec, exec, s[10:11]
	s_add_i32 s17, s13, 1
	s_cmp_gt_u32 s13, 6
	s_cselect_b64 s[2:3], -1, 0
	s_xor_b64 s[10:11], vcc, -1
	s_or_b64 s[2:3], s[10:11], s[2:3]
	s_and_b64 s[2:3], exec, s[2:3]
	v_add_u32_e32 v14, 4, v14
	s_or_b64 s[8:9], s[2:3], s[8:9]
	s_mov_b32 s13, s17
	s_andn2_b64 exec, exec, s[8:9]
	s_cbranch_execz .LBB496_9
.LBB496_7:                              ;   Parent Loop BB496_5 Depth=1
                                        ; =>  This Inner Loop Header: Depth=2
	v_cmp_ne_u32_e32 vcc, s13, v15
	v_cmp_eq_u32_e64 s[2:3], s13, v15
	s_and_saveexec_b64 s[10:11], s[2:3]
	s_cbranch_execz .LBB496_6
; %bb.8:                                ;   in Loop: Header=BB496_7 Depth=2
	scratch_load_dword v16, v14, off
	s_waitcnt vmcnt(0)
	v_add_f32_e32 v5, v5, v16
	global_store_dwordx2 v[10:11], v[8:9], off
	s_branch .LBB496_6
.LBB496_9:                              ;   in Loop: Header=BB496_5 Depth=1
	s_or_b64 exec, exec, s[8:9]
	global_load_dwordx2 v[10:11], v[6:7], off offset:8
	s_ashr_i32 s3, s6, 31
	s_mov_b32 s2, s6
	v_lshl_add_u64 v[8:9], s[2:3], 0, v[0:1]
	v_mov_b32_e32 v14, 0
	s_mov_b32 s13, 0
	v_lshl_add_u64 v[8:9], v[8:9], 3, s[4:5]
	s_mov_b64 s[8:9], 0
	s_waitcnt vmcnt(0)
	v_ashrrev_i32_e32 v11, 31, v10
	v_add_u32_e32 v15, v13, v10
	s_branch .LBB496_11
.LBB496_10:                             ;   in Loop: Header=BB496_11 Depth=2
	s_or_b64 exec, exec, s[10:11]
	s_add_i32 s17, s13, 1
	s_cmp_gt_u32 s13, 6
	s_cselect_b64 s[2:3], -1, 0
	s_xor_b64 s[10:11], vcc, -1
	s_or_b64 s[2:3], s[10:11], s[2:3]
	s_and_b64 s[2:3], exec, s[2:3]
	v_add_u32_e32 v14, 4, v14
	s_or_b64 s[8:9], s[2:3], s[8:9]
	s_mov_b32 s13, s17
	s_andn2_b64 exec, exec, s[8:9]
	s_cbranch_execz .LBB496_13
.LBB496_11:                             ;   Parent Loop BB496_5 Depth=1
                                        ; =>  This Inner Loop Header: Depth=2
	v_cmp_ne_u32_e32 vcc, s13, v15
	v_cmp_eq_u32_e64 s[2:3], s13, v15
	s_and_saveexec_b64 s[10:11], s[2:3]
	s_cbranch_execz .LBB496_10
; %bb.12:                               ;   in Loop: Header=BB496_11 Depth=2
	scratch_load_dword v16, v14, off
	s_waitcnt vmcnt(0)
	v_add_f32_e32 v5, v5, v16
	global_store_dwordx2 v[8:9], v[10:11], off offset:8
	s_branch .LBB496_10
.LBB496_13:                             ;   in Loop: Header=BB496_5 Depth=1
	s_or_b64 exec, exec, s[8:9]
	global_load_dwordx2 v[10:11], v[6:7], off offset:16
	v_mov_b32_e32 v14, 0
	s_mov_b32 s13, 0
	s_mov_b64 s[8:9], 0
	s_waitcnt vmcnt(0)
	v_ashrrev_i32_e32 v11, 31, v10
	v_add_u32_e32 v15, v13, v10
	s_branch .LBB496_15
.LBB496_14:                             ;   in Loop: Header=BB496_15 Depth=2
	s_or_b64 exec, exec, s[10:11]
	s_add_i32 s17, s13, 1
	s_cmp_gt_u32 s13, 6
	s_cselect_b64 s[2:3], -1, 0
	s_xor_b64 s[10:11], vcc, -1
	s_or_b64 s[2:3], s[10:11], s[2:3]
	s_and_b64 s[2:3], exec, s[2:3]
	v_add_u32_e32 v14, 4, v14
	s_or_b64 s[8:9], s[2:3], s[8:9]
	s_mov_b32 s13, s17
	s_andn2_b64 exec, exec, s[8:9]
	s_cbranch_execz .LBB496_17
.LBB496_15:                             ;   Parent Loop BB496_5 Depth=1
                                        ; =>  This Inner Loop Header: Depth=2
	v_cmp_ne_u32_e32 vcc, s13, v15
	v_cmp_eq_u32_e64 s[2:3], s13, v15
	s_and_saveexec_b64 s[10:11], s[2:3]
	s_cbranch_execz .LBB496_14
; %bb.16:                               ;   in Loop: Header=BB496_15 Depth=2
	scratch_load_dword v16, v14, off
	s_waitcnt vmcnt(0)
	v_add_f32_e32 v5, v5, v16
	global_store_dwordx2 v[8:9], v[10:11], off offset:16
	s_branch .LBB496_14
.LBB496_17:                             ;   in Loop: Header=BB496_5 Depth=1
	s_or_b64 exec, exec, s[8:9]
	global_load_dwordx2 v[6:7], v[6:7], off offset:24
	v_mov_b32_e32 v10, 0
	s_mov_b32 s13, 0
	s_mov_b64 s[8:9], 0
	s_waitcnt vmcnt(0)
	v_ashrrev_i32_e32 v7, 31, v6
	v_add_u32_e32 v11, v13, v6
	s_branch .LBB496_19
.LBB496_18:                             ;   in Loop: Header=BB496_19 Depth=2
	s_or_b64 exec, exec, s[10:11]
	s_add_i32 s17, s13, 1
	s_cmp_gt_u32 s13, 6
	s_cselect_b64 s[2:3], -1, 0
	s_xor_b64 s[10:11], vcc, -1
	s_or_b64 s[2:3], s[10:11], s[2:3]
	s_and_b64 s[2:3], exec, s[2:3]
	v_add_u32_e32 v10, 4, v10
	s_or_b64 s[8:9], s[2:3], s[8:9]
	s_mov_b32 s13, s17
	s_andn2_b64 exec, exec, s[8:9]
	s_cbranch_execz .LBB496_4
.LBB496_19:                             ;   Parent Loop BB496_5 Depth=1
                                        ; =>  This Inner Loop Header: Depth=2
	v_cmp_ne_u32_e32 vcc, s13, v11
	v_cmp_eq_u32_e64 s[2:3], s13, v11
	s_and_saveexec_b64 s[10:11], s[2:3]
	s_cbranch_execz .LBB496_18
; %bb.20:                               ;   in Loop: Header=BB496_19 Depth=2
	scratch_load_dword v14, v10, off
	s_waitcnt vmcnt(0)
	v_add_f32_e32 v5, v5, v14
	global_store_dwordx2 v[8:9], v[6:7], off offset:24
	s_branch .LBB496_18
.LBB496_21:
	s_and_b32 s10, s12, 3
	s_cmp_eq_u32 s10, 0
	s_mov_b32 s17, 0
	s_cbranch_scc1 .LBB496_28
; %bb.22:
	v_lshlrev_b32_e32 v1, 3, v4
	v_sub_u32_e32 v1, 0, v1
	s_mov_b32 s11, s17
	s_branch .LBB496_24
.LBB496_23:                             ;   in Loop: Header=BB496_24 Depth=1
	s_or_b64 exec, exec, s[6:7]
	s_add_i32 s16, s16, 1
	s_add_i32 s11, s11, 1
	s_cmp_lg_u32 s11, s10
	s_cbranch_scc0 .LBB496_28
.LBB496_24:                             ; =>This Loop Header: Depth=1
                                        ;     Child Loop BB496_26 Depth 2
	v_lshl_add_u64 v[6:7], s[16:17], 3, v[2:3]
	global_load_dwordx2 v[6:7], v[6:7], off
	v_add_u32_e32 v8, s16, v0
	v_ashrrev_i32_e32 v9, 31, v8
	v_mov_b32_e32 v4, 0
	s_mov_b32 s13, 0
	s_waitcnt lgkmcnt(0)
	v_lshl_add_u64 v[8:9], v[8:9], 3, s[4:5]
	s_mov_b64 s[6:7], 0
	s_waitcnt vmcnt(0)
	v_ashrrev_i32_e32 v7, 31, v6
	v_add_u32_e32 v10, v1, v6
	s_branch .LBB496_26
.LBB496_25:                             ;   in Loop: Header=BB496_26 Depth=2
	s_or_b64 exec, exec, s[8:9]
	s_add_i32 s18, s13, 1
	s_cmp_gt_u32 s13, 6
	s_cselect_b64 s[2:3], -1, 0
	s_xor_b64 s[8:9], vcc, -1
	s_or_b64 s[2:3], s[8:9], s[2:3]
	s_and_b64 s[2:3], exec, s[2:3]
	v_add_u32_e32 v4, 4, v4
	s_or_b64 s[6:7], s[2:3], s[6:7]
	s_mov_b32 s13, s18
	s_andn2_b64 exec, exec, s[6:7]
	s_cbranch_execz .LBB496_23
.LBB496_26:                             ;   Parent Loop BB496_24 Depth=1
                                        ; =>  This Inner Loop Header: Depth=2
	v_cmp_ne_u32_e32 vcc, s13, v10
	v_cmp_eq_u32_e64 s[2:3], s13, v10
	s_and_saveexec_b64 s[8:9], s[2:3]
	s_cbranch_execz .LBB496_25
; %bb.27:                               ;   in Loop: Header=BB496_26 Depth=2
	scratch_load_dword v11, v4, off
	s_waitcnt vmcnt(0)
	v_add_f32_e32 v5, v5, v11
	global_store_dwordx2 v[8:9], v[6:7], off
	s_branch .LBB496_25
.LBB496_28:
	s_waitcnt lgkmcnt(0)
	s_load_dword s4, s[0:1], 0x3c
	s_waitcnt lgkmcnt(0)
	s_bitcmp1_b32 s4, 0
	s_cselect_b64 s[2:3], -1, 0
	s_bitcmp0_b32 s4, 0
	s_cbranch_scc0 .LBB496_32
; %bb.29:
	s_load_dwordx2 s[4:5], s[0:1], 0x40
	s_andn2_b64 vcc, exec, s[2:3]
	s_waitcnt lgkmcnt(0)
	v_cvt_f32_f64_e32 v8, s[4:5]
	s_cbranch_vccz .LBB496_33
.LBB496_30:
	s_andn2_b64 vcc, exec, s[14:15]
	s_cbranch_vccz .LBB496_34
.LBB496_31:
	s_endpgm
.LBB496_32:
	v_mbcnt_lo_u32_b32 v1, -1, 0
	v_mbcnt_hi_u32_b32 v1, -1, v1
	v_and_b32_e32 v6, 0x7e, v1
	v_xor_b32_e32 v4, 1, v1
	v_add_u32_e32 v6, 2, v6
	v_cmp_lt_i32_e32 vcc, v4, v6
	s_nop 1
	v_cndmask_b32_e32 v1, v1, v4, vcc
	v_lshlrev_b32_e32 v1, 2, v1
	ds_bpermute_b32 v1, v1, v5
	s_waitcnt lgkmcnt(0)
	v_add_f32_e32 v5, v5, v1
	s_load_dwordx2 s[4:5], s[0:1], 0x40
	s_andn2_b64 vcc, exec, s[2:3]
	s_waitcnt lgkmcnt(0)
	v_cvt_f32_f64_e32 v8, s[4:5]
	s_cbranch_vccnz .LBB496_30
.LBB496_33:
	v_cmp_lt_f32_e32 vcc, 0, v5
	s_nop 1
	v_cndmask_b32_e32 v1, 1.0, v5, vcc
	v_div_scale_f32 v4, s[2:3], v1, v1, v8
	v_rcp_f32_e32 v5, v4
	s_nop 0
	v_fma_f32 v6, -v4, v5, 1.0
	v_fmac_f32_e32 v5, v6, v5
	v_div_scale_f32 v6, vcc, v8, v1, v8
	v_mul_f32_e32 v7, v6, v5
	v_fma_f32 v9, -v4, v7, v6
	v_fmac_f32_e32 v7, v9, v5
	v_fma_f32 v4, -v4, v7, v6
	v_div_fmas_f32 v4, v4, v5, v7
	v_div_fixup_f32 v8, v4, v1, v8
	s_andn2_b64 vcc, exec, s[14:15]
	s_cbranch_vccnz .LBB496_31
.LBB496_34:
	s_load_dwordx2 s[14:15], s[0:1], 0x10
	v_mov_b32_e32 v1, 0
	v_or_b32_e32 v20, 4, v1
	v_or_b32_e32 v18, 8, v1
	;; [unrolled: 1-line block ×3, first 2 shown]
	v_add_u32_e32 v14, 16, v1
	v_add_u32_e32 v11, 20, v1
	;; [unrolled: 1-line block ×4, first 2 shown]
	v_or_b32_e32 v23, 1, v12
	v_or_b32_e32 v22, 2, v12
	;; [unrolled: 1-line block ×7, first 2 shown]
	s_cmp_eq_u32 s12, 1
	s_mov_b32 s16, 0
	s_cbranch_scc1 .LBB496_69
; %bb.35:
	v_ashrrev_i32_e32 v1, 31, v0
	s_waitcnt lgkmcnt(0)
	v_lshl_add_u64 v[4:5], v[0:1], 2, s[14:15]
	s_and_b32 s16, s12, 0x7ffffffe
	v_lshl_add_u64 v[4:5], v[4:5], 0, 4
	v_lshl_add_u64 v[6:7], v[2:3], 0, 8
	s_mov_b32 s13, 0
	s_branch .LBB496_37
.LBB496_36:                             ;   in Loop: Header=BB496_37 Depth=1
	s_or_b64 exec, exec, s[0:1]
	s_add_i32 s13, s13, 2
	v_lshl_add_u64 v[4:5], v[4:5], 0, 8
	s_cmp_eq_u32 s16, s13
	v_lshl_add_u64 v[6:7], v[6:7], 0, 16
	s_cbranch_scc1 .LBB496_69
.LBB496_37:                             ; =>This Inner Loop Header: Depth=1
	global_load_dword v24, v[6:7], off offset:-8
	v_mov_b32_e32 v1, 0
	s_waitcnt vmcnt(0)
	v_cmp_eq_u32_e32 vcc, v12, v24
	v_cmp_ne_u32_e64 s[0:1], v12, v24
	s_and_saveexec_b64 s[18:19], s[0:1]
	s_cbranch_execz .LBB496_51
; %bb.38:                               ;   in Loop: Header=BB496_37 Depth=1
	v_cmp_eq_u32_e64 s[0:1], v23, v24
	v_cmp_ne_u32_e64 s[2:3], v23, v24
	v_mov_b32_e32 v1, v20
	s_and_saveexec_b64 s[20:21], s[2:3]
	s_cbranch_execz .LBB496_50
; %bb.39:                               ;   in Loop: Header=BB496_37 Depth=1
	v_cmp_eq_u32_e64 s[2:3], v22, v24
	v_cmp_ne_u32_e64 s[4:5], v22, v24
	v_mov_b32_e32 v1, v18
	;; [unrolled: 6-line block ×6, first 2 shown]
	s_and_saveexec_b64 s[34:35], s[10:11]
	s_xor_b64 s[34:35], exec, s[34:35]
; %bb.44:                               ;   in Loop: Header=BB496_37 Depth=1
	v_cmp_eq_u32_e64 s[10:11], v13, v24
	s_andn2_b64 s[30:31], s[30:31], exec
	s_and_b64 s[10:11], s[10:11], exec
	s_or_b64 s[30:31], s[30:31], s[10:11]
	v_mov_b32_e32 v1, v10
; %bb.45:                               ;   in Loop: Header=BB496_37 Depth=1
	s_or_b64 exec, exec, s[34:35]
	s_andn2_b64 s[8:9], s[8:9], exec
	s_and_b64 s[10:11], s[30:31], exec
	s_or_b64 s[8:9], s[8:9], s[10:11]
.LBB496_46:                             ;   in Loop: Header=BB496_37 Depth=1
	s_or_b64 exec, exec, s[28:29]
	s_andn2_b64 s[6:7], s[6:7], exec
	s_and_b64 s[8:9], s[8:9], exec
	s_or_b64 s[6:7], s[6:7], s[8:9]
.LBB496_47:                             ;   in Loop: Header=BB496_37 Depth=1
	s_or_b64 exec, exec, s[26:27]
	s_andn2_b64 s[4:5], s[4:5], exec
	s_and_b64 s[6:7], s[6:7], exec
	s_or_b64 s[4:5], s[4:5], s[6:7]
.LBB496_48:                             ;   in Loop: Header=BB496_37 Depth=1
	s_or_b64 exec, exec, s[24:25]
	s_andn2_b64 s[2:3], s[2:3], exec
	s_and_b64 s[4:5], s[4:5], exec
	s_or_b64 s[2:3], s[2:3], s[4:5]
.LBB496_49:                             ;   in Loop: Header=BB496_37 Depth=1
	s_or_b64 exec, exec, s[22:23]
	s_andn2_b64 s[0:1], s[0:1], exec
	s_and_b64 s[2:3], s[2:3], exec
	s_or_b64 s[0:1], s[0:1], s[2:3]
.LBB496_50:                             ;   in Loop: Header=BB496_37 Depth=1
	s_or_b64 exec, exec, s[20:21]
	s_andn2_b64 s[2:3], vcc, exec
	s_and_b64 s[0:1], s[0:1], exec
	s_or_b64 vcc, s[2:3], s[0:1]
.LBB496_51:                             ;   in Loop: Header=BB496_37 Depth=1
	s_or_b64 exec, exec, s[18:19]
	s_and_saveexec_b64 s[0:1], vcc
	s_cbranch_execz .LBB496_53
; %bb.52:                               ;   in Loop: Header=BB496_37 Depth=1
	scratch_load_dword v1, v1, off
	v_add_u32_e32 v24, s13, v0
	v_ashrrev_i32_e32 v25, 31, v24
	v_lshl_add_u64 v[24:25], v[24:25], 2, s[14:15]
	s_waitcnt vmcnt(0)
	v_mul_f32_e32 v1, v8, v1
	global_store_dword v[24:25], v1, off
.LBB496_53:                             ;   in Loop: Header=BB496_37 Depth=1
	s_or_b64 exec, exec, s[0:1]
	global_load_dword v24, v[6:7], off
	v_mov_b32_e32 v1, 0
	s_waitcnt vmcnt(0)
	v_cmp_eq_u32_e64 s[8:9], v12, v24
	v_cmp_ne_u32_e32 vcc, v12, v24
	s_and_saveexec_b64 s[10:11], vcc
	s_cbranch_execz .LBB496_67
; %bb.54:                               ;   in Loop: Header=BB496_37 Depth=1
	v_cmp_eq_u32_e32 vcc, v23, v24
	v_cmp_ne_u32_e64 s[0:1], v23, v24
	v_mov_b32_e32 v1, v20
	s_and_saveexec_b64 s[18:19], s[0:1]
	s_cbranch_execz .LBB496_66
; %bb.55:                               ;   in Loop: Header=BB496_37 Depth=1
	v_cmp_eq_u32_e64 s[0:1], v22, v24
	v_cmp_ne_u32_e64 s[2:3], v22, v24
	v_mov_b32_e32 v1, v18
	s_and_saveexec_b64 s[20:21], s[2:3]
	s_cbranch_execz .LBB496_65
; %bb.56:                               ;   in Loop: Header=BB496_37 Depth=1
	v_cmp_eq_u32_e64 s[2:3], v21, v24
	;; [unrolled: 6-line block ×5, first 2 shown]
	v_cmp_ne_u32_e64 s[6:7], v15, v24
	v_mov_b32_e32 v1, v9
	s_and_saveexec_b64 s[34:35], s[6:7]
; %bb.60:                               ;   in Loop: Header=BB496_37 Depth=1
	v_cmp_eq_u32_e64 s[6:7], v13, v24
	s_andn2_b64 s[30:31], s[30:31], exec
	s_and_b64 s[6:7], s[6:7], exec
	s_or_b64 s[30:31], s[30:31], s[6:7]
	v_mov_b32_e32 v1, v10
; %bb.61:                               ;   in Loop: Header=BB496_37 Depth=1
	s_or_b64 exec, exec, s[34:35]
	s_andn2_b64 s[6:7], s[26:27], exec
	s_and_b64 s[26:27], s[30:31], exec
	s_or_b64 s[26:27], s[6:7], s[26:27]
.LBB496_62:                             ;   in Loop: Header=BB496_37 Depth=1
	s_or_b64 exec, exec, s[28:29]
	s_andn2_b64 s[4:5], s[4:5], exec
	s_and_b64 s[6:7], s[26:27], exec
	s_or_b64 s[4:5], s[4:5], s[6:7]
.LBB496_63:                             ;   in Loop: Header=BB496_37 Depth=1
	s_or_b64 exec, exec, s[24:25]
	s_andn2_b64 s[2:3], s[2:3], exec
	s_and_b64 s[4:5], s[4:5], exec
	s_or_b64 s[2:3], s[2:3], s[4:5]
.LBB496_64:                             ;   in Loop: Header=BB496_37 Depth=1
	s_or_b64 exec, exec, s[22:23]
	s_andn2_b64 s[0:1], s[0:1], exec
	s_and_b64 s[2:3], s[2:3], exec
	s_or_b64 s[0:1], s[0:1], s[2:3]
.LBB496_65:                             ;   in Loop: Header=BB496_37 Depth=1
	s_or_b64 exec, exec, s[20:21]
	s_andn2_b64 s[2:3], vcc, exec
	s_and_b64 s[0:1], s[0:1], exec
	s_or_b64 vcc, s[2:3], s[0:1]
.LBB496_66:                             ;   in Loop: Header=BB496_37 Depth=1
	s_or_b64 exec, exec, s[18:19]
	s_andn2_b64 s[0:1], s[8:9], exec
	s_and_b64 s[2:3], vcc, exec
	s_or_b64 s[8:9], s[0:1], s[2:3]
.LBB496_67:                             ;   in Loop: Header=BB496_37 Depth=1
	s_or_b64 exec, exec, s[10:11]
	s_and_saveexec_b64 s[0:1], s[8:9]
	s_cbranch_execz .LBB496_36
; %bb.68:                               ;   in Loop: Header=BB496_37 Depth=1
	scratch_load_dword v1, v1, off
	s_waitcnt vmcnt(0)
	v_mul_f32_e32 v1, v8, v1
	global_store_dword v[4:5], v1, off
	s_branch .LBB496_36
.LBB496_69:
	s_bitcmp0_b32 s12, 0
	s_mov_b32 s17, 0
	s_cbranch_scc1 .LBB496_31
; %bb.70:
	v_lshl_add_u64 v[2:3], s[16:17], 3, v[2:3]
	global_load_dword v1, v[2:3], off
	v_mov_b32_e32 v2, 0
	s_waitcnt vmcnt(0)
	v_cmp_eq_u32_e64 s[8:9], v12, v1
	v_cmp_ne_u32_e32 vcc, v12, v1
	s_and_saveexec_b64 s[10:11], vcc
	s_cbranch_execz .LBB496_84
; %bb.71:
	v_cmp_eq_u32_e32 vcc, v23, v1
	v_cmp_ne_u32_e64 s[0:1], v23, v1
	s_and_saveexec_b64 s[12:13], s[0:1]
	s_cbranch_execz .LBB496_83
; %bb.72:
	v_cmp_eq_u32_e64 s[0:1], v22, v1
	v_cmp_ne_u32_e64 s[2:3], v22, v1
	s_and_saveexec_b64 s[18:19], s[2:3]
	s_cbranch_execz .LBB496_82
; %bb.73:
	v_cmp_eq_u32_e64 s[2:3], v21, v1
	;; [unrolled: 5-line block ×5, first 2 shown]
	v_cmp_ne_u32_e64 s[6:7], v15, v1
	s_and_saveexec_b64 s[30:31], s[6:7]
; %bb.77:
	v_cmp_eq_u32_e64 s[6:7], v13, v1
	s_andn2_b64 s[28:29], s[28:29], exec
	s_and_b64 s[6:7], s[6:7], exec
	s_or_b64 s[28:29], s[28:29], s[6:7]
	v_mov_b32_e32 v9, v10
; %bb.78:
	s_or_b64 exec, exec, s[30:31]
	s_andn2_b64 s[6:7], s[24:25], exec
	s_and_b64 s[24:25], s[28:29], exec
	s_or_b64 s[24:25], s[6:7], s[24:25]
	v_mov_b32_e32 v11, v9
.LBB496_79:
	s_or_b64 exec, exec, s[26:27]
	s_andn2_b64 s[4:5], s[4:5], exec
	s_and_b64 s[6:7], s[24:25], exec
	s_or_b64 s[4:5], s[4:5], s[6:7]
	v_mov_b32_e32 v14, v11
.LBB496_80:
	s_or_b64 exec, exec, s[22:23]
	s_andn2_b64 s[2:3], s[2:3], exec
	s_and_b64 s[4:5], s[4:5], exec
	s_or_b64 s[2:3], s[2:3], s[4:5]
	v_mov_b32_e32 v16, v14
.LBB496_81:
	s_or_b64 exec, exec, s[20:21]
	s_andn2_b64 s[0:1], s[0:1], exec
	s_and_b64 s[2:3], s[2:3], exec
	s_or_b64 s[0:1], s[0:1], s[2:3]
	v_mov_b32_e32 v18, v16
.LBB496_82:
	s_or_b64 exec, exec, s[18:19]
	s_andn2_b64 s[2:3], vcc, exec
	s_and_b64 s[0:1], s[0:1], exec
	s_or_b64 vcc, s[2:3], s[0:1]
	v_mov_b32_e32 v20, v18
.LBB496_83:
	s_or_b64 exec, exec, s[12:13]
	s_andn2_b64 s[0:1], s[8:9], exec
	s_and_b64 s[2:3], vcc, exec
	s_or_b64 s[8:9], s[0:1], s[2:3]
	v_mov_b32_e32 v2, v20
.LBB496_84:
	s_or_b64 exec, exec, s[10:11]
	s_and_b64 exec, exec, s[8:9]
	s_cbranch_execz .LBB496_31
; %bb.85:
	scratch_load_dword v2, v2, off
	v_add_u32_e32 v0, s16, v0
	v_ashrrev_i32_e32 v1, 31, v0
	s_waitcnt lgkmcnt(0)
	v_lshl_add_u64 v[0:1], v[0:1], 2, s[14:15]
	s_waitcnt vmcnt(0)
	v_mul_f32_e32 v2, v8, v2
	global_store_dword v[0:1], v2, off
	s_endpgm
	.section	.rodata,"a",@progbits
	.p2align	6, 0x0
	.amdhsa_kernel _ZN4vllm3moe22topkGatingSoftplusSqrtILi8ELi16ELi4ELi16ELi64ELb1El14__hip_bfloat16EEvPKT6_PKbPfiPT5_PiiiibdPKfPKS9_SF_
		.amdhsa_group_segment_fixed_size 0
		.amdhsa_private_segment_fixed_size 48
		.amdhsa_kernarg_size 96
		.amdhsa_user_sgpr_count 2
		.amdhsa_user_sgpr_dispatch_ptr 0
		.amdhsa_user_sgpr_queue_ptr 0
		.amdhsa_user_sgpr_kernarg_segment_ptr 1
		.amdhsa_user_sgpr_dispatch_id 0
		.amdhsa_user_sgpr_kernarg_preload_length 0
		.amdhsa_user_sgpr_kernarg_preload_offset 0
		.amdhsa_user_sgpr_private_segment_size 0
		.amdhsa_uses_dynamic_stack 0
		.amdhsa_enable_private_segment 1
		.amdhsa_system_sgpr_workgroup_id_x 1
		.amdhsa_system_sgpr_workgroup_id_y 0
		.amdhsa_system_sgpr_workgroup_id_z 0
		.amdhsa_system_sgpr_workgroup_info 0
		.amdhsa_system_vgpr_workitem_id 1
		.amdhsa_next_free_vgpr 28
		.amdhsa_next_free_sgpr 36
		.amdhsa_accum_offset 28
		.amdhsa_reserve_vcc 1
		.amdhsa_float_round_mode_32 0
		.amdhsa_float_round_mode_16_64 0
		.amdhsa_float_denorm_mode_32 3
		.amdhsa_float_denorm_mode_16_64 3
		.amdhsa_dx10_clamp 1
		.amdhsa_ieee_mode 1
		.amdhsa_fp16_overflow 0
		.amdhsa_tg_split 0
		.amdhsa_exception_fp_ieee_invalid_op 0
		.amdhsa_exception_fp_denorm_src 0
		.amdhsa_exception_fp_ieee_div_zero 0
		.amdhsa_exception_fp_ieee_overflow 0
		.amdhsa_exception_fp_ieee_underflow 0
		.amdhsa_exception_fp_ieee_inexact 0
		.amdhsa_exception_int_div_zero 0
	.end_amdhsa_kernel
	.section	.text._ZN4vllm3moe22topkGatingSoftplusSqrtILi8ELi16ELi4ELi16ELi64ELb1El14__hip_bfloat16EEvPKT6_PKbPfiPT5_PiiiibdPKfPKS9_SF_,"axG",@progbits,_ZN4vllm3moe22topkGatingSoftplusSqrtILi8ELi16ELi4ELi16ELi64ELb1El14__hip_bfloat16EEvPKT6_PKbPfiPT5_PiiiibdPKfPKS9_SF_,comdat
.Lfunc_end496:
	.size	_ZN4vllm3moe22topkGatingSoftplusSqrtILi8ELi16ELi4ELi16ELi64ELb1El14__hip_bfloat16EEvPKT6_PKbPfiPT5_PiiiibdPKfPKS9_SF_, .Lfunc_end496-_ZN4vllm3moe22topkGatingSoftplusSqrtILi8ELi16ELi4ELi16ELi64ELb1El14__hip_bfloat16EEvPKT6_PKbPfiPT5_PiiiibdPKfPKS9_SF_
                                        ; -- End function
	.section	.AMDGPU.csdata,"",@progbits
; Kernel info:
; codeLenInByte = 4504
; NumSgprs: 42
; NumVgprs: 28
; NumAgprs: 0
; TotalNumVgprs: 28
; ScratchSize: 48
; MemoryBound: 0
; FloatMode: 240
; IeeeMode: 1
; LDSByteSize: 0 bytes/workgroup (compile time only)
; SGPRBlocks: 5
; VGPRBlocks: 3
; NumSGPRsForWavesPerEU: 42
; NumVGPRsForWavesPerEU: 28
; AccumOffset: 28
; Occupancy: 8
; WaveLimiterHint : 1
; COMPUTE_PGM_RSRC2:SCRATCH_EN: 1
; COMPUTE_PGM_RSRC2:USER_SGPR: 2
; COMPUTE_PGM_RSRC2:TRAP_HANDLER: 0
; COMPUTE_PGM_RSRC2:TGID_X_EN: 1
; COMPUTE_PGM_RSRC2:TGID_Y_EN: 0
; COMPUTE_PGM_RSRC2:TGID_Z_EN: 0
; COMPUTE_PGM_RSRC2:TIDIG_COMP_CNT: 1
; COMPUTE_PGM_RSRC3_GFX90A:ACCUM_OFFSET: 6
; COMPUTE_PGM_RSRC3_GFX90A:TG_SPLIT: 0
	.section	.text._ZN4vllm3moe22topkGatingSoftplusSqrtILi8ELi16ELi4ELi16ELi64ELb0El14__hip_bfloat16EEvPKT6_PKbPfiPT5_PiiiibdPKfPKS9_SF_,"axG",@progbits,_ZN4vllm3moe22topkGatingSoftplusSqrtILi8ELi16ELi4ELi16ELi64ELb0El14__hip_bfloat16EEvPKT6_PKbPfiPT5_PiiiibdPKfPKS9_SF_,comdat
	.protected	_ZN4vllm3moe22topkGatingSoftplusSqrtILi8ELi16ELi4ELi16ELi64ELb0El14__hip_bfloat16EEvPKT6_PKbPfiPT5_PiiiibdPKfPKS9_SF_ ; -- Begin function _ZN4vllm3moe22topkGatingSoftplusSqrtILi8ELi16ELi4ELi16ELi64ELb0El14__hip_bfloat16EEvPKT6_PKbPfiPT5_PiiiibdPKfPKS9_SF_
	.globl	_ZN4vllm3moe22topkGatingSoftplusSqrtILi8ELi16ELi4ELi16ELi64ELb0El14__hip_bfloat16EEvPKT6_PKbPfiPT5_PiiiibdPKfPKS9_SF_
	.p2align	8
	.type	_ZN4vllm3moe22topkGatingSoftplusSqrtILi8ELi16ELi4ELi16ELi64ELb0El14__hip_bfloat16EEvPKT6_PKbPfiPT5_PiiiibdPKfPKS9_SF_,@function
_ZN4vllm3moe22topkGatingSoftplusSqrtILi8ELi16ELi4ELi16ELi64ELb0El14__hip_bfloat16EEvPKT6_PKbPfiPT5_PiiiibdPKfPKS9_SF_: ; @_ZN4vllm3moe22topkGatingSoftplusSqrtILi8ELi16ELi4ELi16ELi64ELb0El14__hip_bfloat16EEvPKT6_PKbPfiPT5_PiiiibdPKfPKS9_SF_
; %bb.0:
	s_load_dword s33, s[0:1], 0x18
	v_bfe_u32 v1, v0, 10, 10
	v_and_b32_e32 v0, 0x3ff, v0
	s_lshl_b32 s2, s2, 7
	v_lshlrev_b32_e32 v1, 5, v1
	v_lshrrev_b32_e32 v2, 1, v0
	v_add3_u32 v8, s2, v1, v2
	s_waitcnt lgkmcnt(0)
	v_cmp_gt_i32_e32 vcc, s33, v8
	s_and_saveexec_b64 s[2:3], vcc
	s_cbranch_execz .LBB497_49
; %bb.1:
	s_load_dwordx4 s[4:7], s[0:1], 0x0
	s_load_dwordx2 s[34:35], s[0:1], 0x10
	s_waitcnt lgkmcnt(0)
	s_cmp_eq_u64 s[6:7], 0
	s_cbranch_scc1 .LBB497_3
; %bb.2:
	v_ashrrev_i32_e32 v9, 31, v8
	v_lshl_add_u64 v[2:3], s[6:7], 0, v[8:9]
	global_load_ubyte v1, v[2:3], off
	s_waitcnt vmcnt(0)
	v_and_b32_e32 v1, 1, v1
	v_cmp_eq_u32_e32 vcc, 1, v1
	s_xor_b64 s[2:3], vcc, -1
	s_orn2_b64 s[36:37], s[2:3], exec
	s_branch .LBB497_4
.LBB497_3:
	s_mov_b64 s[36:37], -1
.LBB497_4:
	v_lshlrev_b32_e32 v4, 4, v8
	v_mov_b32_e32 v2, s4
	v_mov_b32_e32 v3, s5
	v_ashrrev_i32_e32 v5, 31, v4
	v_and_b32_e32 v9, 1, v0
	v_lshl_add_u64 v[2:3], v[4:5], 1, v[2:3]
	v_mov_b32_e32 v1, 0
	v_lshlrev_b32_e32 v0, 4, v9
	v_lshl_add_u64 v[0:1], v[2:3], 0, v[0:1]
	global_load_dwordx4 v[4:7], v[0:1], off
	s_mov_b32 s12, 0x800000
	v_mov_b32_e32 v2, 0x4f800000
	s_mov_b32 s9, 0x3f317217
	s_mov_b32 s10, 0x7f800000
	v_mov_b32_e32 v3, 0x41b17218
	s_mov_b32 s8, 0x41a00000
	s_mov_b32 s11, 0xf800000
	s_load_dwordx4 s[20:23], s[0:1], 0x40
	v_lshlrev_b32_e32 v12, 3, v9
	s_waitcnt lgkmcnt(0)
	s_cmp_lg_u64 s[22:23], 0
	s_cselect_b64 s[6:7], -1, 0
	s_and_b64 s[2:3], exec, s[6:7]
	s_waitcnt vmcnt(0)
	v_lshlrev_b32_e32 v0, 16, v4
	v_mul_f32_e32 v1, 0x3fb8aa3b, v0
	v_exp_f32_e32 v10, v1
	v_mov_b32_e32 v1, 0x260
	v_add_f32_e32 v10, 1.0, v10
	v_cmp_gt_f32_e32 vcc, s12, v10
	s_nop 1
	v_cndmask_b32_e32 v11, 1.0, v2, vcc
	v_mul_f32_e32 v10, v10, v11
	v_log_f32_e32 v11, v10
	v_cndmask_b32_e32 v13, 0, v3, vcc
	v_lshlrev_b32_e32 v10, 2, v12
	v_mul_f32_e32 v14, 0x3f317217, v11
	v_fma_f32 v14, v11, s9, -v14
	v_fmac_f32_e32 v14, 0x3377d1cf, v11
	v_fmac_f32_e32 v14, 0x3f317217, v11
	v_cmp_lt_f32_e64 vcc, |v11|, s10
	s_nop 1
	v_cndmask_b32_e32 v11, v11, v14, vcc
	v_sub_f32_e32 v11, v11, v13
	v_cmp_lt_f32_e32 vcc, s8, v0
	s_nop 1
	v_cndmask_b32_e32 v0, v11, v0, vcc
	v_mul_f32_e32 v11, 0x4f800000, v0
	v_cmp_gt_f32_e32 vcc, s11, v0
	s_nop 1
	v_cndmask_b32_e32 v0, v0, v11, vcc
	v_sqrt_f32_e32 v11, v0
	s_nop 0
	v_add_u32_e32 v13, -1, v11
	v_add_u32_e32 v14, 1, v11
	v_fma_f32 v15, -v13, v11, v0
	v_fma_f32 v16, -v14, v11, v0
	v_cmp_ge_f32_e64 s[4:5], 0, v15
	s_nop 1
	v_cndmask_b32_e64 v11, v11, v13, s[4:5]
	v_cmp_lt_f32_e64 s[4:5], 0, v16
	s_nop 1
	v_cndmask_b32_e64 v11, v11, v14, s[4:5]
	v_mul_f32_e32 v13, 0x37800000, v11
	v_cndmask_b32_e32 v11, v11, v13, vcc
	v_cmp_class_f32_e32 vcc, v0, v1
	s_nop 1
	v_cndmask_b32_e32 v0, v11, v0, vcc
	s_mov_b64 vcc, s[2:3]
	s_cbranch_vccz .LBB497_6
; %bb.5:
	global_load_dword v11, v10, s[22:23]
	s_waitcnt vmcnt(0)
	v_add_f32_e32 v0, v0, v11
.LBB497_6:
	v_and_b32_e32 v4, 0xffff0000, v4
	v_mul_f32_e32 v11, 0x3fb8aa3b, v4
	v_exp_f32_e32 v11, v11
	s_nop 0
	v_add_f32_e32 v11, 1.0, v11
	v_cmp_gt_f32_e32 vcc, s12, v11
	s_nop 1
	v_cndmask_b32_e32 v2, 1.0, v2, vcc
	v_mul_f32_e32 v2, v11, v2
	v_log_f32_e32 v2, v2
	v_cndmask_b32_e32 v3, 0, v3, vcc
	v_mul_f32_e32 v11, 0x3f317217, v2
	v_fma_f32 v11, v2, s9, -v11
	v_fmac_f32_e32 v11, 0x3377d1cf, v2
	v_fmac_f32_e32 v11, 0x3f317217, v2
	v_cmp_lt_f32_e64 vcc, |v2|, s10
	s_nop 1
	v_cndmask_b32_e32 v2, v2, v11, vcc
	v_sub_f32_e32 v2, v2, v3
	v_cmp_lt_f32_e32 vcc, s8, v4
	s_nop 1
	v_cndmask_b32_e32 v2, v2, v4, vcc
	v_mul_f32_e32 v3, 0x4f800000, v2
	v_cmp_gt_f32_e32 vcc, s11, v2
	s_nop 1
	v_cndmask_b32_e32 v2, v2, v3, vcc
	v_sqrt_f32_e32 v3, v2
	v_cmp_class_f32_e64 s[4:5], v2, v1
	v_add_u32_e32 v4, -1, v3
	v_add_u32_e32 v11, 1, v3
	v_fma_f32 v13, -v4, v3, v2
	v_fma_f32 v14, -v11, v3, v2
	v_cmp_ge_f32_e64 s[2:3], 0, v13
	s_nop 1
	v_cndmask_b32_e64 v3, v3, v4, s[2:3]
	v_cmp_lt_f32_e64 s[2:3], 0, v14
	s_nop 1
	v_cndmask_b32_e64 v3, v3, v11, s[2:3]
	v_mul_f32_e32 v4, 0x37800000, v3
	v_cndmask_b32_e32 v3, v3, v4, vcc
	v_cndmask_b32_e64 v4, 0, 1, s[6:7]
	v_cmp_ne_u32_e64 s[2:3], 1, v4
	s_andn2_b64 vcc, exec, s[6:7]
	v_cndmask_b32_e64 v1, v3, v2, s[4:5]
	s_cbranch_vccnz .LBB497_8
; %bb.7:
	global_load_dword v2, v10, s[22:23] offset:4
	s_waitcnt vmcnt(0)
	v_add_f32_e32 v1, v1, v2
.LBB497_8:
	v_lshlrev_b32_e32 v2, 16, v5
	v_mul_f32_e32 v3, 0x3fb8aa3b, v2
	v_exp_f32_e32 v3, v3
	s_mov_b32 s10, 0x800000
	v_mov_b32_e32 v4, 0x4f800000
	s_mov_b32 s7, 0x3f317217
	v_add_f32_e32 v3, 1.0, v3
	v_cmp_gt_f32_e32 vcc, s10, v3
	s_mov_b32 s8, 0x7f800000
	s_mov_b32 s6, 0x41a00000
	v_cndmask_b32_e32 v11, 1.0, v4, vcc
	v_mul_f32_e32 v3, v3, v11
	v_log_f32_e32 v3, v3
	s_mov_b32 s9, 0xf800000
	v_mul_f32_e32 v11, 0x3f317217, v3
	v_fma_f32 v11, v3, s7, -v11
	v_fmac_f32_e32 v11, 0x3377d1cf, v3
	v_fmac_f32_e32 v11, 0x3f317217, v3
	v_cmp_lt_f32_e64 s[4:5], |v3|, s8
	s_nop 1
	v_cndmask_b32_e64 v3, v3, v11, s[4:5]
	v_mov_b32_e32 v11, 0x41b17218
	v_cndmask_b32_e32 v13, 0, v11, vcc
	v_sub_f32_e32 v3, v3, v13
	v_cmp_lt_f32_e32 vcc, s6, v2
	s_nop 1
	v_cndmask_b32_e32 v2, v3, v2, vcc
	v_mul_f32_e32 v3, 0x4f800000, v2
	v_cmp_gt_f32_e32 vcc, s9, v2
	s_nop 1
	v_cndmask_b32_e32 v2, v2, v3, vcc
	v_sqrt_f32_e32 v3, v2
	s_nop 0
	v_add_u32_e32 v13, -1, v3
	v_fma_f32 v14, -v13, v3, v2
	v_cmp_ge_f32_e64 s[4:5], 0, v14
	v_add_u32_e32 v14, 1, v3
	s_nop 0
	v_cndmask_b32_e64 v13, v3, v13, s[4:5]
	v_fma_f32 v3, -v14, v3, v2
	v_cmp_lt_f32_e64 s[4:5], 0, v3
	s_nop 1
	v_cndmask_b32_e64 v3, v13, v14, s[4:5]
	v_mul_f32_e32 v13, 0x37800000, v3
	v_cndmask_b32_e32 v13, v3, v13, vcc
	v_mov_b32_e32 v3, 0x260
	v_cmp_class_f32_e64 s[4:5], v2, v3
	s_and_b64 vcc, exec, s[2:3]
	s_nop 0
	v_cndmask_b32_e64 v2, v13, v2, s[4:5]
	s_cbranch_vccnz .LBB497_10
; %bb.9:
	global_load_dword v13, v10, s[22:23] offset:8
	s_waitcnt vmcnt(0)
	v_add_f32_e32 v2, v2, v13
.LBB497_10:
	v_and_b32_e32 v5, 0xffff0000, v5
	v_mul_f32_e32 v13, 0x3fb8aa3b, v5
	v_exp_f32_e32 v13, v13
	s_nop 0
	v_add_f32_e32 v13, 1.0, v13
	v_cmp_gt_f32_e32 vcc, s10, v13
	s_nop 1
	v_cndmask_b32_e32 v4, 1.0, v4, vcc
	v_mul_f32_e32 v4, v13, v4
	v_log_f32_e32 v4, v4
	v_cndmask_b32_e32 v11, 0, v11, vcc
	v_mul_f32_e32 v13, 0x3f317217, v4
	v_fma_f32 v13, v4, s7, -v13
	v_fmac_f32_e32 v13, 0x3377d1cf, v4
	v_fmac_f32_e32 v13, 0x3f317217, v4
	v_cmp_lt_f32_e64 vcc, |v4|, s8
	s_nop 1
	v_cndmask_b32_e32 v4, v4, v13, vcc
	v_sub_f32_e32 v4, v4, v11
	v_cmp_lt_f32_e32 vcc, s6, v5
	s_nop 1
	v_cndmask_b32_e32 v4, v4, v5, vcc
	v_mul_f32_e32 v5, 0x4f800000, v4
	v_cmp_gt_f32_e32 vcc, s9, v4
	s_nop 1
	v_cndmask_b32_e32 v4, v4, v5, vcc
	v_sqrt_f32_e32 v5, v4
	s_nop 0
	v_add_u32_e32 v11, -1, v5
	v_add_u32_e32 v13, 1, v5
	v_fma_f32 v14, -v11, v5, v4
	v_fma_f32 v15, -v13, v5, v4
	v_cmp_ge_f32_e64 s[4:5], 0, v14
	s_nop 1
	v_cndmask_b32_e64 v5, v5, v11, s[4:5]
	v_cmp_lt_f32_e64 s[4:5], 0, v15
	s_nop 1
	v_cndmask_b32_e64 v5, v5, v13, s[4:5]
	v_mul_f32_e32 v11, 0x37800000, v5
	v_cndmask_b32_e32 v5, v5, v11, vcc
	v_cmp_class_f32_e64 s[4:5], v4, v3
	s_and_b64 vcc, exec, s[2:3]
	s_nop 0
	v_cndmask_b32_e64 v3, v5, v4, s[4:5]
	s_cbranch_vccnz .LBB497_12
; %bb.11:
	global_load_dword v4, v10, s[22:23] offset:12
	s_waitcnt vmcnt(0)
	v_add_f32_e32 v3, v3, v4
.LBB497_12:
	v_lshlrev_b32_e32 v4, 16, v6
	v_mul_f32_e32 v5, 0x3fb8aa3b, v4
	v_exp_f32_e32 v5, v5
	v_mov_b32_e32 v11, 0x4f800000
	v_add_f32_e32 v5, 1.0, v5
	v_cmp_gt_f32_e32 vcc, s10, v5
	s_nop 1
	v_cndmask_b32_e32 v13, 1.0, v11, vcc
	v_mul_f32_e32 v5, v5, v13
	v_log_f32_e32 v5, v5
	s_nop 0
	v_mul_f32_e32 v13, 0x3f317217, v5
	v_fma_f32 v13, v5, s7, -v13
	v_fmac_f32_e32 v13, 0x3377d1cf, v5
	v_fmac_f32_e32 v13, 0x3f317217, v5
	v_cmp_lt_f32_e64 s[4:5], |v5|, s8
	s_nop 1
	v_cndmask_b32_e64 v5, v5, v13, s[4:5]
	v_mov_b32_e32 v13, 0x41b17218
	v_cndmask_b32_e32 v14, 0, v13, vcc
	v_sub_f32_e32 v5, v5, v14
	v_cmp_lt_f32_e32 vcc, s6, v4
	s_nop 1
	v_cndmask_b32_e32 v4, v5, v4, vcc
	v_mul_f32_e32 v5, 0x4f800000, v4
	v_cmp_gt_f32_e32 vcc, s9, v4
	s_nop 1
	v_cndmask_b32_e32 v4, v4, v5, vcc
	v_sqrt_f32_e32 v5, v4
	s_nop 0
	v_add_u32_e32 v14, -1, v5
	v_fma_f32 v15, -v14, v5, v4
	v_cmp_ge_f32_e64 s[4:5], 0, v15
	v_add_u32_e32 v15, 1, v5
	s_nop 0
	v_cndmask_b32_e64 v14, v5, v14, s[4:5]
	v_fma_f32 v5, -v15, v5, v4
	v_cmp_lt_f32_e64 s[4:5], 0, v5
	s_nop 1
	v_cndmask_b32_e64 v5, v14, v15, s[4:5]
	v_mul_f32_e32 v14, 0x37800000, v5
	v_cndmask_b32_e32 v14, v5, v14, vcc
	v_mov_b32_e32 v5, 0x260
	v_cmp_class_f32_e64 s[4:5], v4, v5
	s_and_b64 vcc, exec, s[2:3]
	s_nop 0
	v_cndmask_b32_e64 v4, v14, v4, s[4:5]
	s_cbranch_vccnz .LBB497_14
; %bb.13:
	global_load_dword v14, v10, s[22:23] offset:16
	s_waitcnt vmcnt(0)
	v_add_f32_e32 v4, v4, v14
.LBB497_14:
	v_and_b32_e32 v6, 0xffff0000, v6
	v_mul_f32_e32 v14, 0x3fb8aa3b, v6
	v_exp_f32_e32 v14, v14
	s_nop 0
	v_add_f32_e32 v14, 1.0, v14
	v_cmp_gt_f32_e32 vcc, s10, v14
	s_nop 1
	v_cndmask_b32_e32 v11, 1.0, v11, vcc
	v_mul_f32_e32 v11, v14, v11
	v_log_f32_e32 v11, v11
	v_cndmask_b32_e32 v13, 0, v13, vcc
	v_mul_f32_e32 v14, 0x3f317217, v11
	v_fma_f32 v14, v11, s7, -v14
	v_fmac_f32_e32 v14, 0x3377d1cf, v11
	v_fmac_f32_e32 v14, 0x3f317217, v11
	v_cmp_lt_f32_e64 vcc, |v11|, s8
	s_nop 1
	v_cndmask_b32_e32 v11, v11, v14, vcc
	v_sub_f32_e32 v11, v11, v13
	v_cmp_lt_f32_e32 vcc, s6, v6
	s_nop 1
	v_cndmask_b32_e32 v6, v11, v6, vcc
	v_mul_f32_e32 v11, 0x4f800000, v6
	v_cmp_gt_f32_e32 vcc, s9, v6
	s_nop 1
	v_cndmask_b32_e32 v6, v6, v11, vcc
	v_sqrt_f32_e32 v11, v6
	s_nop 0
	v_add_u32_e32 v13, -1, v11
	v_add_u32_e32 v14, 1, v11
	v_fma_f32 v15, -v13, v11, v6
	v_fma_f32 v16, -v14, v11, v6
	v_cmp_ge_f32_e64 s[4:5], 0, v15
	s_nop 1
	v_cndmask_b32_e64 v11, v11, v13, s[4:5]
	v_cmp_lt_f32_e64 s[4:5], 0, v16
	s_nop 1
	v_cndmask_b32_e64 v11, v11, v14, s[4:5]
	v_mul_f32_e32 v13, 0x37800000, v11
	v_cndmask_b32_e32 v11, v11, v13, vcc
	v_cmp_class_f32_e64 s[4:5], v6, v5
	s_and_b64 vcc, exec, s[2:3]
	s_nop 0
	v_cndmask_b32_e64 v5, v11, v6, s[4:5]
	s_cbranch_vccnz .LBB497_16
; %bb.15:
	global_load_dword v6, v10, s[22:23] offset:20
	s_waitcnt vmcnt(0)
	v_add_f32_e32 v5, v5, v6
.LBB497_16:
	v_lshlrev_b32_e32 v6, 16, v7
	v_mul_f32_e32 v11, 0x3fb8aa3b, v6
	v_exp_f32_e32 v11, v11
	v_mov_b32_e32 v13, 0x4f800000
	v_add_f32_e32 v11, 1.0, v11
	v_cmp_gt_f32_e32 vcc, s10, v11
	s_nop 1
	v_cndmask_b32_e32 v14, 1.0, v13, vcc
	v_mul_f32_e32 v11, v11, v14
	v_log_f32_e32 v11, v11
	s_nop 0
	v_mul_f32_e32 v14, 0x3f317217, v11
	v_fma_f32 v14, v11, s7, -v14
	v_fmac_f32_e32 v14, 0x3377d1cf, v11
	v_fmac_f32_e32 v14, 0x3f317217, v11
	v_cmp_lt_f32_e64 s[4:5], |v11|, s8
	s_nop 1
	v_cndmask_b32_e64 v11, v11, v14, s[4:5]
	v_mov_b32_e32 v14, 0x41b17218
	v_cndmask_b32_e32 v15, 0, v14, vcc
	v_sub_f32_e32 v11, v11, v15
	v_cmp_lt_f32_e32 vcc, s6, v6
	s_nop 1
	v_cndmask_b32_e32 v6, v11, v6, vcc
	v_mul_f32_e32 v11, 0x4f800000, v6
	v_cmp_gt_f32_e32 vcc, s9, v6
	s_nop 1
	v_cndmask_b32_e32 v6, v6, v11, vcc
	v_sqrt_f32_e32 v11, v6
	s_nop 0
	v_add_u32_e32 v15, -1, v11
	v_fma_f32 v16, -v15, v11, v6
	v_cmp_ge_f32_e64 s[4:5], 0, v16
	v_add_u32_e32 v16, 1, v11
	s_nop 0
	v_cndmask_b32_e64 v15, v11, v15, s[4:5]
	v_fma_f32 v11, -v16, v11, v6
	v_cmp_lt_f32_e64 s[4:5], 0, v11
	s_nop 1
	v_cndmask_b32_e64 v11, v15, v16, s[4:5]
	v_mul_f32_e32 v15, 0x37800000, v11
	v_cndmask_b32_e32 v15, v11, v15, vcc
	v_mov_b32_e32 v11, 0x260
	v_cmp_class_f32_e64 s[4:5], v6, v11
	s_and_b64 vcc, exec, s[2:3]
	s_nop 0
	v_cndmask_b32_e64 v6, v15, v6, s[4:5]
	s_cbranch_vccnz .LBB497_18
; %bb.17:
	global_load_dword v15, v10, s[22:23] offset:24
	s_waitcnt vmcnt(0)
	v_add_f32_e32 v6, v6, v15
.LBB497_18:
	v_and_b32_e32 v7, 0xffff0000, v7
	v_mul_f32_e32 v15, 0x3fb8aa3b, v7
	v_exp_f32_e32 v15, v15
	s_nop 0
	v_add_f32_e32 v15, 1.0, v15
	v_cmp_gt_f32_e32 vcc, s10, v15
	s_nop 1
	v_cndmask_b32_e32 v13, 1.0, v13, vcc
	v_mul_f32_e32 v13, v15, v13
	v_log_f32_e32 v13, v13
	v_cndmask_b32_e32 v14, 0, v14, vcc
	v_mul_f32_e32 v15, 0x3f317217, v13
	v_fma_f32 v15, v13, s7, -v15
	v_fmac_f32_e32 v15, 0x3377d1cf, v13
	v_fmac_f32_e32 v15, 0x3f317217, v13
	v_cmp_lt_f32_e64 vcc, |v13|, s8
	s_nop 1
	v_cndmask_b32_e32 v13, v13, v15, vcc
	v_sub_f32_e32 v13, v13, v14
	v_cmp_lt_f32_e32 vcc, s6, v7
	s_nop 1
	v_cndmask_b32_e32 v7, v13, v7, vcc
	v_mul_f32_e32 v13, 0x4f800000, v7
	v_cmp_gt_f32_e32 vcc, s9, v7
	s_nop 1
	v_cndmask_b32_e32 v7, v7, v13, vcc
	v_sqrt_f32_e32 v13, v7
	s_nop 0
	v_add_u32_e32 v14, -1, v13
	v_add_u32_e32 v15, 1, v13
	v_fma_f32 v16, -v14, v13, v7
	v_fma_f32 v17, -v15, v13, v7
	v_cmp_ge_f32_e64 s[4:5], 0, v16
	s_nop 1
	v_cndmask_b32_e64 v13, v13, v14, s[4:5]
	v_cmp_lt_f32_e64 s[4:5], 0, v17
	s_nop 1
	v_cndmask_b32_e64 v13, v13, v15, s[4:5]
	v_mul_f32_e32 v14, 0x37800000, v13
	v_cndmask_b32_e32 v13, v13, v14, vcc
	v_cmp_class_f32_e64 s[4:5], v7, v11
	s_and_b64 vcc, exec, s[2:3]
	s_nop 0
	v_cndmask_b32_e64 v7, v13, v7, s[4:5]
	s_cbranch_vccnz .LBB497_20
; %bb.19:
	global_load_dword v10, v10, s[22:23] offset:28
	s_waitcnt vmcnt(0)
	v_add_f32_e32 v7, v7, v10
.LBB497_20:
	s_load_dwordx4 s[24:27], s[0:1], 0x30
	s_mov_b32 s42, 0
	v_cmp_eq_u32_e64 s[6:7], 0, v9
	s_waitcnt lgkmcnt(0)
	s_bitcmp1_b32 s27, 0
	s_cselect_b64 s[4:5], -1, 0
	s_cmp_gt_i32 s24, 0
	s_cselect_b64 s[38:39], -1, 0
	s_and_b64 vcc, exec, s[38:39]
	s_cbranch_vccz .LBB497_35
; %bb.21:
	v_mbcnt_lo_u32_b32 v10, -1, 0
	v_mbcnt_hi_u32_b32 v10, -1, v10
	s_load_dwordx4 s[28:31], s[0:1], 0x20
	v_and_b32_e32 v13, 0x7e, v10
	v_xor_b32_e32 v11, 1, v10
	v_add_u32_e32 v13, 2, v13
	v_cmp_lt_i32_e32 vcc, v11, v13
	v_mul_lo_u32 v15, v8, s24
	v_mov_b32_e32 v13, 0
	v_cndmask_b32_e32 v10, v10, v11, vcc
	v_lshlrev_b32_e32 v14, 2, v10
	v_mov_b32_e32 v16, 0xc61c4000
	v_mov_b32_e32 v17, v8
	s_branch .LBB497_24
.LBB497_22:                             ;   in Loop: Header=BB497_24 Depth=1
	s_or_b64 exec, exec, s[40:41]
.LBB497_23:                             ;   in Loop: Header=BB497_24 Depth=1
	s_cmp_eq_u32 s24, s42
	v_add_u32_e32 v17, s33, v17
	s_cbranch_scc1 .LBB497_36
.LBB497_24:                             ; =>This Inner Loop Header: Depth=1
	v_cmp_gt_f32_e32 vcc, v1, v0
	s_nop 1
	v_cndmask_b32_e32 v11, v0, v1, vcc
	v_cndmask_b32_e64 v10, 0, 1, vcc
	v_cmp_gt_f32_e32 vcc, v2, v11
	s_nop 1
	v_cndmask_b32_e32 v11, v11, v2, vcc
	v_cndmask_b32_e64 v10, v10, 2, vcc
	;; [unrolled: 4-line block ×6, first 2 shown]
	v_cmp_gt_f32_e32 vcc, v7, v11
	s_nop 1
	v_cndmask_b32_e64 v10, v10, 7, vcc
	v_cndmask_b32_e32 v18, v11, v7, vcc
	ds_bpermute_b32 v11, v14, v18
	v_or_b32_e32 v10, v12, v10
	ds_bpermute_b32 v19, v14, v10
	s_waitcnt lgkmcnt(0)
	v_cmp_lt_f32_e64 s[8:9], v18, v11
	v_cmp_nlt_f32_e32 vcc, v18, v11
	s_and_saveexec_b64 s[10:11], vcc
	s_cbranch_execnz .LBB497_28
; %bb.25:                               ;   in Loop: Header=BB497_24 Depth=1
	s_or_b64 exec, exec, s[10:11]
	s_and_saveexec_b64 s[0:1], s[8:9]
	s_cbranch_execnz .LBB497_29
.LBB497_26:                             ;   in Loop: Header=BB497_24 Depth=1
	s_or_b64 exec, exec, s[0:1]
	s_and_saveexec_b64 s[8:9], s[6:7]
	s_cbranch_execnz .LBB497_30
.LBB497_27:                             ;   in Loop: Header=BB497_24 Depth=1
	s_or_b64 exec, exec, s[8:9]
	s_add_i32 s42, s42, 1
	s_cmp_ge_i32 s42, s24
	s_cbranch_scc1 .LBB497_23
	s_branch .LBB497_33
.LBB497_28:                             ;   in Loop: Header=BB497_24 Depth=1
	v_cmp_eq_f32_e32 vcc, v18, v11
	v_cmp_lt_i32_e64 s[0:1], v19, v10
	s_and_b64 s[0:1], vcc, s[0:1]
	s_andn2_b64 s[8:9], s[8:9], exec
	s_and_b64 s[0:1], s[0:1], exec
	s_or_b64 s[8:9], s[8:9], s[0:1]
	s_or_b64 exec, exec, s[10:11]
	s_and_saveexec_b64 s[0:1], s[8:9]
	s_cbranch_execz .LBB497_26
.LBB497_29:                             ;   in Loop: Header=BB497_24 Depth=1
	v_mov_b32_e32 v10, v19
	v_mov_b32_e32 v18, v11
	s_or_b64 exec, exec, s[0:1]
	s_and_saveexec_b64 s[8:9], s[6:7]
	s_cbranch_execz .LBB497_27
.LBB497_30:                             ;   in Loop: Header=BB497_24 Depth=1
	s_and_b64 vcc, exec, s[2:3]
	s_cbranch_vccnz .LBB497_32
; %bb.31:                               ;   in Loop: Header=BB497_24 Depth=1
	v_ashrrev_i32_e32 v11, 31, v10
	v_lshl_add_u64 v[20:21], v[10:11], 2, s[22:23]
	global_load_dword v11, v[20:21], off
	s_waitcnt vmcnt(0)
	v_sub_f32_e32 v18, v18, v11
.LBB497_32:                             ;   in Loop: Header=BB497_24 Depth=1
	v_add_u32_e32 v20, s42, v15
	v_cmp_le_i32_e32 vcc, s25, v10
	v_cmp_gt_i32_e64 s[0:1], s26, v10
	v_ashrrev_i32_e32 v21, 31, v20
	s_and_b64 s[0:1], vcc, s[0:1]
	v_lshlrev_b64 v[22:23], 2, v[20:21]
	v_subrev_u32_e32 v11, s25, v10
	v_lshl_add_u64 v[24:25], s[34:35], 0, v[22:23]
	v_ashrrev_i32_e32 v19, 31, v11
	s_and_b64 vcc, s[36:37], s[0:1]
	global_store_dword v[24:25], v18, off
	v_cndmask_b32_e32 v25, 0, v19, vcc
	v_cndmask_b32_e32 v24, 16, v11, vcc
	v_lshl_add_u64 v[20:21], v[20:21], 3, s[28:29]
	v_add_f32_e32 v11, v13, v18
	global_store_dwordx2 v[20:21], v[24:25], off
	v_lshl_add_u64 v[20:21], s[30:31], 0, v[22:23]
	v_cndmask_b32_e64 v13, v13, v11, s[4:5]
	global_store_dword v[20:21], v17, off
	s_or_b64 exec, exec, s[8:9]
	s_add_i32 s42, s42, 1
	s_cmp_ge_i32 s42, s24
	s_cbranch_scc1 .LBB497_23
.LBB497_33:                             ;   in Loop: Header=BB497_24 Depth=1
	v_ashrrev_i32_e32 v18, 31, v10
	v_lshrrev_b32_e32 v11, 29, v18
	v_add_u32_e32 v19, v10, v11
	v_ashrrev_i32_e32 v11, 3, v19
	v_lshrrev_b32_e32 v19, 31, v19
	v_add_u32_e32 v19, v11, v19
	v_and_b32_e32 v19, -2, v19
	v_sub_u32_e32 v19, v11, v19
	v_cmp_eq_u32_e32 vcc, v9, v19
	s_and_saveexec_b64 s[40:41], vcc
	s_cbranch_execz .LBB497_22
; %bb.34:                               ;   in Loop: Header=BB497_24 Depth=1
	v_lshrrev_b32_e32 v18, 28, v18
	v_add_u32_e32 v18, v10, v18
	v_lshlrev_b32_e32 v11, 3, v11
	v_sub_u32_e32 v10, v10, v11
	v_ashrrev_i32_e32 v11, 4, v18
	v_lshl_add_u32 v10, v11, 3, v10
	v_cmp_ne_u32_e32 vcc, 6, v10
	v_cmp_ne_u32_e64 s[0:1], 5, v10
	v_cmp_ne_u32_e64 s[8:9], 4, v10
	;; [unrolled: 1-line block ×7, first 2 shown]
	v_cndmask_b32_e32 v6, v16, v6, vcc
	v_cndmask_b32_e64 v5, v16, v5, s[0:1]
	v_cndmask_b32_e64 v7, v16, v7, s[18:19]
	;; [unrolled: 1-line block ×7, first 2 shown]
	s_branch .LBB497_22
.LBB497_35:
	v_mov_b32_e32 v13, 0
.LBB497_36:
	v_cmp_eq_u32_e32 vcc, 0, v9
	s_and_b64 exec, exec, vcc
	s_cbranch_execz .LBB497_49
; %bb.37:
	s_andn2_b64 vcc, exec, s[4:5]
	v_cvt_f32_f64_e32 v0, s[20:21]
	s_cbranch_vccnz .LBB497_39
; %bb.38:
	v_cmp_lt_f32_e32 vcc, 0, v13
	s_nop 1
	v_cndmask_b32_e32 v1, 1.0, v13, vcc
	v_div_scale_f32 v2, s[0:1], v1, v1, v0
	v_rcp_f32_e32 v3, v2
	s_nop 0
	v_fma_f32 v4, -v2, v3, 1.0
	v_fmac_f32_e32 v3, v4, v3
	v_div_scale_f32 v4, vcc, v0, v1, v0
	v_mul_f32_e32 v5, v4, v3
	v_fma_f32 v6, -v2, v5, v4
	v_fmac_f32_e32 v5, v6, v3
	v_fma_f32 v2, -v2, v5, v4
	v_div_fmas_f32 v2, v2, v3, v5
	v_div_fixup_f32 v0, v2, v1, v0
.LBB497_39:
	s_andn2_b64 vcc, exec, s[38:39]
	s_cbranch_vccnz .LBB497_49
; %bb.40:
	v_mul_lo_u32 v2, v8, s24
	s_cmp_gt_u32 s24, 3
	v_ashrrev_i32_e32 v3, 31, v2
	s_cbranch_scc0 .LBB497_44
; %bb.41:
	s_and_b32 s0, s24, 0x7ffffffc
	v_lshl_add_u64 v[4:5], v[2:3], 2, s[34:35]
	v_mov_b32_e32 v1, v0
	v_lshl_add_u64 v[4:5], v[4:5], 0, 8
	s_mov_b32 s1, s0
.LBB497_42:                             ; =>This Inner Loop Header: Depth=1
	global_load_dwordx4 v[6:9], v[4:5], off offset:-8
	s_add_i32 s1, s1, -4
	s_cmp_lg_u32 s1, 0
	s_waitcnt vmcnt(0)
	v_pk_mul_f32 v[6:7], v[0:1], v[6:7]
	v_pk_mul_f32 v[8:9], v[0:1], v[8:9]
	global_store_dwordx4 v[4:5], v[6:9], off offset:-8
	v_lshl_add_u64 v[4:5], v[4:5], 0, 16
	s_cbranch_scc1 .LBB497_42
; %bb.43:
	s_cmp_lg_u32 s0, s24
	s_cselect_b64 s[2:3], -1, 0
	s_branch .LBB497_46
.LBB497_44:
	s_mov_b64 s[2:3], 0
                                        ; implicit-def: $sgpr0
	s_cbranch_execz .LBB497_46
; %bb.45:
	s_mov_b64 s[2:3], -1
	s_mov_b32 s0, 0
.LBB497_46:
	s_andn2_b64 vcc, exec, s[2:3]
	s_cbranch_vccnz .LBB497_49
; %bb.47:
	s_mov_b32 s1, 0
	v_lshl_add_u64 v[2:3], v[2:3], 0, s[0:1]
	s_sub_i32 s2, s24, s0
	v_lshl_add_u64 v[2:3], v[2:3], 2, s[34:35]
.LBB497_48:                             ; =>This Inner Loop Header: Depth=1
	global_load_dword v1, v[2:3], off
	s_add_i32 s2, s2, -1
	s_cmp_lg_u32 s2, 0
	s_waitcnt vmcnt(0)
	v_mul_f32_e32 v1, v0, v1
	global_store_dword v[2:3], v1, off
	v_lshl_add_u64 v[2:3], v[2:3], 0, 4
	s_cbranch_scc1 .LBB497_48
.LBB497_49:
	s_endpgm
	.section	.rodata,"a",@progbits
	.p2align	6, 0x0
	.amdhsa_kernel _ZN4vllm3moe22topkGatingSoftplusSqrtILi8ELi16ELi4ELi16ELi64ELb0El14__hip_bfloat16EEvPKT6_PKbPfiPT5_PiiiibdPKfPKS9_SF_
		.amdhsa_group_segment_fixed_size 0
		.amdhsa_private_segment_fixed_size 0
		.amdhsa_kernarg_size 96
		.amdhsa_user_sgpr_count 2
		.amdhsa_user_sgpr_dispatch_ptr 0
		.amdhsa_user_sgpr_queue_ptr 0
		.amdhsa_user_sgpr_kernarg_segment_ptr 1
		.amdhsa_user_sgpr_dispatch_id 0
		.amdhsa_user_sgpr_kernarg_preload_length 0
		.amdhsa_user_sgpr_kernarg_preload_offset 0
		.amdhsa_user_sgpr_private_segment_size 0
		.amdhsa_uses_dynamic_stack 0
		.amdhsa_enable_private_segment 0
		.amdhsa_system_sgpr_workgroup_id_x 1
		.amdhsa_system_sgpr_workgroup_id_y 0
		.amdhsa_system_sgpr_workgroup_id_z 0
		.amdhsa_system_sgpr_workgroup_info 0
		.amdhsa_system_vgpr_workitem_id 1
		.amdhsa_next_free_vgpr 26
		.amdhsa_next_free_sgpr 43
		.amdhsa_accum_offset 28
		.amdhsa_reserve_vcc 1
		.amdhsa_float_round_mode_32 0
		.amdhsa_float_round_mode_16_64 0
		.amdhsa_float_denorm_mode_32 3
		.amdhsa_float_denorm_mode_16_64 3
		.amdhsa_dx10_clamp 1
		.amdhsa_ieee_mode 1
		.amdhsa_fp16_overflow 0
		.amdhsa_tg_split 0
		.amdhsa_exception_fp_ieee_invalid_op 0
		.amdhsa_exception_fp_denorm_src 0
		.amdhsa_exception_fp_ieee_div_zero 0
		.amdhsa_exception_fp_ieee_overflow 0
		.amdhsa_exception_fp_ieee_underflow 0
		.amdhsa_exception_fp_ieee_inexact 0
		.amdhsa_exception_int_div_zero 0
	.end_amdhsa_kernel
	.section	.text._ZN4vllm3moe22topkGatingSoftplusSqrtILi8ELi16ELi4ELi16ELi64ELb0El14__hip_bfloat16EEvPKT6_PKbPfiPT5_PiiiibdPKfPKS9_SF_,"axG",@progbits,_ZN4vllm3moe22topkGatingSoftplusSqrtILi8ELi16ELi4ELi16ELi64ELb0El14__hip_bfloat16EEvPKT6_PKbPfiPT5_PiiiibdPKfPKS9_SF_,comdat
.Lfunc_end497:
	.size	_ZN4vllm3moe22topkGatingSoftplusSqrtILi8ELi16ELi4ELi16ELi64ELb0El14__hip_bfloat16EEvPKT6_PKbPfiPT5_PiiiibdPKfPKS9_SF_, .Lfunc_end497-_ZN4vllm3moe22topkGatingSoftplusSqrtILi8ELi16ELi4ELi16ELi64ELb0El14__hip_bfloat16EEvPKT6_PKbPfiPT5_PiiiibdPKfPKS9_SF_
                                        ; -- End function
	.section	.AMDGPU.csdata,"",@progbits
; Kernel info:
; codeLenInByte = 3628
; NumSgprs: 49
; NumVgprs: 26
; NumAgprs: 0
; TotalNumVgprs: 26
; ScratchSize: 0
; MemoryBound: 0
; FloatMode: 240
; IeeeMode: 1
; LDSByteSize: 0 bytes/workgroup (compile time only)
; SGPRBlocks: 6
; VGPRBlocks: 3
; NumSGPRsForWavesPerEU: 49
; NumVGPRsForWavesPerEU: 26
; AccumOffset: 28
; Occupancy: 8
; WaveLimiterHint : 0
; COMPUTE_PGM_RSRC2:SCRATCH_EN: 0
; COMPUTE_PGM_RSRC2:USER_SGPR: 2
; COMPUTE_PGM_RSRC2:TRAP_HANDLER: 0
; COMPUTE_PGM_RSRC2:TGID_X_EN: 1
; COMPUTE_PGM_RSRC2:TGID_Y_EN: 0
; COMPUTE_PGM_RSRC2:TGID_Z_EN: 0
; COMPUTE_PGM_RSRC2:TIDIG_COMP_CNT: 1
; COMPUTE_PGM_RSRC3_GFX90A:ACCUM_OFFSET: 6
; COMPUTE_PGM_RSRC3_GFX90A:TG_SPLIT: 0
	.section	.text._ZN4vllm3moe22topkGatingSoftplusSqrtILi8ELi16ELi4ELi16ELi32ELb1El14__hip_bfloat16EEvPKT6_PKbPfiPT5_PiiiibdPKfPKS9_SF_,"axG",@progbits,_ZN4vllm3moe22topkGatingSoftplusSqrtILi8ELi16ELi4ELi16ELi32ELb1El14__hip_bfloat16EEvPKT6_PKbPfiPT5_PiiiibdPKfPKS9_SF_,comdat
	.protected	_ZN4vllm3moe22topkGatingSoftplusSqrtILi8ELi16ELi4ELi16ELi32ELb1El14__hip_bfloat16EEvPKT6_PKbPfiPT5_PiiiibdPKfPKS9_SF_ ; -- Begin function _ZN4vllm3moe22topkGatingSoftplusSqrtILi8ELi16ELi4ELi16ELi32ELb1El14__hip_bfloat16EEvPKT6_PKbPfiPT5_PiiiibdPKfPKS9_SF_
	.globl	_ZN4vllm3moe22topkGatingSoftplusSqrtILi8ELi16ELi4ELi16ELi32ELb1El14__hip_bfloat16EEvPKT6_PKbPfiPT5_PiiiibdPKfPKS9_SF_
	.p2align	8
	.type	_ZN4vllm3moe22topkGatingSoftplusSqrtILi8ELi16ELi4ELi16ELi32ELb1El14__hip_bfloat16EEvPKT6_PKbPfiPT5_PiiiibdPKfPKS9_SF_,@function
_ZN4vllm3moe22topkGatingSoftplusSqrtILi8ELi16ELi4ELi16ELi32ELb1El14__hip_bfloat16EEvPKT6_PKbPfiPT5_PiiiibdPKfPKS9_SF_: ; @_ZN4vllm3moe22topkGatingSoftplusSqrtILi8ELi16ELi4ELi16ELi32ELb1El14__hip_bfloat16EEvPKT6_PKbPfiPT5_PiiiibdPKfPKS9_SF_
; %bb.0:
	s_load_dword s3, s[0:1], 0x18
	v_bfe_u32 v1, v0, 10, 10
	v_and_b32_e32 v8, 0x3ff, v0
	s_lshl_b32 s2, s2, 6
	v_lshlrev_b32_e32 v1, 4, v1
	v_lshrrev_b32_e32 v0, 1, v8
	v_add3_u32 v6, s2, v1, v0
	s_waitcnt lgkmcnt(0)
	v_cmp_gt_i32_e32 vcc, s3, v6
	s_and_saveexec_b64 s[2:3], vcc
	s_cbranch_execz .LBB498_31
; %bb.1:
	s_load_dwordx4 s[8:11], s[0:1], 0x50
	s_load_dwordx2 s[2:3], s[0:1], 0x0
	s_load_dword s12, s[0:1], 0x30
	v_lshlrev_b32_e32 v0, 4, v6
	v_lshlrev_b32_e32 v4, 3, v8
	v_ashrrev_i32_e32 v1, 31, v0
	v_and_b32_e32 v12, 8, v4
	s_waitcnt lgkmcnt(0)
	v_mov_b32_e32 v2, s8
	v_mov_b32_e32 v3, s9
	v_lshl_add_u64 v[0:1], v[0:1], 1, s[2:3]
	v_lshlrev_b32_e32 v4, 1, v12
	v_mov_b32_e32 v5, 0
	v_ashrrev_i32_e32 v7, 31, v6
	v_lshl_add_u64 v[2:3], v[6:7], 3, v[2:3]
	v_lshl_add_u64 v[0:1], v[0:1], 0, v[4:5]
	global_load_dwordx2 v[10:11], v[2:3], off
	s_ashr_i32 s13, s12, 31
	global_load_dwordx4 v[0:3], v[0:1], off
	s_mov_b32 s23, 0x800000
	v_mov_b32_e32 v4, 0x4f800000
	s_mov_b32 s21, 0x3f317217
	s_mov_b32 s22, 0x7f800000
	v_mov_b32_e32 v7, 0x41b17218
	s_mov_b32 s17, 0x41a00000
	s_mov_b32 s20, 0xf800000
	v_mov_b32_e32 v9, 0x260
	v_cmp_lt_i64_e64 s[18:19], s[12:13], 1
	s_mov_b32 s16, 0
	v_cmp_gt_i64_e64 s[14:15], s[12:13], 0
	s_waitcnt vmcnt(1)
	v_mul_lo_u32 v11, v11, s12
	v_mul_lo_u32 v13, v10, s13
	s_waitcnt vmcnt(0)
	v_and_b32_e32 v18, 0xffff0000, v0
	v_lshlrev_b32_e32 v19, 16, v0
	v_and_b32_e32 v20, 0xffff0000, v1
	v_lshlrev_b32_e32 v21, 16, v1
	v_mul_f32_e32 v0, 0x3fb8aa3b, v19
	v_mul_f32_e32 v1, 0x3fb8aa3b, v18
	v_exp_f32_e32 v14, v0
	v_exp_f32_e32 v15, v1
	v_mul_f32_e32 v16, 0x3fb8aa3b, v21
	v_mul_f32_e32 v17, 0x3fb8aa3b, v20
	v_exp_f32_e32 v16, v16
	v_exp_f32_e32 v17, v17
	v_mad_u64_u32 v[0:1], s[2:3], v10, s12, 0
	v_add3_u32 v1, v1, v13, v11
	v_pk_add_f32 v[10:11], v[14:15], 1.0 op_sel_hi:[1,0]
	v_pk_add_f32 v[14:15], v[16:17], 1.0 op_sel_hi:[1,0]
	v_cmp_gt_f32_e32 vcc, s23, v11
	v_cmp_gt_f32_e64 s[2:3], s23, v10
	v_cmp_gt_f32_e64 s[6:7], s23, v14
	v_cndmask_b32_e32 v13, 1.0, v4, vcc
	v_cndmask_b32_e64 v16, 1.0, v4, s[2:3]
	v_mul_f32_e32 v11, v11, v13
	v_mul_f32_e32 v10, v10, v16
	v_log_f32_e32 v11, v11
	v_log_f32_e32 v10, v10
	v_cmp_gt_f32_e64 s[4:5], s23, v15
	v_cndmask_b32_e64 v22, 1.0, v4, s[6:7]
	v_mul_f32_e32 v14, v14, v22
	v_cndmask_b32_e64 v17, 1.0, v4, s[4:5]
	v_mul_f32_e32 v15, v15, v17
	v_log_f32_e32 v22, v14
	v_mul_f32_e32 v14, 0x3f317217, v11
	v_log_f32_e32 v17, v15
	v_mul_f32_e32 v15, 0x3f317217, v10
	v_fma_f32 v14, v11, s21, -v14
	v_fma_f32 v15, v10, s21, -v15
	v_fmac_f32_e32 v14, 0x3377d1cf, v11
	v_cndmask_b32_e32 v13, 0, v7, vcc
	v_fmac_f32_e32 v15, 0x3377d1cf, v10
	v_fmac_f32_e32 v14, 0x3f317217, v11
	v_cmp_lt_f32_e64 vcc, |v11|, s22
	v_fmac_f32_e32 v15, 0x3f317217, v10
	v_cndmask_b32_e64 v16, 0, v7, s[2:3]
	v_cndmask_b32_e32 v11, v11, v14, vcc
	v_cmp_lt_f32_e64 vcc, |v10|, s22
	v_sub_f32_e32 v11, v11, v13
	v_mul_f32_e32 v23, 0x3f317217, v17
	v_cndmask_b32_e32 v10, v10, v15, vcc
	v_sub_f32_e32 v10, v10, v16
	v_cmp_lt_f32_e32 vcc, s17, v19
	v_fma_f32 v23, v17, s21, -v23
	v_fmac_f32_e32 v23, 0x3377d1cf, v17
	v_cndmask_b32_e32 v10, v10, v19, vcc
	v_cmp_lt_f32_e32 vcc, s17, v18
	v_mul_f32_e32 v14, 0x4f800000, v10
	v_cmp_gt_f32_e64 s[2:3], s20, v10
	v_cndmask_b32_e32 v11, v11, v18, vcc
	v_mul_f32_e32 v13, 0x4f800000, v11
	v_cmp_gt_f32_e32 vcc, s20, v11
	v_cndmask_b32_e64 v10, v10, v14, s[2:3]
	v_sqrt_f32_e32 v14, v10
	v_cndmask_b32_e32 v11, v11, v13, vcc
	v_sqrt_f32_e32 v13, v11
	v_fmac_f32_e32 v23, 0x3f317217, v17
	v_add_u32_e32 v18, -1, v14
	v_fma_f32 v26, -v18, v14, v10
	v_add_u32_e32 v15, -1, v13
	v_fma_f32 v24, -v15, v13, v11
	v_add_u32_e32 v16, 1, v13
	v_cmp_ge_f32_e64 s[8:9], 0, v24
	v_add_u32_e32 v19, 1, v14
	v_fma_f32 v25, -v16, v13, v11
	v_cndmask_b32_e64 v13, v13, v15, s[8:9]
	v_cmp_ge_f32_e64 s[8:9], 0, v26
	v_fma_f32 v27, -v19, v14, v10
	s_nop 0
	v_cndmask_b32_e64 v14, v14, v18, s[8:9]
	v_cmp_lt_f32_e64 s[8:9], 0, v25
	s_nop 1
	v_cndmask_b32_e64 v13, v13, v16, s[8:9]
	v_cmp_lt_f32_e64 s[8:9], 0, v27
	v_mul_f32_e32 v15, 0x37800000, v13
	v_cndmask_b32_e32 v13, v13, v15, vcc
	v_cndmask_b32_e64 v14, v14, v19, s[8:9]
	v_mul_f32_e32 v16, 0x37800000, v14
	v_cmp_class_f32_e32 vcc, v11, v9
	v_cndmask_b32_e64 v14, v14, v16, s[2:3]
	v_cmp_lt_f32_e64 s[2:3], s17, v21
	v_cndmask_b32_e32 v15, v13, v11, vcc
	v_cmp_class_f32_e32 vcc, v10, v9
	v_cndmask_b32_e64 v11, 0, v7, s[4:5]
	v_cndmask_b32_e64 v13, 0, v7, s[6:7]
	v_cndmask_b32_e32 v14, v14, v10, vcc
	v_cmp_lt_f32_e64 vcc, |v17|, s22
	s_nop 1
	v_cndmask_b32_e32 v10, v17, v23, vcc
	v_sub_f32_e32 v10, v10, v11
	v_mul_f32_e32 v11, 0x3f317217, v22
	v_fma_f32 v11, v22, s21, -v11
	v_fmac_f32_e32 v11, 0x3377d1cf, v22
	v_fmac_f32_e32 v11, 0x3f317217, v22
	v_cmp_lt_f32_e64 vcc, |v22|, s22
	s_nop 1
	v_cndmask_b32_e32 v11, v22, v11, vcc
	v_cmp_lt_f32_e32 vcc, s17, v20
	v_sub_f32_e32 v11, v11, v13
	v_cndmask_b32_e64 v11, v11, v21, s[2:3]
	v_cndmask_b32_e32 v10, v10, v20, vcc
	v_mul_f32_e32 v16, 0x4f800000, v10
	v_cmp_gt_f32_e32 vcc, s20, v10
	v_and_b32_e32 v20, 0xffff0000, v2
	v_lshlrev_b32_e32 v2, 16, v2
	v_cndmask_b32_e32 v10, v10, v16, vcc
	v_sqrt_f32_e32 v16, v10
	s_nop 0
	v_add_u32_e32 v13, -1, v16
	v_fma_f32 v17, -v13, v16, v10
	v_cmp_ge_f32_e64 s[2:3], 0, v17
	v_add_u32_e32 v17, 1, v16
	s_nop 0
	v_cndmask_b32_e64 v13, v16, v13, s[2:3]
	v_fma_f32 v16, -v17, v16, v10
	v_cmp_lt_f32_e64 s[2:3], 0, v16
	s_nop 1
	v_cndmask_b32_e64 v13, v13, v17, s[2:3]
	v_mul_f32_e32 v17, 0x4f800000, v11
	v_cmp_gt_f32_e64 s[2:3], s20, v11
	v_mul_f32_e32 v16, 0x37800000, v13
	v_cndmask_b32_e32 v13, v13, v16, vcc
	v_cndmask_b32_e64 v18, v11, v17, s[2:3]
	v_sqrt_f32_e32 v11, v18
	v_cmp_class_f32_e32 vcc, v10, v9
	v_add_u32_e32 v16, 1, v11
	s_nop 0
	v_cndmask_b32_e32 v17, v13, v10, vcc
	v_add_u32_e32 v10, -1, v11
	v_fma_f32 v13, -v10, v11, v18
	v_cmp_ge_f32_e32 vcc, 0, v13
	v_fma_f32 v19, -v16, v11, v18
	s_nop 0
	v_cndmask_b32_e32 v13, v11, v10, vcc
	v_mul_f32_e32 v10, 0x3fb8aa3b, v2
	v_mul_f32_e32 v11, 0x3fb8aa3b, v20
	v_exp_f32_e32 v10, v10
	v_exp_f32_e32 v11, v11
	v_cmp_lt_f32_e32 vcc, 0, v19
	v_pk_add_f32 v[10:11], v[10:11], 1.0 op_sel_hi:[1,0]
	s_nop 0
	v_cndmask_b32_e32 v13, v13, v16, vcc
	v_mul_f32_e32 v16, 0x37800000, v13
	v_cmp_gt_f32_e32 vcc, s23, v11
	v_cndmask_b32_e64 v13, v13, v16, s[2:3]
	v_cmp_class_f32_e64 s[2:3], v18, v9
	v_cndmask_b32_e32 v16, 1.0, v4, vcc
	v_mul_f32_e32 v11, v11, v16
	v_log_f32_e32 v11, v11
	v_cndmask_b32_e64 v16, v13, v18, s[2:3]
	v_cmp_gt_f32_e64 s[2:3], s23, v10
	scratch_store_dwordx4 off, v[14:17], off
	v_mul_f32_e32 v13, 0x3f317217, v11
	v_fma_f32 v13, v11, s21, -v13
	v_cndmask_b32_e64 v14, 1.0, v4, s[2:3]
	v_mul_f32_e32 v10, v10, v14
	v_log_f32_e32 v10, v10
	v_fmac_f32_e32 v13, 0x3377d1cf, v11
	v_fmac_f32_e32 v13, 0x3f317217, v11
	v_cmp_lt_f32_e64 s[4:5], |v11|, s22
	v_and_b32_e32 v16, 0xffff0000, v3
	v_lshlrev_b32_e32 v17, 16, v3
	v_cndmask_b32_e64 v11, v11, v13, s[4:5]
	v_cndmask_b32_e32 v13, 0, v7, vcc
	v_sub_f32_e32 v11, v11, v13
	v_mul_f32_e32 v13, 0x3f317217, v10
	v_fma_f32 v13, v10, s21, -v13
	v_fmac_f32_e32 v13, 0x3377d1cf, v10
	v_fmac_f32_e32 v13, 0x3f317217, v10
	v_cmp_lt_f32_e64 vcc, |v10|, s22
	v_mul_f32_e32 v3, 0x3fb8aa3b, v16
	v_exp_f32_e32 v3, v3
	v_cndmask_b32_e32 v10, v10, v13, vcc
	v_cmp_lt_f32_e32 vcc, s17, v20
	v_cndmask_b32_e64 v13, 0, v7, s[2:3]
	v_sub_f32_e32 v10, v10, v13
	v_cndmask_b32_e32 v11, v11, v20, vcc
	v_mul_f32_e32 v14, 0x4f800000, v11
	v_cmp_gt_f32_e32 vcc, s20, v11
	v_cmp_lt_f32_e64 s[2:3], s17, v2
	s_nop 0
	v_cndmask_b32_e32 v11, v11, v14, vcc
	v_sqrt_f32_e32 v14, v11
	v_cndmask_b32_e64 v2, v10, v2, s[2:3]
	v_add_u32_e32 v10, -1, v14
	v_fma_f32 v13, -v10, v14, v11
	v_cmp_ge_f32_e64 s[2:3], 0, v13
	v_add_u32_e32 v13, 1, v14
	s_nop 0
	v_cndmask_b32_e64 v10, v14, v10, s[2:3]
	v_fma_f32 v14, -v13, v14, v11
	v_cmp_lt_f32_e64 s[2:3], 0, v14
	v_mul_f32_e32 v14, 0x4f800000, v2
	s_nop 0
	v_cndmask_b32_e64 v10, v10, v13, s[2:3]
	v_cmp_gt_f32_e64 s[2:3], s20, v2
	v_mul_f32_e32 v13, 0x37800000, v10
	v_cndmask_b32_e32 v10, v10, v13, vcc
	v_cndmask_b32_e64 v14, v2, v14, s[2:3]
	v_sqrt_f32_e32 v2, v14
	v_cmp_class_f32_e32 vcc, v11, v9
	s_nop 1
	v_cndmask_b32_e32 v15, v10, v11, vcc
	v_add_u32_e32 v10, -1, v2
	v_fma_f32 v11, -v10, v2, v14
	v_cmp_ge_f32_e32 vcc, 0, v11
	v_add_u32_e32 v11, 1, v2
	v_fma_f32 v13, -v11, v2, v14
	v_cndmask_b32_e32 v10, v2, v10, vcc
	v_mul_f32_e32 v2, 0x3fb8aa3b, v17
	v_exp_f32_e32 v2, v2
	v_cmp_lt_f32_e32 vcc, 0, v13
	v_pk_add_f32 v[2:3], v[2:3], 1.0 op_sel_hi:[1,0]
	s_nop 0
	v_cndmask_b32_e32 v10, v10, v11, vcc
	v_cmp_gt_f32_e32 vcc, s23, v3
	v_mul_f32_e32 v11, 0x37800000, v10
	v_cndmask_b32_e64 v10, v10, v11, s[2:3]
	v_cndmask_b32_e32 v13, 1.0, v4, vcc
	v_mul_f32_e32 v3, v3, v13
	v_log_f32_e32 v3, v3
	v_cmp_class_f32_e64 s[2:3], v14, v9
	v_cmp_lt_f32_e64 s[4:5], |v3|, s22
	s_nop 0
	v_cndmask_b32_e64 v14, v10, v14, s[2:3]
	v_cmp_gt_f32_e64 s[2:3], s23, v2
	v_mul_f32_e32 v10, 0x3f317217, v3
	v_fma_f32 v10, v3, s21, -v10
	v_cndmask_b32_e64 v4, 1.0, v4, s[2:3]
	v_mul_f32_e32 v2, v2, v4
	v_log_f32_e32 v2, v2
	v_fmac_f32_e32 v10, 0x3377d1cf, v3
	v_fmac_f32_e32 v10, 0x3f317217, v3
	v_cndmask_b32_e64 v3, v3, v10, s[4:5]
	v_cndmask_b32_e32 v4, 0, v7, vcc
	v_sub_f32_e32 v3, v3, v4
	v_mul_f32_e32 v4, 0x3f317217, v2
	v_fma_f32 v4, v2, s21, -v4
	v_fmac_f32_e32 v4, 0x3377d1cf, v2
	v_fmac_f32_e32 v4, 0x3f317217, v2
	v_cmp_lt_f32_e64 vcc, |v2|, s22
	s_nop 1
	v_cndmask_b32_e32 v2, v2, v4, vcc
	v_cmp_lt_f32_e32 vcc, s17, v16
	v_cndmask_b32_e64 v4, 0, v7, s[2:3]
	v_sub_f32_e32 v2, v2, v4
	v_cndmask_b32_e32 v3, v3, v16, vcc
	v_mul_f32_e32 v7, 0x4f800000, v3
	v_cmp_gt_f32_e32 vcc, s20, v3
	v_cmp_lt_f32_e64 s[2:3], s17, v17
	s_nop 0
	v_cndmask_b32_e32 v3, v3, v7, vcc
	v_sqrt_f32_e32 v7, v3
	v_cndmask_b32_e64 v2, v2, v17, s[2:3]
	v_add_u32_e32 v4, -1, v7
	v_fma_f32 v10, -v4, v7, v3
	v_cmp_ge_f32_e64 s[2:3], 0, v10
	v_add_u32_e32 v10, 1, v7
	s_nop 0
	v_cndmask_b32_e64 v4, v7, v4, s[2:3]
	v_fma_f32 v7, -v10, v7, v3
	v_cmp_lt_f32_e64 s[2:3], 0, v7
	s_nop 1
	v_cndmask_b32_e64 v4, v4, v10, s[2:3]
	v_mul_f32_e32 v10, 0x4f800000, v2
	v_cmp_gt_f32_e64 s[2:3], s20, v2
	v_mul_f32_e32 v7, 0x37800000, v4
	v_cndmask_b32_e32 v4, v4, v7, vcc
	v_cndmask_b32_e64 v2, v2, v10, s[2:3]
	v_sqrt_f32_e32 v10, v2
	v_cmp_class_f32_e32 vcc, v3, v9
	s_nop 1
	v_cndmask_b32_e32 v17, v4, v3, vcc
	v_add_u32_e32 v3, -1, v10
	v_fma_f32 v4, -v3, v10, v2
	v_cmp_ge_f32_e32 vcc, 0, v4
	v_add_u32_e32 v4, 1, v10
	v_fma_f32 v7, -v4, v10, v2
	v_cndmask_b32_e32 v3, v10, v3, vcc
	v_cmp_lt_f32_e32 vcc, 0, v7
	s_nop 1
	v_cndmask_b32_e32 v3, v3, v4, vcc
	v_mul_f32_e32 v4, 0x37800000, v3
	v_cndmask_b32_e64 v3, v3, v4, s[2:3]
	v_cmp_class_f32_e32 vcc, v2, v9
	s_nop 1
	v_cndmask_b32_e32 v16, v3, v2, vcc
	v_lshl_add_u64 v[2:3], v[0:1], 3, s[10:11]
	s_and_b64 vcc, exec, s[18:19]
	v_mul_lo_u32 v0, v6, s12
	scratch_store_dwordx4 off, v[14:17], off offset:16
	s_cbranch_vccnz .LBB498_28
; %bb.2:
	s_load_dwordx2 s[4:5], s[0:1], 0x20
	s_cmp_lt_u32 s12, 4
	v_and_b32_e32 v4, 1, v8
	s_cbranch_scc1 .LBB498_21
; %bb.3:
	v_lshlrev_b32_e32 v5, 3, v4
	s_mov_b32 s7, 0
	s_and_b32 s16, s12, 0x7ffffffc
	v_ashrrev_i32_e32 v1, 31, v0
	v_sub_u32_e32 v13, 0, v5
	v_mov_b32_e32 v5, 0
	s_mov_b32 s6, s7
	s_branch .LBB498_5
.LBB498_4:                              ;   in Loop: Header=BB498_5 Depth=1
	s_or_b64 exec, exec, s[8:9]
	s_add_i32 s6, s6, 4
	s_cmp_eq_u32 s6, s16
	s_cbranch_scc1 .LBB498_21
.LBB498_5:                              ; =>This Loop Header: Depth=1
                                        ;     Child Loop BB498_7 Depth 2
                                        ;     Child Loop BB498_11 Depth 2
	;; [unrolled: 1-line block ×4, first 2 shown]
	v_lshl_add_u64 v[6:7], s[6:7], 3, v[2:3]
	global_load_dwordx2 v[8:9], v[6:7], off
	v_add_u32_e32 v10, s6, v0
	v_ashrrev_i32_e32 v11, 31, v10
	v_mov_b32_e32 v14, 0
	s_mov_b64 s[8:9], 0
	s_waitcnt lgkmcnt(0)
	v_lshl_add_u64 v[10:11], v[10:11], 3, s[4:5]
	s_mov_b32 s13, 0
	s_waitcnt vmcnt(0)
	v_ashrrev_i32_e32 v9, 31, v8
	v_add_u32_e32 v15, v13, v8
	s_branch .LBB498_7
.LBB498_6:                              ;   in Loop: Header=BB498_7 Depth=2
	s_or_b64 exec, exec, s[10:11]
	s_add_i32 s17, s13, 1
	s_cmp_gt_u32 s13, 6
	s_cselect_b64 s[2:3], -1, 0
	s_xor_b64 s[10:11], vcc, -1
	s_or_b64 s[2:3], s[10:11], s[2:3]
	s_and_b64 s[2:3], exec, s[2:3]
	v_add_u32_e32 v14, 4, v14
	s_or_b64 s[8:9], s[2:3], s[8:9]
	s_mov_b32 s13, s17
	s_andn2_b64 exec, exec, s[8:9]
	s_cbranch_execz .LBB498_9
.LBB498_7:                              ;   Parent Loop BB498_5 Depth=1
                                        ; =>  This Inner Loop Header: Depth=2
	v_cmp_ne_u32_e32 vcc, s13, v15
	v_cmp_eq_u32_e64 s[2:3], s13, v15
	s_and_saveexec_b64 s[10:11], s[2:3]
	s_cbranch_execz .LBB498_6
; %bb.8:                                ;   in Loop: Header=BB498_7 Depth=2
	scratch_load_dword v16, v14, off
	s_waitcnt vmcnt(0)
	v_add_f32_e32 v5, v5, v16
	global_store_dwordx2 v[10:11], v[8:9], off
	s_branch .LBB498_6
.LBB498_9:                              ;   in Loop: Header=BB498_5 Depth=1
	s_or_b64 exec, exec, s[8:9]
	global_load_dwordx2 v[10:11], v[6:7], off offset:8
	s_ashr_i32 s3, s6, 31
	s_mov_b32 s2, s6
	v_lshl_add_u64 v[8:9], s[2:3], 0, v[0:1]
	v_mov_b32_e32 v14, 0
	s_mov_b32 s13, 0
	v_lshl_add_u64 v[8:9], v[8:9], 3, s[4:5]
	s_mov_b64 s[8:9], 0
	s_waitcnt vmcnt(0)
	v_ashrrev_i32_e32 v11, 31, v10
	v_add_u32_e32 v15, v13, v10
	s_branch .LBB498_11
.LBB498_10:                             ;   in Loop: Header=BB498_11 Depth=2
	s_or_b64 exec, exec, s[10:11]
	s_add_i32 s17, s13, 1
	s_cmp_gt_u32 s13, 6
	s_cselect_b64 s[2:3], -1, 0
	s_xor_b64 s[10:11], vcc, -1
	s_or_b64 s[2:3], s[10:11], s[2:3]
	s_and_b64 s[2:3], exec, s[2:3]
	v_add_u32_e32 v14, 4, v14
	s_or_b64 s[8:9], s[2:3], s[8:9]
	s_mov_b32 s13, s17
	s_andn2_b64 exec, exec, s[8:9]
	s_cbranch_execz .LBB498_13
.LBB498_11:                             ;   Parent Loop BB498_5 Depth=1
                                        ; =>  This Inner Loop Header: Depth=2
	v_cmp_ne_u32_e32 vcc, s13, v15
	v_cmp_eq_u32_e64 s[2:3], s13, v15
	s_and_saveexec_b64 s[10:11], s[2:3]
	s_cbranch_execz .LBB498_10
; %bb.12:                               ;   in Loop: Header=BB498_11 Depth=2
	scratch_load_dword v16, v14, off
	s_waitcnt vmcnt(0)
	v_add_f32_e32 v5, v5, v16
	global_store_dwordx2 v[8:9], v[10:11], off offset:8
	s_branch .LBB498_10
.LBB498_13:                             ;   in Loop: Header=BB498_5 Depth=1
	s_or_b64 exec, exec, s[8:9]
	global_load_dwordx2 v[10:11], v[6:7], off offset:16
	v_mov_b32_e32 v14, 0
	s_mov_b32 s13, 0
	s_mov_b64 s[8:9], 0
	s_waitcnt vmcnt(0)
	v_ashrrev_i32_e32 v11, 31, v10
	v_add_u32_e32 v15, v13, v10
	s_branch .LBB498_15
.LBB498_14:                             ;   in Loop: Header=BB498_15 Depth=2
	s_or_b64 exec, exec, s[10:11]
	s_add_i32 s17, s13, 1
	s_cmp_gt_u32 s13, 6
	s_cselect_b64 s[2:3], -1, 0
	s_xor_b64 s[10:11], vcc, -1
	s_or_b64 s[2:3], s[10:11], s[2:3]
	s_and_b64 s[2:3], exec, s[2:3]
	v_add_u32_e32 v14, 4, v14
	s_or_b64 s[8:9], s[2:3], s[8:9]
	s_mov_b32 s13, s17
	s_andn2_b64 exec, exec, s[8:9]
	s_cbranch_execz .LBB498_17
.LBB498_15:                             ;   Parent Loop BB498_5 Depth=1
                                        ; =>  This Inner Loop Header: Depth=2
	v_cmp_ne_u32_e32 vcc, s13, v15
	v_cmp_eq_u32_e64 s[2:3], s13, v15
	s_and_saveexec_b64 s[10:11], s[2:3]
	s_cbranch_execz .LBB498_14
; %bb.16:                               ;   in Loop: Header=BB498_15 Depth=2
	scratch_load_dword v16, v14, off
	s_waitcnt vmcnt(0)
	v_add_f32_e32 v5, v5, v16
	global_store_dwordx2 v[8:9], v[10:11], off offset:16
	s_branch .LBB498_14
.LBB498_17:                             ;   in Loop: Header=BB498_5 Depth=1
	s_or_b64 exec, exec, s[8:9]
	global_load_dwordx2 v[6:7], v[6:7], off offset:24
	v_mov_b32_e32 v10, 0
	s_mov_b32 s13, 0
	s_mov_b64 s[8:9], 0
	s_waitcnt vmcnt(0)
	v_ashrrev_i32_e32 v7, 31, v6
	v_add_u32_e32 v11, v13, v6
	s_branch .LBB498_19
.LBB498_18:                             ;   in Loop: Header=BB498_19 Depth=2
	s_or_b64 exec, exec, s[10:11]
	s_add_i32 s17, s13, 1
	s_cmp_gt_u32 s13, 6
	s_cselect_b64 s[2:3], -1, 0
	s_xor_b64 s[10:11], vcc, -1
	s_or_b64 s[2:3], s[10:11], s[2:3]
	s_and_b64 s[2:3], exec, s[2:3]
	v_add_u32_e32 v10, 4, v10
	s_or_b64 s[8:9], s[2:3], s[8:9]
	s_mov_b32 s13, s17
	s_andn2_b64 exec, exec, s[8:9]
	s_cbranch_execz .LBB498_4
.LBB498_19:                             ;   Parent Loop BB498_5 Depth=1
                                        ; =>  This Inner Loop Header: Depth=2
	v_cmp_ne_u32_e32 vcc, s13, v11
	v_cmp_eq_u32_e64 s[2:3], s13, v11
	s_and_saveexec_b64 s[10:11], s[2:3]
	s_cbranch_execz .LBB498_18
; %bb.20:                               ;   in Loop: Header=BB498_19 Depth=2
	scratch_load_dword v14, v10, off
	s_waitcnt vmcnt(0)
	v_add_f32_e32 v5, v5, v14
	global_store_dwordx2 v[8:9], v[6:7], off offset:24
	s_branch .LBB498_18
.LBB498_21:
	s_and_b32 s10, s12, 3
	s_cmp_eq_u32 s10, 0
	s_mov_b32 s17, 0
	s_cbranch_scc1 .LBB498_28
; %bb.22:
	v_lshlrev_b32_e32 v1, 3, v4
	v_sub_u32_e32 v1, 0, v1
	s_mov_b32 s11, s17
	s_branch .LBB498_24
.LBB498_23:                             ;   in Loop: Header=BB498_24 Depth=1
	s_or_b64 exec, exec, s[6:7]
	s_add_i32 s16, s16, 1
	s_add_i32 s11, s11, 1
	s_cmp_lg_u32 s11, s10
	s_cbranch_scc0 .LBB498_28
.LBB498_24:                             ; =>This Loop Header: Depth=1
                                        ;     Child Loop BB498_26 Depth 2
	v_lshl_add_u64 v[6:7], s[16:17], 3, v[2:3]
	global_load_dwordx2 v[6:7], v[6:7], off
	v_add_u32_e32 v8, s16, v0
	v_ashrrev_i32_e32 v9, 31, v8
	v_mov_b32_e32 v4, 0
	s_mov_b32 s13, 0
	s_waitcnt lgkmcnt(0)
	v_lshl_add_u64 v[8:9], v[8:9], 3, s[4:5]
	s_mov_b64 s[6:7], 0
	s_waitcnt vmcnt(0)
	v_ashrrev_i32_e32 v7, 31, v6
	v_add_u32_e32 v10, v1, v6
	s_branch .LBB498_26
.LBB498_25:                             ;   in Loop: Header=BB498_26 Depth=2
	s_or_b64 exec, exec, s[8:9]
	s_add_i32 s18, s13, 1
	s_cmp_gt_u32 s13, 6
	s_cselect_b64 s[2:3], -1, 0
	s_xor_b64 s[8:9], vcc, -1
	s_or_b64 s[2:3], s[8:9], s[2:3]
	s_and_b64 s[2:3], exec, s[2:3]
	v_add_u32_e32 v4, 4, v4
	s_or_b64 s[6:7], s[2:3], s[6:7]
	s_mov_b32 s13, s18
	s_andn2_b64 exec, exec, s[6:7]
	s_cbranch_execz .LBB498_23
.LBB498_26:                             ;   Parent Loop BB498_24 Depth=1
                                        ; =>  This Inner Loop Header: Depth=2
	v_cmp_ne_u32_e32 vcc, s13, v10
	v_cmp_eq_u32_e64 s[2:3], s13, v10
	s_and_saveexec_b64 s[8:9], s[2:3]
	s_cbranch_execz .LBB498_25
; %bb.27:                               ;   in Loop: Header=BB498_26 Depth=2
	scratch_load_dword v11, v4, off
	s_waitcnt vmcnt(0)
	v_add_f32_e32 v5, v5, v11
	global_store_dwordx2 v[8:9], v[6:7], off
	s_branch .LBB498_25
.LBB498_28:
	s_waitcnt lgkmcnt(0)
	s_load_dword s4, s[0:1], 0x3c
	s_waitcnt lgkmcnt(0)
	s_bitcmp1_b32 s4, 0
	s_cselect_b64 s[2:3], -1, 0
	s_bitcmp0_b32 s4, 0
	s_cbranch_scc0 .LBB498_32
; %bb.29:
	s_load_dwordx2 s[4:5], s[0:1], 0x40
	s_andn2_b64 vcc, exec, s[2:3]
	s_waitcnt lgkmcnt(0)
	v_cvt_f32_f64_e32 v8, s[4:5]
	s_cbranch_vccz .LBB498_33
.LBB498_30:
	s_andn2_b64 vcc, exec, s[14:15]
	s_cbranch_vccz .LBB498_34
.LBB498_31:
	s_endpgm
.LBB498_32:
	v_mbcnt_lo_u32_b32 v1, -1, 0
	v_mbcnt_hi_u32_b32 v1, -1, v1
	v_and_b32_e32 v6, 0x7e, v1
	v_xor_b32_e32 v4, 1, v1
	v_add_u32_e32 v6, 2, v6
	v_cmp_lt_i32_e32 vcc, v4, v6
	s_nop 1
	v_cndmask_b32_e32 v1, v1, v4, vcc
	v_lshlrev_b32_e32 v1, 2, v1
	ds_bpermute_b32 v1, v1, v5
	s_waitcnt lgkmcnt(0)
	v_add_f32_e32 v5, v5, v1
	s_load_dwordx2 s[4:5], s[0:1], 0x40
	s_andn2_b64 vcc, exec, s[2:3]
	s_waitcnt lgkmcnt(0)
	v_cvt_f32_f64_e32 v8, s[4:5]
	s_cbranch_vccnz .LBB498_30
.LBB498_33:
	v_cmp_lt_f32_e32 vcc, 0, v5
	s_nop 1
	v_cndmask_b32_e32 v1, 1.0, v5, vcc
	v_div_scale_f32 v4, s[2:3], v1, v1, v8
	v_rcp_f32_e32 v5, v4
	s_nop 0
	v_fma_f32 v6, -v4, v5, 1.0
	v_fmac_f32_e32 v5, v6, v5
	v_div_scale_f32 v6, vcc, v8, v1, v8
	v_mul_f32_e32 v7, v6, v5
	v_fma_f32 v9, -v4, v7, v6
	v_fmac_f32_e32 v7, v9, v5
	v_fma_f32 v4, -v4, v7, v6
	v_div_fmas_f32 v4, v4, v5, v7
	v_div_fixup_f32 v8, v4, v1, v8
	s_andn2_b64 vcc, exec, s[14:15]
	s_cbranch_vccnz .LBB498_31
.LBB498_34:
	s_load_dwordx2 s[14:15], s[0:1], 0x10
	v_mov_b32_e32 v1, 0
	v_or_b32_e32 v20, 4, v1
	v_or_b32_e32 v18, 8, v1
	;; [unrolled: 1-line block ×3, first 2 shown]
	v_add_u32_e32 v14, 16, v1
	v_add_u32_e32 v11, 20, v1
	;; [unrolled: 1-line block ×4, first 2 shown]
	v_or_b32_e32 v23, 1, v12
	v_or_b32_e32 v22, 2, v12
	;; [unrolled: 1-line block ×7, first 2 shown]
	s_cmp_eq_u32 s12, 1
	s_mov_b32 s16, 0
	s_cbranch_scc1 .LBB498_69
; %bb.35:
	v_ashrrev_i32_e32 v1, 31, v0
	s_waitcnt lgkmcnt(0)
	v_lshl_add_u64 v[4:5], v[0:1], 2, s[14:15]
	s_and_b32 s16, s12, 0x7ffffffe
	v_lshl_add_u64 v[4:5], v[4:5], 0, 4
	v_lshl_add_u64 v[6:7], v[2:3], 0, 8
	s_mov_b32 s13, 0
	s_branch .LBB498_37
.LBB498_36:                             ;   in Loop: Header=BB498_37 Depth=1
	s_or_b64 exec, exec, s[0:1]
	s_add_i32 s13, s13, 2
	v_lshl_add_u64 v[4:5], v[4:5], 0, 8
	s_cmp_eq_u32 s16, s13
	v_lshl_add_u64 v[6:7], v[6:7], 0, 16
	s_cbranch_scc1 .LBB498_69
.LBB498_37:                             ; =>This Inner Loop Header: Depth=1
	global_load_dword v24, v[6:7], off offset:-8
	v_mov_b32_e32 v1, 0
	s_waitcnt vmcnt(0)
	v_cmp_eq_u32_e32 vcc, v12, v24
	v_cmp_ne_u32_e64 s[0:1], v12, v24
	s_and_saveexec_b64 s[18:19], s[0:1]
	s_cbranch_execz .LBB498_51
; %bb.38:                               ;   in Loop: Header=BB498_37 Depth=1
	v_cmp_eq_u32_e64 s[0:1], v23, v24
	v_cmp_ne_u32_e64 s[2:3], v23, v24
	v_mov_b32_e32 v1, v20
	s_and_saveexec_b64 s[20:21], s[2:3]
	s_cbranch_execz .LBB498_50
; %bb.39:                               ;   in Loop: Header=BB498_37 Depth=1
	v_cmp_eq_u32_e64 s[2:3], v22, v24
	v_cmp_ne_u32_e64 s[4:5], v22, v24
	v_mov_b32_e32 v1, v18
	;; [unrolled: 6-line block ×6, first 2 shown]
	s_and_saveexec_b64 s[34:35], s[10:11]
	s_xor_b64 s[34:35], exec, s[34:35]
; %bb.44:                               ;   in Loop: Header=BB498_37 Depth=1
	v_cmp_eq_u32_e64 s[10:11], v13, v24
	s_andn2_b64 s[30:31], s[30:31], exec
	s_and_b64 s[10:11], s[10:11], exec
	s_or_b64 s[30:31], s[30:31], s[10:11]
	v_mov_b32_e32 v1, v10
; %bb.45:                               ;   in Loop: Header=BB498_37 Depth=1
	s_or_b64 exec, exec, s[34:35]
	s_andn2_b64 s[8:9], s[8:9], exec
	s_and_b64 s[10:11], s[30:31], exec
	s_or_b64 s[8:9], s[8:9], s[10:11]
.LBB498_46:                             ;   in Loop: Header=BB498_37 Depth=1
	s_or_b64 exec, exec, s[28:29]
	s_andn2_b64 s[6:7], s[6:7], exec
	s_and_b64 s[8:9], s[8:9], exec
	s_or_b64 s[6:7], s[6:7], s[8:9]
.LBB498_47:                             ;   in Loop: Header=BB498_37 Depth=1
	s_or_b64 exec, exec, s[26:27]
	s_andn2_b64 s[4:5], s[4:5], exec
	s_and_b64 s[6:7], s[6:7], exec
	s_or_b64 s[4:5], s[4:5], s[6:7]
.LBB498_48:                             ;   in Loop: Header=BB498_37 Depth=1
	s_or_b64 exec, exec, s[24:25]
	s_andn2_b64 s[2:3], s[2:3], exec
	s_and_b64 s[4:5], s[4:5], exec
	s_or_b64 s[2:3], s[2:3], s[4:5]
.LBB498_49:                             ;   in Loop: Header=BB498_37 Depth=1
	s_or_b64 exec, exec, s[22:23]
	s_andn2_b64 s[0:1], s[0:1], exec
	s_and_b64 s[2:3], s[2:3], exec
	s_or_b64 s[0:1], s[0:1], s[2:3]
.LBB498_50:                             ;   in Loop: Header=BB498_37 Depth=1
	s_or_b64 exec, exec, s[20:21]
	s_andn2_b64 s[2:3], vcc, exec
	s_and_b64 s[0:1], s[0:1], exec
	s_or_b64 vcc, s[2:3], s[0:1]
.LBB498_51:                             ;   in Loop: Header=BB498_37 Depth=1
	s_or_b64 exec, exec, s[18:19]
	s_and_saveexec_b64 s[0:1], vcc
	s_cbranch_execz .LBB498_53
; %bb.52:                               ;   in Loop: Header=BB498_37 Depth=1
	scratch_load_dword v1, v1, off
	v_add_u32_e32 v24, s13, v0
	v_ashrrev_i32_e32 v25, 31, v24
	v_lshl_add_u64 v[24:25], v[24:25], 2, s[14:15]
	s_waitcnt vmcnt(0)
	v_mul_f32_e32 v1, v8, v1
	global_store_dword v[24:25], v1, off
.LBB498_53:                             ;   in Loop: Header=BB498_37 Depth=1
	s_or_b64 exec, exec, s[0:1]
	global_load_dword v24, v[6:7], off
	v_mov_b32_e32 v1, 0
	s_waitcnt vmcnt(0)
	v_cmp_eq_u32_e64 s[8:9], v12, v24
	v_cmp_ne_u32_e32 vcc, v12, v24
	s_and_saveexec_b64 s[10:11], vcc
	s_cbranch_execz .LBB498_67
; %bb.54:                               ;   in Loop: Header=BB498_37 Depth=1
	v_cmp_eq_u32_e32 vcc, v23, v24
	v_cmp_ne_u32_e64 s[0:1], v23, v24
	v_mov_b32_e32 v1, v20
	s_and_saveexec_b64 s[18:19], s[0:1]
	s_cbranch_execz .LBB498_66
; %bb.55:                               ;   in Loop: Header=BB498_37 Depth=1
	v_cmp_eq_u32_e64 s[0:1], v22, v24
	v_cmp_ne_u32_e64 s[2:3], v22, v24
	v_mov_b32_e32 v1, v18
	s_and_saveexec_b64 s[20:21], s[2:3]
	s_cbranch_execz .LBB498_65
; %bb.56:                               ;   in Loop: Header=BB498_37 Depth=1
	v_cmp_eq_u32_e64 s[2:3], v21, v24
	;; [unrolled: 6-line block ×5, first 2 shown]
	v_cmp_ne_u32_e64 s[6:7], v15, v24
	v_mov_b32_e32 v1, v9
	s_and_saveexec_b64 s[34:35], s[6:7]
; %bb.60:                               ;   in Loop: Header=BB498_37 Depth=1
	v_cmp_eq_u32_e64 s[6:7], v13, v24
	s_andn2_b64 s[30:31], s[30:31], exec
	s_and_b64 s[6:7], s[6:7], exec
	s_or_b64 s[30:31], s[30:31], s[6:7]
	v_mov_b32_e32 v1, v10
; %bb.61:                               ;   in Loop: Header=BB498_37 Depth=1
	s_or_b64 exec, exec, s[34:35]
	s_andn2_b64 s[6:7], s[26:27], exec
	s_and_b64 s[26:27], s[30:31], exec
	s_or_b64 s[26:27], s[6:7], s[26:27]
.LBB498_62:                             ;   in Loop: Header=BB498_37 Depth=1
	s_or_b64 exec, exec, s[28:29]
	s_andn2_b64 s[4:5], s[4:5], exec
	s_and_b64 s[6:7], s[26:27], exec
	s_or_b64 s[4:5], s[4:5], s[6:7]
.LBB498_63:                             ;   in Loop: Header=BB498_37 Depth=1
	s_or_b64 exec, exec, s[24:25]
	s_andn2_b64 s[2:3], s[2:3], exec
	s_and_b64 s[4:5], s[4:5], exec
	s_or_b64 s[2:3], s[2:3], s[4:5]
.LBB498_64:                             ;   in Loop: Header=BB498_37 Depth=1
	s_or_b64 exec, exec, s[22:23]
	s_andn2_b64 s[0:1], s[0:1], exec
	s_and_b64 s[2:3], s[2:3], exec
	s_or_b64 s[0:1], s[0:1], s[2:3]
.LBB498_65:                             ;   in Loop: Header=BB498_37 Depth=1
	s_or_b64 exec, exec, s[20:21]
	s_andn2_b64 s[2:3], vcc, exec
	s_and_b64 s[0:1], s[0:1], exec
	s_or_b64 vcc, s[2:3], s[0:1]
.LBB498_66:                             ;   in Loop: Header=BB498_37 Depth=1
	s_or_b64 exec, exec, s[18:19]
	s_andn2_b64 s[0:1], s[8:9], exec
	s_and_b64 s[2:3], vcc, exec
	s_or_b64 s[8:9], s[0:1], s[2:3]
.LBB498_67:                             ;   in Loop: Header=BB498_37 Depth=1
	s_or_b64 exec, exec, s[10:11]
	s_and_saveexec_b64 s[0:1], s[8:9]
	s_cbranch_execz .LBB498_36
; %bb.68:                               ;   in Loop: Header=BB498_37 Depth=1
	scratch_load_dword v1, v1, off
	s_waitcnt vmcnt(0)
	v_mul_f32_e32 v1, v8, v1
	global_store_dword v[4:5], v1, off
	s_branch .LBB498_36
.LBB498_69:
	s_bitcmp0_b32 s12, 0
	s_mov_b32 s17, 0
	s_cbranch_scc1 .LBB498_31
; %bb.70:
	v_lshl_add_u64 v[2:3], s[16:17], 3, v[2:3]
	global_load_dword v1, v[2:3], off
	v_mov_b32_e32 v2, 0
	s_waitcnt vmcnt(0)
	v_cmp_eq_u32_e64 s[8:9], v12, v1
	v_cmp_ne_u32_e32 vcc, v12, v1
	s_and_saveexec_b64 s[10:11], vcc
	s_cbranch_execz .LBB498_84
; %bb.71:
	v_cmp_eq_u32_e32 vcc, v23, v1
	v_cmp_ne_u32_e64 s[0:1], v23, v1
	s_and_saveexec_b64 s[12:13], s[0:1]
	s_cbranch_execz .LBB498_83
; %bb.72:
	v_cmp_eq_u32_e64 s[0:1], v22, v1
	v_cmp_ne_u32_e64 s[2:3], v22, v1
	s_and_saveexec_b64 s[18:19], s[2:3]
	s_cbranch_execz .LBB498_82
; %bb.73:
	v_cmp_eq_u32_e64 s[2:3], v21, v1
	;; [unrolled: 5-line block ×5, first 2 shown]
	v_cmp_ne_u32_e64 s[6:7], v15, v1
	s_and_saveexec_b64 s[30:31], s[6:7]
; %bb.77:
	v_cmp_eq_u32_e64 s[6:7], v13, v1
	s_andn2_b64 s[28:29], s[28:29], exec
	s_and_b64 s[6:7], s[6:7], exec
	s_or_b64 s[28:29], s[28:29], s[6:7]
	v_mov_b32_e32 v9, v10
; %bb.78:
	s_or_b64 exec, exec, s[30:31]
	s_andn2_b64 s[6:7], s[24:25], exec
	s_and_b64 s[24:25], s[28:29], exec
	s_or_b64 s[24:25], s[6:7], s[24:25]
	v_mov_b32_e32 v11, v9
.LBB498_79:
	s_or_b64 exec, exec, s[26:27]
	s_andn2_b64 s[4:5], s[4:5], exec
	s_and_b64 s[6:7], s[24:25], exec
	s_or_b64 s[4:5], s[4:5], s[6:7]
	v_mov_b32_e32 v14, v11
.LBB498_80:
	s_or_b64 exec, exec, s[22:23]
	s_andn2_b64 s[2:3], s[2:3], exec
	s_and_b64 s[4:5], s[4:5], exec
	s_or_b64 s[2:3], s[2:3], s[4:5]
	v_mov_b32_e32 v16, v14
.LBB498_81:
	s_or_b64 exec, exec, s[20:21]
	s_andn2_b64 s[0:1], s[0:1], exec
	s_and_b64 s[2:3], s[2:3], exec
	s_or_b64 s[0:1], s[0:1], s[2:3]
	v_mov_b32_e32 v18, v16
.LBB498_82:
	s_or_b64 exec, exec, s[18:19]
	s_andn2_b64 s[2:3], vcc, exec
	s_and_b64 s[0:1], s[0:1], exec
	s_or_b64 vcc, s[2:3], s[0:1]
	v_mov_b32_e32 v20, v18
.LBB498_83:
	s_or_b64 exec, exec, s[12:13]
	s_andn2_b64 s[0:1], s[8:9], exec
	s_and_b64 s[2:3], vcc, exec
	s_or_b64 s[8:9], s[0:1], s[2:3]
	v_mov_b32_e32 v2, v20
.LBB498_84:
	s_or_b64 exec, exec, s[10:11]
	s_and_b64 exec, exec, s[8:9]
	s_cbranch_execz .LBB498_31
; %bb.85:
	scratch_load_dword v2, v2, off
	v_add_u32_e32 v0, s16, v0
	v_ashrrev_i32_e32 v1, 31, v0
	s_waitcnt lgkmcnt(0)
	v_lshl_add_u64 v[0:1], v[0:1], 2, s[14:15]
	s_waitcnt vmcnt(0)
	v_mul_f32_e32 v2, v8, v2
	global_store_dword v[0:1], v2, off
	s_endpgm
	.section	.rodata,"a",@progbits
	.p2align	6, 0x0
	.amdhsa_kernel _ZN4vllm3moe22topkGatingSoftplusSqrtILi8ELi16ELi4ELi16ELi32ELb1El14__hip_bfloat16EEvPKT6_PKbPfiPT5_PiiiibdPKfPKS9_SF_
		.amdhsa_group_segment_fixed_size 0
		.amdhsa_private_segment_fixed_size 48
		.amdhsa_kernarg_size 96
		.amdhsa_user_sgpr_count 2
		.amdhsa_user_sgpr_dispatch_ptr 0
		.amdhsa_user_sgpr_queue_ptr 0
		.amdhsa_user_sgpr_kernarg_segment_ptr 1
		.amdhsa_user_sgpr_dispatch_id 0
		.amdhsa_user_sgpr_kernarg_preload_length 0
		.amdhsa_user_sgpr_kernarg_preload_offset 0
		.amdhsa_user_sgpr_private_segment_size 0
		.amdhsa_uses_dynamic_stack 0
		.amdhsa_enable_private_segment 1
		.amdhsa_system_sgpr_workgroup_id_x 1
		.amdhsa_system_sgpr_workgroup_id_y 0
		.amdhsa_system_sgpr_workgroup_id_z 0
		.amdhsa_system_sgpr_workgroup_info 0
		.amdhsa_system_vgpr_workitem_id 1
		.amdhsa_next_free_vgpr 28
		.amdhsa_next_free_sgpr 36
		.amdhsa_accum_offset 28
		.amdhsa_reserve_vcc 1
		.amdhsa_float_round_mode_32 0
		.amdhsa_float_round_mode_16_64 0
		.amdhsa_float_denorm_mode_32 3
		.amdhsa_float_denorm_mode_16_64 3
		.amdhsa_dx10_clamp 1
		.amdhsa_ieee_mode 1
		.amdhsa_fp16_overflow 0
		.amdhsa_tg_split 0
		.amdhsa_exception_fp_ieee_invalid_op 0
		.amdhsa_exception_fp_denorm_src 0
		.amdhsa_exception_fp_ieee_div_zero 0
		.amdhsa_exception_fp_ieee_overflow 0
		.amdhsa_exception_fp_ieee_underflow 0
		.amdhsa_exception_fp_ieee_inexact 0
		.amdhsa_exception_int_div_zero 0
	.end_amdhsa_kernel
	.section	.text._ZN4vllm3moe22topkGatingSoftplusSqrtILi8ELi16ELi4ELi16ELi32ELb1El14__hip_bfloat16EEvPKT6_PKbPfiPT5_PiiiibdPKfPKS9_SF_,"axG",@progbits,_ZN4vllm3moe22topkGatingSoftplusSqrtILi8ELi16ELi4ELi16ELi32ELb1El14__hip_bfloat16EEvPKT6_PKbPfiPT5_PiiiibdPKfPKS9_SF_,comdat
.Lfunc_end498:
	.size	_ZN4vllm3moe22topkGatingSoftplusSqrtILi8ELi16ELi4ELi16ELi32ELb1El14__hip_bfloat16EEvPKT6_PKbPfiPT5_PiiiibdPKfPKS9_SF_, .Lfunc_end498-_ZN4vllm3moe22topkGatingSoftplusSqrtILi8ELi16ELi4ELi16ELi32ELb1El14__hip_bfloat16EEvPKT6_PKbPfiPT5_PiiiibdPKfPKS9_SF_
                                        ; -- End function
	.section	.AMDGPU.csdata,"",@progbits
; Kernel info:
; codeLenInByte = 4504
; NumSgprs: 42
; NumVgprs: 28
; NumAgprs: 0
; TotalNumVgprs: 28
; ScratchSize: 48
; MemoryBound: 0
; FloatMode: 240
; IeeeMode: 1
; LDSByteSize: 0 bytes/workgroup (compile time only)
; SGPRBlocks: 5
; VGPRBlocks: 3
; NumSGPRsForWavesPerEU: 42
; NumVGPRsForWavesPerEU: 28
; AccumOffset: 28
; Occupancy: 8
; WaveLimiterHint : 1
; COMPUTE_PGM_RSRC2:SCRATCH_EN: 1
; COMPUTE_PGM_RSRC2:USER_SGPR: 2
; COMPUTE_PGM_RSRC2:TRAP_HANDLER: 0
; COMPUTE_PGM_RSRC2:TGID_X_EN: 1
; COMPUTE_PGM_RSRC2:TGID_Y_EN: 0
; COMPUTE_PGM_RSRC2:TGID_Z_EN: 0
; COMPUTE_PGM_RSRC2:TIDIG_COMP_CNT: 1
; COMPUTE_PGM_RSRC3_GFX90A:ACCUM_OFFSET: 6
; COMPUTE_PGM_RSRC3_GFX90A:TG_SPLIT: 0
	.section	.text._ZN4vllm3moe22topkGatingSoftplusSqrtILi8ELi16ELi4ELi16ELi32ELb0El14__hip_bfloat16EEvPKT6_PKbPfiPT5_PiiiibdPKfPKS9_SF_,"axG",@progbits,_ZN4vllm3moe22topkGatingSoftplusSqrtILi8ELi16ELi4ELi16ELi32ELb0El14__hip_bfloat16EEvPKT6_PKbPfiPT5_PiiiibdPKfPKS9_SF_,comdat
	.protected	_ZN4vllm3moe22topkGatingSoftplusSqrtILi8ELi16ELi4ELi16ELi32ELb0El14__hip_bfloat16EEvPKT6_PKbPfiPT5_PiiiibdPKfPKS9_SF_ ; -- Begin function _ZN4vllm3moe22topkGatingSoftplusSqrtILi8ELi16ELi4ELi16ELi32ELb0El14__hip_bfloat16EEvPKT6_PKbPfiPT5_PiiiibdPKfPKS9_SF_
	.globl	_ZN4vllm3moe22topkGatingSoftplusSqrtILi8ELi16ELi4ELi16ELi32ELb0El14__hip_bfloat16EEvPKT6_PKbPfiPT5_PiiiibdPKfPKS9_SF_
	.p2align	8
	.type	_ZN4vllm3moe22topkGatingSoftplusSqrtILi8ELi16ELi4ELi16ELi32ELb0El14__hip_bfloat16EEvPKT6_PKbPfiPT5_PiiiibdPKfPKS9_SF_,@function
_ZN4vllm3moe22topkGatingSoftplusSqrtILi8ELi16ELi4ELi16ELi32ELb0El14__hip_bfloat16EEvPKT6_PKbPfiPT5_PiiiibdPKfPKS9_SF_: ; @_ZN4vllm3moe22topkGatingSoftplusSqrtILi8ELi16ELi4ELi16ELi32ELb0El14__hip_bfloat16EEvPKT6_PKbPfiPT5_PiiiibdPKfPKS9_SF_
; %bb.0:
	s_load_dword s33, s[0:1], 0x18
	v_bfe_u32 v1, v0, 10, 10
	v_and_b32_e32 v0, 0x3ff, v0
	s_lshl_b32 s2, s2, 6
	v_lshlrev_b32_e32 v1, 4, v1
	v_lshrrev_b32_e32 v2, 1, v0
	v_add3_u32 v8, s2, v1, v2
	s_waitcnt lgkmcnt(0)
	v_cmp_gt_i32_e32 vcc, s33, v8
	s_and_saveexec_b64 s[2:3], vcc
	s_cbranch_execz .LBB499_49
; %bb.1:
	s_load_dwordx4 s[4:7], s[0:1], 0x0
	s_load_dwordx2 s[34:35], s[0:1], 0x10
	s_waitcnt lgkmcnt(0)
	s_cmp_eq_u64 s[6:7], 0
	s_cbranch_scc1 .LBB499_3
; %bb.2:
	v_ashrrev_i32_e32 v9, 31, v8
	v_lshl_add_u64 v[2:3], s[6:7], 0, v[8:9]
	global_load_ubyte v1, v[2:3], off
	s_waitcnt vmcnt(0)
	v_and_b32_e32 v1, 1, v1
	v_cmp_eq_u32_e32 vcc, 1, v1
	s_xor_b64 s[2:3], vcc, -1
	s_orn2_b64 s[36:37], s[2:3], exec
	s_branch .LBB499_4
.LBB499_3:
	s_mov_b64 s[36:37], -1
.LBB499_4:
	v_lshlrev_b32_e32 v4, 4, v8
	v_mov_b32_e32 v2, s4
	v_mov_b32_e32 v3, s5
	v_ashrrev_i32_e32 v5, 31, v4
	v_and_b32_e32 v9, 1, v0
	v_lshl_add_u64 v[2:3], v[4:5], 1, v[2:3]
	v_mov_b32_e32 v1, 0
	v_lshlrev_b32_e32 v0, 4, v9
	v_lshl_add_u64 v[0:1], v[2:3], 0, v[0:1]
	global_load_dwordx4 v[4:7], v[0:1], off
	s_mov_b32 s12, 0x800000
	v_mov_b32_e32 v2, 0x4f800000
	s_mov_b32 s9, 0x3f317217
	s_mov_b32 s10, 0x7f800000
	v_mov_b32_e32 v3, 0x41b17218
	s_mov_b32 s8, 0x41a00000
	s_mov_b32 s11, 0xf800000
	s_load_dwordx4 s[20:23], s[0:1], 0x40
	v_lshlrev_b32_e32 v12, 3, v9
	s_waitcnt lgkmcnt(0)
	s_cmp_lg_u64 s[22:23], 0
	s_cselect_b64 s[6:7], -1, 0
	s_and_b64 s[2:3], exec, s[6:7]
	s_waitcnt vmcnt(0)
	v_lshlrev_b32_e32 v0, 16, v4
	v_mul_f32_e32 v1, 0x3fb8aa3b, v0
	v_exp_f32_e32 v10, v1
	v_mov_b32_e32 v1, 0x260
	v_add_f32_e32 v10, 1.0, v10
	v_cmp_gt_f32_e32 vcc, s12, v10
	s_nop 1
	v_cndmask_b32_e32 v11, 1.0, v2, vcc
	v_mul_f32_e32 v10, v10, v11
	v_log_f32_e32 v11, v10
	v_cndmask_b32_e32 v13, 0, v3, vcc
	v_lshlrev_b32_e32 v10, 2, v12
	v_mul_f32_e32 v14, 0x3f317217, v11
	v_fma_f32 v14, v11, s9, -v14
	v_fmac_f32_e32 v14, 0x3377d1cf, v11
	v_fmac_f32_e32 v14, 0x3f317217, v11
	v_cmp_lt_f32_e64 vcc, |v11|, s10
	s_nop 1
	v_cndmask_b32_e32 v11, v11, v14, vcc
	v_sub_f32_e32 v11, v11, v13
	v_cmp_lt_f32_e32 vcc, s8, v0
	s_nop 1
	v_cndmask_b32_e32 v0, v11, v0, vcc
	v_mul_f32_e32 v11, 0x4f800000, v0
	v_cmp_gt_f32_e32 vcc, s11, v0
	s_nop 1
	v_cndmask_b32_e32 v0, v0, v11, vcc
	v_sqrt_f32_e32 v11, v0
	s_nop 0
	v_add_u32_e32 v13, -1, v11
	v_add_u32_e32 v14, 1, v11
	v_fma_f32 v15, -v13, v11, v0
	v_fma_f32 v16, -v14, v11, v0
	v_cmp_ge_f32_e64 s[4:5], 0, v15
	s_nop 1
	v_cndmask_b32_e64 v11, v11, v13, s[4:5]
	v_cmp_lt_f32_e64 s[4:5], 0, v16
	s_nop 1
	v_cndmask_b32_e64 v11, v11, v14, s[4:5]
	v_mul_f32_e32 v13, 0x37800000, v11
	v_cndmask_b32_e32 v11, v11, v13, vcc
	v_cmp_class_f32_e32 vcc, v0, v1
	s_nop 1
	v_cndmask_b32_e32 v0, v11, v0, vcc
	s_mov_b64 vcc, s[2:3]
	s_cbranch_vccz .LBB499_6
; %bb.5:
	global_load_dword v11, v10, s[22:23]
	s_waitcnt vmcnt(0)
	v_add_f32_e32 v0, v0, v11
.LBB499_6:
	v_and_b32_e32 v4, 0xffff0000, v4
	v_mul_f32_e32 v11, 0x3fb8aa3b, v4
	v_exp_f32_e32 v11, v11
	s_nop 0
	v_add_f32_e32 v11, 1.0, v11
	v_cmp_gt_f32_e32 vcc, s12, v11
	s_nop 1
	v_cndmask_b32_e32 v2, 1.0, v2, vcc
	v_mul_f32_e32 v2, v11, v2
	v_log_f32_e32 v2, v2
	v_cndmask_b32_e32 v3, 0, v3, vcc
	v_mul_f32_e32 v11, 0x3f317217, v2
	v_fma_f32 v11, v2, s9, -v11
	v_fmac_f32_e32 v11, 0x3377d1cf, v2
	v_fmac_f32_e32 v11, 0x3f317217, v2
	v_cmp_lt_f32_e64 vcc, |v2|, s10
	s_nop 1
	v_cndmask_b32_e32 v2, v2, v11, vcc
	v_sub_f32_e32 v2, v2, v3
	v_cmp_lt_f32_e32 vcc, s8, v4
	s_nop 1
	v_cndmask_b32_e32 v2, v2, v4, vcc
	v_mul_f32_e32 v3, 0x4f800000, v2
	v_cmp_gt_f32_e32 vcc, s11, v2
	s_nop 1
	v_cndmask_b32_e32 v2, v2, v3, vcc
	v_sqrt_f32_e32 v3, v2
	v_cmp_class_f32_e64 s[4:5], v2, v1
	v_add_u32_e32 v4, -1, v3
	v_add_u32_e32 v11, 1, v3
	v_fma_f32 v13, -v4, v3, v2
	v_fma_f32 v14, -v11, v3, v2
	v_cmp_ge_f32_e64 s[2:3], 0, v13
	s_nop 1
	v_cndmask_b32_e64 v3, v3, v4, s[2:3]
	v_cmp_lt_f32_e64 s[2:3], 0, v14
	s_nop 1
	v_cndmask_b32_e64 v3, v3, v11, s[2:3]
	v_mul_f32_e32 v4, 0x37800000, v3
	v_cndmask_b32_e32 v3, v3, v4, vcc
	v_cndmask_b32_e64 v4, 0, 1, s[6:7]
	v_cmp_ne_u32_e64 s[2:3], 1, v4
	s_andn2_b64 vcc, exec, s[6:7]
	v_cndmask_b32_e64 v1, v3, v2, s[4:5]
	s_cbranch_vccnz .LBB499_8
; %bb.7:
	global_load_dword v2, v10, s[22:23] offset:4
	s_waitcnt vmcnt(0)
	v_add_f32_e32 v1, v1, v2
.LBB499_8:
	v_lshlrev_b32_e32 v2, 16, v5
	v_mul_f32_e32 v3, 0x3fb8aa3b, v2
	v_exp_f32_e32 v3, v3
	s_mov_b32 s10, 0x800000
	v_mov_b32_e32 v4, 0x4f800000
	s_mov_b32 s7, 0x3f317217
	v_add_f32_e32 v3, 1.0, v3
	v_cmp_gt_f32_e32 vcc, s10, v3
	s_mov_b32 s8, 0x7f800000
	s_mov_b32 s6, 0x41a00000
	v_cndmask_b32_e32 v11, 1.0, v4, vcc
	v_mul_f32_e32 v3, v3, v11
	v_log_f32_e32 v3, v3
	s_mov_b32 s9, 0xf800000
	v_mul_f32_e32 v11, 0x3f317217, v3
	v_fma_f32 v11, v3, s7, -v11
	v_fmac_f32_e32 v11, 0x3377d1cf, v3
	v_fmac_f32_e32 v11, 0x3f317217, v3
	v_cmp_lt_f32_e64 s[4:5], |v3|, s8
	s_nop 1
	v_cndmask_b32_e64 v3, v3, v11, s[4:5]
	v_mov_b32_e32 v11, 0x41b17218
	v_cndmask_b32_e32 v13, 0, v11, vcc
	v_sub_f32_e32 v3, v3, v13
	v_cmp_lt_f32_e32 vcc, s6, v2
	s_nop 1
	v_cndmask_b32_e32 v2, v3, v2, vcc
	v_mul_f32_e32 v3, 0x4f800000, v2
	v_cmp_gt_f32_e32 vcc, s9, v2
	s_nop 1
	v_cndmask_b32_e32 v2, v2, v3, vcc
	v_sqrt_f32_e32 v3, v2
	s_nop 0
	v_add_u32_e32 v13, -1, v3
	v_fma_f32 v14, -v13, v3, v2
	v_cmp_ge_f32_e64 s[4:5], 0, v14
	v_add_u32_e32 v14, 1, v3
	s_nop 0
	v_cndmask_b32_e64 v13, v3, v13, s[4:5]
	v_fma_f32 v3, -v14, v3, v2
	v_cmp_lt_f32_e64 s[4:5], 0, v3
	s_nop 1
	v_cndmask_b32_e64 v3, v13, v14, s[4:5]
	v_mul_f32_e32 v13, 0x37800000, v3
	v_cndmask_b32_e32 v13, v3, v13, vcc
	v_mov_b32_e32 v3, 0x260
	v_cmp_class_f32_e64 s[4:5], v2, v3
	s_and_b64 vcc, exec, s[2:3]
	s_nop 0
	v_cndmask_b32_e64 v2, v13, v2, s[4:5]
	s_cbranch_vccnz .LBB499_10
; %bb.9:
	global_load_dword v13, v10, s[22:23] offset:8
	s_waitcnt vmcnt(0)
	v_add_f32_e32 v2, v2, v13
.LBB499_10:
	v_and_b32_e32 v5, 0xffff0000, v5
	v_mul_f32_e32 v13, 0x3fb8aa3b, v5
	v_exp_f32_e32 v13, v13
	s_nop 0
	v_add_f32_e32 v13, 1.0, v13
	v_cmp_gt_f32_e32 vcc, s10, v13
	s_nop 1
	v_cndmask_b32_e32 v4, 1.0, v4, vcc
	v_mul_f32_e32 v4, v13, v4
	v_log_f32_e32 v4, v4
	v_cndmask_b32_e32 v11, 0, v11, vcc
	v_mul_f32_e32 v13, 0x3f317217, v4
	v_fma_f32 v13, v4, s7, -v13
	v_fmac_f32_e32 v13, 0x3377d1cf, v4
	v_fmac_f32_e32 v13, 0x3f317217, v4
	v_cmp_lt_f32_e64 vcc, |v4|, s8
	s_nop 1
	v_cndmask_b32_e32 v4, v4, v13, vcc
	v_sub_f32_e32 v4, v4, v11
	v_cmp_lt_f32_e32 vcc, s6, v5
	s_nop 1
	v_cndmask_b32_e32 v4, v4, v5, vcc
	v_mul_f32_e32 v5, 0x4f800000, v4
	v_cmp_gt_f32_e32 vcc, s9, v4
	s_nop 1
	v_cndmask_b32_e32 v4, v4, v5, vcc
	v_sqrt_f32_e32 v5, v4
	s_nop 0
	v_add_u32_e32 v11, -1, v5
	v_add_u32_e32 v13, 1, v5
	v_fma_f32 v14, -v11, v5, v4
	v_fma_f32 v15, -v13, v5, v4
	v_cmp_ge_f32_e64 s[4:5], 0, v14
	s_nop 1
	v_cndmask_b32_e64 v5, v5, v11, s[4:5]
	v_cmp_lt_f32_e64 s[4:5], 0, v15
	s_nop 1
	v_cndmask_b32_e64 v5, v5, v13, s[4:5]
	v_mul_f32_e32 v11, 0x37800000, v5
	v_cndmask_b32_e32 v5, v5, v11, vcc
	v_cmp_class_f32_e64 s[4:5], v4, v3
	s_and_b64 vcc, exec, s[2:3]
	s_nop 0
	v_cndmask_b32_e64 v3, v5, v4, s[4:5]
	s_cbranch_vccnz .LBB499_12
; %bb.11:
	global_load_dword v4, v10, s[22:23] offset:12
	s_waitcnt vmcnt(0)
	v_add_f32_e32 v3, v3, v4
.LBB499_12:
	v_lshlrev_b32_e32 v4, 16, v6
	v_mul_f32_e32 v5, 0x3fb8aa3b, v4
	v_exp_f32_e32 v5, v5
	v_mov_b32_e32 v11, 0x4f800000
	v_add_f32_e32 v5, 1.0, v5
	v_cmp_gt_f32_e32 vcc, s10, v5
	s_nop 1
	v_cndmask_b32_e32 v13, 1.0, v11, vcc
	v_mul_f32_e32 v5, v5, v13
	v_log_f32_e32 v5, v5
	s_nop 0
	v_mul_f32_e32 v13, 0x3f317217, v5
	v_fma_f32 v13, v5, s7, -v13
	v_fmac_f32_e32 v13, 0x3377d1cf, v5
	v_fmac_f32_e32 v13, 0x3f317217, v5
	v_cmp_lt_f32_e64 s[4:5], |v5|, s8
	s_nop 1
	v_cndmask_b32_e64 v5, v5, v13, s[4:5]
	v_mov_b32_e32 v13, 0x41b17218
	v_cndmask_b32_e32 v14, 0, v13, vcc
	v_sub_f32_e32 v5, v5, v14
	v_cmp_lt_f32_e32 vcc, s6, v4
	s_nop 1
	v_cndmask_b32_e32 v4, v5, v4, vcc
	v_mul_f32_e32 v5, 0x4f800000, v4
	v_cmp_gt_f32_e32 vcc, s9, v4
	s_nop 1
	v_cndmask_b32_e32 v4, v4, v5, vcc
	v_sqrt_f32_e32 v5, v4
	s_nop 0
	v_add_u32_e32 v14, -1, v5
	v_fma_f32 v15, -v14, v5, v4
	v_cmp_ge_f32_e64 s[4:5], 0, v15
	v_add_u32_e32 v15, 1, v5
	s_nop 0
	v_cndmask_b32_e64 v14, v5, v14, s[4:5]
	v_fma_f32 v5, -v15, v5, v4
	v_cmp_lt_f32_e64 s[4:5], 0, v5
	s_nop 1
	v_cndmask_b32_e64 v5, v14, v15, s[4:5]
	v_mul_f32_e32 v14, 0x37800000, v5
	v_cndmask_b32_e32 v14, v5, v14, vcc
	v_mov_b32_e32 v5, 0x260
	v_cmp_class_f32_e64 s[4:5], v4, v5
	s_and_b64 vcc, exec, s[2:3]
	s_nop 0
	v_cndmask_b32_e64 v4, v14, v4, s[4:5]
	s_cbranch_vccnz .LBB499_14
; %bb.13:
	global_load_dword v14, v10, s[22:23] offset:16
	s_waitcnt vmcnt(0)
	v_add_f32_e32 v4, v4, v14
.LBB499_14:
	v_and_b32_e32 v6, 0xffff0000, v6
	v_mul_f32_e32 v14, 0x3fb8aa3b, v6
	v_exp_f32_e32 v14, v14
	s_nop 0
	v_add_f32_e32 v14, 1.0, v14
	v_cmp_gt_f32_e32 vcc, s10, v14
	s_nop 1
	v_cndmask_b32_e32 v11, 1.0, v11, vcc
	v_mul_f32_e32 v11, v14, v11
	v_log_f32_e32 v11, v11
	v_cndmask_b32_e32 v13, 0, v13, vcc
	v_mul_f32_e32 v14, 0x3f317217, v11
	v_fma_f32 v14, v11, s7, -v14
	v_fmac_f32_e32 v14, 0x3377d1cf, v11
	v_fmac_f32_e32 v14, 0x3f317217, v11
	v_cmp_lt_f32_e64 vcc, |v11|, s8
	s_nop 1
	v_cndmask_b32_e32 v11, v11, v14, vcc
	v_sub_f32_e32 v11, v11, v13
	v_cmp_lt_f32_e32 vcc, s6, v6
	s_nop 1
	v_cndmask_b32_e32 v6, v11, v6, vcc
	v_mul_f32_e32 v11, 0x4f800000, v6
	v_cmp_gt_f32_e32 vcc, s9, v6
	s_nop 1
	v_cndmask_b32_e32 v6, v6, v11, vcc
	v_sqrt_f32_e32 v11, v6
	s_nop 0
	v_add_u32_e32 v13, -1, v11
	v_add_u32_e32 v14, 1, v11
	v_fma_f32 v15, -v13, v11, v6
	v_fma_f32 v16, -v14, v11, v6
	v_cmp_ge_f32_e64 s[4:5], 0, v15
	s_nop 1
	v_cndmask_b32_e64 v11, v11, v13, s[4:5]
	v_cmp_lt_f32_e64 s[4:5], 0, v16
	s_nop 1
	v_cndmask_b32_e64 v11, v11, v14, s[4:5]
	v_mul_f32_e32 v13, 0x37800000, v11
	v_cndmask_b32_e32 v11, v11, v13, vcc
	v_cmp_class_f32_e64 s[4:5], v6, v5
	s_and_b64 vcc, exec, s[2:3]
	s_nop 0
	v_cndmask_b32_e64 v5, v11, v6, s[4:5]
	s_cbranch_vccnz .LBB499_16
; %bb.15:
	global_load_dword v6, v10, s[22:23] offset:20
	s_waitcnt vmcnt(0)
	v_add_f32_e32 v5, v5, v6
.LBB499_16:
	v_lshlrev_b32_e32 v6, 16, v7
	v_mul_f32_e32 v11, 0x3fb8aa3b, v6
	v_exp_f32_e32 v11, v11
	v_mov_b32_e32 v13, 0x4f800000
	v_add_f32_e32 v11, 1.0, v11
	v_cmp_gt_f32_e32 vcc, s10, v11
	s_nop 1
	v_cndmask_b32_e32 v14, 1.0, v13, vcc
	v_mul_f32_e32 v11, v11, v14
	v_log_f32_e32 v11, v11
	s_nop 0
	v_mul_f32_e32 v14, 0x3f317217, v11
	v_fma_f32 v14, v11, s7, -v14
	v_fmac_f32_e32 v14, 0x3377d1cf, v11
	v_fmac_f32_e32 v14, 0x3f317217, v11
	v_cmp_lt_f32_e64 s[4:5], |v11|, s8
	s_nop 1
	v_cndmask_b32_e64 v11, v11, v14, s[4:5]
	v_mov_b32_e32 v14, 0x41b17218
	v_cndmask_b32_e32 v15, 0, v14, vcc
	v_sub_f32_e32 v11, v11, v15
	v_cmp_lt_f32_e32 vcc, s6, v6
	s_nop 1
	v_cndmask_b32_e32 v6, v11, v6, vcc
	v_mul_f32_e32 v11, 0x4f800000, v6
	v_cmp_gt_f32_e32 vcc, s9, v6
	s_nop 1
	v_cndmask_b32_e32 v6, v6, v11, vcc
	v_sqrt_f32_e32 v11, v6
	s_nop 0
	v_add_u32_e32 v15, -1, v11
	v_fma_f32 v16, -v15, v11, v6
	v_cmp_ge_f32_e64 s[4:5], 0, v16
	v_add_u32_e32 v16, 1, v11
	s_nop 0
	v_cndmask_b32_e64 v15, v11, v15, s[4:5]
	v_fma_f32 v11, -v16, v11, v6
	v_cmp_lt_f32_e64 s[4:5], 0, v11
	s_nop 1
	v_cndmask_b32_e64 v11, v15, v16, s[4:5]
	v_mul_f32_e32 v15, 0x37800000, v11
	v_cndmask_b32_e32 v15, v11, v15, vcc
	v_mov_b32_e32 v11, 0x260
	v_cmp_class_f32_e64 s[4:5], v6, v11
	s_and_b64 vcc, exec, s[2:3]
	s_nop 0
	v_cndmask_b32_e64 v6, v15, v6, s[4:5]
	s_cbranch_vccnz .LBB499_18
; %bb.17:
	global_load_dword v15, v10, s[22:23] offset:24
	s_waitcnt vmcnt(0)
	v_add_f32_e32 v6, v6, v15
.LBB499_18:
	v_and_b32_e32 v7, 0xffff0000, v7
	v_mul_f32_e32 v15, 0x3fb8aa3b, v7
	v_exp_f32_e32 v15, v15
	s_nop 0
	v_add_f32_e32 v15, 1.0, v15
	v_cmp_gt_f32_e32 vcc, s10, v15
	s_nop 1
	v_cndmask_b32_e32 v13, 1.0, v13, vcc
	v_mul_f32_e32 v13, v15, v13
	v_log_f32_e32 v13, v13
	v_cndmask_b32_e32 v14, 0, v14, vcc
	v_mul_f32_e32 v15, 0x3f317217, v13
	v_fma_f32 v15, v13, s7, -v15
	v_fmac_f32_e32 v15, 0x3377d1cf, v13
	v_fmac_f32_e32 v15, 0x3f317217, v13
	v_cmp_lt_f32_e64 vcc, |v13|, s8
	s_nop 1
	v_cndmask_b32_e32 v13, v13, v15, vcc
	v_sub_f32_e32 v13, v13, v14
	v_cmp_lt_f32_e32 vcc, s6, v7
	s_nop 1
	v_cndmask_b32_e32 v7, v13, v7, vcc
	v_mul_f32_e32 v13, 0x4f800000, v7
	v_cmp_gt_f32_e32 vcc, s9, v7
	s_nop 1
	v_cndmask_b32_e32 v7, v7, v13, vcc
	v_sqrt_f32_e32 v13, v7
	s_nop 0
	v_add_u32_e32 v14, -1, v13
	v_add_u32_e32 v15, 1, v13
	v_fma_f32 v16, -v14, v13, v7
	v_fma_f32 v17, -v15, v13, v7
	v_cmp_ge_f32_e64 s[4:5], 0, v16
	s_nop 1
	v_cndmask_b32_e64 v13, v13, v14, s[4:5]
	v_cmp_lt_f32_e64 s[4:5], 0, v17
	s_nop 1
	v_cndmask_b32_e64 v13, v13, v15, s[4:5]
	v_mul_f32_e32 v14, 0x37800000, v13
	v_cndmask_b32_e32 v13, v13, v14, vcc
	v_cmp_class_f32_e64 s[4:5], v7, v11
	s_and_b64 vcc, exec, s[2:3]
	s_nop 0
	v_cndmask_b32_e64 v7, v13, v7, s[4:5]
	s_cbranch_vccnz .LBB499_20
; %bb.19:
	global_load_dword v10, v10, s[22:23] offset:28
	s_waitcnt vmcnt(0)
	v_add_f32_e32 v7, v7, v10
.LBB499_20:
	s_load_dwordx4 s[24:27], s[0:1], 0x30
	s_mov_b32 s42, 0
	v_cmp_eq_u32_e64 s[6:7], 0, v9
	s_waitcnt lgkmcnt(0)
	s_bitcmp1_b32 s27, 0
	s_cselect_b64 s[4:5], -1, 0
	s_cmp_gt_i32 s24, 0
	s_cselect_b64 s[38:39], -1, 0
	s_and_b64 vcc, exec, s[38:39]
	s_cbranch_vccz .LBB499_35
; %bb.21:
	v_mbcnt_lo_u32_b32 v10, -1, 0
	v_mbcnt_hi_u32_b32 v10, -1, v10
	s_load_dwordx4 s[28:31], s[0:1], 0x20
	v_and_b32_e32 v13, 0x7e, v10
	v_xor_b32_e32 v11, 1, v10
	v_add_u32_e32 v13, 2, v13
	v_cmp_lt_i32_e32 vcc, v11, v13
	v_mul_lo_u32 v15, v8, s24
	v_mov_b32_e32 v13, 0
	v_cndmask_b32_e32 v10, v10, v11, vcc
	v_lshlrev_b32_e32 v14, 2, v10
	v_mov_b32_e32 v16, 0xc61c4000
	v_mov_b32_e32 v17, v8
	s_branch .LBB499_24
.LBB499_22:                             ;   in Loop: Header=BB499_24 Depth=1
	s_or_b64 exec, exec, s[40:41]
.LBB499_23:                             ;   in Loop: Header=BB499_24 Depth=1
	s_cmp_eq_u32 s24, s42
	v_add_u32_e32 v17, s33, v17
	s_cbranch_scc1 .LBB499_36
.LBB499_24:                             ; =>This Inner Loop Header: Depth=1
	v_cmp_gt_f32_e32 vcc, v1, v0
	s_nop 1
	v_cndmask_b32_e32 v11, v0, v1, vcc
	v_cndmask_b32_e64 v10, 0, 1, vcc
	v_cmp_gt_f32_e32 vcc, v2, v11
	s_nop 1
	v_cndmask_b32_e32 v11, v11, v2, vcc
	v_cndmask_b32_e64 v10, v10, 2, vcc
	;; [unrolled: 4-line block ×6, first 2 shown]
	v_cmp_gt_f32_e32 vcc, v7, v11
	s_nop 1
	v_cndmask_b32_e64 v10, v10, 7, vcc
	v_cndmask_b32_e32 v18, v11, v7, vcc
	ds_bpermute_b32 v11, v14, v18
	v_or_b32_e32 v10, v12, v10
	ds_bpermute_b32 v19, v14, v10
	s_waitcnt lgkmcnt(0)
	v_cmp_lt_f32_e64 s[8:9], v18, v11
	v_cmp_nlt_f32_e32 vcc, v18, v11
	s_and_saveexec_b64 s[10:11], vcc
	s_cbranch_execnz .LBB499_28
; %bb.25:                               ;   in Loop: Header=BB499_24 Depth=1
	s_or_b64 exec, exec, s[10:11]
	s_and_saveexec_b64 s[0:1], s[8:9]
	s_cbranch_execnz .LBB499_29
.LBB499_26:                             ;   in Loop: Header=BB499_24 Depth=1
	s_or_b64 exec, exec, s[0:1]
	s_and_saveexec_b64 s[8:9], s[6:7]
	s_cbranch_execnz .LBB499_30
.LBB499_27:                             ;   in Loop: Header=BB499_24 Depth=1
	s_or_b64 exec, exec, s[8:9]
	s_add_i32 s42, s42, 1
	s_cmp_ge_i32 s42, s24
	s_cbranch_scc1 .LBB499_23
	s_branch .LBB499_33
.LBB499_28:                             ;   in Loop: Header=BB499_24 Depth=1
	v_cmp_eq_f32_e32 vcc, v18, v11
	v_cmp_lt_i32_e64 s[0:1], v19, v10
	s_and_b64 s[0:1], vcc, s[0:1]
	s_andn2_b64 s[8:9], s[8:9], exec
	s_and_b64 s[0:1], s[0:1], exec
	s_or_b64 s[8:9], s[8:9], s[0:1]
	s_or_b64 exec, exec, s[10:11]
	s_and_saveexec_b64 s[0:1], s[8:9]
	s_cbranch_execz .LBB499_26
.LBB499_29:                             ;   in Loop: Header=BB499_24 Depth=1
	v_mov_b32_e32 v10, v19
	v_mov_b32_e32 v18, v11
	s_or_b64 exec, exec, s[0:1]
	s_and_saveexec_b64 s[8:9], s[6:7]
	s_cbranch_execz .LBB499_27
.LBB499_30:                             ;   in Loop: Header=BB499_24 Depth=1
	s_and_b64 vcc, exec, s[2:3]
	s_cbranch_vccnz .LBB499_32
; %bb.31:                               ;   in Loop: Header=BB499_24 Depth=1
	v_ashrrev_i32_e32 v11, 31, v10
	v_lshl_add_u64 v[20:21], v[10:11], 2, s[22:23]
	global_load_dword v11, v[20:21], off
	s_waitcnt vmcnt(0)
	v_sub_f32_e32 v18, v18, v11
.LBB499_32:                             ;   in Loop: Header=BB499_24 Depth=1
	v_add_u32_e32 v20, s42, v15
	v_cmp_le_i32_e32 vcc, s25, v10
	v_cmp_gt_i32_e64 s[0:1], s26, v10
	v_ashrrev_i32_e32 v21, 31, v20
	s_and_b64 s[0:1], vcc, s[0:1]
	v_lshlrev_b64 v[22:23], 2, v[20:21]
	v_subrev_u32_e32 v11, s25, v10
	v_lshl_add_u64 v[24:25], s[34:35], 0, v[22:23]
	v_ashrrev_i32_e32 v19, 31, v11
	s_and_b64 vcc, s[36:37], s[0:1]
	global_store_dword v[24:25], v18, off
	v_cndmask_b32_e32 v25, 0, v19, vcc
	v_cndmask_b32_e32 v24, 16, v11, vcc
	v_lshl_add_u64 v[20:21], v[20:21], 3, s[28:29]
	v_add_f32_e32 v11, v13, v18
	global_store_dwordx2 v[20:21], v[24:25], off
	v_lshl_add_u64 v[20:21], s[30:31], 0, v[22:23]
	v_cndmask_b32_e64 v13, v13, v11, s[4:5]
	global_store_dword v[20:21], v17, off
	s_or_b64 exec, exec, s[8:9]
	s_add_i32 s42, s42, 1
	s_cmp_ge_i32 s42, s24
	s_cbranch_scc1 .LBB499_23
.LBB499_33:                             ;   in Loop: Header=BB499_24 Depth=1
	v_ashrrev_i32_e32 v18, 31, v10
	v_lshrrev_b32_e32 v11, 29, v18
	v_add_u32_e32 v19, v10, v11
	v_ashrrev_i32_e32 v11, 3, v19
	v_lshrrev_b32_e32 v19, 31, v19
	v_add_u32_e32 v19, v11, v19
	v_and_b32_e32 v19, -2, v19
	v_sub_u32_e32 v19, v11, v19
	v_cmp_eq_u32_e32 vcc, v9, v19
	s_and_saveexec_b64 s[40:41], vcc
	s_cbranch_execz .LBB499_22
; %bb.34:                               ;   in Loop: Header=BB499_24 Depth=1
	v_lshrrev_b32_e32 v18, 28, v18
	v_add_u32_e32 v18, v10, v18
	v_lshlrev_b32_e32 v11, 3, v11
	v_sub_u32_e32 v10, v10, v11
	v_ashrrev_i32_e32 v11, 4, v18
	v_lshl_add_u32 v10, v11, 3, v10
	v_cmp_ne_u32_e32 vcc, 6, v10
	v_cmp_ne_u32_e64 s[0:1], 5, v10
	v_cmp_ne_u32_e64 s[8:9], 4, v10
	v_cmp_ne_u32_e64 s[10:11], 3, v10
	v_cmp_ne_u32_e64 s[12:13], 2, v10
	v_cmp_ne_u32_e64 s[14:15], 1, v10
	v_cmp_ne_u32_e64 s[16:17], 0, v10
	v_cmp_ne_u32_e64 s[18:19], 7, v10
	v_cndmask_b32_e32 v6, v16, v6, vcc
	v_cndmask_b32_e64 v5, v16, v5, s[0:1]
	v_cndmask_b32_e64 v7, v16, v7, s[18:19]
	;; [unrolled: 1-line block ×7, first 2 shown]
	s_branch .LBB499_22
.LBB499_35:
	v_mov_b32_e32 v13, 0
.LBB499_36:
	v_cmp_eq_u32_e32 vcc, 0, v9
	s_and_b64 exec, exec, vcc
	s_cbranch_execz .LBB499_49
; %bb.37:
	s_andn2_b64 vcc, exec, s[4:5]
	v_cvt_f32_f64_e32 v0, s[20:21]
	s_cbranch_vccnz .LBB499_39
; %bb.38:
	v_cmp_lt_f32_e32 vcc, 0, v13
	s_nop 1
	v_cndmask_b32_e32 v1, 1.0, v13, vcc
	v_div_scale_f32 v2, s[0:1], v1, v1, v0
	v_rcp_f32_e32 v3, v2
	s_nop 0
	v_fma_f32 v4, -v2, v3, 1.0
	v_fmac_f32_e32 v3, v4, v3
	v_div_scale_f32 v4, vcc, v0, v1, v0
	v_mul_f32_e32 v5, v4, v3
	v_fma_f32 v6, -v2, v5, v4
	v_fmac_f32_e32 v5, v6, v3
	v_fma_f32 v2, -v2, v5, v4
	v_div_fmas_f32 v2, v2, v3, v5
	v_div_fixup_f32 v0, v2, v1, v0
.LBB499_39:
	s_andn2_b64 vcc, exec, s[38:39]
	s_cbranch_vccnz .LBB499_49
; %bb.40:
	v_mul_lo_u32 v2, v8, s24
	s_cmp_gt_u32 s24, 3
	v_ashrrev_i32_e32 v3, 31, v2
	s_cbranch_scc0 .LBB499_44
; %bb.41:
	s_and_b32 s0, s24, 0x7ffffffc
	v_lshl_add_u64 v[4:5], v[2:3], 2, s[34:35]
	v_mov_b32_e32 v1, v0
	v_lshl_add_u64 v[4:5], v[4:5], 0, 8
	s_mov_b32 s1, s0
.LBB499_42:                             ; =>This Inner Loop Header: Depth=1
	global_load_dwordx4 v[6:9], v[4:5], off offset:-8
	s_add_i32 s1, s1, -4
	s_cmp_lg_u32 s1, 0
	s_waitcnt vmcnt(0)
	v_pk_mul_f32 v[6:7], v[0:1], v[6:7]
	v_pk_mul_f32 v[8:9], v[0:1], v[8:9]
	global_store_dwordx4 v[4:5], v[6:9], off offset:-8
	v_lshl_add_u64 v[4:5], v[4:5], 0, 16
	s_cbranch_scc1 .LBB499_42
; %bb.43:
	s_cmp_lg_u32 s0, s24
	s_cselect_b64 s[2:3], -1, 0
	s_branch .LBB499_46
.LBB499_44:
	s_mov_b64 s[2:3], 0
                                        ; implicit-def: $sgpr0
	s_cbranch_execz .LBB499_46
; %bb.45:
	s_mov_b64 s[2:3], -1
	s_mov_b32 s0, 0
.LBB499_46:
	s_andn2_b64 vcc, exec, s[2:3]
	s_cbranch_vccnz .LBB499_49
; %bb.47:
	s_mov_b32 s1, 0
	v_lshl_add_u64 v[2:3], v[2:3], 0, s[0:1]
	s_sub_i32 s2, s24, s0
	v_lshl_add_u64 v[2:3], v[2:3], 2, s[34:35]
.LBB499_48:                             ; =>This Inner Loop Header: Depth=1
	global_load_dword v1, v[2:3], off
	s_add_i32 s2, s2, -1
	s_cmp_lg_u32 s2, 0
	s_waitcnt vmcnt(0)
	v_mul_f32_e32 v1, v0, v1
	global_store_dword v[2:3], v1, off
	v_lshl_add_u64 v[2:3], v[2:3], 0, 4
	s_cbranch_scc1 .LBB499_48
.LBB499_49:
	s_endpgm
	.section	.rodata,"a",@progbits
	.p2align	6, 0x0
	.amdhsa_kernel _ZN4vllm3moe22topkGatingSoftplusSqrtILi8ELi16ELi4ELi16ELi32ELb0El14__hip_bfloat16EEvPKT6_PKbPfiPT5_PiiiibdPKfPKS9_SF_
		.amdhsa_group_segment_fixed_size 0
		.amdhsa_private_segment_fixed_size 0
		.amdhsa_kernarg_size 96
		.amdhsa_user_sgpr_count 2
		.amdhsa_user_sgpr_dispatch_ptr 0
		.amdhsa_user_sgpr_queue_ptr 0
		.amdhsa_user_sgpr_kernarg_segment_ptr 1
		.amdhsa_user_sgpr_dispatch_id 0
		.amdhsa_user_sgpr_kernarg_preload_length 0
		.amdhsa_user_sgpr_kernarg_preload_offset 0
		.amdhsa_user_sgpr_private_segment_size 0
		.amdhsa_uses_dynamic_stack 0
		.amdhsa_enable_private_segment 0
		.amdhsa_system_sgpr_workgroup_id_x 1
		.amdhsa_system_sgpr_workgroup_id_y 0
		.amdhsa_system_sgpr_workgroup_id_z 0
		.amdhsa_system_sgpr_workgroup_info 0
		.amdhsa_system_vgpr_workitem_id 1
		.amdhsa_next_free_vgpr 26
		.amdhsa_next_free_sgpr 43
		.amdhsa_accum_offset 28
		.amdhsa_reserve_vcc 1
		.amdhsa_float_round_mode_32 0
		.amdhsa_float_round_mode_16_64 0
		.amdhsa_float_denorm_mode_32 3
		.amdhsa_float_denorm_mode_16_64 3
		.amdhsa_dx10_clamp 1
		.amdhsa_ieee_mode 1
		.amdhsa_fp16_overflow 0
		.amdhsa_tg_split 0
		.amdhsa_exception_fp_ieee_invalid_op 0
		.amdhsa_exception_fp_denorm_src 0
		.amdhsa_exception_fp_ieee_div_zero 0
		.amdhsa_exception_fp_ieee_overflow 0
		.amdhsa_exception_fp_ieee_underflow 0
		.amdhsa_exception_fp_ieee_inexact 0
		.amdhsa_exception_int_div_zero 0
	.end_amdhsa_kernel
	.section	.text._ZN4vllm3moe22topkGatingSoftplusSqrtILi8ELi16ELi4ELi16ELi32ELb0El14__hip_bfloat16EEvPKT6_PKbPfiPT5_PiiiibdPKfPKS9_SF_,"axG",@progbits,_ZN4vllm3moe22topkGatingSoftplusSqrtILi8ELi16ELi4ELi16ELi32ELb0El14__hip_bfloat16EEvPKT6_PKbPfiPT5_PiiiibdPKfPKS9_SF_,comdat
.Lfunc_end499:
	.size	_ZN4vllm3moe22topkGatingSoftplusSqrtILi8ELi16ELi4ELi16ELi32ELb0El14__hip_bfloat16EEvPKT6_PKbPfiPT5_PiiiibdPKfPKS9_SF_, .Lfunc_end499-_ZN4vllm3moe22topkGatingSoftplusSqrtILi8ELi16ELi4ELi16ELi32ELb0El14__hip_bfloat16EEvPKT6_PKbPfiPT5_PiiiibdPKfPKS9_SF_
                                        ; -- End function
	.section	.AMDGPU.csdata,"",@progbits
; Kernel info:
; codeLenInByte = 3628
; NumSgprs: 49
; NumVgprs: 26
; NumAgprs: 0
; TotalNumVgprs: 26
; ScratchSize: 0
; MemoryBound: 0
; FloatMode: 240
; IeeeMode: 1
; LDSByteSize: 0 bytes/workgroup (compile time only)
; SGPRBlocks: 6
; VGPRBlocks: 3
; NumSGPRsForWavesPerEU: 49
; NumVGPRsForWavesPerEU: 26
; AccumOffset: 28
; Occupancy: 8
; WaveLimiterHint : 0
; COMPUTE_PGM_RSRC2:SCRATCH_EN: 0
; COMPUTE_PGM_RSRC2:USER_SGPR: 2
; COMPUTE_PGM_RSRC2:TRAP_HANDLER: 0
; COMPUTE_PGM_RSRC2:TGID_X_EN: 1
; COMPUTE_PGM_RSRC2:TGID_Y_EN: 0
; COMPUTE_PGM_RSRC2:TGID_Z_EN: 0
; COMPUTE_PGM_RSRC2:TIDIG_COMP_CNT: 1
; COMPUTE_PGM_RSRC3_GFX90A:ACCUM_OFFSET: 6
; COMPUTE_PGM_RSRC3_GFX90A:TG_SPLIT: 0
	.section	.text._ZN4vllm3moe22topkGatingSoftplusSqrtILi8ELi32ELi4ELi16ELi64ELb1El14__hip_bfloat16EEvPKT6_PKbPfiPT5_PiiiibdPKfPKS9_SF_,"axG",@progbits,_ZN4vllm3moe22topkGatingSoftplusSqrtILi8ELi32ELi4ELi16ELi64ELb1El14__hip_bfloat16EEvPKT6_PKbPfiPT5_PiiiibdPKfPKS9_SF_,comdat
	.protected	_ZN4vllm3moe22topkGatingSoftplusSqrtILi8ELi32ELi4ELi16ELi64ELb1El14__hip_bfloat16EEvPKT6_PKbPfiPT5_PiiiibdPKfPKS9_SF_ ; -- Begin function _ZN4vllm3moe22topkGatingSoftplusSqrtILi8ELi32ELi4ELi16ELi64ELb1El14__hip_bfloat16EEvPKT6_PKbPfiPT5_PiiiibdPKfPKS9_SF_
	.globl	_ZN4vllm3moe22topkGatingSoftplusSqrtILi8ELi32ELi4ELi16ELi64ELb1El14__hip_bfloat16EEvPKT6_PKbPfiPT5_PiiiibdPKfPKS9_SF_
	.p2align	8
	.type	_ZN4vllm3moe22topkGatingSoftplusSqrtILi8ELi32ELi4ELi16ELi64ELb1El14__hip_bfloat16EEvPKT6_PKbPfiPT5_PiiiibdPKfPKS9_SF_,@function
_ZN4vllm3moe22topkGatingSoftplusSqrtILi8ELi32ELi4ELi16ELi64ELb1El14__hip_bfloat16EEvPKT6_PKbPfiPT5_PiiiibdPKfPKS9_SF_: ; @_ZN4vllm3moe22topkGatingSoftplusSqrtILi8ELi32ELi4ELi16ELi64ELb1El14__hip_bfloat16EEvPKT6_PKbPfiPT5_PiiiibdPKfPKS9_SF_
; %bb.0:
	s_load_dword s3, s[0:1], 0x18
	v_bfe_u32 v1, v0, 10, 10
	v_and_b32_e32 v8, 0x3ff, v0
	s_lshl_b32 s2, s2, 6
	v_lshlrev_b32_e32 v1, 4, v1
	v_lshrrev_b32_e32 v0, 2, v8
	v_add3_u32 v6, s2, v1, v0
	s_waitcnt lgkmcnt(0)
	v_cmp_gt_i32_e32 vcc, s3, v6
	s_and_saveexec_b64 s[2:3], vcc
	s_cbranch_execz .LBB500_31
; %bb.1:
	s_load_dwordx4 s[8:11], s[0:1], 0x50
	s_load_dwordx2 s[2:3], s[0:1], 0x0
	s_load_dword s12, s[0:1], 0x30
	v_lshlrev_b32_e32 v0, 5, v6
	v_lshlrev_b32_e32 v4, 3, v8
	v_ashrrev_i32_e32 v1, 31, v0
	v_and_b32_e32 v12, 24, v4
	s_waitcnt lgkmcnt(0)
	v_mov_b32_e32 v2, s8
	v_mov_b32_e32 v3, s9
	v_lshl_add_u64 v[0:1], v[0:1], 1, s[2:3]
	v_lshlrev_b32_e32 v4, 1, v12
	v_mov_b32_e32 v5, 0
	v_ashrrev_i32_e32 v7, 31, v6
	v_lshl_add_u64 v[2:3], v[6:7], 3, v[2:3]
	v_lshl_add_u64 v[0:1], v[0:1], 0, v[4:5]
	global_load_dwordx2 v[10:11], v[2:3], off
	s_ashr_i32 s13, s12, 31
	global_load_dwordx4 v[0:3], v[0:1], off
	s_mov_b32 s23, 0x800000
	v_mov_b32_e32 v4, 0x4f800000
	s_mov_b32 s21, 0x3f317217
	s_mov_b32 s22, 0x7f800000
	v_mov_b32_e32 v7, 0x41b17218
	s_mov_b32 s17, 0x41a00000
	s_mov_b32 s20, 0xf800000
	v_mov_b32_e32 v9, 0x260
	v_cmp_lt_i64_e64 s[18:19], s[12:13], 1
	s_mov_b32 s16, 0
	v_cmp_gt_i64_e64 s[14:15], s[12:13], 0
	s_waitcnt vmcnt(1)
	v_mul_lo_u32 v11, v11, s12
	v_mul_lo_u32 v13, v10, s13
	s_waitcnt vmcnt(0)
	v_and_b32_e32 v18, 0xffff0000, v0
	v_lshlrev_b32_e32 v19, 16, v0
	v_and_b32_e32 v20, 0xffff0000, v1
	v_lshlrev_b32_e32 v21, 16, v1
	v_mul_f32_e32 v0, 0x3fb8aa3b, v19
	v_mul_f32_e32 v1, 0x3fb8aa3b, v18
	v_exp_f32_e32 v14, v0
	v_exp_f32_e32 v15, v1
	v_mul_f32_e32 v16, 0x3fb8aa3b, v21
	v_mul_f32_e32 v17, 0x3fb8aa3b, v20
	v_exp_f32_e32 v16, v16
	v_exp_f32_e32 v17, v17
	v_mad_u64_u32 v[0:1], s[2:3], v10, s12, 0
	v_add3_u32 v1, v1, v13, v11
	v_pk_add_f32 v[10:11], v[14:15], 1.0 op_sel_hi:[1,0]
	v_pk_add_f32 v[14:15], v[16:17], 1.0 op_sel_hi:[1,0]
	v_cmp_gt_f32_e32 vcc, s23, v11
	v_cmp_gt_f32_e64 s[2:3], s23, v10
	v_cmp_gt_f32_e64 s[6:7], s23, v14
	v_cndmask_b32_e32 v13, 1.0, v4, vcc
	v_cndmask_b32_e64 v16, 1.0, v4, s[2:3]
	v_mul_f32_e32 v11, v11, v13
	v_mul_f32_e32 v10, v10, v16
	v_log_f32_e32 v11, v11
	v_log_f32_e32 v10, v10
	v_cmp_gt_f32_e64 s[4:5], s23, v15
	v_cndmask_b32_e64 v22, 1.0, v4, s[6:7]
	v_mul_f32_e32 v14, v14, v22
	v_cndmask_b32_e64 v17, 1.0, v4, s[4:5]
	v_mul_f32_e32 v15, v15, v17
	v_log_f32_e32 v22, v14
	v_mul_f32_e32 v14, 0x3f317217, v11
	v_log_f32_e32 v17, v15
	v_mul_f32_e32 v15, 0x3f317217, v10
	v_fma_f32 v14, v11, s21, -v14
	v_fma_f32 v15, v10, s21, -v15
	v_fmac_f32_e32 v14, 0x3377d1cf, v11
	v_cndmask_b32_e32 v13, 0, v7, vcc
	v_fmac_f32_e32 v15, 0x3377d1cf, v10
	v_fmac_f32_e32 v14, 0x3f317217, v11
	v_cmp_lt_f32_e64 vcc, |v11|, s22
	v_fmac_f32_e32 v15, 0x3f317217, v10
	v_cndmask_b32_e64 v16, 0, v7, s[2:3]
	v_cndmask_b32_e32 v11, v11, v14, vcc
	v_cmp_lt_f32_e64 vcc, |v10|, s22
	v_sub_f32_e32 v11, v11, v13
	v_mul_f32_e32 v23, 0x3f317217, v17
	v_cndmask_b32_e32 v10, v10, v15, vcc
	v_sub_f32_e32 v10, v10, v16
	v_cmp_lt_f32_e32 vcc, s17, v19
	v_fma_f32 v23, v17, s21, -v23
	v_fmac_f32_e32 v23, 0x3377d1cf, v17
	v_cndmask_b32_e32 v10, v10, v19, vcc
	v_cmp_lt_f32_e32 vcc, s17, v18
	v_mul_f32_e32 v14, 0x4f800000, v10
	v_cmp_gt_f32_e64 s[2:3], s20, v10
	v_cndmask_b32_e32 v11, v11, v18, vcc
	v_mul_f32_e32 v13, 0x4f800000, v11
	v_cmp_gt_f32_e32 vcc, s20, v11
	v_cndmask_b32_e64 v10, v10, v14, s[2:3]
	v_sqrt_f32_e32 v14, v10
	v_cndmask_b32_e32 v11, v11, v13, vcc
	v_sqrt_f32_e32 v13, v11
	v_fmac_f32_e32 v23, 0x3f317217, v17
	v_add_u32_e32 v18, -1, v14
	v_fma_f32 v26, -v18, v14, v10
	v_add_u32_e32 v15, -1, v13
	v_fma_f32 v24, -v15, v13, v11
	v_add_u32_e32 v16, 1, v13
	v_cmp_ge_f32_e64 s[8:9], 0, v24
	v_add_u32_e32 v19, 1, v14
	v_fma_f32 v25, -v16, v13, v11
	v_cndmask_b32_e64 v13, v13, v15, s[8:9]
	v_cmp_ge_f32_e64 s[8:9], 0, v26
	v_fma_f32 v27, -v19, v14, v10
	s_nop 0
	v_cndmask_b32_e64 v14, v14, v18, s[8:9]
	v_cmp_lt_f32_e64 s[8:9], 0, v25
	s_nop 1
	v_cndmask_b32_e64 v13, v13, v16, s[8:9]
	v_cmp_lt_f32_e64 s[8:9], 0, v27
	v_mul_f32_e32 v15, 0x37800000, v13
	v_cndmask_b32_e32 v13, v13, v15, vcc
	v_cndmask_b32_e64 v14, v14, v19, s[8:9]
	v_mul_f32_e32 v16, 0x37800000, v14
	v_cmp_class_f32_e32 vcc, v11, v9
	v_cndmask_b32_e64 v14, v14, v16, s[2:3]
	v_cmp_lt_f32_e64 s[2:3], s17, v21
	v_cndmask_b32_e32 v15, v13, v11, vcc
	v_cmp_class_f32_e32 vcc, v10, v9
	v_cndmask_b32_e64 v11, 0, v7, s[4:5]
	v_cndmask_b32_e64 v13, 0, v7, s[6:7]
	v_cndmask_b32_e32 v14, v14, v10, vcc
	v_cmp_lt_f32_e64 vcc, |v17|, s22
	s_nop 1
	v_cndmask_b32_e32 v10, v17, v23, vcc
	v_sub_f32_e32 v10, v10, v11
	v_mul_f32_e32 v11, 0x3f317217, v22
	v_fma_f32 v11, v22, s21, -v11
	v_fmac_f32_e32 v11, 0x3377d1cf, v22
	v_fmac_f32_e32 v11, 0x3f317217, v22
	v_cmp_lt_f32_e64 vcc, |v22|, s22
	s_nop 1
	v_cndmask_b32_e32 v11, v22, v11, vcc
	v_cmp_lt_f32_e32 vcc, s17, v20
	v_sub_f32_e32 v11, v11, v13
	v_cndmask_b32_e64 v11, v11, v21, s[2:3]
	v_cndmask_b32_e32 v10, v10, v20, vcc
	v_mul_f32_e32 v16, 0x4f800000, v10
	v_cmp_gt_f32_e32 vcc, s20, v10
	v_and_b32_e32 v20, 0xffff0000, v2
	v_lshlrev_b32_e32 v2, 16, v2
	v_cndmask_b32_e32 v10, v10, v16, vcc
	v_sqrt_f32_e32 v16, v10
	s_nop 0
	v_add_u32_e32 v13, -1, v16
	v_fma_f32 v17, -v13, v16, v10
	v_cmp_ge_f32_e64 s[2:3], 0, v17
	v_add_u32_e32 v17, 1, v16
	s_nop 0
	v_cndmask_b32_e64 v13, v16, v13, s[2:3]
	v_fma_f32 v16, -v17, v16, v10
	v_cmp_lt_f32_e64 s[2:3], 0, v16
	s_nop 1
	v_cndmask_b32_e64 v13, v13, v17, s[2:3]
	v_mul_f32_e32 v17, 0x4f800000, v11
	v_cmp_gt_f32_e64 s[2:3], s20, v11
	v_mul_f32_e32 v16, 0x37800000, v13
	v_cndmask_b32_e32 v13, v13, v16, vcc
	v_cndmask_b32_e64 v18, v11, v17, s[2:3]
	v_sqrt_f32_e32 v11, v18
	v_cmp_class_f32_e32 vcc, v10, v9
	v_add_u32_e32 v16, 1, v11
	s_nop 0
	v_cndmask_b32_e32 v17, v13, v10, vcc
	v_add_u32_e32 v10, -1, v11
	v_fma_f32 v13, -v10, v11, v18
	v_cmp_ge_f32_e32 vcc, 0, v13
	v_fma_f32 v19, -v16, v11, v18
	s_nop 0
	v_cndmask_b32_e32 v13, v11, v10, vcc
	v_mul_f32_e32 v10, 0x3fb8aa3b, v2
	v_mul_f32_e32 v11, 0x3fb8aa3b, v20
	v_exp_f32_e32 v10, v10
	v_exp_f32_e32 v11, v11
	v_cmp_lt_f32_e32 vcc, 0, v19
	v_pk_add_f32 v[10:11], v[10:11], 1.0 op_sel_hi:[1,0]
	s_nop 0
	v_cndmask_b32_e32 v13, v13, v16, vcc
	v_mul_f32_e32 v16, 0x37800000, v13
	v_cmp_gt_f32_e32 vcc, s23, v11
	v_cndmask_b32_e64 v13, v13, v16, s[2:3]
	v_cmp_class_f32_e64 s[2:3], v18, v9
	v_cndmask_b32_e32 v16, 1.0, v4, vcc
	v_mul_f32_e32 v11, v11, v16
	v_log_f32_e32 v11, v11
	v_cndmask_b32_e64 v16, v13, v18, s[2:3]
	v_cmp_gt_f32_e64 s[2:3], s23, v10
	scratch_store_dwordx4 off, v[14:17], off
	v_mul_f32_e32 v13, 0x3f317217, v11
	v_fma_f32 v13, v11, s21, -v13
	v_cndmask_b32_e64 v14, 1.0, v4, s[2:3]
	v_mul_f32_e32 v10, v10, v14
	v_log_f32_e32 v10, v10
	v_fmac_f32_e32 v13, 0x3377d1cf, v11
	v_fmac_f32_e32 v13, 0x3f317217, v11
	v_cmp_lt_f32_e64 s[4:5], |v11|, s22
	v_and_b32_e32 v16, 0xffff0000, v3
	v_lshlrev_b32_e32 v17, 16, v3
	v_cndmask_b32_e64 v11, v11, v13, s[4:5]
	v_cndmask_b32_e32 v13, 0, v7, vcc
	v_sub_f32_e32 v11, v11, v13
	v_mul_f32_e32 v13, 0x3f317217, v10
	v_fma_f32 v13, v10, s21, -v13
	v_fmac_f32_e32 v13, 0x3377d1cf, v10
	v_fmac_f32_e32 v13, 0x3f317217, v10
	v_cmp_lt_f32_e64 vcc, |v10|, s22
	v_mul_f32_e32 v3, 0x3fb8aa3b, v16
	v_exp_f32_e32 v3, v3
	v_cndmask_b32_e32 v10, v10, v13, vcc
	v_cmp_lt_f32_e32 vcc, s17, v20
	v_cndmask_b32_e64 v13, 0, v7, s[2:3]
	v_sub_f32_e32 v10, v10, v13
	v_cndmask_b32_e32 v11, v11, v20, vcc
	v_mul_f32_e32 v14, 0x4f800000, v11
	v_cmp_gt_f32_e32 vcc, s20, v11
	v_cmp_lt_f32_e64 s[2:3], s17, v2
	s_nop 0
	v_cndmask_b32_e32 v11, v11, v14, vcc
	v_sqrt_f32_e32 v14, v11
	v_cndmask_b32_e64 v2, v10, v2, s[2:3]
	v_add_u32_e32 v10, -1, v14
	v_fma_f32 v13, -v10, v14, v11
	v_cmp_ge_f32_e64 s[2:3], 0, v13
	v_add_u32_e32 v13, 1, v14
	s_nop 0
	v_cndmask_b32_e64 v10, v14, v10, s[2:3]
	v_fma_f32 v14, -v13, v14, v11
	v_cmp_lt_f32_e64 s[2:3], 0, v14
	v_mul_f32_e32 v14, 0x4f800000, v2
	s_nop 0
	v_cndmask_b32_e64 v10, v10, v13, s[2:3]
	v_cmp_gt_f32_e64 s[2:3], s20, v2
	v_mul_f32_e32 v13, 0x37800000, v10
	v_cndmask_b32_e32 v10, v10, v13, vcc
	v_cndmask_b32_e64 v14, v2, v14, s[2:3]
	v_sqrt_f32_e32 v2, v14
	v_cmp_class_f32_e32 vcc, v11, v9
	s_nop 1
	v_cndmask_b32_e32 v15, v10, v11, vcc
	v_add_u32_e32 v10, -1, v2
	v_fma_f32 v11, -v10, v2, v14
	v_cmp_ge_f32_e32 vcc, 0, v11
	v_add_u32_e32 v11, 1, v2
	v_fma_f32 v13, -v11, v2, v14
	v_cndmask_b32_e32 v10, v2, v10, vcc
	v_mul_f32_e32 v2, 0x3fb8aa3b, v17
	v_exp_f32_e32 v2, v2
	v_cmp_lt_f32_e32 vcc, 0, v13
	v_pk_add_f32 v[2:3], v[2:3], 1.0 op_sel_hi:[1,0]
	s_nop 0
	v_cndmask_b32_e32 v10, v10, v11, vcc
	v_cmp_gt_f32_e32 vcc, s23, v3
	v_mul_f32_e32 v11, 0x37800000, v10
	v_cndmask_b32_e64 v10, v10, v11, s[2:3]
	v_cndmask_b32_e32 v13, 1.0, v4, vcc
	v_mul_f32_e32 v3, v3, v13
	v_log_f32_e32 v3, v3
	v_cmp_class_f32_e64 s[2:3], v14, v9
	v_cmp_lt_f32_e64 s[4:5], |v3|, s22
	s_nop 0
	v_cndmask_b32_e64 v14, v10, v14, s[2:3]
	v_cmp_gt_f32_e64 s[2:3], s23, v2
	v_mul_f32_e32 v10, 0x3f317217, v3
	v_fma_f32 v10, v3, s21, -v10
	v_cndmask_b32_e64 v4, 1.0, v4, s[2:3]
	v_mul_f32_e32 v2, v2, v4
	v_log_f32_e32 v2, v2
	v_fmac_f32_e32 v10, 0x3377d1cf, v3
	v_fmac_f32_e32 v10, 0x3f317217, v3
	v_cndmask_b32_e64 v3, v3, v10, s[4:5]
	v_cndmask_b32_e32 v4, 0, v7, vcc
	v_sub_f32_e32 v3, v3, v4
	v_mul_f32_e32 v4, 0x3f317217, v2
	v_fma_f32 v4, v2, s21, -v4
	v_fmac_f32_e32 v4, 0x3377d1cf, v2
	v_fmac_f32_e32 v4, 0x3f317217, v2
	v_cmp_lt_f32_e64 vcc, |v2|, s22
	s_nop 1
	v_cndmask_b32_e32 v2, v2, v4, vcc
	v_cmp_lt_f32_e32 vcc, s17, v16
	v_cndmask_b32_e64 v4, 0, v7, s[2:3]
	v_sub_f32_e32 v2, v2, v4
	v_cndmask_b32_e32 v3, v3, v16, vcc
	v_mul_f32_e32 v7, 0x4f800000, v3
	v_cmp_gt_f32_e32 vcc, s20, v3
	v_cmp_lt_f32_e64 s[2:3], s17, v17
	s_nop 0
	v_cndmask_b32_e32 v3, v3, v7, vcc
	v_sqrt_f32_e32 v7, v3
	v_cndmask_b32_e64 v2, v2, v17, s[2:3]
	v_add_u32_e32 v4, -1, v7
	v_fma_f32 v10, -v4, v7, v3
	v_cmp_ge_f32_e64 s[2:3], 0, v10
	v_add_u32_e32 v10, 1, v7
	s_nop 0
	v_cndmask_b32_e64 v4, v7, v4, s[2:3]
	v_fma_f32 v7, -v10, v7, v3
	v_cmp_lt_f32_e64 s[2:3], 0, v7
	s_nop 1
	v_cndmask_b32_e64 v4, v4, v10, s[2:3]
	v_mul_f32_e32 v10, 0x4f800000, v2
	v_cmp_gt_f32_e64 s[2:3], s20, v2
	v_mul_f32_e32 v7, 0x37800000, v4
	v_cndmask_b32_e32 v4, v4, v7, vcc
	v_cndmask_b32_e64 v2, v2, v10, s[2:3]
	v_sqrt_f32_e32 v10, v2
	v_cmp_class_f32_e32 vcc, v3, v9
	s_nop 1
	v_cndmask_b32_e32 v17, v4, v3, vcc
	v_add_u32_e32 v3, -1, v10
	v_fma_f32 v4, -v3, v10, v2
	v_cmp_ge_f32_e32 vcc, 0, v4
	v_add_u32_e32 v4, 1, v10
	v_fma_f32 v7, -v4, v10, v2
	v_cndmask_b32_e32 v3, v10, v3, vcc
	v_cmp_lt_f32_e32 vcc, 0, v7
	s_nop 1
	v_cndmask_b32_e32 v3, v3, v4, vcc
	v_mul_f32_e32 v4, 0x37800000, v3
	v_cndmask_b32_e64 v3, v3, v4, s[2:3]
	v_cmp_class_f32_e32 vcc, v2, v9
	s_nop 1
	v_cndmask_b32_e32 v16, v3, v2, vcc
	v_lshl_add_u64 v[2:3], v[0:1], 3, s[10:11]
	s_and_b64 vcc, exec, s[18:19]
	v_mul_lo_u32 v0, v6, s12
	scratch_store_dwordx4 off, v[14:17], off offset:16
	s_cbranch_vccnz .LBB500_28
; %bb.2:
	s_load_dwordx2 s[4:5], s[0:1], 0x20
	s_cmp_lt_u32 s12, 4
	v_and_b32_e32 v4, 3, v8
	s_cbranch_scc1 .LBB500_21
; %bb.3:
	v_lshlrev_b32_e32 v5, 3, v4
	s_mov_b32 s7, 0
	s_and_b32 s16, s12, 0x7ffffffc
	v_ashrrev_i32_e32 v1, 31, v0
	v_sub_u32_e32 v13, 0, v5
	v_mov_b32_e32 v5, 0
	s_mov_b32 s6, s7
	s_branch .LBB500_5
.LBB500_4:                              ;   in Loop: Header=BB500_5 Depth=1
	s_or_b64 exec, exec, s[8:9]
	s_add_i32 s6, s6, 4
	s_cmp_eq_u32 s6, s16
	s_cbranch_scc1 .LBB500_21
.LBB500_5:                              ; =>This Loop Header: Depth=1
                                        ;     Child Loop BB500_7 Depth 2
                                        ;     Child Loop BB500_11 Depth 2
                                        ;     Child Loop BB500_15 Depth 2
                                        ;     Child Loop BB500_19 Depth 2
	v_lshl_add_u64 v[6:7], s[6:7], 3, v[2:3]
	global_load_dwordx2 v[8:9], v[6:7], off
	v_add_u32_e32 v10, s6, v0
	v_ashrrev_i32_e32 v11, 31, v10
	v_mov_b32_e32 v14, 0
	s_mov_b64 s[8:9], 0
	s_waitcnt lgkmcnt(0)
	v_lshl_add_u64 v[10:11], v[10:11], 3, s[4:5]
	s_mov_b32 s13, 0
	s_waitcnt vmcnt(0)
	v_ashrrev_i32_e32 v9, 31, v8
	v_add_u32_e32 v15, v13, v8
	s_branch .LBB500_7
.LBB500_6:                              ;   in Loop: Header=BB500_7 Depth=2
	s_or_b64 exec, exec, s[10:11]
	s_add_i32 s17, s13, 1
	s_cmp_gt_u32 s13, 6
	s_cselect_b64 s[2:3], -1, 0
	s_xor_b64 s[10:11], vcc, -1
	s_or_b64 s[2:3], s[10:11], s[2:3]
	s_and_b64 s[2:3], exec, s[2:3]
	v_add_u32_e32 v14, 4, v14
	s_or_b64 s[8:9], s[2:3], s[8:9]
	s_mov_b32 s13, s17
	s_andn2_b64 exec, exec, s[8:9]
	s_cbranch_execz .LBB500_9
.LBB500_7:                              ;   Parent Loop BB500_5 Depth=1
                                        ; =>  This Inner Loop Header: Depth=2
	v_cmp_ne_u32_e32 vcc, s13, v15
	v_cmp_eq_u32_e64 s[2:3], s13, v15
	s_and_saveexec_b64 s[10:11], s[2:3]
	s_cbranch_execz .LBB500_6
; %bb.8:                                ;   in Loop: Header=BB500_7 Depth=2
	scratch_load_dword v16, v14, off
	s_waitcnt vmcnt(0)
	v_add_f32_e32 v5, v5, v16
	global_store_dwordx2 v[10:11], v[8:9], off
	s_branch .LBB500_6
.LBB500_9:                              ;   in Loop: Header=BB500_5 Depth=1
	s_or_b64 exec, exec, s[8:9]
	global_load_dwordx2 v[10:11], v[6:7], off offset:8
	s_ashr_i32 s3, s6, 31
	s_mov_b32 s2, s6
	v_lshl_add_u64 v[8:9], s[2:3], 0, v[0:1]
	v_mov_b32_e32 v14, 0
	s_mov_b32 s13, 0
	v_lshl_add_u64 v[8:9], v[8:9], 3, s[4:5]
	s_mov_b64 s[8:9], 0
	s_waitcnt vmcnt(0)
	v_ashrrev_i32_e32 v11, 31, v10
	v_add_u32_e32 v15, v13, v10
	s_branch .LBB500_11
.LBB500_10:                             ;   in Loop: Header=BB500_11 Depth=2
	s_or_b64 exec, exec, s[10:11]
	s_add_i32 s17, s13, 1
	s_cmp_gt_u32 s13, 6
	s_cselect_b64 s[2:3], -1, 0
	s_xor_b64 s[10:11], vcc, -1
	s_or_b64 s[2:3], s[10:11], s[2:3]
	s_and_b64 s[2:3], exec, s[2:3]
	v_add_u32_e32 v14, 4, v14
	s_or_b64 s[8:9], s[2:3], s[8:9]
	s_mov_b32 s13, s17
	s_andn2_b64 exec, exec, s[8:9]
	s_cbranch_execz .LBB500_13
.LBB500_11:                             ;   Parent Loop BB500_5 Depth=1
                                        ; =>  This Inner Loop Header: Depth=2
	v_cmp_ne_u32_e32 vcc, s13, v15
	v_cmp_eq_u32_e64 s[2:3], s13, v15
	s_and_saveexec_b64 s[10:11], s[2:3]
	s_cbranch_execz .LBB500_10
; %bb.12:                               ;   in Loop: Header=BB500_11 Depth=2
	scratch_load_dword v16, v14, off
	s_waitcnt vmcnt(0)
	v_add_f32_e32 v5, v5, v16
	global_store_dwordx2 v[8:9], v[10:11], off offset:8
	s_branch .LBB500_10
.LBB500_13:                             ;   in Loop: Header=BB500_5 Depth=1
	s_or_b64 exec, exec, s[8:9]
	global_load_dwordx2 v[10:11], v[6:7], off offset:16
	v_mov_b32_e32 v14, 0
	s_mov_b32 s13, 0
	s_mov_b64 s[8:9], 0
	s_waitcnt vmcnt(0)
	v_ashrrev_i32_e32 v11, 31, v10
	v_add_u32_e32 v15, v13, v10
	s_branch .LBB500_15
.LBB500_14:                             ;   in Loop: Header=BB500_15 Depth=2
	s_or_b64 exec, exec, s[10:11]
	s_add_i32 s17, s13, 1
	s_cmp_gt_u32 s13, 6
	s_cselect_b64 s[2:3], -1, 0
	s_xor_b64 s[10:11], vcc, -1
	s_or_b64 s[2:3], s[10:11], s[2:3]
	s_and_b64 s[2:3], exec, s[2:3]
	v_add_u32_e32 v14, 4, v14
	s_or_b64 s[8:9], s[2:3], s[8:9]
	s_mov_b32 s13, s17
	s_andn2_b64 exec, exec, s[8:9]
	s_cbranch_execz .LBB500_17
.LBB500_15:                             ;   Parent Loop BB500_5 Depth=1
                                        ; =>  This Inner Loop Header: Depth=2
	v_cmp_ne_u32_e32 vcc, s13, v15
	v_cmp_eq_u32_e64 s[2:3], s13, v15
	s_and_saveexec_b64 s[10:11], s[2:3]
	s_cbranch_execz .LBB500_14
; %bb.16:                               ;   in Loop: Header=BB500_15 Depth=2
	scratch_load_dword v16, v14, off
	s_waitcnt vmcnt(0)
	v_add_f32_e32 v5, v5, v16
	global_store_dwordx2 v[8:9], v[10:11], off offset:16
	s_branch .LBB500_14
.LBB500_17:                             ;   in Loop: Header=BB500_5 Depth=1
	s_or_b64 exec, exec, s[8:9]
	global_load_dwordx2 v[6:7], v[6:7], off offset:24
	v_mov_b32_e32 v10, 0
	s_mov_b32 s13, 0
	s_mov_b64 s[8:9], 0
	s_waitcnt vmcnt(0)
	v_ashrrev_i32_e32 v7, 31, v6
	v_add_u32_e32 v11, v13, v6
	s_branch .LBB500_19
.LBB500_18:                             ;   in Loop: Header=BB500_19 Depth=2
	s_or_b64 exec, exec, s[10:11]
	s_add_i32 s17, s13, 1
	s_cmp_gt_u32 s13, 6
	s_cselect_b64 s[2:3], -1, 0
	s_xor_b64 s[10:11], vcc, -1
	s_or_b64 s[2:3], s[10:11], s[2:3]
	s_and_b64 s[2:3], exec, s[2:3]
	v_add_u32_e32 v10, 4, v10
	s_or_b64 s[8:9], s[2:3], s[8:9]
	s_mov_b32 s13, s17
	s_andn2_b64 exec, exec, s[8:9]
	s_cbranch_execz .LBB500_4
.LBB500_19:                             ;   Parent Loop BB500_5 Depth=1
                                        ; =>  This Inner Loop Header: Depth=2
	v_cmp_ne_u32_e32 vcc, s13, v11
	v_cmp_eq_u32_e64 s[2:3], s13, v11
	s_and_saveexec_b64 s[10:11], s[2:3]
	s_cbranch_execz .LBB500_18
; %bb.20:                               ;   in Loop: Header=BB500_19 Depth=2
	scratch_load_dword v14, v10, off
	s_waitcnt vmcnt(0)
	v_add_f32_e32 v5, v5, v14
	global_store_dwordx2 v[8:9], v[6:7], off offset:24
	s_branch .LBB500_18
.LBB500_21:
	s_and_b32 s10, s12, 3
	s_cmp_eq_u32 s10, 0
	s_mov_b32 s17, 0
	s_cbranch_scc1 .LBB500_28
; %bb.22:
	v_lshlrev_b32_e32 v1, 3, v4
	v_sub_u32_e32 v1, 0, v1
	s_mov_b32 s11, s17
	s_branch .LBB500_24
.LBB500_23:                             ;   in Loop: Header=BB500_24 Depth=1
	s_or_b64 exec, exec, s[6:7]
	s_add_i32 s16, s16, 1
	s_add_i32 s11, s11, 1
	s_cmp_lg_u32 s11, s10
	s_cbranch_scc0 .LBB500_28
.LBB500_24:                             ; =>This Loop Header: Depth=1
                                        ;     Child Loop BB500_26 Depth 2
	v_lshl_add_u64 v[6:7], s[16:17], 3, v[2:3]
	global_load_dwordx2 v[6:7], v[6:7], off
	v_add_u32_e32 v8, s16, v0
	v_ashrrev_i32_e32 v9, 31, v8
	v_mov_b32_e32 v4, 0
	s_mov_b32 s13, 0
	s_waitcnt lgkmcnt(0)
	v_lshl_add_u64 v[8:9], v[8:9], 3, s[4:5]
	s_mov_b64 s[6:7], 0
	s_waitcnt vmcnt(0)
	v_ashrrev_i32_e32 v7, 31, v6
	v_add_u32_e32 v10, v1, v6
	s_branch .LBB500_26
.LBB500_25:                             ;   in Loop: Header=BB500_26 Depth=2
	s_or_b64 exec, exec, s[8:9]
	s_add_i32 s18, s13, 1
	s_cmp_gt_u32 s13, 6
	s_cselect_b64 s[2:3], -1, 0
	s_xor_b64 s[8:9], vcc, -1
	s_or_b64 s[2:3], s[8:9], s[2:3]
	s_and_b64 s[2:3], exec, s[2:3]
	v_add_u32_e32 v4, 4, v4
	s_or_b64 s[6:7], s[2:3], s[6:7]
	s_mov_b32 s13, s18
	s_andn2_b64 exec, exec, s[6:7]
	s_cbranch_execz .LBB500_23
.LBB500_26:                             ;   Parent Loop BB500_24 Depth=1
                                        ; =>  This Inner Loop Header: Depth=2
	v_cmp_ne_u32_e32 vcc, s13, v10
	v_cmp_eq_u32_e64 s[2:3], s13, v10
	s_and_saveexec_b64 s[8:9], s[2:3]
	s_cbranch_execz .LBB500_25
; %bb.27:                               ;   in Loop: Header=BB500_26 Depth=2
	scratch_load_dword v11, v4, off
	s_waitcnt vmcnt(0)
	v_add_f32_e32 v5, v5, v11
	global_store_dwordx2 v[8:9], v[6:7], off
	s_branch .LBB500_25
.LBB500_28:
	s_waitcnt lgkmcnt(0)
	s_load_dword s4, s[0:1], 0x3c
	s_waitcnt lgkmcnt(0)
	s_bitcmp1_b32 s4, 0
	s_cselect_b64 s[2:3], -1, 0
	s_bitcmp0_b32 s4, 0
	s_cbranch_scc0 .LBB500_32
; %bb.29:
	s_load_dwordx2 s[4:5], s[0:1], 0x40
	s_andn2_b64 vcc, exec, s[2:3]
	s_waitcnt lgkmcnt(0)
	v_cvt_f32_f64_e32 v8, s[4:5]
	s_cbranch_vccz .LBB500_33
.LBB500_30:
	s_andn2_b64 vcc, exec, s[14:15]
	s_cbranch_vccz .LBB500_34
.LBB500_31:
	s_endpgm
.LBB500_32:
	v_mbcnt_lo_u32_b32 v1, -1, 0
	v_mbcnt_hi_u32_b32 v1, -1, v1
	v_and_b32_e32 v4, 0x7c, v1
	v_add_u32_e32 v4, 4, v4
	v_xor_b32_e32 v6, 2, v1
	v_cmp_lt_i32_e32 vcc, v6, v4
	v_xor_b32_e32 v7, 1, v1
	s_nop 0
	v_cndmask_b32_e32 v6, v1, v6, vcc
	v_lshlrev_b32_e32 v6, 2, v6
	ds_bpermute_b32 v6, v6, v5
	v_cmp_lt_i32_e32 vcc, v7, v4
	s_waitcnt lgkmcnt(0)
	v_add_f32_e32 v5, v5, v6
	v_cndmask_b32_e32 v1, v1, v7, vcc
	v_lshlrev_b32_e32 v1, 2, v1
	ds_bpermute_b32 v1, v1, v5
	s_waitcnt lgkmcnt(0)
	v_add_f32_e32 v5, v5, v1
	s_load_dwordx2 s[4:5], s[0:1], 0x40
	s_andn2_b64 vcc, exec, s[2:3]
	s_waitcnt lgkmcnt(0)
	v_cvt_f32_f64_e32 v8, s[4:5]
	s_cbranch_vccnz .LBB500_30
.LBB500_33:
	v_cmp_lt_f32_e32 vcc, 0, v5
	s_nop 1
	v_cndmask_b32_e32 v1, 1.0, v5, vcc
	v_div_scale_f32 v4, s[2:3], v1, v1, v8
	v_rcp_f32_e32 v5, v4
	s_nop 0
	v_fma_f32 v6, -v4, v5, 1.0
	v_fmac_f32_e32 v5, v6, v5
	v_div_scale_f32 v6, vcc, v8, v1, v8
	v_mul_f32_e32 v7, v6, v5
	v_fma_f32 v9, -v4, v7, v6
	v_fmac_f32_e32 v7, v9, v5
	v_fma_f32 v4, -v4, v7, v6
	v_div_fmas_f32 v4, v4, v5, v7
	v_div_fixup_f32 v8, v4, v1, v8
	s_andn2_b64 vcc, exec, s[14:15]
	s_cbranch_vccnz .LBB500_31
.LBB500_34:
	s_load_dwordx2 s[14:15], s[0:1], 0x10
	v_mov_b32_e32 v1, 0
	v_or_b32_e32 v20, 4, v1
	v_or_b32_e32 v18, 8, v1
	;; [unrolled: 1-line block ×3, first 2 shown]
	v_add_u32_e32 v14, 16, v1
	v_add_u32_e32 v11, 20, v1
	;; [unrolled: 1-line block ×4, first 2 shown]
	v_or_b32_e32 v23, 1, v12
	v_or_b32_e32 v22, 2, v12
	;; [unrolled: 1-line block ×7, first 2 shown]
	s_cmp_eq_u32 s12, 1
	s_mov_b32 s16, 0
	s_cbranch_scc1 .LBB500_69
; %bb.35:
	v_ashrrev_i32_e32 v1, 31, v0
	s_waitcnt lgkmcnt(0)
	v_lshl_add_u64 v[4:5], v[0:1], 2, s[14:15]
	s_and_b32 s16, s12, 0x7ffffffe
	v_lshl_add_u64 v[4:5], v[4:5], 0, 4
	v_lshl_add_u64 v[6:7], v[2:3], 0, 8
	s_mov_b32 s13, 0
	s_branch .LBB500_37
.LBB500_36:                             ;   in Loop: Header=BB500_37 Depth=1
	s_or_b64 exec, exec, s[0:1]
	s_add_i32 s13, s13, 2
	v_lshl_add_u64 v[4:5], v[4:5], 0, 8
	s_cmp_eq_u32 s16, s13
	v_lshl_add_u64 v[6:7], v[6:7], 0, 16
	s_cbranch_scc1 .LBB500_69
.LBB500_37:                             ; =>This Inner Loop Header: Depth=1
	global_load_dword v24, v[6:7], off offset:-8
	v_mov_b32_e32 v1, 0
	s_waitcnt vmcnt(0)
	v_cmp_eq_u32_e32 vcc, v12, v24
	v_cmp_ne_u32_e64 s[0:1], v12, v24
	s_and_saveexec_b64 s[18:19], s[0:1]
	s_cbranch_execz .LBB500_51
; %bb.38:                               ;   in Loop: Header=BB500_37 Depth=1
	v_cmp_eq_u32_e64 s[0:1], v23, v24
	v_cmp_ne_u32_e64 s[2:3], v23, v24
	v_mov_b32_e32 v1, v20
	s_and_saveexec_b64 s[20:21], s[2:3]
	s_cbranch_execz .LBB500_50
; %bb.39:                               ;   in Loop: Header=BB500_37 Depth=1
	v_cmp_eq_u32_e64 s[2:3], v22, v24
	v_cmp_ne_u32_e64 s[4:5], v22, v24
	v_mov_b32_e32 v1, v18
	;; [unrolled: 6-line block ×6, first 2 shown]
	s_and_saveexec_b64 s[34:35], s[10:11]
	s_xor_b64 s[34:35], exec, s[34:35]
; %bb.44:                               ;   in Loop: Header=BB500_37 Depth=1
	v_cmp_eq_u32_e64 s[10:11], v13, v24
	s_andn2_b64 s[30:31], s[30:31], exec
	s_and_b64 s[10:11], s[10:11], exec
	s_or_b64 s[30:31], s[30:31], s[10:11]
	v_mov_b32_e32 v1, v10
; %bb.45:                               ;   in Loop: Header=BB500_37 Depth=1
	s_or_b64 exec, exec, s[34:35]
	s_andn2_b64 s[8:9], s[8:9], exec
	s_and_b64 s[10:11], s[30:31], exec
	s_or_b64 s[8:9], s[8:9], s[10:11]
.LBB500_46:                             ;   in Loop: Header=BB500_37 Depth=1
	s_or_b64 exec, exec, s[28:29]
	s_andn2_b64 s[6:7], s[6:7], exec
	s_and_b64 s[8:9], s[8:9], exec
	s_or_b64 s[6:7], s[6:7], s[8:9]
.LBB500_47:                             ;   in Loop: Header=BB500_37 Depth=1
	s_or_b64 exec, exec, s[26:27]
	s_andn2_b64 s[4:5], s[4:5], exec
	s_and_b64 s[6:7], s[6:7], exec
	s_or_b64 s[4:5], s[4:5], s[6:7]
.LBB500_48:                             ;   in Loop: Header=BB500_37 Depth=1
	s_or_b64 exec, exec, s[24:25]
	s_andn2_b64 s[2:3], s[2:3], exec
	s_and_b64 s[4:5], s[4:5], exec
	s_or_b64 s[2:3], s[2:3], s[4:5]
.LBB500_49:                             ;   in Loop: Header=BB500_37 Depth=1
	s_or_b64 exec, exec, s[22:23]
	s_andn2_b64 s[0:1], s[0:1], exec
	s_and_b64 s[2:3], s[2:3], exec
	s_or_b64 s[0:1], s[0:1], s[2:3]
.LBB500_50:                             ;   in Loop: Header=BB500_37 Depth=1
	s_or_b64 exec, exec, s[20:21]
	s_andn2_b64 s[2:3], vcc, exec
	s_and_b64 s[0:1], s[0:1], exec
	s_or_b64 vcc, s[2:3], s[0:1]
.LBB500_51:                             ;   in Loop: Header=BB500_37 Depth=1
	s_or_b64 exec, exec, s[18:19]
	s_and_saveexec_b64 s[0:1], vcc
	s_cbranch_execz .LBB500_53
; %bb.52:                               ;   in Loop: Header=BB500_37 Depth=1
	scratch_load_dword v1, v1, off
	v_add_u32_e32 v24, s13, v0
	v_ashrrev_i32_e32 v25, 31, v24
	v_lshl_add_u64 v[24:25], v[24:25], 2, s[14:15]
	s_waitcnt vmcnt(0)
	v_mul_f32_e32 v1, v8, v1
	global_store_dword v[24:25], v1, off
.LBB500_53:                             ;   in Loop: Header=BB500_37 Depth=1
	s_or_b64 exec, exec, s[0:1]
	global_load_dword v24, v[6:7], off
	v_mov_b32_e32 v1, 0
	s_waitcnt vmcnt(0)
	v_cmp_eq_u32_e64 s[8:9], v12, v24
	v_cmp_ne_u32_e32 vcc, v12, v24
	s_and_saveexec_b64 s[10:11], vcc
	s_cbranch_execz .LBB500_67
; %bb.54:                               ;   in Loop: Header=BB500_37 Depth=1
	v_cmp_eq_u32_e32 vcc, v23, v24
	v_cmp_ne_u32_e64 s[0:1], v23, v24
	v_mov_b32_e32 v1, v20
	s_and_saveexec_b64 s[18:19], s[0:1]
	s_cbranch_execz .LBB500_66
; %bb.55:                               ;   in Loop: Header=BB500_37 Depth=1
	v_cmp_eq_u32_e64 s[0:1], v22, v24
	v_cmp_ne_u32_e64 s[2:3], v22, v24
	v_mov_b32_e32 v1, v18
	s_and_saveexec_b64 s[20:21], s[2:3]
	s_cbranch_execz .LBB500_65
; %bb.56:                               ;   in Loop: Header=BB500_37 Depth=1
	v_cmp_eq_u32_e64 s[2:3], v21, v24
	;; [unrolled: 6-line block ×5, first 2 shown]
	v_cmp_ne_u32_e64 s[6:7], v15, v24
	v_mov_b32_e32 v1, v9
	s_and_saveexec_b64 s[34:35], s[6:7]
; %bb.60:                               ;   in Loop: Header=BB500_37 Depth=1
	v_cmp_eq_u32_e64 s[6:7], v13, v24
	s_andn2_b64 s[30:31], s[30:31], exec
	s_and_b64 s[6:7], s[6:7], exec
	s_or_b64 s[30:31], s[30:31], s[6:7]
	v_mov_b32_e32 v1, v10
; %bb.61:                               ;   in Loop: Header=BB500_37 Depth=1
	s_or_b64 exec, exec, s[34:35]
	s_andn2_b64 s[6:7], s[26:27], exec
	s_and_b64 s[26:27], s[30:31], exec
	s_or_b64 s[26:27], s[6:7], s[26:27]
.LBB500_62:                             ;   in Loop: Header=BB500_37 Depth=1
	s_or_b64 exec, exec, s[28:29]
	s_andn2_b64 s[4:5], s[4:5], exec
	s_and_b64 s[6:7], s[26:27], exec
	s_or_b64 s[4:5], s[4:5], s[6:7]
.LBB500_63:                             ;   in Loop: Header=BB500_37 Depth=1
	s_or_b64 exec, exec, s[24:25]
	s_andn2_b64 s[2:3], s[2:3], exec
	s_and_b64 s[4:5], s[4:5], exec
	s_or_b64 s[2:3], s[2:3], s[4:5]
.LBB500_64:                             ;   in Loop: Header=BB500_37 Depth=1
	s_or_b64 exec, exec, s[22:23]
	s_andn2_b64 s[0:1], s[0:1], exec
	s_and_b64 s[2:3], s[2:3], exec
	s_or_b64 s[0:1], s[0:1], s[2:3]
.LBB500_65:                             ;   in Loop: Header=BB500_37 Depth=1
	s_or_b64 exec, exec, s[20:21]
	s_andn2_b64 s[2:3], vcc, exec
	s_and_b64 s[0:1], s[0:1], exec
	s_or_b64 vcc, s[2:3], s[0:1]
.LBB500_66:                             ;   in Loop: Header=BB500_37 Depth=1
	s_or_b64 exec, exec, s[18:19]
	s_andn2_b64 s[0:1], s[8:9], exec
	s_and_b64 s[2:3], vcc, exec
	s_or_b64 s[8:9], s[0:1], s[2:3]
.LBB500_67:                             ;   in Loop: Header=BB500_37 Depth=1
	s_or_b64 exec, exec, s[10:11]
	s_and_saveexec_b64 s[0:1], s[8:9]
	s_cbranch_execz .LBB500_36
; %bb.68:                               ;   in Loop: Header=BB500_37 Depth=1
	scratch_load_dword v1, v1, off
	s_waitcnt vmcnt(0)
	v_mul_f32_e32 v1, v8, v1
	global_store_dword v[4:5], v1, off
	s_branch .LBB500_36
.LBB500_69:
	s_bitcmp0_b32 s12, 0
	s_mov_b32 s17, 0
	s_cbranch_scc1 .LBB500_31
; %bb.70:
	v_lshl_add_u64 v[2:3], s[16:17], 3, v[2:3]
	global_load_dword v1, v[2:3], off
	v_mov_b32_e32 v2, 0
	s_waitcnt vmcnt(0)
	v_cmp_eq_u32_e64 s[8:9], v12, v1
	v_cmp_ne_u32_e32 vcc, v12, v1
	s_and_saveexec_b64 s[10:11], vcc
	s_cbranch_execz .LBB500_84
; %bb.71:
	v_cmp_eq_u32_e32 vcc, v23, v1
	v_cmp_ne_u32_e64 s[0:1], v23, v1
	s_and_saveexec_b64 s[12:13], s[0:1]
	s_cbranch_execz .LBB500_83
; %bb.72:
	v_cmp_eq_u32_e64 s[0:1], v22, v1
	v_cmp_ne_u32_e64 s[2:3], v22, v1
	s_and_saveexec_b64 s[18:19], s[2:3]
	s_cbranch_execz .LBB500_82
; %bb.73:
	v_cmp_eq_u32_e64 s[2:3], v21, v1
	;; [unrolled: 5-line block ×5, first 2 shown]
	v_cmp_ne_u32_e64 s[6:7], v15, v1
	s_and_saveexec_b64 s[30:31], s[6:7]
; %bb.77:
	v_cmp_eq_u32_e64 s[6:7], v13, v1
	s_andn2_b64 s[28:29], s[28:29], exec
	s_and_b64 s[6:7], s[6:7], exec
	s_or_b64 s[28:29], s[28:29], s[6:7]
	v_mov_b32_e32 v9, v10
; %bb.78:
	s_or_b64 exec, exec, s[30:31]
	s_andn2_b64 s[6:7], s[24:25], exec
	s_and_b64 s[24:25], s[28:29], exec
	s_or_b64 s[24:25], s[6:7], s[24:25]
	v_mov_b32_e32 v11, v9
.LBB500_79:
	s_or_b64 exec, exec, s[26:27]
	s_andn2_b64 s[4:5], s[4:5], exec
	s_and_b64 s[6:7], s[24:25], exec
	s_or_b64 s[4:5], s[4:5], s[6:7]
	v_mov_b32_e32 v14, v11
.LBB500_80:
	s_or_b64 exec, exec, s[22:23]
	s_andn2_b64 s[2:3], s[2:3], exec
	s_and_b64 s[4:5], s[4:5], exec
	s_or_b64 s[2:3], s[2:3], s[4:5]
	v_mov_b32_e32 v16, v14
.LBB500_81:
	s_or_b64 exec, exec, s[20:21]
	s_andn2_b64 s[0:1], s[0:1], exec
	s_and_b64 s[2:3], s[2:3], exec
	s_or_b64 s[0:1], s[0:1], s[2:3]
	v_mov_b32_e32 v18, v16
.LBB500_82:
	s_or_b64 exec, exec, s[18:19]
	s_andn2_b64 s[2:3], vcc, exec
	s_and_b64 s[0:1], s[0:1], exec
	s_or_b64 vcc, s[2:3], s[0:1]
	v_mov_b32_e32 v20, v18
.LBB500_83:
	s_or_b64 exec, exec, s[12:13]
	s_andn2_b64 s[0:1], s[8:9], exec
	s_and_b64 s[2:3], vcc, exec
	s_or_b64 s[8:9], s[0:1], s[2:3]
	v_mov_b32_e32 v2, v20
.LBB500_84:
	s_or_b64 exec, exec, s[10:11]
	s_and_b64 exec, exec, s[8:9]
	s_cbranch_execz .LBB500_31
; %bb.85:
	scratch_load_dword v2, v2, off
	v_add_u32_e32 v0, s16, v0
	v_ashrrev_i32_e32 v1, 31, v0
	s_waitcnt lgkmcnt(0)
	v_lshl_add_u64 v[0:1], v[0:1], 2, s[14:15]
	s_waitcnt vmcnt(0)
	v_mul_f32_e32 v2, v8, v2
	global_store_dword v[0:1], v2, off
	s_endpgm
	.section	.rodata,"a",@progbits
	.p2align	6, 0x0
	.amdhsa_kernel _ZN4vllm3moe22topkGatingSoftplusSqrtILi8ELi32ELi4ELi16ELi64ELb1El14__hip_bfloat16EEvPKT6_PKbPfiPT5_PiiiibdPKfPKS9_SF_
		.amdhsa_group_segment_fixed_size 0
		.amdhsa_private_segment_fixed_size 48
		.amdhsa_kernarg_size 96
		.amdhsa_user_sgpr_count 2
		.amdhsa_user_sgpr_dispatch_ptr 0
		.amdhsa_user_sgpr_queue_ptr 0
		.amdhsa_user_sgpr_kernarg_segment_ptr 1
		.amdhsa_user_sgpr_dispatch_id 0
		.amdhsa_user_sgpr_kernarg_preload_length 0
		.amdhsa_user_sgpr_kernarg_preload_offset 0
		.amdhsa_user_sgpr_private_segment_size 0
		.amdhsa_uses_dynamic_stack 0
		.amdhsa_enable_private_segment 1
		.amdhsa_system_sgpr_workgroup_id_x 1
		.amdhsa_system_sgpr_workgroup_id_y 0
		.amdhsa_system_sgpr_workgroup_id_z 0
		.amdhsa_system_sgpr_workgroup_info 0
		.amdhsa_system_vgpr_workitem_id 1
		.amdhsa_next_free_vgpr 28
		.amdhsa_next_free_sgpr 36
		.amdhsa_accum_offset 28
		.amdhsa_reserve_vcc 1
		.amdhsa_float_round_mode_32 0
		.amdhsa_float_round_mode_16_64 0
		.amdhsa_float_denorm_mode_32 3
		.amdhsa_float_denorm_mode_16_64 3
		.amdhsa_dx10_clamp 1
		.amdhsa_ieee_mode 1
		.amdhsa_fp16_overflow 0
		.amdhsa_tg_split 0
		.amdhsa_exception_fp_ieee_invalid_op 0
		.amdhsa_exception_fp_denorm_src 0
		.amdhsa_exception_fp_ieee_div_zero 0
		.amdhsa_exception_fp_ieee_overflow 0
		.amdhsa_exception_fp_ieee_underflow 0
		.amdhsa_exception_fp_ieee_inexact 0
		.amdhsa_exception_int_div_zero 0
	.end_amdhsa_kernel
	.section	.text._ZN4vllm3moe22topkGatingSoftplusSqrtILi8ELi32ELi4ELi16ELi64ELb1El14__hip_bfloat16EEvPKT6_PKbPfiPT5_PiiiibdPKfPKS9_SF_,"axG",@progbits,_ZN4vllm3moe22topkGatingSoftplusSqrtILi8ELi32ELi4ELi16ELi64ELb1El14__hip_bfloat16EEvPKT6_PKbPfiPT5_PiiiibdPKfPKS9_SF_,comdat
.Lfunc_end500:
	.size	_ZN4vllm3moe22topkGatingSoftplusSqrtILi8ELi32ELi4ELi16ELi64ELb1El14__hip_bfloat16EEvPKT6_PKbPfiPT5_PiiiibdPKfPKS9_SF_, .Lfunc_end500-_ZN4vllm3moe22topkGatingSoftplusSqrtILi8ELi32ELi4ELi16ELi64ELb1El14__hip_bfloat16EEvPKT6_PKbPfiPT5_PiiiibdPKfPKS9_SF_
                                        ; -- End function
	.section	.AMDGPU.csdata,"",@progbits
; Kernel info:
; codeLenInByte = 4536
; NumSgprs: 42
; NumVgprs: 28
; NumAgprs: 0
; TotalNumVgprs: 28
; ScratchSize: 48
; MemoryBound: 0
; FloatMode: 240
; IeeeMode: 1
; LDSByteSize: 0 bytes/workgroup (compile time only)
; SGPRBlocks: 5
; VGPRBlocks: 3
; NumSGPRsForWavesPerEU: 42
; NumVGPRsForWavesPerEU: 28
; AccumOffset: 28
; Occupancy: 8
; WaveLimiterHint : 1
; COMPUTE_PGM_RSRC2:SCRATCH_EN: 1
; COMPUTE_PGM_RSRC2:USER_SGPR: 2
; COMPUTE_PGM_RSRC2:TRAP_HANDLER: 0
; COMPUTE_PGM_RSRC2:TGID_X_EN: 1
; COMPUTE_PGM_RSRC2:TGID_Y_EN: 0
; COMPUTE_PGM_RSRC2:TGID_Z_EN: 0
; COMPUTE_PGM_RSRC2:TIDIG_COMP_CNT: 1
; COMPUTE_PGM_RSRC3_GFX90A:ACCUM_OFFSET: 6
; COMPUTE_PGM_RSRC3_GFX90A:TG_SPLIT: 0
	.section	.text._ZN4vllm3moe22topkGatingSoftplusSqrtILi8ELi32ELi4ELi16ELi64ELb0El14__hip_bfloat16EEvPKT6_PKbPfiPT5_PiiiibdPKfPKS9_SF_,"axG",@progbits,_ZN4vllm3moe22topkGatingSoftplusSqrtILi8ELi32ELi4ELi16ELi64ELb0El14__hip_bfloat16EEvPKT6_PKbPfiPT5_PiiiibdPKfPKS9_SF_,comdat
	.protected	_ZN4vllm3moe22topkGatingSoftplusSqrtILi8ELi32ELi4ELi16ELi64ELb0El14__hip_bfloat16EEvPKT6_PKbPfiPT5_PiiiibdPKfPKS9_SF_ ; -- Begin function _ZN4vllm3moe22topkGatingSoftplusSqrtILi8ELi32ELi4ELi16ELi64ELb0El14__hip_bfloat16EEvPKT6_PKbPfiPT5_PiiiibdPKfPKS9_SF_
	.globl	_ZN4vllm3moe22topkGatingSoftplusSqrtILi8ELi32ELi4ELi16ELi64ELb0El14__hip_bfloat16EEvPKT6_PKbPfiPT5_PiiiibdPKfPKS9_SF_
	.p2align	8
	.type	_ZN4vllm3moe22topkGatingSoftplusSqrtILi8ELi32ELi4ELi16ELi64ELb0El14__hip_bfloat16EEvPKT6_PKbPfiPT5_PiiiibdPKfPKS9_SF_,@function
_ZN4vllm3moe22topkGatingSoftplusSqrtILi8ELi32ELi4ELi16ELi64ELb0El14__hip_bfloat16EEvPKT6_PKbPfiPT5_PiiiibdPKfPKS9_SF_: ; @_ZN4vllm3moe22topkGatingSoftplusSqrtILi8ELi32ELi4ELi16ELi64ELb0El14__hip_bfloat16EEvPKT6_PKbPfiPT5_PiiiibdPKfPKS9_SF_
; %bb.0:
	s_load_dword s33, s[0:1], 0x18
	v_bfe_u32 v1, v0, 10, 10
	v_and_b32_e32 v0, 0x3ff, v0
	s_lshl_b32 s2, s2, 6
	v_lshlrev_b32_e32 v1, 4, v1
	v_lshrrev_b32_e32 v2, 2, v0
	v_add3_u32 v8, s2, v1, v2
	s_waitcnt lgkmcnt(0)
	v_cmp_gt_i32_e32 vcc, s33, v8
	s_and_saveexec_b64 s[2:3], vcc
	s_cbranch_execz .LBB501_53
; %bb.1:
	s_load_dwordx4 s[4:7], s[0:1], 0x0
	s_load_dwordx2 s[34:35], s[0:1], 0x10
	s_waitcnt lgkmcnt(0)
	s_cmp_eq_u64 s[6:7], 0
	s_cbranch_scc1 .LBB501_3
; %bb.2:
	v_ashrrev_i32_e32 v9, 31, v8
	v_lshl_add_u64 v[2:3], s[6:7], 0, v[8:9]
	global_load_ubyte v1, v[2:3], off
	s_waitcnt vmcnt(0)
	v_and_b32_e32 v1, 1, v1
	v_cmp_eq_u32_e32 vcc, 1, v1
	s_xor_b64 s[2:3], vcc, -1
	s_orn2_b64 s[36:37], s[2:3], exec
	s_branch .LBB501_4
.LBB501_3:
	s_mov_b64 s[36:37], -1
.LBB501_4:
	v_lshlrev_b32_e32 v4, 5, v8
	v_mov_b32_e32 v2, s4
	v_mov_b32_e32 v3, s5
	v_ashrrev_i32_e32 v5, 31, v4
	v_and_b32_e32 v9, 3, v0
	v_lshl_add_u64 v[2:3], v[4:5], 1, v[2:3]
	v_mov_b32_e32 v1, 0
	v_lshlrev_b32_e32 v0, 4, v9
	v_lshl_add_u64 v[0:1], v[2:3], 0, v[0:1]
	global_load_dwordx4 v[4:7], v[0:1], off
	s_mov_b32 s12, 0x800000
	v_mov_b32_e32 v2, 0x4f800000
	s_mov_b32 s9, 0x3f317217
	s_mov_b32 s10, 0x7f800000
	v_mov_b32_e32 v3, 0x41b17218
	s_mov_b32 s8, 0x41a00000
	s_mov_b32 s11, 0xf800000
	s_load_dwordx4 s[20:23], s[0:1], 0x40
	v_lshlrev_b32_e32 v12, 3, v9
	s_waitcnt lgkmcnt(0)
	s_cmp_lg_u64 s[22:23], 0
	s_cselect_b64 s[6:7], -1, 0
	s_and_b64 s[2:3], exec, s[6:7]
	s_waitcnt vmcnt(0)
	v_lshlrev_b32_e32 v0, 16, v4
	v_mul_f32_e32 v1, 0x3fb8aa3b, v0
	v_exp_f32_e32 v10, v1
	v_mov_b32_e32 v1, 0x260
	v_add_f32_e32 v10, 1.0, v10
	v_cmp_gt_f32_e32 vcc, s12, v10
	s_nop 1
	v_cndmask_b32_e32 v11, 1.0, v2, vcc
	v_mul_f32_e32 v10, v10, v11
	v_log_f32_e32 v11, v10
	v_cndmask_b32_e32 v13, 0, v3, vcc
	v_lshlrev_b32_e32 v10, 2, v12
	v_mul_f32_e32 v14, 0x3f317217, v11
	v_fma_f32 v14, v11, s9, -v14
	v_fmac_f32_e32 v14, 0x3377d1cf, v11
	v_fmac_f32_e32 v14, 0x3f317217, v11
	v_cmp_lt_f32_e64 vcc, |v11|, s10
	s_nop 1
	v_cndmask_b32_e32 v11, v11, v14, vcc
	v_sub_f32_e32 v11, v11, v13
	v_cmp_lt_f32_e32 vcc, s8, v0
	s_nop 1
	v_cndmask_b32_e32 v0, v11, v0, vcc
	v_mul_f32_e32 v11, 0x4f800000, v0
	v_cmp_gt_f32_e32 vcc, s11, v0
	s_nop 1
	v_cndmask_b32_e32 v0, v0, v11, vcc
	v_sqrt_f32_e32 v11, v0
	s_nop 0
	v_add_u32_e32 v13, -1, v11
	v_add_u32_e32 v14, 1, v11
	v_fma_f32 v15, -v13, v11, v0
	v_fma_f32 v16, -v14, v11, v0
	v_cmp_ge_f32_e64 s[4:5], 0, v15
	s_nop 1
	v_cndmask_b32_e64 v11, v11, v13, s[4:5]
	v_cmp_lt_f32_e64 s[4:5], 0, v16
	s_nop 1
	v_cndmask_b32_e64 v11, v11, v14, s[4:5]
	v_mul_f32_e32 v13, 0x37800000, v11
	v_cndmask_b32_e32 v11, v11, v13, vcc
	v_cmp_class_f32_e32 vcc, v0, v1
	s_nop 1
	v_cndmask_b32_e32 v0, v11, v0, vcc
	s_mov_b64 vcc, s[2:3]
	s_cbranch_vccz .LBB501_6
; %bb.5:
	global_load_dword v11, v10, s[22:23]
	s_waitcnt vmcnt(0)
	v_add_f32_e32 v0, v0, v11
.LBB501_6:
	v_and_b32_e32 v4, 0xffff0000, v4
	v_mul_f32_e32 v11, 0x3fb8aa3b, v4
	v_exp_f32_e32 v11, v11
	s_nop 0
	v_add_f32_e32 v11, 1.0, v11
	v_cmp_gt_f32_e32 vcc, s12, v11
	s_nop 1
	v_cndmask_b32_e32 v2, 1.0, v2, vcc
	v_mul_f32_e32 v2, v11, v2
	v_log_f32_e32 v2, v2
	v_cndmask_b32_e32 v3, 0, v3, vcc
	v_mul_f32_e32 v11, 0x3f317217, v2
	v_fma_f32 v11, v2, s9, -v11
	v_fmac_f32_e32 v11, 0x3377d1cf, v2
	v_fmac_f32_e32 v11, 0x3f317217, v2
	v_cmp_lt_f32_e64 vcc, |v2|, s10
	s_nop 1
	v_cndmask_b32_e32 v2, v2, v11, vcc
	v_sub_f32_e32 v2, v2, v3
	v_cmp_lt_f32_e32 vcc, s8, v4
	s_nop 1
	v_cndmask_b32_e32 v2, v2, v4, vcc
	v_mul_f32_e32 v3, 0x4f800000, v2
	v_cmp_gt_f32_e32 vcc, s11, v2
	s_nop 1
	v_cndmask_b32_e32 v2, v2, v3, vcc
	v_sqrt_f32_e32 v3, v2
	v_cmp_class_f32_e64 s[4:5], v2, v1
	v_add_u32_e32 v4, -1, v3
	v_add_u32_e32 v11, 1, v3
	v_fma_f32 v13, -v4, v3, v2
	v_fma_f32 v14, -v11, v3, v2
	v_cmp_ge_f32_e64 s[2:3], 0, v13
	s_nop 1
	v_cndmask_b32_e64 v3, v3, v4, s[2:3]
	v_cmp_lt_f32_e64 s[2:3], 0, v14
	s_nop 1
	v_cndmask_b32_e64 v3, v3, v11, s[2:3]
	v_mul_f32_e32 v4, 0x37800000, v3
	v_cndmask_b32_e32 v3, v3, v4, vcc
	v_cndmask_b32_e64 v4, 0, 1, s[6:7]
	v_cmp_ne_u32_e64 s[2:3], 1, v4
	s_andn2_b64 vcc, exec, s[6:7]
	v_cndmask_b32_e64 v1, v3, v2, s[4:5]
	s_cbranch_vccnz .LBB501_8
; %bb.7:
	global_load_dword v2, v10, s[22:23] offset:4
	s_waitcnt vmcnt(0)
	v_add_f32_e32 v1, v1, v2
.LBB501_8:
	v_lshlrev_b32_e32 v2, 16, v5
	v_mul_f32_e32 v3, 0x3fb8aa3b, v2
	v_exp_f32_e32 v3, v3
	s_mov_b32 s10, 0x800000
	v_mov_b32_e32 v4, 0x4f800000
	s_mov_b32 s7, 0x3f317217
	v_add_f32_e32 v3, 1.0, v3
	v_cmp_gt_f32_e32 vcc, s10, v3
	s_mov_b32 s8, 0x7f800000
	s_mov_b32 s6, 0x41a00000
	v_cndmask_b32_e32 v11, 1.0, v4, vcc
	v_mul_f32_e32 v3, v3, v11
	v_log_f32_e32 v3, v3
	s_mov_b32 s9, 0xf800000
	v_mul_f32_e32 v11, 0x3f317217, v3
	v_fma_f32 v11, v3, s7, -v11
	v_fmac_f32_e32 v11, 0x3377d1cf, v3
	v_fmac_f32_e32 v11, 0x3f317217, v3
	v_cmp_lt_f32_e64 s[4:5], |v3|, s8
	s_nop 1
	v_cndmask_b32_e64 v3, v3, v11, s[4:5]
	v_mov_b32_e32 v11, 0x41b17218
	v_cndmask_b32_e32 v13, 0, v11, vcc
	v_sub_f32_e32 v3, v3, v13
	v_cmp_lt_f32_e32 vcc, s6, v2
	s_nop 1
	v_cndmask_b32_e32 v2, v3, v2, vcc
	v_mul_f32_e32 v3, 0x4f800000, v2
	v_cmp_gt_f32_e32 vcc, s9, v2
	s_nop 1
	v_cndmask_b32_e32 v2, v2, v3, vcc
	v_sqrt_f32_e32 v3, v2
	s_nop 0
	v_add_u32_e32 v13, -1, v3
	v_fma_f32 v14, -v13, v3, v2
	v_cmp_ge_f32_e64 s[4:5], 0, v14
	v_add_u32_e32 v14, 1, v3
	s_nop 0
	v_cndmask_b32_e64 v13, v3, v13, s[4:5]
	v_fma_f32 v3, -v14, v3, v2
	v_cmp_lt_f32_e64 s[4:5], 0, v3
	s_nop 1
	v_cndmask_b32_e64 v3, v13, v14, s[4:5]
	v_mul_f32_e32 v13, 0x37800000, v3
	v_cndmask_b32_e32 v13, v3, v13, vcc
	v_mov_b32_e32 v3, 0x260
	v_cmp_class_f32_e64 s[4:5], v2, v3
	s_and_b64 vcc, exec, s[2:3]
	s_nop 0
	v_cndmask_b32_e64 v2, v13, v2, s[4:5]
	s_cbranch_vccnz .LBB501_10
; %bb.9:
	global_load_dword v13, v10, s[22:23] offset:8
	s_waitcnt vmcnt(0)
	v_add_f32_e32 v2, v2, v13
.LBB501_10:
	v_and_b32_e32 v5, 0xffff0000, v5
	v_mul_f32_e32 v13, 0x3fb8aa3b, v5
	v_exp_f32_e32 v13, v13
	s_nop 0
	v_add_f32_e32 v13, 1.0, v13
	v_cmp_gt_f32_e32 vcc, s10, v13
	s_nop 1
	v_cndmask_b32_e32 v4, 1.0, v4, vcc
	v_mul_f32_e32 v4, v13, v4
	v_log_f32_e32 v4, v4
	v_cndmask_b32_e32 v11, 0, v11, vcc
	v_mul_f32_e32 v13, 0x3f317217, v4
	v_fma_f32 v13, v4, s7, -v13
	v_fmac_f32_e32 v13, 0x3377d1cf, v4
	v_fmac_f32_e32 v13, 0x3f317217, v4
	v_cmp_lt_f32_e64 vcc, |v4|, s8
	s_nop 1
	v_cndmask_b32_e32 v4, v4, v13, vcc
	v_sub_f32_e32 v4, v4, v11
	v_cmp_lt_f32_e32 vcc, s6, v5
	s_nop 1
	v_cndmask_b32_e32 v4, v4, v5, vcc
	v_mul_f32_e32 v5, 0x4f800000, v4
	v_cmp_gt_f32_e32 vcc, s9, v4
	s_nop 1
	v_cndmask_b32_e32 v4, v4, v5, vcc
	v_sqrt_f32_e32 v5, v4
	s_nop 0
	v_add_u32_e32 v11, -1, v5
	v_add_u32_e32 v13, 1, v5
	v_fma_f32 v14, -v11, v5, v4
	v_fma_f32 v15, -v13, v5, v4
	v_cmp_ge_f32_e64 s[4:5], 0, v14
	s_nop 1
	v_cndmask_b32_e64 v5, v5, v11, s[4:5]
	v_cmp_lt_f32_e64 s[4:5], 0, v15
	s_nop 1
	v_cndmask_b32_e64 v5, v5, v13, s[4:5]
	v_mul_f32_e32 v11, 0x37800000, v5
	v_cndmask_b32_e32 v5, v5, v11, vcc
	v_cmp_class_f32_e64 s[4:5], v4, v3
	s_and_b64 vcc, exec, s[2:3]
	s_nop 0
	v_cndmask_b32_e64 v3, v5, v4, s[4:5]
	s_cbranch_vccnz .LBB501_12
; %bb.11:
	global_load_dword v4, v10, s[22:23] offset:12
	s_waitcnt vmcnt(0)
	v_add_f32_e32 v3, v3, v4
.LBB501_12:
	v_lshlrev_b32_e32 v4, 16, v6
	v_mul_f32_e32 v5, 0x3fb8aa3b, v4
	v_exp_f32_e32 v5, v5
	v_mov_b32_e32 v11, 0x4f800000
	v_add_f32_e32 v5, 1.0, v5
	v_cmp_gt_f32_e32 vcc, s10, v5
	s_nop 1
	v_cndmask_b32_e32 v13, 1.0, v11, vcc
	v_mul_f32_e32 v5, v5, v13
	v_log_f32_e32 v5, v5
	s_nop 0
	v_mul_f32_e32 v13, 0x3f317217, v5
	v_fma_f32 v13, v5, s7, -v13
	v_fmac_f32_e32 v13, 0x3377d1cf, v5
	v_fmac_f32_e32 v13, 0x3f317217, v5
	v_cmp_lt_f32_e64 s[4:5], |v5|, s8
	s_nop 1
	v_cndmask_b32_e64 v5, v5, v13, s[4:5]
	v_mov_b32_e32 v13, 0x41b17218
	v_cndmask_b32_e32 v14, 0, v13, vcc
	v_sub_f32_e32 v5, v5, v14
	v_cmp_lt_f32_e32 vcc, s6, v4
	s_nop 1
	v_cndmask_b32_e32 v4, v5, v4, vcc
	v_mul_f32_e32 v5, 0x4f800000, v4
	v_cmp_gt_f32_e32 vcc, s9, v4
	s_nop 1
	v_cndmask_b32_e32 v4, v4, v5, vcc
	v_sqrt_f32_e32 v5, v4
	s_nop 0
	v_add_u32_e32 v14, -1, v5
	v_fma_f32 v15, -v14, v5, v4
	v_cmp_ge_f32_e64 s[4:5], 0, v15
	v_add_u32_e32 v15, 1, v5
	s_nop 0
	v_cndmask_b32_e64 v14, v5, v14, s[4:5]
	v_fma_f32 v5, -v15, v5, v4
	v_cmp_lt_f32_e64 s[4:5], 0, v5
	s_nop 1
	v_cndmask_b32_e64 v5, v14, v15, s[4:5]
	v_mul_f32_e32 v14, 0x37800000, v5
	v_cndmask_b32_e32 v14, v5, v14, vcc
	v_mov_b32_e32 v5, 0x260
	v_cmp_class_f32_e64 s[4:5], v4, v5
	s_and_b64 vcc, exec, s[2:3]
	s_nop 0
	v_cndmask_b32_e64 v4, v14, v4, s[4:5]
	s_cbranch_vccnz .LBB501_14
; %bb.13:
	global_load_dword v14, v10, s[22:23] offset:16
	s_waitcnt vmcnt(0)
	v_add_f32_e32 v4, v4, v14
.LBB501_14:
	v_and_b32_e32 v6, 0xffff0000, v6
	v_mul_f32_e32 v14, 0x3fb8aa3b, v6
	v_exp_f32_e32 v14, v14
	s_nop 0
	v_add_f32_e32 v14, 1.0, v14
	v_cmp_gt_f32_e32 vcc, s10, v14
	s_nop 1
	v_cndmask_b32_e32 v11, 1.0, v11, vcc
	v_mul_f32_e32 v11, v14, v11
	v_log_f32_e32 v11, v11
	v_cndmask_b32_e32 v13, 0, v13, vcc
	v_mul_f32_e32 v14, 0x3f317217, v11
	v_fma_f32 v14, v11, s7, -v14
	v_fmac_f32_e32 v14, 0x3377d1cf, v11
	v_fmac_f32_e32 v14, 0x3f317217, v11
	v_cmp_lt_f32_e64 vcc, |v11|, s8
	s_nop 1
	v_cndmask_b32_e32 v11, v11, v14, vcc
	v_sub_f32_e32 v11, v11, v13
	v_cmp_lt_f32_e32 vcc, s6, v6
	s_nop 1
	v_cndmask_b32_e32 v6, v11, v6, vcc
	v_mul_f32_e32 v11, 0x4f800000, v6
	v_cmp_gt_f32_e32 vcc, s9, v6
	s_nop 1
	v_cndmask_b32_e32 v6, v6, v11, vcc
	v_sqrt_f32_e32 v11, v6
	s_nop 0
	v_add_u32_e32 v13, -1, v11
	v_add_u32_e32 v14, 1, v11
	v_fma_f32 v15, -v13, v11, v6
	v_fma_f32 v16, -v14, v11, v6
	v_cmp_ge_f32_e64 s[4:5], 0, v15
	s_nop 1
	v_cndmask_b32_e64 v11, v11, v13, s[4:5]
	v_cmp_lt_f32_e64 s[4:5], 0, v16
	s_nop 1
	v_cndmask_b32_e64 v11, v11, v14, s[4:5]
	v_mul_f32_e32 v13, 0x37800000, v11
	v_cndmask_b32_e32 v11, v11, v13, vcc
	v_cmp_class_f32_e64 s[4:5], v6, v5
	s_and_b64 vcc, exec, s[2:3]
	s_nop 0
	v_cndmask_b32_e64 v5, v11, v6, s[4:5]
	s_cbranch_vccnz .LBB501_16
; %bb.15:
	global_load_dword v6, v10, s[22:23] offset:20
	s_waitcnt vmcnt(0)
	v_add_f32_e32 v5, v5, v6
.LBB501_16:
	v_lshlrev_b32_e32 v6, 16, v7
	v_mul_f32_e32 v11, 0x3fb8aa3b, v6
	v_exp_f32_e32 v11, v11
	v_mov_b32_e32 v13, 0x4f800000
	v_add_f32_e32 v11, 1.0, v11
	v_cmp_gt_f32_e32 vcc, s10, v11
	s_nop 1
	v_cndmask_b32_e32 v14, 1.0, v13, vcc
	v_mul_f32_e32 v11, v11, v14
	v_log_f32_e32 v11, v11
	s_nop 0
	v_mul_f32_e32 v14, 0x3f317217, v11
	v_fma_f32 v14, v11, s7, -v14
	v_fmac_f32_e32 v14, 0x3377d1cf, v11
	v_fmac_f32_e32 v14, 0x3f317217, v11
	v_cmp_lt_f32_e64 s[4:5], |v11|, s8
	s_nop 1
	v_cndmask_b32_e64 v11, v11, v14, s[4:5]
	v_mov_b32_e32 v14, 0x41b17218
	v_cndmask_b32_e32 v15, 0, v14, vcc
	v_sub_f32_e32 v11, v11, v15
	v_cmp_lt_f32_e32 vcc, s6, v6
	s_nop 1
	v_cndmask_b32_e32 v6, v11, v6, vcc
	v_mul_f32_e32 v11, 0x4f800000, v6
	v_cmp_gt_f32_e32 vcc, s9, v6
	s_nop 1
	v_cndmask_b32_e32 v6, v6, v11, vcc
	v_sqrt_f32_e32 v11, v6
	s_nop 0
	v_add_u32_e32 v15, -1, v11
	v_fma_f32 v16, -v15, v11, v6
	v_cmp_ge_f32_e64 s[4:5], 0, v16
	v_add_u32_e32 v16, 1, v11
	s_nop 0
	v_cndmask_b32_e64 v15, v11, v15, s[4:5]
	v_fma_f32 v11, -v16, v11, v6
	v_cmp_lt_f32_e64 s[4:5], 0, v11
	s_nop 1
	v_cndmask_b32_e64 v11, v15, v16, s[4:5]
	v_mul_f32_e32 v15, 0x37800000, v11
	v_cndmask_b32_e32 v15, v11, v15, vcc
	v_mov_b32_e32 v11, 0x260
	v_cmp_class_f32_e64 s[4:5], v6, v11
	s_and_b64 vcc, exec, s[2:3]
	s_nop 0
	v_cndmask_b32_e64 v6, v15, v6, s[4:5]
	s_cbranch_vccnz .LBB501_18
; %bb.17:
	global_load_dword v15, v10, s[22:23] offset:24
	s_waitcnt vmcnt(0)
	v_add_f32_e32 v6, v6, v15
.LBB501_18:
	v_and_b32_e32 v7, 0xffff0000, v7
	v_mul_f32_e32 v15, 0x3fb8aa3b, v7
	v_exp_f32_e32 v15, v15
	s_nop 0
	v_add_f32_e32 v15, 1.0, v15
	v_cmp_gt_f32_e32 vcc, s10, v15
	s_nop 1
	v_cndmask_b32_e32 v13, 1.0, v13, vcc
	v_mul_f32_e32 v13, v15, v13
	v_log_f32_e32 v13, v13
	v_cndmask_b32_e32 v14, 0, v14, vcc
	v_mul_f32_e32 v15, 0x3f317217, v13
	v_fma_f32 v15, v13, s7, -v15
	v_fmac_f32_e32 v15, 0x3377d1cf, v13
	v_fmac_f32_e32 v15, 0x3f317217, v13
	v_cmp_lt_f32_e64 vcc, |v13|, s8
	s_nop 1
	v_cndmask_b32_e32 v13, v13, v15, vcc
	v_sub_f32_e32 v13, v13, v14
	v_cmp_lt_f32_e32 vcc, s6, v7
	s_nop 1
	v_cndmask_b32_e32 v7, v13, v7, vcc
	v_mul_f32_e32 v13, 0x4f800000, v7
	v_cmp_gt_f32_e32 vcc, s9, v7
	s_nop 1
	v_cndmask_b32_e32 v7, v7, v13, vcc
	v_sqrt_f32_e32 v13, v7
	s_nop 0
	v_add_u32_e32 v14, -1, v13
	v_add_u32_e32 v15, 1, v13
	v_fma_f32 v16, -v14, v13, v7
	v_fma_f32 v17, -v15, v13, v7
	v_cmp_ge_f32_e64 s[4:5], 0, v16
	s_nop 1
	v_cndmask_b32_e64 v13, v13, v14, s[4:5]
	v_cmp_lt_f32_e64 s[4:5], 0, v17
	s_nop 1
	v_cndmask_b32_e64 v13, v13, v15, s[4:5]
	v_mul_f32_e32 v14, 0x37800000, v13
	v_cndmask_b32_e32 v13, v13, v14, vcc
	v_cmp_class_f32_e64 s[4:5], v7, v11
	s_and_b64 vcc, exec, s[2:3]
	s_nop 0
	v_cndmask_b32_e64 v7, v13, v7, s[4:5]
	s_cbranch_vccnz .LBB501_20
; %bb.19:
	global_load_dword v10, v10, s[22:23] offset:28
	s_waitcnt vmcnt(0)
	v_add_f32_e32 v7, v7, v10
.LBB501_20:
	s_load_dwordx4 s[24:27], s[0:1], 0x30
	s_mov_b32 s42, 0
	v_cmp_eq_u32_e64 s[6:7], 0, v9
	s_waitcnt lgkmcnt(0)
	s_bitcmp1_b32 s27, 0
	s_cselect_b64 s[4:5], -1, 0
	s_cmp_gt_i32 s24, 0
	s_cselect_b64 s[38:39], -1, 0
	s_and_b64 vcc, exec, s[38:39]
	s_cbranch_vccz .LBB501_39
; %bb.21:
	v_mbcnt_lo_u32_b32 v10, -1, 0
	v_mbcnt_hi_u32_b32 v10, -1, v10
	v_and_b32_e32 v11, 0x7c, v10
	v_add_u32_e32 v11, 4, v11
	v_xor_b32_e32 v13, 2, v10
	v_cmp_lt_i32_e32 vcc, v13, v11
	s_load_dwordx4 s[28:31], s[0:1], 0x20
	v_mul_lo_u32 v14, v8, s24
	v_cndmask_b32_e32 v13, v10, v13, vcc
	v_lshlrev_b32_e32 v15, 2, v13
	v_xor_b32_e32 v13, 1, v10
	v_cmp_lt_i32_e32 vcc, v13, v11
	v_mov_b32_e32 v17, 0xc61c4000
	v_mov_b32_e32 v18, v8
	v_cndmask_b32_e32 v10, v10, v13, vcc
	v_lshlrev_b32_e32 v16, 2, v10
	v_mov_b32_e32 v13, 0
	s_branch .LBB501_24
.LBB501_22:                             ;   in Loop: Header=BB501_24 Depth=1
	s_or_b64 exec, exec, s[40:41]
.LBB501_23:                             ;   in Loop: Header=BB501_24 Depth=1
	s_cmp_eq_u32 s24, s42
	v_add_u32_e32 v18, s33, v18
	s_cbranch_scc1 .LBB501_40
.LBB501_24:                             ; =>This Inner Loop Header: Depth=1
	v_cmp_gt_f32_e32 vcc, v1, v0
	s_nop 1
	v_cndmask_b32_e32 v11, v0, v1, vcc
	v_cndmask_b32_e64 v10, 0, 1, vcc
	v_cmp_gt_f32_e32 vcc, v2, v11
	s_nop 1
	v_cndmask_b32_e32 v11, v11, v2, vcc
	v_cndmask_b32_e64 v10, v10, 2, vcc
	;; [unrolled: 4-line block ×6, first 2 shown]
	v_cmp_gt_f32_e32 vcc, v7, v11
	s_nop 1
	v_cndmask_b32_e64 v10, v10, 7, vcc
	v_cndmask_b32_e32 v19, v11, v7, vcc
	ds_bpermute_b32 v11, v15, v19
	v_or_b32_e32 v10, v12, v10
	s_waitcnt lgkmcnt(0)
	ds_bpermute_b32 v20, v15, v10
	s_waitcnt lgkmcnt(0)
	v_cmp_lt_f32_e64 s[8:9], v19, v11
	v_cmp_nlt_f32_e32 vcc, v19, v11
	s_and_saveexec_b64 s[10:11], vcc
; %bb.25:                               ;   in Loop: Header=BB501_24 Depth=1
	v_cmp_eq_f32_e32 vcc, v19, v11
	v_cmp_lt_i32_e64 s[0:1], v20, v10
	s_and_b64 s[0:1], vcc, s[0:1]
	s_andn2_b64 s[8:9], s[8:9], exec
	s_and_b64 s[0:1], s[0:1], exec
	s_or_b64 s[8:9], s[8:9], s[0:1]
; %bb.26:                               ;   in Loop: Header=BB501_24 Depth=1
	s_or_b64 exec, exec, s[10:11]
	s_and_saveexec_b64 s[0:1], s[8:9]
; %bb.27:                               ;   in Loop: Header=BB501_24 Depth=1
	v_mov_b32_e32 v19, v11
	v_mov_b32_e32 v10, v20
; %bb.28:                               ;   in Loop: Header=BB501_24 Depth=1
	s_or_b64 exec, exec, s[0:1]
	ds_bpermute_b32 v11, v16, v19
	ds_bpermute_b32 v20, v16, v10
	s_waitcnt lgkmcnt(1)
	v_cmp_lt_f32_e64 s[8:9], v19, v11
	v_cmp_nlt_f32_e32 vcc, v19, v11
	s_and_saveexec_b64 s[10:11], vcc
	s_cbranch_execnz .LBB501_32
; %bb.29:                               ;   in Loop: Header=BB501_24 Depth=1
	s_or_b64 exec, exec, s[10:11]
	s_and_saveexec_b64 s[0:1], s[8:9]
	s_cbranch_execnz .LBB501_33
.LBB501_30:                             ;   in Loop: Header=BB501_24 Depth=1
	s_or_b64 exec, exec, s[0:1]
	s_and_saveexec_b64 s[8:9], s[6:7]
	s_cbranch_execnz .LBB501_34
.LBB501_31:                             ;   in Loop: Header=BB501_24 Depth=1
	s_or_b64 exec, exec, s[8:9]
	s_add_i32 s42, s42, 1
	s_cmp_ge_i32 s42, s24
	s_cbranch_scc1 .LBB501_23
	s_branch .LBB501_37
.LBB501_32:                             ;   in Loop: Header=BB501_24 Depth=1
	v_cmp_eq_f32_e32 vcc, v19, v11
	s_waitcnt lgkmcnt(0)
	v_cmp_lt_i32_e64 s[0:1], v20, v10
	s_and_b64 s[0:1], vcc, s[0:1]
	s_andn2_b64 s[8:9], s[8:9], exec
	s_and_b64 s[0:1], s[0:1], exec
	s_or_b64 s[8:9], s[8:9], s[0:1]
	s_or_b64 exec, exec, s[10:11]
	s_and_saveexec_b64 s[0:1], s[8:9]
	s_cbranch_execz .LBB501_30
.LBB501_33:                             ;   in Loop: Header=BB501_24 Depth=1
	s_waitcnt lgkmcnt(0)
	v_mov_b32_e32 v10, v20
	v_mov_b32_e32 v19, v11
	s_or_b64 exec, exec, s[0:1]
	s_and_saveexec_b64 s[8:9], s[6:7]
	s_cbranch_execz .LBB501_31
.LBB501_34:                             ;   in Loop: Header=BB501_24 Depth=1
	s_and_b64 vcc, exec, s[2:3]
	s_cbranch_vccnz .LBB501_36
; %bb.35:                               ;   in Loop: Header=BB501_24 Depth=1
	v_ashrrev_i32_e32 v11, 31, v10
	s_waitcnt lgkmcnt(0)
	v_lshl_add_u64 v[20:21], v[10:11], 2, s[22:23]
	global_load_dword v11, v[20:21], off
	s_waitcnt vmcnt(0)
	v_sub_f32_e32 v19, v19, v11
.LBB501_36:                             ;   in Loop: Header=BB501_24 Depth=1
	s_waitcnt lgkmcnt(0)
	v_add_u32_e32 v20, s42, v14
	v_ashrrev_i32_e32 v21, 31, v20
	v_cmp_le_i32_e32 vcc, s25, v10
	v_cmp_gt_i32_e64 s[0:1], s26, v10
	v_lshlrev_b64 v[22:23], 2, v[20:21]
	s_and_b64 s[0:1], vcc, s[0:1]
	v_lshl_add_u64 v[24:25], s[34:35], 0, v[22:23]
	v_subrev_u32_e32 v11, s25, v10
	global_store_dword v[24:25], v19, off
	v_ashrrev_i32_e32 v24, 31, v11
	s_and_b64 vcc, s[36:37], s[0:1]
	v_cndmask_b32_e32 v25, 0, v24, vcc
	v_cndmask_b32_e32 v24, 32, v11, vcc
	v_lshl_add_u64 v[20:21], v[20:21], 3, s[28:29]
	v_add_f32_e32 v11, v13, v19
	global_store_dwordx2 v[20:21], v[24:25], off
	v_lshl_add_u64 v[20:21], s[30:31], 0, v[22:23]
	v_cndmask_b32_e64 v13, v13, v11, s[4:5]
	global_store_dword v[20:21], v18, off
	s_or_b64 exec, exec, s[8:9]
	s_add_i32 s42, s42, 1
	s_cmp_ge_i32 s42, s24
	s_cbranch_scc1 .LBB501_23
.LBB501_37:                             ;   in Loop: Header=BB501_24 Depth=1
	v_ashrrev_i32_e32 v19, 31, v10
	v_lshrrev_b32_e32 v11, 29, v19
	v_add_u32_e32 v11, v10, v11
	v_ashrrev_i32_e32 v11, 3, v11
	s_waitcnt lgkmcnt(0)
	v_lshrrev_b32_e32 v20, 30, v11
	v_add_u32_e32 v20, v11, v20
	v_and_b32_e32 v20, -4, v20
	v_sub_u32_e32 v20, v11, v20
	v_cmp_eq_u32_e32 vcc, v9, v20
	s_and_saveexec_b64 s[40:41], vcc
	s_cbranch_execz .LBB501_22
; %bb.38:                               ;   in Loop: Header=BB501_24 Depth=1
	v_lshrrev_b32_e32 v19, 27, v19
	v_add_u32_e32 v19, v10, v19
	v_lshlrev_b32_e32 v11, 3, v11
	v_sub_u32_e32 v10, v10, v11
	v_ashrrev_i32_e32 v11, 5, v19
	v_lshl_add_u32 v10, v11, 3, v10
	v_cmp_ne_u32_e32 vcc, 6, v10
	v_cmp_ne_u32_e64 s[0:1], 5, v10
	v_cmp_ne_u32_e64 s[8:9], 4, v10
	v_cmp_ne_u32_e64 s[10:11], 3, v10
	v_cmp_ne_u32_e64 s[12:13], 2, v10
	v_cmp_ne_u32_e64 s[14:15], 1, v10
	v_cmp_ne_u32_e64 s[16:17], 0, v10
	v_cmp_ne_u32_e64 s[18:19], 7, v10
	v_cndmask_b32_e32 v6, v17, v6, vcc
	v_cndmask_b32_e64 v5, v17, v5, s[0:1]
	v_cndmask_b32_e64 v7, v17, v7, s[18:19]
	;; [unrolled: 1-line block ×7, first 2 shown]
	s_branch .LBB501_22
.LBB501_39:
	v_mov_b32_e32 v13, 0
.LBB501_40:
	v_cmp_eq_u32_e32 vcc, 0, v9
	s_and_b64 exec, exec, vcc
	s_cbranch_execz .LBB501_53
; %bb.41:
	s_andn2_b64 vcc, exec, s[4:5]
	v_cvt_f32_f64_e32 v0, s[20:21]
	s_cbranch_vccnz .LBB501_43
; %bb.42:
	v_cmp_lt_f32_e32 vcc, 0, v13
	s_nop 1
	v_cndmask_b32_e32 v1, 1.0, v13, vcc
	v_div_scale_f32 v2, s[0:1], v1, v1, v0
	v_rcp_f32_e32 v3, v2
	s_nop 0
	v_fma_f32 v4, -v2, v3, 1.0
	v_fmac_f32_e32 v3, v4, v3
	v_div_scale_f32 v4, vcc, v0, v1, v0
	v_mul_f32_e32 v5, v4, v3
	v_fma_f32 v6, -v2, v5, v4
	v_fmac_f32_e32 v5, v6, v3
	v_fma_f32 v2, -v2, v5, v4
	v_div_fmas_f32 v2, v2, v3, v5
	v_div_fixup_f32 v0, v2, v1, v0
.LBB501_43:
	s_andn2_b64 vcc, exec, s[38:39]
	s_cbranch_vccnz .LBB501_53
; %bb.44:
	v_mul_lo_u32 v2, v8, s24
	s_cmp_gt_u32 s24, 3
	v_ashrrev_i32_e32 v3, 31, v2
	s_cbranch_scc0 .LBB501_48
; %bb.45:
	s_and_b32 s0, s24, 0x7ffffffc
	v_lshl_add_u64 v[4:5], v[2:3], 2, s[34:35]
	v_mov_b32_e32 v1, v0
	v_lshl_add_u64 v[4:5], v[4:5], 0, 8
	s_mov_b32 s1, s0
.LBB501_46:                             ; =>This Inner Loop Header: Depth=1
	global_load_dwordx4 v[6:9], v[4:5], off offset:-8
	s_add_i32 s1, s1, -4
	s_cmp_lg_u32 s1, 0
	s_waitcnt vmcnt(0)
	v_pk_mul_f32 v[6:7], v[0:1], v[6:7]
	v_pk_mul_f32 v[8:9], v[0:1], v[8:9]
	global_store_dwordx4 v[4:5], v[6:9], off offset:-8
	v_lshl_add_u64 v[4:5], v[4:5], 0, 16
	s_cbranch_scc1 .LBB501_46
; %bb.47:
	s_cmp_lg_u32 s0, s24
	s_cselect_b64 s[2:3], -1, 0
	s_branch .LBB501_50
.LBB501_48:
	s_mov_b64 s[2:3], 0
                                        ; implicit-def: $sgpr0
	s_cbranch_execz .LBB501_50
; %bb.49:
	s_mov_b64 s[2:3], -1
	s_mov_b32 s0, 0
.LBB501_50:
	s_andn2_b64 vcc, exec, s[2:3]
	s_cbranch_vccnz .LBB501_53
; %bb.51:
	s_mov_b32 s1, 0
	v_lshl_add_u64 v[2:3], v[2:3], 0, s[0:1]
	s_sub_i32 s2, s24, s0
	v_lshl_add_u64 v[2:3], v[2:3], 2, s[34:35]
.LBB501_52:                             ; =>This Inner Loop Header: Depth=1
	global_load_dword v1, v[2:3], off
	s_add_i32 s2, s2, -1
	s_cmp_lg_u32 s2, 0
	s_waitcnt vmcnt(0)
	v_mul_f32_e32 v1, v0, v1
	global_store_dword v[2:3], v1, off
	v_lshl_add_u64 v[2:3], v[2:3], 0, 4
	s_cbranch_scc1 .LBB501_52
.LBB501_53:
	s_endpgm
	.section	.rodata,"a",@progbits
	.p2align	6, 0x0
	.amdhsa_kernel _ZN4vllm3moe22topkGatingSoftplusSqrtILi8ELi32ELi4ELi16ELi64ELb0El14__hip_bfloat16EEvPKT6_PKbPfiPT5_PiiiibdPKfPKS9_SF_
		.amdhsa_group_segment_fixed_size 0
		.amdhsa_private_segment_fixed_size 0
		.amdhsa_kernarg_size 96
		.amdhsa_user_sgpr_count 2
		.amdhsa_user_sgpr_dispatch_ptr 0
		.amdhsa_user_sgpr_queue_ptr 0
		.amdhsa_user_sgpr_kernarg_segment_ptr 1
		.amdhsa_user_sgpr_dispatch_id 0
		.amdhsa_user_sgpr_kernarg_preload_length 0
		.amdhsa_user_sgpr_kernarg_preload_offset 0
		.amdhsa_user_sgpr_private_segment_size 0
		.amdhsa_uses_dynamic_stack 0
		.amdhsa_enable_private_segment 0
		.amdhsa_system_sgpr_workgroup_id_x 1
		.amdhsa_system_sgpr_workgroup_id_y 0
		.amdhsa_system_sgpr_workgroup_id_z 0
		.amdhsa_system_sgpr_workgroup_info 0
		.amdhsa_system_vgpr_workitem_id 1
		.amdhsa_next_free_vgpr 26
		.amdhsa_next_free_sgpr 43
		.amdhsa_accum_offset 28
		.amdhsa_reserve_vcc 1
		.amdhsa_float_round_mode_32 0
		.amdhsa_float_round_mode_16_64 0
		.amdhsa_float_denorm_mode_32 3
		.amdhsa_float_denorm_mode_16_64 3
		.amdhsa_dx10_clamp 1
		.amdhsa_ieee_mode 1
		.amdhsa_fp16_overflow 0
		.amdhsa_tg_split 0
		.amdhsa_exception_fp_ieee_invalid_op 0
		.amdhsa_exception_fp_denorm_src 0
		.amdhsa_exception_fp_ieee_div_zero 0
		.amdhsa_exception_fp_ieee_overflow 0
		.amdhsa_exception_fp_ieee_underflow 0
		.amdhsa_exception_fp_ieee_inexact 0
		.amdhsa_exception_int_div_zero 0
	.end_amdhsa_kernel
	.section	.text._ZN4vllm3moe22topkGatingSoftplusSqrtILi8ELi32ELi4ELi16ELi64ELb0El14__hip_bfloat16EEvPKT6_PKbPfiPT5_PiiiibdPKfPKS9_SF_,"axG",@progbits,_ZN4vllm3moe22topkGatingSoftplusSqrtILi8ELi32ELi4ELi16ELi64ELb0El14__hip_bfloat16EEvPKT6_PKbPfiPT5_PiiiibdPKfPKS9_SF_,comdat
.Lfunc_end501:
	.size	_ZN4vllm3moe22topkGatingSoftplusSqrtILi8ELi32ELi4ELi16ELi64ELb0El14__hip_bfloat16EEvPKT6_PKbPfiPT5_PiiiibdPKfPKS9_SF_, .Lfunc_end501-_ZN4vllm3moe22topkGatingSoftplusSqrtILi8ELi32ELi4ELi16ELi64ELb0El14__hip_bfloat16EEvPKT6_PKbPfiPT5_PiiiibdPKfPKS9_SF_
                                        ; -- End function
	.section	.AMDGPU.csdata,"",@progbits
; Kernel info:
; codeLenInByte = 3752
; NumSgprs: 49
; NumVgprs: 26
; NumAgprs: 0
; TotalNumVgprs: 26
; ScratchSize: 0
; MemoryBound: 0
; FloatMode: 240
; IeeeMode: 1
; LDSByteSize: 0 bytes/workgroup (compile time only)
; SGPRBlocks: 6
; VGPRBlocks: 3
; NumSGPRsForWavesPerEU: 49
; NumVGPRsForWavesPerEU: 26
; AccumOffset: 28
; Occupancy: 8
; WaveLimiterHint : 0
; COMPUTE_PGM_RSRC2:SCRATCH_EN: 0
; COMPUTE_PGM_RSRC2:USER_SGPR: 2
; COMPUTE_PGM_RSRC2:TRAP_HANDLER: 0
; COMPUTE_PGM_RSRC2:TGID_X_EN: 1
; COMPUTE_PGM_RSRC2:TGID_Y_EN: 0
; COMPUTE_PGM_RSRC2:TGID_Z_EN: 0
; COMPUTE_PGM_RSRC2:TIDIG_COMP_CNT: 1
; COMPUTE_PGM_RSRC3_GFX90A:ACCUM_OFFSET: 6
; COMPUTE_PGM_RSRC3_GFX90A:TG_SPLIT: 0
	.section	.text._ZN4vllm3moe22topkGatingSoftplusSqrtILi8ELi32ELi4ELi16ELi32ELb1El14__hip_bfloat16EEvPKT6_PKbPfiPT5_PiiiibdPKfPKS9_SF_,"axG",@progbits,_ZN4vllm3moe22topkGatingSoftplusSqrtILi8ELi32ELi4ELi16ELi32ELb1El14__hip_bfloat16EEvPKT6_PKbPfiPT5_PiiiibdPKfPKS9_SF_,comdat
	.protected	_ZN4vllm3moe22topkGatingSoftplusSqrtILi8ELi32ELi4ELi16ELi32ELb1El14__hip_bfloat16EEvPKT6_PKbPfiPT5_PiiiibdPKfPKS9_SF_ ; -- Begin function _ZN4vllm3moe22topkGatingSoftplusSqrtILi8ELi32ELi4ELi16ELi32ELb1El14__hip_bfloat16EEvPKT6_PKbPfiPT5_PiiiibdPKfPKS9_SF_
	.globl	_ZN4vllm3moe22topkGatingSoftplusSqrtILi8ELi32ELi4ELi16ELi32ELb1El14__hip_bfloat16EEvPKT6_PKbPfiPT5_PiiiibdPKfPKS9_SF_
	.p2align	8
	.type	_ZN4vllm3moe22topkGatingSoftplusSqrtILi8ELi32ELi4ELi16ELi32ELb1El14__hip_bfloat16EEvPKT6_PKbPfiPT5_PiiiibdPKfPKS9_SF_,@function
_ZN4vllm3moe22topkGatingSoftplusSqrtILi8ELi32ELi4ELi16ELi32ELb1El14__hip_bfloat16EEvPKT6_PKbPfiPT5_PiiiibdPKfPKS9_SF_: ; @_ZN4vllm3moe22topkGatingSoftplusSqrtILi8ELi32ELi4ELi16ELi32ELb1El14__hip_bfloat16EEvPKT6_PKbPfiPT5_PiiiibdPKfPKS9_SF_
; %bb.0:
	s_load_dword s3, s[0:1], 0x18
	v_bfe_u32 v1, v0, 10, 10
	v_and_b32_e32 v8, 0x3ff, v0
	s_lshl_b32 s2, s2, 5
	v_lshlrev_b32_e32 v1, 3, v1
	v_lshrrev_b32_e32 v0, 2, v8
	v_add3_u32 v6, s2, v1, v0
	s_waitcnt lgkmcnt(0)
	v_cmp_gt_i32_e32 vcc, s3, v6
	s_and_saveexec_b64 s[2:3], vcc
	s_cbranch_execz .LBB502_31
; %bb.1:
	s_load_dwordx4 s[8:11], s[0:1], 0x50
	s_load_dwordx2 s[2:3], s[0:1], 0x0
	s_load_dword s12, s[0:1], 0x30
	v_lshlrev_b32_e32 v0, 5, v6
	v_lshlrev_b32_e32 v4, 3, v8
	v_ashrrev_i32_e32 v1, 31, v0
	v_and_b32_e32 v12, 24, v4
	s_waitcnt lgkmcnt(0)
	v_mov_b32_e32 v2, s8
	v_mov_b32_e32 v3, s9
	v_lshl_add_u64 v[0:1], v[0:1], 1, s[2:3]
	v_lshlrev_b32_e32 v4, 1, v12
	v_mov_b32_e32 v5, 0
	v_ashrrev_i32_e32 v7, 31, v6
	v_lshl_add_u64 v[2:3], v[6:7], 3, v[2:3]
	v_lshl_add_u64 v[0:1], v[0:1], 0, v[4:5]
	global_load_dwordx2 v[10:11], v[2:3], off
	s_ashr_i32 s13, s12, 31
	global_load_dwordx4 v[0:3], v[0:1], off
	s_mov_b32 s23, 0x800000
	v_mov_b32_e32 v4, 0x4f800000
	s_mov_b32 s21, 0x3f317217
	s_mov_b32 s22, 0x7f800000
	v_mov_b32_e32 v7, 0x41b17218
	s_mov_b32 s17, 0x41a00000
	s_mov_b32 s20, 0xf800000
	v_mov_b32_e32 v9, 0x260
	v_cmp_lt_i64_e64 s[18:19], s[12:13], 1
	s_mov_b32 s16, 0
	v_cmp_gt_i64_e64 s[14:15], s[12:13], 0
	s_waitcnt vmcnt(1)
	v_mul_lo_u32 v11, v11, s12
	v_mul_lo_u32 v13, v10, s13
	s_waitcnt vmcnt(0)
	v_and_b32_e32 v18, 0xffff0000, v0
	v_lshlrev_b32_e32 v19, 16, v0
	v_and_b32_e32 v20, 0xffff0000, v1
	v_lshlrev_b32_e32 v21, 16, v1
	v_mul_f32_e32 v0, 0x3fb8aa3b, v19
	v_mul_f32_e32 v1, 0x3fb8aa3b, v18
	v_exp_f32_e32 v14, v0
	v_exp_f32_e32 v15, v1
	v_mul_f32_e32 v16, 0x3fb8aa3b, v21
	v_mul_f32_e32 v17, 0x3fb8aa3b, v20
	v_exp_f32_e32 v16, v16
	v_exp_f32_e32 v17, v17
	v_mad_u64_u32 v[0:1], s[2:3], v10, s12, 0
	v_add3_u32 v1, v1, v13, v11
	v_pk_add_f32 v[10:11], v[14:15], 1.0 op_sel_hi:[1,0]
	v_pk_add_f32 v[14:15], v[16:17], 1.0 op_sel_hi:[1,0]
	v_cmp_gt_f32_e32 vcc, s23, v11
	v_cmp_gt_f32_e64 s[2:3], s23, v10
	v_cmp_gt_f32_e64 s[6:7], s23, v14
	v_cndmask_b32_e32 v13, 1.0, v4, vcc
	v_cndmask_b32_e64 v16, 1.0, v4, s[2:3]
	v_mul_f32_e32 v11, v11, v13
	v_mul_f32_e32 v10, v10, v16
	v_log_f32_e32 v11, v11
	v_log_f32_e32 v10, v10
	v_cmp_gt_f32_e64 s[4:5], s23, v15
	v_cndmask_b32_e64 v22, 1.0, v4, s[6:7]
	v_mul_f32_e32 v14, v14, v22
	v_cndmask_b32_e64 v17, 1.0, v4, s[4:5]
	v_mul_f32_e32 v15, v15, v17
	v_log_f32_e32 v22, v14
	v_mul_f32_e32 v14, 0x3f317217, v11
	v_log_f32_e32 v17, v15
	v_mul_f32_e32 v15, 0x3f317217, v10
	v_fma_f32 v14, v11, s21, -v14
	v_fma_f32 v15, v10, s21, -v15
	v_fmac_f32_e32 v14, 0x3377d1cf, v11
	v_cndmask_b32_e32 v13, 0, v7, vcc
	v_fmac_f32_e32 v15, 0x3377d1cf, v10
	v_fmac_f32_e32 v14, 0x3f317217, v11
	v_cmp_lt_f32_e64 vcc, |v11|, s22
	v_fmac_f32_e32 v15, 0x3f317217, v10
	v_cndmask_b32_e64 v16, 0, v7, s[2:3]
	v_cndmask_b32_e32 v11, v11, v14, vcc
	v_cmp_lt_f32_e64 vcc, |v10|, s22
	v_sub_f32_e32 v11, v11, v13
	v_mul_f32_e32 v23, 0x3f317217, v17
	v_cndmask_b32_e32 v10, v10, v15, vcc
	v_sub_f32_e32 v10, v10, v16
	v_cmp_lt_f32_e32 vcc, s17, v19
	v_fma_f32 v23, v17, s21, -v23
	v_fmac_f32_e32 v23, 0x3377d1cf, v17
	v_cndmask_b32_e32 v10, v10, v19, vcc
	v_cmp_lt_f32_e32 vcc, s17, v18
	v_mul_f32_e32 v14, 0x4f800000, v10
	v_cmp_gt_f32_e64 s[2:3], s20, v10
	v_cndmask_b32_e32 v11, v11, v18, vcc
	v_mul_f32_e32 v13, 0x4f800000, v11
	v_cmp_gt_f32_e32 vcc, s20, v11
	v_cndmask_b32_e64 v10, v10, v14, s[2:3]
	v_sqrt_f32_e32 v14, v10
	v_cndmask_b32_e32 v11, v11, v13, vcc
	v_sqrt_f32_e32 v13, v11
	v_fmac_f32_e32 v23, 0x3f317217, v17
	v_add_u32_e32 v18, -1, v14
	v_fma_f32 v26, -v18, v14, v10
	v_add_u32_e32 v15, -1, v13
	v_fma_f32 v24, -v15, v13, v11
	v_add_u32_e32 v16, 1, v13
	v_cmp_ge_f32_e64 s[8:9], 0, v24
	v_add_u32_e32 v19, 1, v14
	v_fma_f32 v25, -v16, v13, v11
	v_cndmask_b32_e64 v13, v13, v15, s[8:9]
	v_cmp_ge_f32_e64 s[8:9], 0, v26
	v_fma_f32 v27, -v19, v14, v10
	s_nop 0
	v_cndmask_b32_e64 v14, v14, v18, s[8:9]
	v_cmp_lt_f32_e64 s[8:9], 0, v25
	s_nop 1
	v_cndmask_b32_e64 v13, v13, v16, s[8:9]
	v_cmp_lt_f32_e64 s[8:9], 0, v27
	v_mul_f32_e32 v15, 0x37800000, v13
	v_cndmask_b32_e32 v13, v13, v15, vcc
	v_cndmask_b32_e64 v14, v14, v19, s[8:9]
	v_mul_f32_e32 v16, 0x37800000, v14
	v_cmp_class_f32_e32 vcc, v11, v9
	v_cndmask_b32_e64 v14, v14, v16, s[2:3]
	v_cmp_lt_f32_e64 s[2:3], s17, v21
	v_cndmask_b32_e32 v15, v13, v11, vcc
	v_cmp_class_f32_e32 vcc, v10, v9
	v_cndmask_b32_e64 v11, 0, v7, s[4:5]
	v_cndmask_b32_e64 v13, 0, v7, s[6:7]
	v_cndmask_b32_e32 v14, v14, v10, vcc
	v_cmp_lt_f32_e64 vcc, |v17|, s22
	s_nop 1
	v_cndmask_b32_e32 v10, v17, v23, vcc
	v_sub_f32_e32 v10, v10, v11
	v_mul_f32_e32 v11, 0x3f317217, v22
	v_fma_f32 v11, v22, s21, -v11
	v_fmac_f32_e32 v11, 0x3377d1cf, v22
	v_fmac_f32_e32 v11, 0x3f317217, v22
	v_cmp_lt_f32_e64 vcc, |v22|, s22
	s_nop 1
	v_cndmask_b32_e32 v11, v22, v11, vcc
	v_cmp_lt_f32_e32 vcc, s17, v20
	v_sub_f32_e32 v11, v11, v13
	v_cndmask_b32_e64 v11, v11, v21, s[2:3]
	v_cndmask_b32_e32 v10, v10, v20, vcc
	v_mul_f32_e32 v16, 0x4f800000, v10
	v_cmp_gt_f32_e32 vcc, s20, v10
	v_and_b32_e32 v20, 0xffff0000, v2
	v_lshlrev_b32_e32 v2, 16, v2
	v_cndmask_b32_e32 v10, v10, v16, vcc
	v_sqrt_f32_e32 v16, v10
	s_nop 0
	v_add_u32_e32 v13, -1, v16
	v_fma_f32 v17, -v13, v16, v10
	v_cmp_ge_f32_e64 s[2:3], 0, v17
	v_add_u32_e32 v17, 1, v16
	s_nop 0
	v_cndmask_b32_e64 v13, v16, v13, s[2:3]
	v_fma_f32 v16, -v17, v16, v10
	v_cmp_lt_f32_e64 s[2:3], 0, v16
	s_nop 1
	v_cndmask_b32_e64 v13, v13, v17, s[2:3]
	v_mul_f32_e32 v17, 0x4f800000, v11
	v_cmp_gt_f32_e64 s[2:3], s20, v11
	v_mul_f32_e32 v16, 0x37800000, v13
	v_cndmask_b32_e32 v13, v13, v16, vcc
	v_cndmask_b32_e64 v18, v11, v17, s[2:3]
	v_sqrt_f32_e32 v11, v18
	v_cmp_class_f32_e32 vcc, v10, v9
	v_add_u32_e32 v16, 1, v11
	s_nop 0
	v_cndmask_b32_e32 v17, v13, v10, vcc
	v_add_u32_e32 v10, -1, v11
	v_fma_f32 v13, -v10, v11, v18
	v_cmp_ge_f32_e32 vcc, 0, v13
	v_fma_f32 v19, -v16, v11, v18
	s_nop 0
	v_cndmask_b32_e32 v13, v11, v10, vcc
	v_mul_f32_e32 v10, 0x3fb8aa3b, v2
	v_mul_f32_e32 v11, 0x3fb8aa3b, v20
	v_exp_f32_e32 v10, v10
	v_exp_f32_e32 v11, v11
	v_cmp_lt_f32_e32 vcc, 0, v19
	v_pk_add_f32 v[10:11], v[10:11], 1.0 op_sel_hi:[1,0]
	s_nop 0
	v_cndmask_b32_e32 v13, v13, v16, vcc
	v_mul_f32_e32 v16, 0x37800000, v13
	v_cmp_gt_f32_e32 vcc, s23, v11
	v_cndmask_b32_e64 v13, v13, v16, s[2:3]
	v_cmp_class_f32_e64 s[2:3], v18, v9
	v_cndmask_b32_e32 v16, 1.0, v4, vcc
	v_mul_f32_e32 v11, v11, v16
	v_log_f32_e32 v11, v11
	v_cndmask_b32_e64 v16, v13, v18, s[2:3]
	v_cmp_gt_f32_e64 s[2:3], s23, v10
	scratch_store_dwordx4 off, v[14:17], off
	v_mul_f32_e32 v13, 0x3f317217, v11
	v_fma_f32 v13, v11, s21, -v13
	v_cndmask_b32_e64 v14, 1.0, v4, s[2:3]
	v_mul_f32_e32 v10, v10, v14
	v_log_f32_e32 v10, v10
	v_fmac_f32_e32 v13, 0x3377d1cf, v11
	v_fmac_f32_e32 v13, 0x3f317217, v11
	v_cmp_lt_f32_e64 s[4:5], |v11|, s22
	v_and_b32_e32 v16, 0xffff0000, v3
	v_lshlrev_b32_e32 v17, 16, v3
	v_cndmask_b32_e64 v11, v11, v13, s[4:5]
	v_cndmask_b32_e32 v13, 0, v7, vcc
	v_sub_f32_e32 v11, v11, v13
	v_mul_f32_e32 v13, 0x3f317217, v10
	v_fma_f32 v13, v10, s21, -v13
	v_fmac_f32_e32 v13, 0x3377d1cf, v10
	v_fmac_f32_e32 v13, 0x3f317217, v10
	v_cmp_lt_f32_e64 vcc, |v10|, s22
	v_mul_f32_e32 v3, 0x3fb8aa3b, v16
	v_exp_f32_e32 v3, v3
	v_cndmask_b32_e32 v10, v10, v13, vcc
	v_cmp_lt_f32_e32 vcc, s17, v20
	v_cndmask_b32_e64 v13, 0, v7, s[2:3]
	v_sub_f32_e32 v10, v10, v13
	v_cndmask_b32_e32 v11, v11, v20, vcc
	v_mul_f32_e32 v14, 0x4f800000, v11
	v_cmp_gt_f32_e32 vcc, s20, v11
	v_cmp_lt_f32_e64 s[2:3], s17, v2
	s_nop 0
	v_cndmask_b32_e32 v11, v11, v14, vcc
	v_sqrt_f32_e32 v14, v11
	v_cndmask_b32_e64 v2, v10, v2, s[2:3]
	v_add_u32_e32 v10, -1, v14
	v_fma_f32 v13, -v10, v14, v11
	v_cmp_ge_f32_e64 s[2:3], 0, v13
	v_add_u32_e32 v13, 1, v14
	s_nop 0
	v_cndmask_b32_e64 v10, v14, v10, s[2:3]
	v_fma_f32 v14, -v13, v14, v11
	v_cmp_lt_f32_e64 s[2:3], 0, v14
	v_mul_f32_e32 v14, 0x4f800000, v2
	s_nop 0
	v_cndmask_b32_e64 v10, v10, v13, s[2:3]
	v_cmp_gt_f32_e64 s[2:3], s20, v2
	v_mul_f32_e32 v13, 0x37800000, v10
	v_cndmask_b32_e32 v10, v10, v13, vcc
	v_cndmask_b32_e64 v14, v2, v14, s[2:3]
	v_sqrt_f32_e32 v2, v14
	v_cmp_class_f32_e32 vcc, v11, v9
	s_nop 1
	v_cndmask_b32_e32 v15, v10, v11, vcc
	v_add_u32_e32 v10, -1, v2
	v_fma_f32 v11, -v10, v2, v14
	v_cmp_ge_f32_e32 vcc, 0, v11
	v_add_u32_e32 v11, 1, v2
	v_fma_f32 v13, -v11, v2, v14
	v_cndmask_b32_e32 v10, v2, v10, vcc
	v_mul_f32_e32 v2, 0x3fb8aa3b, v17
	v_exp_f32_e32 v2, v2
	v_cmp_lt_f32_e32 vcc, 0, v13
	v_pk_add_f32 v[2:3], v[2:3], 1.0 op_sel_hi:[1,0]
	s_nop 0
	v_cndmask_b32_e32 v10, v10, v11, vcc
	v_cmp_gt_f32_e32 vcc, s23, v3
	v_mul_f32_e32 v11, 0x37800000, v10
	v_cndmask_b32_e64 v10, v10, v11, s[2:3]
	v_cndmask_b32_e32 v13, 1.0, v4, vcc
	v_mul_f32_e32 v3, v3, v13
	v_log_f32_e32 v3, v3
	v_cmp_class_f32_e64 s[2:3], v14, v9
	v_cmp_lt_f32_e64 s[4:5], |v3|, s22
	s_nop 0
	v_cndmask_b32_e64 v14, v10, v14, s[2:3]
	v_cmp_gt_f32_e64 s[2:3], s23, v2
	v_mul_f32_e32 v10, 0x3f317217, v3
	v_fma_f32 v10, v3, s21, -v10
	v_cndmask_b32_e64 v4, 1.0, v4, s[2:3]
	v_mul_f32_e32 v2, v2, v4
	v_log_f32_e32 v2, v2
	v_fmac_f32_e32 v10, 0x3377d1cf, v3
	v_fmac_f32_e32 v10, 0x3f317217, v3
	v_cndmask_b32_e64 v3, v3, v10, s[4:5]
	v_cndmask_b32_e32 v4, 0, v7, vcc
	v_sub_f32_e32 v3, v3, v4
	v_mul_f32_e32 v4, 0x3f317217, v2
	v_fma_f32 v4, v2, s21, -v4
	v_fmac_f32_e32 v4, 0x3377d1cf, v2
	v_fmac_f32_e32 v4, 0x3f317217, v2
	v_cmp_lt_f32_e64 vcc, |v2|, s22
	s_nop 1
	v_cndmask_b32_e32 v2, v2, v4, vcc
	v_cmp_lt_f32_e32 vcc, s17, v16
	v_cndmask_b32_e64 v4, 0, v7, s[2:3]
	v_sub_f32_e32 v2, v2, v4
	v_cndmask_b32_e32 v3, v3, v16, vcc
	v_mul_f32_e32 v7, 0x4f800000, v3
	v_cmp_gt_f32_e32 vcc, s20, v3
	v_cmp_lt_f32_e64 s[2:3], s17, v17
	s_nop 0
	v_cndmask_b32_e32 v3, v3, v7, vcc
	v_sqrt_f32_e32 v7, v3
	v_cndmask_b32_e64 v2, v2, v17, s[2:3]
	v_add_u32_e32 v4, -1, v7
	v_fma_f32 v10, -v4, v7, v3
	v_cmp_ge_f32_e64 s[2:3], 0, v10
	v_add_u32_e32 v10, 1, v7
	s_nop 0
	v_cndmask_b32_e64 v4, v7, v4, s[2:3]
	v_fma_f32 v7, -v10, v7, v3
	v_cmp_lt_f32_e64 s[2:3], 0, v7
	s_nop 1
	v_cndmask_b32_e64 v4, v4, v10, s[2:3]
	v_mul_f32_e32 v10, 0x4f800000, v2
	v_cmp_gt_f32_e64 s[2:3], s20, v2
	v_mul_f32_e32 v7, 0x37800000, v4
	v_cndmask_b32_e32 v4, v4, v7, vcc
	v_cndmask_b32_e64 v2, v2, v10, s[2:3]
	v_sqrt_f32_e32 v10, v2
	v_cmp_class_f32_e32 vcc, v3, v9
	s_nop 1
	v_cndmask_b32_e32 v17, v4, v3, vcc
	v_add_u32_e32 v3, -1, v10
	v_fma_f32 v4, -v3, v10, v2
	v_cmp_ge_f32_e32 vcc, 0, v4
	v_add_u32_e32 v4, 1, v10
	v_fma_f32 v7, -v4, v10, v2
	v_cndmask_b32_e32 v3, v10, v3, vcc
	v_cmp_lt_f32_e32 vcc, 0, v7
	s_nop 1
	v_cndmask_b32_e32 v3, v3, v4, vcc
	v_mul_f32_e32 v4, 0x37800000, v3
	v_cndmask_b32_e64 v3, v3, v4, s[2:3]
	v_cmp_class_f32_e32 vcc, v2, v9
	s_nop 1
	v_cndmask_b32_e32 v16, v3, v2, vcc
	v_lshl_add_u64 v[2:3], v[0:1], 3, s[10:11]
	s_and_b64 vcc, exec, s[18:19]
	v_mul_lo_u32 v0, v6, s12
	scratch_store_dwordx4 off, v[14:17], off offset:16
	s_cbranch_vccnz .LBB502_28
; %bb.2:
	s_load_dwordx2 s[4:5], s[0:1], 0x20
	s_cmp_lt_u32 s12, 4
	v_and_b32_e32 v4, 3, v8
	s_cbranch_scc1 .LBB502_21
; %bb.3:
	v_lshlrev_b32_e32 v5, 3, v4
	s_mov_b32 s7, 0
	s_and_b32 s16, s12, 0x7ffffffc
	v_ashrrev_i32_e32 v1, 31, v0
	v_sub_u32_e32 v13, 0, v5
	v_mov_b32_e32 v5, 0
	s_mov_b32 s6, s7
	s_branch .LBB502_5
.LBB502_4:                              ;   in Loop: Header=BB502_5 Depth=1
	s_or_b64 exec, exec, s[8:9]
	s_add_i32 s6, s6, 4
	s_cmp_eq_u32 s6, s16
	s_cbranch_scc1 .LBB502_21
.LBB502_5:                              ; =>This Loop Header: Depth=1
                                        ;     Child Loop BB502_7 Depth 2
                                        ;     Child Loop BB502_11 Depth 2
                                        ;     Child Loop BB502_15 Depth 2
                                        ;     Child Loop BB502_19 Depth 2
	v_lshl_add_u64 v[6:7], s[6:7], 3, v[2:3]
	global_load_dwordx2 v[8:9], v[6:7], off
	v_add_u32_e32 v10, s6, v0
	v_ashrrev_i32_e32 v11, 31, v10
	v_mov_b32_e32 v14, 0
	s_mov_b64 s[8:9], 0
	s_waitcnt lgkmcnt(0)
	v_lshl_add_u64 v[10:11], v[10:11], 3, s[4:5]
	s_mov_b32 s13, 0
	s_waitcnt vmcnt(0)
	v_ashrrev_i32_e32 v9, 31, v8
	v_add_u32_e32 v15, v13, v8
	s_branch .LBB502_7
.LBB502_6:                              ;   in Loop: Header=BB502_7 Depth=2
	s_or_b64 exec, exec, s[10:11]
	s_add_i32 s17, s13, 1
	s_cmp_gt_u32 s13, 6
	s_cselect_b64 s[2:3], -1, 0
	s_xor_b64 s[10:11], vcc, -1
	s_or_b64 s[2:3], s[10:11], s[2:3]
	s_and_b64 s[2:3], exec, s[2:3]
	v_add_u32_e32 v14, 4, v14
	s_or_b64 s[8:9], s[2:3], s[8:9]
	s_mov_b32 s13, s17
	s_andn2_b64 exec, exec, s[8:9]
	s_cbranch_execz .LBB502_9
.LBB502_7:                              ;   Parent Loop BB502_5 Depth=1
                                        ; =>  This Inner Loop Header: Depth=2
	v_cmp_ne_u32_e32 vcc, s13, v15
	v_cmp_eq_u32_e64 s[2:3], s13, v15
	s_and_saveexec_b64 s[10:11], s[2:3]
	s_cbranch_execz .LBB502_6
; %bb.8:                                ;   in Loop: Header=BB502_7 Depth=2
	scratch_load_dword v16, v14, off
	s_waitcnt vmcnt(0)
	v_add_f32_e32 v5, v5, v16
	global_store_dwordx2 v[10:11], v[8:9], off
	s_branch .LBB502_6
.LBB502_9:                              ;   in Loop: Header=BB502_5 Depth=1
	s_or_b64 exec, exec, s[8:9]
	global_load_dwordx2 v[10:11], v[6:7], off offset:8
	s_ashr_i32 s3, s6, 31
	s_mov_b32 s2, s6
	v_lshl_add_u64 v[8:9], s[2:3], 0, v[0:1]
	v_mov_b32_e32 v14, 0
	s_mov_b32 s13, 0
	v_lshl_add_u64 v[8:9], v[8:9], 3, s[4:5]
	s_mov_b64 s[8:9], 0
	s_waitcnt vmcnt(0)
	v_ashrrev_i32_e32 v11, 31, v10
	v_add_u32_e32 v15, v13, v10
	s_branch .LBB502_11
.LBB502_10:                             ;   in Loop: Header=BB502_11 Depth=2
	s_or_b64 exec, exec, s[10:11]
	s_add_i32 s17, s13, 1
	s_cmp_gt_u32 s13, 6
	s_cselect_b64 s[2:3], -1, 0
	s_xor_b64 s[10:11], vcc, -1
	s_or_b64 s[2:3], s[10:11], s[2:3]
	s_and_b64 s[2:3], exec, s[2:3]
	v_add_u32_e32 v14, 4, v14
	s_or_b64 s[8:9], s[2:3], s[8:9]
	s_mov_b32 s13, s17
	s_andn2_b64 exec, exec, s[8:9]
	s_cbranch_execz .LBB502_13
.LBB502_11:                             ;   Parent Loop BB502_5 Depth=1
                                        ; =>  This Inner Loop Header: Depth=2
	v_cmp_ne_u32_e32 vcc, s13, v15
	v_cmp_eq_u32_e64 s[2:3], s13, v15
	s_and_saveexec_b64 s[10:11], s[2:3]
	s_cbranch_execz .LBB502_10
; %bb.12:                               ;   in Loop: Header=BB502_11 Depth=2
	scratch_load_dword v16, v14, off
	s_waitcnt vmcnt(0)
	v_add_f32_e32 v5, v5, v16
	global_store_dwordx2 v[8:9], v[10:11], off offset:8
	s_branch .LBB502_10
.LBB502_13:                             ;   in Loop: Header=BB502_5 Depth=1
	s_or_b64 exec, exec, s[8:9]
	global_load_dwordx2 v[10:11], v[6:7], off offset:16
	v_mov_b32_e32 v14, 0
	s_mov_b32 s13, 0
	s_mov_b64 s[8:9], 0
	s_waitcnt vmcnt(0)
	v_ashrrev_i32_e32 v11, 31, v10
	v_add_u32_e32 v15, v13, v10
	s_branch .LBB502_15
.LBB502_14:                             ;   in Loop: Header=BB502_15 Depth=2
	s_or_b64 exec, exec, s[10:11]
	s_add_i32 s17, s13, 1
	s_cmp_gt_u32 s13, 6
	s_cselect_b64 s[2:3], -1, 0
	s_xor_b64 s[10:11], vcc, -1
	s_or_b64 s[2:3], s[10:11], s[2:3]
	s_and_b64 s[2:3], exec, s[2:3]
	v_add_u32_e32 v14, 4, v14
	s_or_b64 s[8:9], s[2:3], s[8:9]
	s_mov_b32 s13, s17
	s_andn2_b64 exec, exec, s[8:9]
	s_cbranch_execz .LBB502_17
.LBB502_15:                             ;   Parent Loop BB502_5 Depth=1
                                        ; =>  This Inner Loop Header: Depth=2
	v_cmp_ne_u32_e32 vcc, s13, v15
	v_cmp_eq_u32_e64 s[2:3], s13, v15
	s_and_saveexec_b64 s[10:11], s[2:3]
	s_cbranch_execz .LBB502_14
; %bb.16:                               ;   in Loop: Header=BB502_15 Depth=2
	scratch_load_dword v16, v14, off
	s_waitcnt vmcnt(0)
	v_add_f32_e32 v5, v5, v16
	global_store_dwordx2 v[8:9], v[10:11], off offset:16
	s_branch .LBB502_14
.LBB502_17:                             ;   in Loop: Header=BB502_5 Depth=1
	s_or_b64 exec, exec, s[8:9]
	global_load_dwordx2 v[6:7], v[6:7], off offset:24
	v_mov_b32_e32 v10, 0
	s_mov_b32 s13, 0
	s_mov_b64 s[8:9], 0
	s_waitcnt vmcnt(0)
	v_ashrrev_i32_e32 v7, 31, v6
	v_add_u32_e32 v11, v13, v6
	s_branch .LBB502_19
.LBB502_18:                             ;   in Loop: Header=BB502_19 Depth=2
	s_or_b64 exec, exec, s[10:11]
	s_add_i32 s17, s13, 1
	s_cmp_gt_u32 s13, 6
	s_cselect_b64 s[2:3], -1, 0
	s_xor_b64 s[10:11], vcc, -1
	s_or_b64 s[2:3], s[10:11], s[2:3]
	s_and_b64 s[2:3], exec, s[2:3]
	v_add_u32_e32 v10, 4, v10
	s_or_b64 s[8:9], s[2:3], s[8:9]
	s_mov_b32 s13, s17
	s_andn2_b64 exec, exec, s[8:9]
	s_cbranch_execz .LBB502_4
.LBB502_19:                             ;   Parent Loop BB502_5 Depth=1
                                        ; =>  This Inner Loop Header: Depth=2
	v_cmp_ne_u32_e32 vcc, s13, v11
	v_cmp_eq_u32_e64 s[2:3], s13, v11
	s_and_saveexec_b64 s[10:11], s[2:3]
	s_cbranch_execz .LBB502_18
; %bb.20:                               ;   in Loop: Header=BB502_19 Depth=2
	scratch_load_dword v14, v10, off
	s_waitcnt vmcnt(0)
	v_add_f32_e32 v5, v5, v14
	global_store_dwordx2 v[8:9], v[6:7], off offset:24
	s_branch .LBB502_18
.LBB502_21:
	s_and_b32 s10, s12, 3
	s_cmp_eq_u32 s10, 0
	s_mov_b32 s17, 0
	s_cbranch_scc1 .LBB502_28
; %bb.22:
	v_lshlrev_b32_e32 v1, 3, v4
	v_sub_u32_e32 v1, 0, v1
	s_mov_b32 s11, s17
	s_branch .LBB502_24
.LBB502_23:                             ;   in Loop: Header=BB502_24 Depth=1
	s_or_b64 exec, exec, s[6:7]
	s_add_i32 s16, s16, 1
	s_add_i32 s11, s11, 1
	s_cmp_lg_u32 s11, s10
	s_cbranch_scc0 .LBB502_28
.LBB502_24:                             ; =>This Loop Header: Depth=1
                                        ;     Child Loop BB502_26 Depth 2
	v_lshl_add_u64 v[6:7], s[16:17], 3, v[2:3]
	global_load_dwordx2 v[6:7], v[6:7], off
	v_add_u32_e32 v8, s16, v0
	v_ashrrev_i32_e32 v9, 31, v8
	v_mov_b32_e32 v4, 0
	s_mov_b32 s13, 0
	s_waitcnt lgkmcnt(0)
	v_lshl_add_u64 v[8:9], v[8:9], 3, s[4:5]
	s_mov_b64 s[6:7], 0
	s_waitcnt vmcnt(0)
	v_ashrrev_i32_e32 v7, 31, v6
	v_add_u32_e32 v10, v1, v6
	s_branch .LBB502_26
.LBB502_25:                             ;   in Loop: Header=BB502_26 Depth=2
	s_or_b64 exec, exec, s[8:9]
	s_add_i32 s18, s13, 1
	s_cmp_gt_u32 s13, 6
	s_cselect_b64 s[2:3], -1, 0
	s_xor_b64 s[8:9], vcc, -1
	s_or_b64 s[2:3], s[8:9], s[2:3]
	s_and_b64 s[2:3], exec, s[2:3]
	v_add_u32_e32 v4, 4, v4
	s_or_b64 s[6:7], s[2:3], s[6:7]
	s_mov_b32 s13, s18
	s_andn2_b64 exec, exec, s[6:7]
	s_cbranch_execz .LBB502_23
.LBB502_26:                             ;   Parent Loop BB502_24 Depth=1
                                        ; =>  This Inner Loop Header: Depth=2
	v_cmp_ne_u32_e32 vcc, s13, v10
	v_cmp_eq_u32_e64 s[2:3], s13, v10
	s_and_saveexec_b64 s[8:9], s[2:3]
	s_cbranch_execz .LBB502_25
; %bb.27:                               ;   in Loop: Header=BB502_26 Depth=2
	scratch_load_dword v11, v4, off
	s_waitcnt vmcnt(0)
	v_add_f32_e32 v5, v5, v11
	global_store_dwordx2 v[8:9], v[6:7], off
	s_branch .LBB502_25
.LBB502_28:
	s_waitcnt lgkmcnt(0)
	s_load_dword s4, s[0:1], 0x3c
	s_waitcnt lgkmcnt(0)
	s_bitcmp1_b32 s4, 0
	s_cselect_b64 s[2:3], -1, 0
	s_bitcmp0_b32 s4, 0
	s_cbranch_scc0 .LBB502_32
; %bb.29:
	s_load_dwordx2 s[4:5], s[0:1], 0x40
	s_andn2_b64 vcc, exec, s[2:3]
	s_waitcnt lgkmcnt(0)
	v_cvt_f32_f64_e32 v8, s[4:5]
	s_cbranch_vccz .LBB502_33
.LBB502_30:
	s_andn2_b64 vcc, exec, s[14:15]
	s_cbranch_vccz .LBB502_34
.LBB502_31:
	s_endpgm
.LBB502_32:
	v_mbcnt_lo_u32_b32 v1, -1, 0
	v_mbcnt_hi_u32_b32 v1, -1, v1
	v_and_b32_e32 v4, 0x7c, v1
	v_add_u32_e32 v4, 4, v4
	v_xor_b32_e32 v6, 2, v1
	v_cmp_lt_i32_e32 vcc, v6, v4
	v_xor_b32_e32 v7, 1, v1
	s_nop 0
	v_cndmask_b32_e32 v6, v1, v6, vcc
	v_lshlrev_b32_e32 v6, 2, v6
	ds_bpermute_b32 v6, v6, v5
	v_cmp_lt_i32_e32 vcc, v7, v4
	s_waitcnt lgkmcnt(0)
	v_add_f32_e32 v5, v5, v6
	v_cndmask_b32_e32 v1, v1, v7, vcc
	v_lshlrev_b32_e32 v1, 2, v1
	ds_bpermute_b32 v1, v1, v5
	s_waitcnt lgkmcnt(0)
	v_add_f32_e32 v5, v5, v1
	s_load_dwordx2 s[4:5], s[0:1], 0x40
	s_andn2_b64 vcc, exec, s[2:3]
	s_waitcnt lgkmcnt(0)
	v_cvt_f32_f64_e32 v8, s[4:5]
	s_cbranch_vccnz .LBB502_30
.LBB502_33:
	v_cmp_lt_f32_e32 vcc, 0, v5
	s_nop 1
	v_cndmask_b32_e32 v1, 1.0, v5, vcc
	v_div_scale_f32 v4, s[2:3], v1, v1, v8
	v_rcp_f32_e32 v5, v4
	s_nop 0
	v_fma_f32 v6, -v4, v5, 1.0
	v_fmac_f32_e32 v5, v6, v5
	v_div_scale_f32 v6, vcc, v8, v1, v8
	v_mul_f32_e32 v7, v6, v5
	v_fma_f32 v9, -v4, v7, v6
	v_fmac_f32_e32 v7, v9, v5
	v_fma_f32 v4, -v4, v7, v6
	v_div_fmas_f32 v4, v4, v5, v7
	v_div_fixup_f32 v8, v4, v1, v8
	s_andn2_b64 vcc, exec, s[14:15]
	s_cbranch_vccnz .LBB502_31
.LBB502_34:
	s_load_dwordx2 s[14:15], s[0:1], 0x10
	v_mov_b32_e32 v1, 0
	v_or_b32_e32 v20, 4, v1
	v_or_b32_e32 v18, 8, v1
	v_or_b32_e32 v16, 12, v1
	v_add_u32_e32 v14, 16, v1
	v_add_u32_e32 v11, 20, v1
	;; [unrolled: 1-line block ×4, first 2 shown]
	v_or_b32_e32 v23, 1, v12
	v_or_b32_e32 v22, 2, v12
	;; [unrolled: 1-line block ×7, first 2 shown]
	s_cmp_eq_u32 s12, 1
	s_mov_b32 s16, 0
	s_cbranch_scc1 .LBB502_69
; %bb.35:
	v_ashrrev_i32_e32 v1, 31, v0
	s_waitcnt lgkmcnt(0)
	v_lshl_add_u64 v[4:5], v[0:1], 2, s[14:15]
	s_and_b32 s16, s12, 0x7ffffffe
	v_lshl_add_u64 v[4:5], v[4:5], 0, 4
	v_lshl_add_u64 v[6:7], v[2:3], 0, 8
	s_mov_b32 s13, 0
	s_branch .LBB502_37
.LBB502_36:                             ;   in Loop: Header=BB502_37 Depth=1
	s_or_b64 exec, exec, s[0:1]
	s_add_i32 s13, s13, 2
	v_lshl_add_u64 v[4:5], v[4:5], 0, 8
	s_cmp_eq_u32 s16, s13
	v_lshl_add_u64 v[6:7], v[6:7], 0, 16
	s_cbranch_scc1 .LBB502_69
.LBB502_37:                             ; =>This Inner Loop Header: Depth=1
	global_load_dword v24, v[6:7], off offset:-8
	v_mov_b32_e32 v1, 0
	s_waitcnt vmcnt(0)
	v_cmp_eq_u32_e32 vcc, v12, v24
	v_cmp_ne_u32_e64 s[0:1], v12, v24
	s_and_saveexec_b64 s[18:19], s[0:1]
	s_cbranch_execz .LBB502_51
; %bb.38:                               ;   in Loop: Header=BB502_37 Depth=1
	v_cmp_eq_u32_e64 s[0:1], v23, v24
	v_cmp_ne_u32_e64 s[2:3], v23, v24
	v_mov_b32_e32 v1, v20
	s_and_saveexec_b64 s[20:21], s[2:3]
	s_cbranch_execz .LBB502_50
; %bb.39:                               ;   in Loop: Header=BB502_37 Depth=1
	v_cmp_eq_u32_e64 s[2:3], v22, v24
	v_cmp_ne_u32_e64 s[4:5], v22, v24
	v_mov_b32_e32 v1, v18
	;; [unrolled: 6-line block ×6, first 2 shown]
	s_and_saveexec_b64 s[34:35], s[10:11]
	s_xor_b64 s[34:35], exec, s[34:35]
; %bb.44:                               ;   in Loop: Header=BB502_37 Depth=1
	v_cmp_eq_u32_e64 s[10:11], v13, v24
	s_andn2_b64 s[30:31], s[30:31], exec
	s_and_b64 s[10:11], s[10:11], exec
	s_or_b64 s[30:31], s[30:31], s[10:11]
	v_mov_b32_e32 v1, v10
; %bb.45:                               ;   in Loop: Header=BB502_37 Depth=1
	s_or_b64 exec, exec, s[34:35]
	s_andn2_b64 s[8:9], s[8:9], exec
	s_and_b64 s[10:11], s[30:31], exec
	s_or_b64 s[8:9], s[8:9], s[10:11]
.LBB502_46:                             ;   in Loop: Header=BB502_37 Depth=1
	s_or_b64 exec, exec, s[28:29]
	s_andn2_b64 s[6:7], s[6:7], exec
	s_and_b64 s[8:9], s[8:9], exec
	s_or_b64 s[6:7], s[6:7], s[8:9]
.LBB502_47:                             ;   in Loop: Header=BB502_37 Depth=1
	s_or_b64 exec, exec, s[26:27]
	s_andn2_b64 s[4:5], s[4:5], exec
	s_and_b64 s[6:7], s[6:7], exec
	s_or_b64 s[4:5], s[4:5], s[6:7]
.LBB502_48:                             ;   in Loop: Header=BB502_37 Depth=1
	s_or_b64 exec, exec, s[24:25]
	s_andn2_b64 s[2:3], s[2:3], exec
	s_and_b64 s[4:5], s[4:5], exec
	s_or_b64 s[2:3], s[2:3], s[4:5]
.LBB502_49:                             ;   in Loop: Header=BB502_37 Depth=1
	s_or_b64 exec, exec, s[22:23]
	s_andn2_b64 s[0:1], s[0:1], exec
	s_and_b64 s[2:3], s[2:3], exec
	s_or_b64 s[0:1], s[0:1], s[2:3]
.LBB502_50:                             ;   in Loop: Header=BB502_37 Depth=1
	s_or_b64 exec, exec, s[20:21]
	s_andn2_b64 s[2:3], vcc, exec
	s_and_b64 s[0:1], s[0:1], exec
	s_or_b64 vcc, s[2:3], s[0:1]
.LBB502_51:                             ;   in Loop: Header=BB502_37 Depth=1
	s_or_b64 exec, exec, s[18:19]
	s_and_saveexec_b64 s[0:1], vcc
	s_cbranch_execz .LBB502_53
; %bb.52:                               ;   in Loop: Header=BB502_37 Depth=1
	scratch_load_dword v1, v1, off
	v_add_u32_e32 v24, s13, v0
	v_ashrrev_i32_e32 v25, 31, v24
	v_lshl_add_u64 v[24:25], v[24:25], 2, s[14:15]
	s_waitcnt vmcnt(0)
	v_mul_f32_e32 v1, v8, v1
	global_store_dword v[24:25], v1, off
.LBB502_53:                             ;   in Loop: Header=BB502_37 Depth=1
	s_or_b64 exec, exec, s[0:1]
	global_load_dword v24, v[6:7], off
	v_mov_b32_e32 v1, 0
	s_waitcnt vmcnt(0)
	v_cmp_eq_u32_e64 s[8:9], v12, v24
	v_cmp_ne_u32_e32 vcc, v12, v24
	s_and_saveexec_b64 s[10:11], vcc
	s_cbranch_execz .LBB502_67
; %bb.54:                               ;   in Loop: Header=BB502_37 Depth=1
	v_cmp_eq_u32_e32 vcc, v23, v24
	v_cmp_ne_u32_e64 s[0:1], v23, v24
	v_mov_b32_e32 v1, v20
	s_and_saveexec_b64 s[18:19], s[0:1]
	s_cbranch_execz .LBB502_66
; %bb.55:                               ;   in Loop: Header=BB502_37 Depth=1
	v_cmp_eq_u32_e64 s[0:1], v22, v24
	v_cmp_ne_u32_e64 s[2:3], v22, v24
	v_mov_b32_e32 v1, v18
	s_and_saveexec_b64 s[20:21], s[2:3]
	s_cbranch_execz .LBB502_65
; %bb.56:                               ;   in Loop: Header=BB502_37 Depth=1
	v_cmp_eq_u32_e64 s[2:3], v21, v24
	;; [unrolled: 6-line block ×5, first 2 shown]
	v_cmp_ne_u32_e64 s[6:7], v15, v24
	v_mov_b32_e32 v1, v9
	s_and_saveexec_b64 s[34:35], s[6:7]
; %bb.60:                               ;   in Loop: Header=BB502_37 Depth=1
	v_cmp_eq_u32_e64 s[6:7], v13, v24
	s_andn2_b64 s[30:31], s[30:31], exec
	s_and_b64 s[6:7], s[6:7], exec
	s_or_b64 s[30:31], s[30:31], s[6:7]
	v_mov_b32_e32 v1, v10
; %bb.61:                               ;   in Loop: Header=BB502_37 Depth=1
	s_or_b64 exec, exec, s[34:35]
	s_andn2_b64 s[6:7], s[26:27], exec
	s_and_b64 s[26:27], s[30:31], exec
	s_or_b64 s[26:27], s[6:7], s[26:27]
.LBB502_62:                             ;   in Loop: Header=BB502_37 Depth=1
	s_or_b64 exec, exec, s[28:29]
	s_andn2_b64 s[4:5], s[4:5], exec
	s_and_b64 s[6:7], s[26:27], exec
	s_or_b64 s[4:5], s[4:5], s[6:7]
.LBB502_63:                             ;   in Loop: Header=BB502_37 Depth=1
	s_or_b64 exec, exec, s[24:25]
	s_andn2_b64 s[2:3], s[2:3], exec
	s_and_b64 s[4:5], s[4:5], exec
	s_or_b64 s[2:3], s[2:3], s[4:5]
.LBB502_64:                             ;   in Loop: Header=BB502_37 Depth=1
	s_or_b64 exec, exec, s[22:23]
	s_andn2_b64 s[0:1], s[0:1], exec
	s_and_b64 s[2:3], s[2:3], exec
	s_or_b64 s[0:1], s[0:1], s[2:3]
.LBB502_65:                             ;   in Loop: Header=BB502_37 Depth=1
	s_or_b64 exec, exec, s[20:21]
	s_andn2_b64 s[2:3], vcc, exec
	s_and_b64 s[0:1], s[0:1], exec
	s_or_b64 vcc, s[2:3], s[0:1]
.LBB502_66:                             ;   in Loop: Header=BB502_37 Depth=1
	s_or_b64 exec, exec, s[18:19]
	s_andn2_b64 s[0:1], s[8:9], exec
	s_and_b64 s[2:3], vcc, exec
	s_or_b64 s[8:9], s[0:1], s[2:3]
.LBB502_67:                             ;   in Loop: Header=BB502_37 Depth=1
	s_or_b64 exec, exec, s[10:11]
	s_and_saveexec_b64 s[0:1], s[8:9]
	s_cbranch_execz .LBB502_36
; %bb.68:                               ;   in Loop: Header=BB502_37 Depth=1
	scratch_load_dword v1, v1, off
	s_waitcnt vmcnt(0)
	v_mul_f32_e32 v1, v8, v1
	global_store_dword v[4:5], v1, off
	s_branch .LBB502_36
.LBB502_69:
	s_bitcmp0_b32 s12, 0
	s_mov_b32 s17, 0
	s_cbranch_scc1 .LBB502_31
; %bb.70:
	v_lshl_add_u64 v[2:3], s[16:17], 3, v[2:3]
	global_load_dword v1, v[2:3], off
	v_mov_b32_e32 v2, 0
	s_waitcnt vmcnt(0)
	v_cmp_eq_u32_e64 s[8:9], v12, v1
	v_cmp_ne_u32_e32 vcc, v12, v1
	s_and_saveexec_b64 s[10:11], vcc
	s_cbranch_execz .LBB502_84
; %bb.71:
	v_cmp_eq_u32_e32 vcc, v23, v1
	v_cmp_ne_u32_e64 s[0:1], v23, v1
	s_and_saveexec_b64 s[12:13], s[0:1]
	s_cbranch_execz .LBB502_83
; %bb.72:
	v_cmp_eq_u32_e64 s[0:1], v22, v1
	v_cmp_ne_u32_e64 s[2:3], v22, v1
	s_and_saveexec_b64 s[18:19], s[2:3]
	s_cbranch_execz .LBB502_82
; %bb.73:
	v_cmp_eq_u32_e64 s[2:3], v21, v1
	;; [unrolled: 5-line block ×5, first 2 shown]
	v_cmp_ne_u32_e64 s[6:7], v15, v1
	s_and_saveexec_b64 s[30:31], s[6:7]
; %bb.77:
	v_cmp_eq_u32_e64 s[6:7], v13, v1
	s_andn2_b64 s[28:29], s[28:29], exec
	s_and_b64 s[6:7], s[6:7], exec
	s_or_b64 s[28:29], s[28:29], s[6:7]
	v_mov_b32_e32 v9, v10
; %bb.78:
	s_or_b64 exec, exec, s[30:31]
	s_andn2_b64 s[6:7], s[24:25], exec
	s_and_b64 s[24:25], s[28:29], exec
	s_or_b64 s[24:25], s[6:7], s[24:25]
	v_mov_b32_e32 v11, v9
.LBB502_79:
	s_or_b64 exec, exec, s[26:27]
	s_andn2_b64 s[4:5], s[4:5], exec
	s_and_b64 s[6:7], s[24:25], exec
	s_or_b64 s[4:5], s[4:5], s[6:7]
	v_mov_b32_e32 v14, v11
.LBB502_80:
	s_or_b64 exec, exec, s[22:23]
	s_andn2_b64 s[2:3], s[2:3], exec
	s_and_b64 s[4:5], s[4:5], exec
	s_or_b64 s[2:3], s[2:3], s[4:5]
	v_mov_b32_e32 v16, v14
.LBB502_81:
	s_or_b64 exec, exec, s[20:21]
	s_andn2_b64 s[0:1], s[0:1], exec
	s_and_b64 s[2:3], s[2:3], exec
	s_or_b64 s[0:1], s[0:1], s[2:3]
	v_mov_b32_e32 v18, v16
.LBB502_82:
	s_or_b64 exec, exec, s[18:19]
	s_andn2_b64 s[2:3], vcc, exec
	s_and_b64 s[0:1], s[0:1], exec
	s_or_b64 vcc, s[2:3], s[0:1]
	v_mov_b32_e32 v20, v18
.LBB502_83:
	s_or_b64 exec, exec, s[12:13]
	s_andn2_b64 s[0:1], s[8:9], exec
	s_and_b64 s[2:3], vcc, exec
	s_or_b64 s[8:9], s[0:1], s[2:3]
	v_mov_b32_e32 v2, v20
.LBB502_84:
	s_or_b64 exec, exec, s[10:11]
	s_and_b64 exec, exec, s[8:9]
	s_cbranch_execz .LBB502_31
; %bb.85:
	scratch_load_dword v2, v2, off
	v_add_u32_e32 v0, s16, v0
	v_ashrrev_i32_e32 v1, 31, v0
	s_waitcnt lgkmcnt(0)
	v_lshl_add_u64 v[0:1], v[0:1], 2, s[14:15]
	s_waitcnt vmcnt(0)
	v_mul_f32_e32 v2, v8, v2
	global_store_dword v[0:1], v2, off
	s_endpgm
	.section	.rodata,"a",@progbits
	.p2align	6, 0x0
	.amdhsa_kernel _ZN4vllm3moe22topkGatingSoftplusSqrtILi8ELi32ELi4ELi16ELi32ELb1El14__hip_bfloat16EEvPKT6_PKbPfiPT5_PiiiibdPKfPKS9_SF_
		.amdhsa_group_segment_fixed_size 0
		.amdhsa_private_segment_fixed_size 48
		.amdhsa_kernarg_size 96
		.amdhsa_user_sgpr_count 2
		.amdhsa_user_sgpr_dispatch_ptr 0
		.amdhsa_user_sgpr_queue_ptr 0
		.amdhsa_user_sgpr_kernarg_segment_ptr 1
		.amdhsa_user_sgpr_dispatch_id 0
		.amdhsa_user_sgpr_kernarg_preload_length 0
		.amdhsa_user_sgpr_kernarg_preload_offset 0
		.amdhsa_user_sgpr_private_segment_size 0
		.amdhsa_uses_dynamic_stack 0
		.amdhsa_enable_private_segment 1
		.amdhsa_system_sgpr_workgroup_id_x 1
		.amdhsa_system_sgpr_workgroup_id_y 0
		.amdhsa_system_sgpr_workgroup_id_z 0
		.amdhsa_system_sgpr_workgroup_info 0
		.amdhsa_system_vgpr_workitem_id 1
		.amdhsa_next_free_vgpr 28
		.amdhsa_next_free_sgpr 36
		.amdhsa_accum_offset 28
		.amdhsa_reserve_vcc 1
		.amdhsa_float_round_mode_32 0
		.amdhsa_float_round_mode_16_64 0
		.amdhsa_float_denorm_mode_32 3
		.amdhsa_float_denorm_mode_16_64 3
		.amdhsa_dx10_clamp 1
		.amdhsa_ieee_mode 1
		.amdhsa_fp16_overflow 0
		.amdhsa_tg_split 0
		.amdhsa_exception_fp_ieee_invalid_op 0
		.amdhsa_exception_fp_denorm_src 0
		.amdhsa_exception_fp_ieee_div_zero 0
		.amdhsa_exception_fp_ieee_overflow 0
		.amdhsa_exception_fp_ieee_underflow 0
		.amdhsa_exception_fp_ieee_inexact 0
		.amdhsa_exception_int_div_zero 0
	.end_amdhsa_kernel
	.section	.text._ZN4vllm3moe22topkGatingSoftplusSqrtILi8ELi32ELi4ELi16ELi32ELb1El14__hip_bfloat16EEvPKT6_PKbPfiPT5_PiiiibdPKfPKS9_SF_,"axG",@progbits,_ZN4vllm3moe22topkGatingSoftplusSqrtILi8ELi32ELi4ELi16ELi32ELb1El14__hip_bfloat16EEvPKT6_PKbPfiPT5_PiiiibdPKfPKS9_SF_,comdat
.Lfunc_end502:
	.size	_ZN4vllm3moe22topkGatingSoftplusSqrtILi8ELi32ELi4ELi16ELi32ELb1El14__hip_bfloat16EEvPKT6_PKbPfiPT5_PiiiibdPKfPKS9_SF_, .Lfunc_end502-_ZN4vllm3moe22topkGatingSoftplusSqrtILi8ELi32ELi4ELi16ELi32ELb1El14__hip_bfloat16EEvPKT6_PKbPfiPT5_PiiiibdPKfPKS9_SF_
                                        ; -- End function
	.section	.AMDGPU.csdata,"",@progbits
; Kernel info:
; codeLenInByte = 4536
; NumSgprs: 42
; NumVgprs: 28
; NumAgprs: 0
; TotalNumVgprs: 28
; ScratchSize: 48
; MemoryBound: 0
; FloatMode: 240
; IeeeMode: 1
; LDSByteSize: 0 bytes/workgroup (compile time only)
; SGPRBlocks: 5
; VGPRBlocks: 3
; NumSGPRsForWavesPerEU: 42
; NumVGPRsForWavesPerEU: 28
; AccumOffset: 28
; Occupancy: 8
; WaveLimiterHint : 1
; COMPUTE_PGM_RSRC2:SCRATCH_EN: 1
; COMPUTE_PGM_RSRC2:USER_SGPR: 2
; COMPUTE_PGM_RSRC2:TRAP_HANDLER: 0
; COMPUTE_PGM_RSRC2:TGID_X_EN: 1
; COMPUTE_PGM_RSRC2:TGID_Y_EN: 0
; COMPUTE_PGM_RSRC2:TGID_Z_EN: 0
; COMPUTE_PGM_RSRC2:TIDIG_COMP_CNT: 1
; COMPUTE_PGM_RSRC3_GFX90A:ACCUM_OFFSET: 6
; COMPUTE_PGM_RSRC3_GFX90A:TG_SPLIT: 0
	.section	.text._ZN4vllm3moe22topkGatingSoftplusSqrtILi8ELi32ELi4ELi16ELi32ELb0El14__hip_bfloat16EEvPKT6_PKbPfiPT5_PiiiibdPKfPKS9_SF_,"axG",@progbits,_ZN4vllm3moe22topkGatingSoftplusSqrtILi8ELi32ELi4ELi16ELi32ELb0El14__hip_bfloat16EEvPKT6_PKbPfiPT5_PiiiibdPKfPKS9_SF_,comdat
	.protected	_ZN4vllm3moe22topkGatingSoftplusSqrtILi8ELi32ELi4ELi16ELi32ELb0El14__hip_bfloat16EEvPKT6_PKbPfiPT5_PiiiibdPKfPKS9_SF_ ; -- Begin function _ZN4vllm3moe22topkGatingSoftplusSqrtILi8ELi32ELi4ELi16ELi32ELb0El14__hip_bfloat16EEvPKT6_PKbPfiPT5_PiiiibdPKfPKS9_SF_
	.globl	_ZN4vllm3moe22topkGatingSoftplusSqrtILi8ELi32ELi4ELi16ELi32ELb0El14__hip_bfloat16EEvPKT6_PKbPfiPT5_PiiiibdPKfPKS9_SF_
	.p2align	8
	.type	_ZN4vllm3moe22topkGatingSoftplusSqrtILi8ELi32ELi4ELi16ELi32ELb0El14__hip_bfloat16EEvPKT6_PKbPfiPT5_PiiiibdPKfPKS9_SF_,@function
_ZN4vllm3moe22topkGatingSoftplusSqrtILi8ELi32ELi4ELi16ELi32ELb0El14__hip_bfloat16EEvPKT6_PKbPfiPT5_PiiiibdPKfPKS9_SF_: ; @_ZN4vllm3moe22topkGatingSoftplusSqrtILi8ELi32ELi4ELi16ELi32ELb0El14__hip_bfloat16EEvPKT6_PKbPfiPT5_PiiiibdPKfPKS9_SF_
; %bb.0:
	s_load_dword s33, s[0:1], 0x18
	v_bfe_u32 v1, v0, 10, 10
	v_and_b32_e32 v0, 0x3ff, v0
	s_lshl_b32 s2, s2, 5
	v_lshlrev_b32_e32 v1, 3, v1
	v_lshrrev_b32_e32 v2, 2, v0
	v_add3_u32 v8, s2, v1, v2
	s_waitcnt lgkmcnt(0)
	v_cmp_gt_i32_e32 vcc, s33, v8
	s_and_saveexec_b64 s[2:3], vcc
	s_cbranch_execz .LBB503_53
; %bb.1:
	s_load_dwordx4 s[4:7], s[0:1], 0x0
	s_load_dwordx2 s[34:35], s[0:1], 0x10
	s_waitcnt lgkmcnt(0)
	s_cmp_eq_u64 s[6:7], 0
	s_cbranch_scc1 .LBB503_3
; %bb.2:
	v_ashrrev_i32_e32 v9, 31, v8
	v_lshl_add_u64 v[2:3], s[6:7], 0, v[8:9]
	global_load_ubyte v1, v[2:3], off
	s_waitcnt vmcnt(0)
	v_and_b32_e32 v1, 1, v1
	v_cmp_eq_u32_e32 vcc, 1, v1
	s_xor_b64 s[2:3], vcc, -1
	s_orn2_b64 s[36:37], s[2:3], exec
	s_branch .LBB503_4
.LBB503_3:
	s_mov_b64 s[36:37], -1
.LBB503_4:
	v_lshlrev_b32_e32 v4, 5, v8
	v_mov_b32_e32 v2, s4
	v_mov_b32_e32 v3, s5
	v_ashrrev_i32_e32 v5, 31, v4
	v_and_b32_e32 v9, 3, v0
	v_lshl_add_u64 v[2:3], v[4:5], 1, v[2:3]
	v_mov_b32_e32 v1, 0
	v_lshlrev_b32_e32 v0, 4, v9
	v_lshl_add_u64 v[0:1], v[2:3], 0, v[0:1]
	global_load_dwordx4 v[4:7], v[0:1], off
	s_mov_b32 s12, 0x800000
	v_mov_b32_e32 v2, 0x4f800000
	s_mov_b32 s9, 0x3f317217
	s_mov_b32 s10, 0x7f800000
	v_mov_b32_e32 v3, 0x41b17218
	s_mov_b32 s8, 0x41a00000
	s_mov_b32 s11, 0xf800000
	s_load_dwordx4 s[20:23], s[0:1], 0x40
	v_lshlrev_b32_e32 v12, 3, v9
	s_waitcnt lgkmcnt(0)
	s_cmp_lg_u64 s[22:23], 0
	s_cselect_b64 s[6:7], -1, 0
	s_and_b64 s[2:3], exec, s[6:7]
	s_waitcnt vmcnt(0)
	v_lshlrev_b32_e32 v0, 16, v4
	v_mul_f32_e32 v1, 0x3fb8aa3b, v0
	v_exp_f32_e32 v10, v1
	v_mov_b32_e32 v1, 0x260
	v_add_f32_e32 v10, 1.0, v10
	v_cmp_gt_f32_e32 vcc, s12, v10
	s_nop 1
	v_cndmask_b32_e32 v11, 1.0, v2, vcc
	v_mul_f32_e32 v10, v10, v11
	v_log_f32_e32 v11, v10
	v_cndmask_b32_e32 v13, 0, v3, vcc
	v_lshlrev_b32_e32 v10, 2, v12
	v_mul_f32_e32 v14, 0x3f317217, v11
	v_fma_f32 v14, v11, s9, -v14
	v_fmac_f32_e32 v14, 0x3377d1cf, v11
	v_fmac_f32_e32 v14, 0x3f317217, v11
	v_cmp_lt_f32_e64 vcc, |v11|, s10
	s_nop 1
	v_cndmask_b32_e32 v11, v11, v14, vcc
	v_sub_f32_e32 v11, v11, v13
	v_cmp_lt_f32_e32 vcc, s8, v0
	s_nop 1
	v_cndmask_b32_e32 v0, v11, v0, vcc
	v_mul_f32_e32 v11, 0x4f800000, v0
	v_cmp_gt_f32_e32 vcc, s11, v0
	s_nop 1
	v_cndmask_b32_e32 v0, v0, v11, vcc
	v_sqrt_f32_e32 v11, v0
	s_nop 0
	v_add_u32_e32 v13, -1, v11
	v_add_u32_e32 v14, 1, v11
	v_fma_f32 v15, -v13, v11, v0
	v_fma_f32 v16, -v14, v11, v0
	v_cmp_ge_f32_e64 s[4:5], 0, v15
	s_nop 1
	v_cndmask_b32_e64 v11, v11, v13, s[4:5]
	v_cmp_lt_f32_e64 s[4:5], 0, v16
	s_nop 1
	v_cndmask_b32_e64 v11, v11, v14, s[4:5]
	v_mul_f32_e32 v13, 0x37800000, v11
	v_cndmask_b32_e32 v11, v11, v13, vcc
	v_cmp_class_f32_e32 vcc, v0, v1
	s_nop 1
	v_cndmask_b32_e32 v0, v11, v0, vcc
	s_mov_b64 vcc, s[2:3]
	s_cbranch_vccz .LBB503_6
; %bb.5:
	global_load_dword v11, v10, s[22:23]
	s_waitcnt vmcnt(0)
	v_add_f32_e32 v0, v0, v11
.LBB503_6:
	v_and_b32_e32 v4, 0xffff0000, v4
	v_mul_f32_e32 v11, 0x3fb8aa3b, v4
	v_exp_f32_e32 v11, v11
	s_nop 0
	v_add_f32_e32 v11, 1.0, v11
	v_cmp_gt_f32_e32 vcc, s12, v11
	s_nop 1
	v_cndmask_b32_e32 v2, 1.0, v2, vcc
	v_mul_f32_e32 v2, v11, v2
	v_log_f32_e32 v2, v2
	v_cndmask_b32_e32 v3, 0, v3, vcc
	v_mul_f32_e32 v11, 0x3f317217, v2
	v_fma_f32 v11, v2, s9, -v11
	v_fmac_f32_e32 v11, 0x3377d1cf, v2
	v_fmac_f32_e32 v11, 0x3f317217, v2
	v_cmp_lt_f32_e64 vcc, |v2|, s10
	s_nop 1
	v_cndmask_b32_e32 v2, v2, v11, vcc
	v_sub_f32_e32 v2, v2, v3
	v_cmp_lt_f32_e32 vcc, s8, v4
	s_nop 1
	v_cndmask_b32_e32 v2, v2, v4, vcc
	v_mul_f32_e32 v3, 0x4f800000, v2
	v_cmp_gt_f32_e32 vcc, s11, v2
	s_nop 1
	v_cndmask_b32_e32 v2, v2, v3, vcc
	v_sqrt_f32_e32 v3, v2
	v_cmp_class_f32_e64 s[4:5], v2, v1
	v_add_u32_e32 v4, -1, v3
	v_add_u32_e32 v11, 1, v3
	v_fma_f32 v13, -v4, v3, v2
	v_fma_f32 v14, -v11, v3, v2
	v_cmp_ge_f32_e64 s[2:3], 0, v13
	s_nop 1
	v_cndmask_b32_e64 v3, v3, v4, s[2:3]
	v_cmp_lt_f32_e64 s[2:3], 0, v14
	s_nop 1
	v_cndmask_b32_e64 v3, v3, v11, s[2:3]
	v_mul_f32_e32 v4, 0x37800000, v3
	v_cndmask_b32_e32 v3, v3, v4, vcc
	v_cndmask_b32_e64 v4, 0, 1, s[6:7]
	v_cmp_ne_u32_e64 s[2:3], 1, v4
	s_andn2_b64 vcc, exec, s[6:7]
	v_cndmask_b32_e64 v1, v3, v2, s[4:5]
	s_cbranch_vccnz .LBB503_8
; %bb.7:
	global_load_dword v2, v10, s[22:23] offset:4
	s_waitcnt vmcnt(0)
	v_add_f32_e32 v1, v1, v2
.LBB503_8:
	v_lshlrev_b32_e32 v2, 16, v5
	v_mul_f32_e32 v3, 0x3fb8aa3b, v2
	v_exp_f32_e32 v3, v3
	s_mov_b32 s10, 0x800000
	v_mov_b32_e32 v4, 0x4f800000
	s_mov_b32 s7, 0x3f317217
	v_add_f32_e32 v3, 1.0, v3
	v_cmp_gt_f32_e32 vcc, s10, v3
	s_mov_b32 s8, 0x7f800000
	s_mov_b32 s6, 0x41a00000
	v_cndmask_b32_e32 v11, 1.0, v4, vcc
	v_mul_f32_e32 v3, v3, v11
	v_log_f32_e32 v3, v3
	s_mov_b32 s9, 0xf800000
	v_mul_f32_e32 v11, 0x3f317217, v3
	v_fma_f32 v11, v3, s7, -v11
	v_fmac_f32_e32 v11, 0x3377d1cf, v3
	v_fmac_f32_e32 v11, 0x3f317217, v3
	v_cmp_lt_f32_e64 s[4:5], |v3|, s8
	s_nop 1
	v_cndmask_b32_e64 v3, v3, v11, s[4:5]
	v_mov_b32_e32 v11, 0x41b17218
	v_cndmask_b32_e32 v13, 0, v11, vcc
	v_sub_f32_e32 v3, v3, v13
	v_cmp_lt_f32_e32 vcc, s6, v2
	s_nop 1
	v_cndmask_b32_e32 v2, v3, v2, vcc
	v_mul_f32_e32 v3, 0x4f800000, v2
	v_cmp_gt_f32_e32 vcc, s9, v2
	s_nop 1
	v_cndmask_b32_e32 v2, v2, v3, vcc
	v_sqrt_f32_e32 v3, v2
	s_nop 0
	v_add_u32_e32 v13, -1, v3
	v_fma_f32 v14, -v13, v3, v2
	v_cmp_ge_f32_e64 s[4:5], 0, v14
	v_add_u32_e32 v14, 1, v3
	s_nop 0
	v_cndmask_b32_e64 v13, v3, v13, s[4:5]
	v_fma_f32 v3, -v14, v3, v2
	v_cmp_lt_f32_e64 s[4:5], 0, v3
	s_nop 1
	v_cndmask_b32_e64 v3, v13, v14, s[4:5]
	v_mul_f32_e32 v13, 0x37800000, v3
	v_cndmask_b32_e32 v13, v3, v13, vcc
	v_mov_b32_e32 v3, 0x260
	v_cmp_class_f32_e64 s[4:5], v2, v3
	s_and_b64 vcc, exec, s[2:3]
	s_nop 0
	v_cndmask_b32_e64 v2, v13, v2, s[4:5]
	s_cbranch_vccnz .LBB503_10
; %bb.9:
	global_load_dword v13, v10, s[22:23] offset:8
	s_waitcnt vmcnt(0)
	v_add_f32_e32 v2, v2, v13
.LBB503_10:
	v_and_b32_e32 v5, 0xffff0000, v5
	v_mul_f32_e32 v13, 0x3fb8aa3b, v5
	v_exp_f32_e32 v13, v13
	s_nop 0
	v_add_f32_e32 v13, 1.0, v13
	v_cmp_gt_f32_e32 vcc, s10, v13
	s_nop 1
	v_cndmask_b32_e32 v4, 1.0, v4, vcc
	v_mul_f32_e32 v4, v13, v4
	v_log_f32_e32 v4, v4
	v_cndmask_b32_e32 v11, 0, v11, vcc
	v_mul_f32_e32 v13, 0x3f317217, v4
	v_fma_f32 v13, v4, s7, -v13
	v_fmac_f32_e32 v13, 0x3377d1cf, v4
	v_fmac_f32_e32 v13, 0x3f317217, v4
	v_cmp_lt_f32_e64 vcc, |v4|, s8
	s_nop 1
	v_cndmask_b32_e32 v4, v4, v13, vcc
	v_sub_f32_e32 v4, v4, v11
	v_cmp_lt_f32_e32 vcc, s6, v5
	s_nop 1
	v_cndmask_b32_e32 v4, v4, v5, vcc
	v_mul_f32_e32 v5, 0x4f800000, v4
	v_cmp_gt_f32_e32 vcc, s9, v4
	s_nop 1
	v_cndmask_b32_e32 v4, v4, v5, vcc
	v_sqrt_f32_e32 v5, v4
	s_nop 0
	v_add_u32_e32 v11, -1, v5
	v_add_u32_e32 v13, 1, v5
	v_fma_f32 v14, -v11, v5, v4
	v_fma_f32 v15, -v13, v5, v4
	v_cmp_ge_f32_e64 s[4:5], 0, v14
	s_nop 1
	v_cndmask_b32_e64 v5, v5, v11, s[4:5]
	v_cmp_lt_f32_e64 s[4:5], 0, v15
	s_nop 1
	v_cndmask_b32_e64 v5, v5, v13, s[4:5]
	v_mul_f32_e32 v11, 0x37800000, v5
	v_cndmask_b32_e32 v5, v5, v11, vcc
	v_cmp_class_f32_e64 s[4:5], v4, v3
	s_and_b64 vcc, exec, s[2:3]
	s_nop 0
	v_cndmask_b32_e64 v3, v5, v4, s[4:5]
	s_cbranch_vccnz .LBB503_12
; %bb.11:
	global_load_dword v4, v10, s[22:23] offset:12
	s_waitcnt vmcnt(0)
	v_add_f32_e32 v3, v3, v4
.LBB503_12:
	v_lshlrev_b32_e32 v4, 16, v6
	v_mul_f32_e32 v5, 0x3fb8aa3b, v4
	v_exp_f32_e32 v5, v5
	v_mov_b32_e32 v11, 0x4f800000
	v_add_f32_e32 v5, 1.0, v5
	v_cmp_gt_f32_e32 vcc, s10, v5
	s_nop 1
	v_cndmask_b32_e32 v13, 1.0, v11, vcc
	v_mul_f32_e32 v5, v5, v13
	v_log_f32_e32 v5, v5
	s_nop 0
	v_mul_f32_e32 v13, 0x3f317217, v5
	v_fma_f32 v13, v5, s7, -v13
	v_fmac_f32_e32 v13, 0x3377d1cf, v5
	v_fmac_f32_e32 v13, 0x3f317217, v5
	v_cmp_lt_f32_e64 s[4:5], |v5|, s8
	s_nop 1
	v_cndmask_b32_e64 v5, v5, v13, s[4:5]
	v_mov_b32_e32 v13, 0x41b17218
	v_cndmask_b32_e32 v14, 0, v13, vcc
	v_sub_f32_e32 v5, v5, v14
	v_cmp_lt_f32_e32 vcc, s6, v4
	s_nop 1
	v_cndmask_b32_e32 v4, v5, v4, vcc
	v_mul_f32_e32 v5, 0x4f800000, v4
	v_cmp_gt_f32_e32 vcc, s9, v4
	s_nop 1
	v_cndmask_b32_e32 v4, v4, v5, vcc
	v_sqrt_f32_e32 v5, v4
	s_nop 0
	v_add_u32_e32 v14, -1, v5
	v_fma_f32 v15, -v14, v5, v4
	v_cmp_ge_f32_e64 s[4:5], 0, v15
	v_add_u32_e32 v15, 1, v5
	s_nop 0
	v_cndmask_b32_e64 v14, v5, v14, s[4:5]
	v_fma_f32 v5, -v15, v5, v4
	v_cmp_lt_f32_e64 s[4:5], 0, v5
	s_nop 1
	v_cndmask_b32_e64 v5, v14, v15, s[4:5]
	v_mul_f32_e32 v14, 0x37800000, v5
	v_cndmask_b32_e32 v14, v5, v14, vcc
	v_mov_b32_e32 v5, 0x260
	v_cmp_class_f32_e64 s[4:5], v4, v5
	s_and_b64 vcc, exec, s[2:3]
	s_nop 0
	v_cndmask_b32_e64 v4, v14, v4, s[4:5]
	s_cbranch_vccnz .LBB503_14
; %bb.13:
	global_load_dword v14, v10, s[22:23] offset:16
	s_waitcnt vmcnt(0)
	v_add_f32_e32 v4, v4, v14
.LBB503_14:
	v_and_b32_e32 v6, 0xffff0000, v6
	v_mul_f32_e32 v14, 0x3fb8aa3b, v6
	v_exp_f32_e32 v14, v14
	s_nop 0
	v_add_f32_e32 v14, 1.0, v14
	v_cmp_gt_f32_e32 vcc, s10, v14
	s_nop 1
	v_cndmask_b32_e32 v11, 1.0, v11, vcc
	v_mul_f32_e32 v11, v14, v11
	v_log_f32_e32 v11, v11
	v_cndmask_b32_e32 v13, 0, v13, vcc
	v_mul_f32_e32 v14, 0x3f317217, v11
	v_fma_f32 v14, v11, s7, -v14
	v_fmac_f32_e32 v14, 0x3377d1cf, v11
	v_fmac_f32_e32 v14, 0x3f317217, v11
	v_cmp_lt_f32_e64 vcc, |v11|, s8
	s_nop 1
	v_cndmask_b32_e32 v11, v11, v14, vcc
	v_sub_f32_e32 v11, v11, v13
	v_cmp_lt_f32_e32 vcc, s6, v6
	s_nop 1
	v_cndmask_b32_e32 v6, v11, v6, vcc
	v_mul_f32_e32 v11, 0x4f800000, v6
	v_cmp_gt_f32_e32 vcc, s9, v6
	s_nop 1
	v_cndmask_b32_e32 v6, v6, v11, vcc
	v_sqrt_f32_e32 v11, v6
	s_nop 0
	v_add_u32_e32 v13, -1, v11
	v_add_u32_e32 v14, 1, v11
	v_fma_f32 v15, -v13, v11, v6
	v_fma_f32 v16, -v14, v11, v6
	v_cmp_ge_f32_e64 s[4:5], 0, v15
	s_nop 1
	v_cndmask_b32_e64 v11, v11, v13, s[4:5]
	v_cmp_lt_f32_e64 s[4:5], 0, v16
	s_nop 1
	v_cndmask_b32_e64 v11, v11, v14, s[4:5]
	v_mul_f32_e32 v13, 0x37800000, v11
	v_cndmask_b32_e32 v11, v11, v13, vcc
	v_cmp_class_f32_e64 s[4:5], v6, v5
	s_and_b64 vcc, exec, s[2:3]
	s_nop 0
	v_cndmask_b32_e64 v5, v11, v6, s[4:5]
	s_cbranch_vccnz .LBB503_16
; %bb.15:
	global_load_dword v6, v10, s[22:23] offset:20
	s_waitcnt vmcnt(0)
	v_add_f32_e32 v5, v5, v6
.LBB503_16:
	v_lshlrev_b32_e32 v6, 16, v7
	v_mul_f32_e32 v11, 0x3fb8aa3b, v6
	v_exp_f32_e32 v11, v11
	v_mov_b32_e32 v13, 0x4f800000
	v_add_f32_e32 v11, 1.0, v11
	v_cmp_gt_f32_e32 vcc, s10, v11
	s_nop 1
	v_cndmask_b32_e32 v14, 1.0, v13, vcc
	v_mul_f32_e32 v11, v11, v14
	v_log_f32_e32 v11, v11
	s_nop 0
	v_mul_f32_e32 v14, 0x3f317217, v11
	v_fma_f32 v14, v11, s7, -v14
	v_fmac_f32_e32 v14, 0x3377d1cf, v11
	v_fmac_f32_e32 v14, 0x3f317217, v11
	v_cmp_lt_f32_e64 s[4:5], |v11|, s8
	s_nop 1
	v_cndmask_b32_e64 v11, v11, v14, s[4:5]
	v_mov_b32_e32 v14, 0x41b17218
	v_cndmask_b32_e32 v15, 0, v14, vcc
	v_sub_f32_e32 v11, v11, v15
	v_cmp_lt_f32_e32 vcc, s6, v6
	s_nop 1
	v_cndmask_b32_e32 v6, v11, v6, vcc
	v_mul_f32_e32 v11, 0x4f800000, v6
	v_cmp_gt_f32_e32 vcc, s9, v6
	s_nop 1
	v_cndmask_b32_e32 v6, v6, v11, vcc
	v_sqrt_f32_e32 v11, v6
	s_nop 0
	v_add_u32_e32 v15, -1, v11
	v_fma_f32 v16, -v15, v11, v6
	v_cmp_ge_f32_e64 s[4:5], 0, v16
	v_add_u32_e32 v16, 1, v11
	s_nop 0
	v_cndmask_b32_e64 v15, v11, v15, s[4:5]
	v_fma_f32 v11, -v16, v11, v6
	v_cmp_lt_f32_e64 s[4:5], 0, v11
	s_nop 1
	v_cndmask_b32_e64 v11, v15, v16, s[4:5]
	v_mul_f32_e32 v15, 0x37800000, v11
	v_cndmask_b32_e32 v15, v11, v15, vcc
	v_mov_b32_e32 v11, 0x260
	v_cmp_class_f32_e64 s[4:5], v6, v11
	s_and_b64 vcc, exec, s[2:3]
	s_nop 0
	v_cndmask_b32_e64 v6, v15, v6, s[4:5]
	s_cbranch_vccnz .LBB503_18
; %bb.17:
	global_load_dword v15, v10, s[22:23] offset:24
	s_waitcnt vmcnt(0)
	v_add_f32_e32 v6, v6, v15
.LBB503_18:
	v_and_b32_e32 v7, 0xffff0000, v7
	v_mul_f32_e32 v15, 0x3fb8aa3b, v7
	v_exp_f32_e32 v15, v15
	s_nop 0
	v_add_f32_e32 v15, 1.0, v15
	v_cmp_gt_f32_e32 vcc, s10, v15
	s_nop 1
	v_cndmask_b32_e32 v13, 1.0, v13, vcc
	v_mul_f32_e32 v13, v15, v13
	v_log_f32_e32 v13, v13
	v_cndmask_b32_e32 v14, 0, v14, vcc
	v_mul_f32_e32 v15, 0x3f317217, v13
	v_fma_f32 v15, v13, s7, -v15
	v_fmac_f32_e32 v15, 0x3377d1cf, v13
	v_fmac_f32_e32 v15, 0x3f317217, v13
	v_cmp_lt_f32_e64 vcc, |v13|, s8
	s_nop 1
	v_cndmask_b32_e32 v13, v13, v15, vcc
	v_sub_f32_e32 v13, v13, v14
	v_cmp_lt_f32_e32 vcc, s6, v7
	s_nop 1
	v_cndmask_b32_e32 v7, v13, v7, vcc
	v_mul_f32_e32 v13, 0x4f800000, v7
	v_cmp_gt_f32_e32 vcc, s9, v7
	s_nop 1
	v_cndmask_b32_e32 v7, v7, v13, vcc
	v_sqrt_f32_e32 v13, v7
	s_nop 0
	v_add_u32_e32 v14, -1, v13
	v_add_u32_e32 v15, 1, v13
	v_fma_f32 v16, -v14, v13, v7
	v_fma_f32 v17, -v15, v13, v7
	v_cmp_ge_f32_e64 s[4:5], 0, v16
	s_nop 1
	v_cndmask_b32_e64 v13, v13, v14, s[4:5]
	v_cmp_lt_f32_e64 s[4:5], 0, v17
	s_nop 1
	v_cndmask_b32_e64 v13, v13, v15, s[4:5]
	v_mul_f32_e32 v14, 0x37800000, v13
	v_cndmask_b32_e32 v13, v13, v14, vcc
	v_cmp_class_f32_e64 s[4:5], v7, v11
	s_and_b64 vcc, exec, s[2:3]
	s_nop 0
	v_cndmask_b32_e64 v7, v13, v7, s[4:5]
	s_cbranch_vccnz .LBB503_20
; %bb.19:
	global_load_dword v10, v10, s[22:23] offset:28
	s_waitcnt vmcnt(0)
	v_add_f32_e32 v7, v7, v10
.LBB503_20:
	s_load_dwordx4 s[24:27], s[0:1], 0x30
	s_mov_b32 s42, 0
	v_cmp_eq_u32_e64 s[6:7], 0, v9
	s_waitcnt lgkmcnt(0)
	s_bitcmp1_b32 s27, 0
	s_cselect_b64 s[4:5], -1, 0
	s_cmp_gt_i32 s24, 0
	s_cselect_b64 s[38:39], -1, 0
	s_and_b64 vcc, exec, s[38:39]
	s_cbranch_vccz .LBB503_39
; %bb.21:
	v_mbcnt_lo_u32_b32 v10, -1, 0
	v_mbcnt_hi_u32_b32 v10, -1, v10
	v_and_b32_e32 v11, 0x7c, v10
	v_add_u32_e32 v11, 4, v11
	v_xor_b32_e32 v13, 2, v10
	v_cmp_lt_i32_e32 vcc, v13, v11
	s_load_dwordx4 s[28:31], s[0:1], 0x20
	v_mul_lo_u32 v14, v8, s24
	v_cndmask_b32_e32 v13, v10, v13, vcc
	v_lshlrev_b32_e32 v15, 2, v13
	v_xor_b32_e32 v13, 1, v10
	v_cmp_lt_i32_e32 vcc, v13, v11
	v_mov_b32_e32 v17, 0xc61c4000
	v_mov_b32_e32 v18, v8
	v_cndmask_b32_e32 v10, v10, v13, vcc
	v_lshlrev_b32_e32 v16, 2, v10
	v_mov_b32_e32 v13, 0
	s_branch .LBB503_24
.LBB503_22:                             ;   in Loop: Header=BB503_24 Depth=1
	s_or_b64 exec, exec, s[40:41]
.LBB503_23:                             ;   in Loop: Header=BB503_24 Depth=1
	s_cmp_eq_u32 s24, s42
	v_add_u32_e32 v18, s33, v18
	s_cbranch_scc1 .LBB503_40
.LBB503_24:                             ; =>This Inner Loop Header: Depth=1
	v_cmp_gt_f32_e32 vcc, v1, v0
	s_nop 1
	v_cndmask_b32_e32 v11, v0, v1, vcc
	v_cndmask_b32_e64 v10, 0, 1, vcc
	v_cmp_gt_f32_e32 vcc, v2, v11
	s_nop 1
	v_cndmask_b32_e32 v11, v11, v2, vcc
	v_cndmask_b32_e64 v10, v10, 2, vcc
	;; [unrolled: 4-line block ×6, first 2 shown]
	v_cmp_gt_f32_e32 vcc, v7, v11
	s_nop 1
	v_cndmask_b32_e64 v10, v10, 7, vcc
	v_cndmask_b32_e32 v19, v11, v7, vcc
	ds_bpermute_b32 v11, v15, v19
	v_or_b32_e32 v10, v12, v10
	s_waitcnt lgkmcnt(0)
	ds_bpermute_b32 v20, v15, v10
	s_waitcnt lgkmcnt(0)
	v_cmp_lt_f32_e64 s[8:9], v19, v11
	v_cmp_nlt_f32_e32 vcc, v19, v11
	s_and_saveexec_b64 s[10:11], vcc
; %bb.25:                               ;   in Loop: Header=BB503_24 Depth=1
	v_cmp_eq_f32_e32 vcc, v19, v11
	v_cmp_lt_i32_e64 s[0:1], v20, v10
	s_and_b64 s[0:1], vcc, s[0:1]
	s_andn2_b64 s[8:9], s[8:9], exec
	s_and_b64 s[0:1], s[0:1], exec
	s_or_b64 s[8:9], s[8:9], s[0:1]
; %bb.26:                               ;   in Loop: Header=BB503_24 Depth=1
	s_or_b64 exec, exec, s[10:11]
	s_and_saveexec_b64 s[0:1], s[8:9]
; %bb.27:                               ;   in Loop: Header=BB503_24 Depth=1
	v_mov_b32_e32 v19, v11
	v_mov_b32_e32 v10, v20
; %bb.28:                               ;   in Loop: Header=BB503_24 Depth=1
	s_or_b64 exec, exec, s[0:1]
	ds_bpermute_b32 v11, v16, v19
	ds_bpermute_b32 v20, v16, v10
	s_waitcnt lgkmcnt(1)
	v_cmp_lt_f32_e64 s[8:9], v19, v11
	v_cmp_nlt_f32_e32 vcc, v19, v11
	s_and_saveexec_b64 s[10:11], vcc
	s_cbranch_execnz .LBB503_32
; %bb.29:                               ;   in Loop: Header=BB503_24 Depth=1
	s_or_b64 exec, exec, s[10:11]
	s_and_saveexec_b64 s[0:1], s[8:9]
	s_cbranch_execnz .LBB503_33
.LBB503_30:                             ;   in Loop: Header=BB503_24 Depth=1
	s_or_b64 exec, exec, s[0:1]
	s_and_saveexec_b64 s[8:9], s[6:7]
	s_cbranch_execnz .LBB503_34
.LBB503_31:                             ;   in Loop: Header=BB503_24 Depth=1
	s_or_b64 exec, exec, s[8:9]
	s_add_i32 s42, s42, 1
	s_cmp_ge_i32 s42, s24
	s_cbranch_scc1 .LBB503_23
	s_branch .LBB503_37
.LBB503_32:                             ;   in Loop: Header=BB503_24 Depth=1
	v_cmp_eq_f32_e32 vcc, v19, v11
	s_waitcnt lgkmcnt(0)
	v_cmp_lt_i32_e64 s[0:1], v20, v10
	s_and_b64 s[0:1], vcc, s[0:1]
	s_andn2_b64 s[8:9], s[8:9], exec
	s_and_b64 s[0:1], s[0:1], exec
	s_or_b64 s[8:9], s[8:9], s[0:1]
	s_or_b64 exec, exec, s[10:11]
	s_and_saveexec_b64 s[0:1], s[8:9]
	s_cbranch_execz .LBB503_30
.LBB503_33:                             ;   in Loop: Header=BB503_24 Depth=1
	s_waitcnt lgkmcnt(0)
	v_mov_b32_e32 v10, v20
	v_mov_b32_e32 v19, v11
	s_or_b64 exec, exec, s[0:1]
	s_and_saveexec_b64 s[8:9], s[6:7]
	s_cbranch_execz .LBB503_31
.LBB503_34:                             ;   in Loop: Header=BB503_24 Depth=1
	s_and_b64 vcc, exec, s[2:3]
	s_cbranch_vccnz .LBB503_36
; %bb.35:                               ;   in Loop: Header=BB503_24 Depth=1
	v_ashrrev_i32_e32 v11, 31, v10
	s_waitcnt lgkmcnt(0)
	v_lshl_add_u64 v[20:21], v[10:11], 2, s[22:23]
	global_load_dword v11, v[20:21], off
	s_waitcnt vmcnt(0)
	v_sub_f32_e32 v19, v19, v11
.LBB503_36:                             ;   in Loop: Header=BB503_24 Depth=1
	s_waitcnt lgkmcnt(0)
	v_add_u32_e32 v20, s42, v14
	v_ashrrev_i32_e32 v21, 31, v20
	v_cmp_le_i32_e32 vcc, s25, v10
	v_cmp_gt_i32_e64 s[0:1], s26, v10
	v_lshlrev_b64 v[22:23], 2, v[20:21]
	s_and_b64 s[0:1], vcc, s[0:1]
	v_lshl_add_u64 v[24:25], s[34:35], 0, v[22:23]
	v_subrev_u32_e32 v11, s25, v10
	global_store_dword v[24:25], v19, off
	v_ashrrev_i32_e32 v24, 31, v11
	s_and_b64 vcc, s[36:37], s[0:1]
	v_cndmask_b32_e32 v25, 0, v24, vcc
	v_cndmask_b32_e32 v24, 32, v11, vcc
	v_lshl_add_u64 v[20:21], v[20:21], 3, s[28:29]
	v_add_f32_e32 v11, v13, v19
	global_store_dwordx2 v[20:21], v[24:25], off
	v_lshl_add_u64 v[20:21], s[30:31], 0, v[22:23]
	v_cndmask_b32_e64 v13, v13, v11, s[4:5]
	global_store_dword v[20:21], v18, off
	s_or_b64 exec, exec, s[8:9]
	s_add_i32 s42, s42, 1
	s_cmp_ge_i32 s42, s24
	s_cbranch_scc1 .LBB503_23
.LBB503_37:                             ;   in Loop: Header=BB503_24 Depth=1
	v_ashrrev_i32_e32 v19, 31, v10
	v_lshrrev_b32_e32 v11, 29, v19
	v_add_u32_e32 v11, v10, v11
	v_ashrrev_i32_e32 v11, 3, v11
	s_waitcnt lgkmcnt(0)
	v_lshrrev_b32_e32 v20, 30, v11
	v_add_u32_e32 v20, v11, v20
	v_and_b32_e32 v20, -4, v20
	v_sub_u32_e32 v20, v11, v20
	v_cmp_eq_u32_e32 vcc, v9, v20
	s_and_saveexec_b64 s[40:41], vcc
	s_cbranch_execz .LBB503_22
; %bb.38:                               ;   in Loop: Header=BB503_24 Depth=1
	v_lshrrev_b32_e32 v19, 27, v19
	v_add_u32_e32 v19, v10, v19
	v_lshlrev_b32_e32 v11, 3, v11
	v_sub_u32_e32 v10, v10, v11
	v_ashrrev_i32_e32 v11, 5, v19
	v_lshl_add_u32 v10, v11, 3, v10
	v_cmp_ne_u32_e32 vcc, 6, v10
	v_cmp_ne_u32_e64 s[0:1], 5, v10
	v_cmp_ne_u32_e64 s[8:9], 4, v10
	;; [unrolled: 1-line block ×7, first 2 shown]
	v_cndmask_b32_e32 v6, v17, v6, vcc
	v_cndmask_b32_e64 v5, v17, v5, s[0:1]
	v_cndmask_b32_e64 v7, v17, v7, s[18:19]
	v_cndmask_b32_e64 v4, v17, v4, s[8:9]
	v_cndmask_b32_e64 v3, v17, v3, s[10:11]
	v_cndmask_b32_e64 v2, v17, v2, s[12:13]
	v_cndmask_b32_e64 v1, v17, v1, s[14:15]
	v_cndmask_b32_e64 v0, v17, v0, s[16:17]
	s_branch .LBB503_22
.LBB503_39:
	v_mov_b32_e32 v13, 0
.LBB503_40:
	v_cmp_eq_u32_e32 vcc, 0, v9
	s_and_b64 exec, exec, vcc
	s_cbranch_execz .LBB503_53
; %bb.41:
	s_andn2_b64 vcc, exec, s[4:5]
	v_cvt_f32_f64_e32 v0, s[20:21]
	s_cbranch_vccnz .LBB503_43
; %bb.42:
	v_cmp_lt_f32_e32 vcc, 0, v13
	s_nop 1
	v_cndmask_b32_e32 v1, 1.0, v13, vcc
	v_div_scale_f32 v2, s[0:1], v1, v1, v0
	v_rcp_f32_e32 v3, v2
	s_nop 0
	v_fma_f32 v4, -v2, v3, 1.0
	v_fmac_f32_e32 v3, v4, v3
	v_div_scale_f32 v4, vcc, v0, v1, v0
	v_mul_f32_e32 v5, v4, v3
	v_fma_f32 v6, -v2, v5, v4
	v_fmac_f32_e32 v5, v6, v3
	v_fma_f32 v2, -v2, v5, v4
	v_div_fmas_f32 v2, v2, v3, v5
	v_div_fixup_f32 v0, v2, v1, v0
.LBB503_43:
	s_andn2_b64 vcc, exec, s[38:39]
	s_cbranch_vccnz .LBB503_53
; %bb.44:
	v_mul_lo_u32 v2, v8, s24
	s_cmp_gt_u32 s24, 3
	v_ashrrev_i32_e32 v3, 31, v2
	s_cbranch_scc0 .LBB503_48
; %bb.45:
	s_and_b32 s0, s24, 0x7ffffffc
	v_lshl_add_u64 v[4:5], v[2:3], 2, s[34:35]
	v_mov_b32_e32 v1, v0
	v_lshl_add_u64 v[4:5], v[4:5], 0, 8
	s_mov_b32 s1, s0
.LBB503_46:                             ; =>This Inner Loop Header: Depth=1
	global_load_dwordx4 v[6:9], v[4:5], off offset:-8
	s_add_i32 s1, s1, -4
	s_cmp_lg_u32 s1, 0
	s_waitcnt vmcnt(0)
	v_pk_mul_f32 v[6:7], v[0:1], v[6:7]
	v_pk_mul_f32 v[8:9], v[0:1], v[8:9]
	global_store_dwordx4 v[4:5], v[6:9], off offset:-8
	v_lshl_add_u64 v[4:5], v[4:5], 0, 16
	s_cbranch_scc1 .LBB503_46
; %bb.47:
	s_cmp_lg_u32 s0, s24
	s_cselect_b64 s[2:3], -1, 0
	s_branch .LBB503_50
.LBB503_48:
	s_mov_b64 s[2:3], 0
                                        ; implicit-def: $sgpr0
	s_cbranch_execz .LBB503_50
; %bb.49:
	s_mov_b64 s[2:3], -1
	s_mov_b32 s0, 0
.LBB503_50:
	s_andn2_b64 vcc, exec, s[2:3]
	s_cbranch_vccnz .LBB503_53
; %bb.51:
	s_mov_b32 s1, 0
	v_lshl_add_u64 v[2:3], v[2:3], 0, s[0:1]
	s_sub_i32 s2, s24, s0
	v_lshl_add_u64 v[2:3], v[2:3], 2, s[34:35]
.LBB503_52:                             ; =>This Inner Loop Header: Depth=1
	global_load_dword v1, v[2:3], off
	s_add_i32 s2, s2, -1
	s_cmp_lg_u32 s2, 0
	s_waitcnt vmcnt(0)
	v_mul_f32_e32 v1, v0, v1
	global_store_dword v[2:3], v1, off
	v_lshl_add_u64 v[2:3], v[2:3], 0, 4
	s_cbranch_scc1 .LBB503_52
.LBB503_53:
	s_endpgm
	.section	.rodata,"a",@progbits
	.p2align	6, 0x0
	.amdhsa_kernel _ZN4vllm3moe22topkGatingSoftplusSqrtILi8ELi32ELi4ELi16ELi32ELb0El14__hip_bfloat16EEvPKT6_PKbPfiPT5_PiiiibdPKfPKS9_SF_
		.amdhsa_group_segment_fixed_size 0
		.amdhsa_private_segment_fixed_size 0
		.amdhsa_kernarg_size 96
		.amdhsa_user_sgpr_count 2
		.amdhsa_user_sgpr_dispatch_ptr 0
		.amdhsa_user_sgpr_queue_ptr 0
		.amdhsa_user_sgpr_kernarg_segment_ptr 1
		.amdhsa_user_sgpr_dispatch_id 0
		.amdhsa_user_sgpr_kernarg_preload_length 0
		.amdhsa_user_sgpr_kernarg_preload_offset 0
		.amdhsa_user_sgpr_private_segment_size 0
		.amdhsa_uses_dynamic_stack 0
		.amdhsa_enable_private_segment 0
		.amdhsa_system_sgpr_workgroup_id_x 1
		.amdhsa_system_sgpr_workgroup_id_y 0
		.amdhsa_system_sgpr_workgroup_id_z 0
		.amdhsa_system_sgpr_workgroup_info 0
		.amdhsa_system_vgpr_workitem_id 1
		.amdhsa_next_free_vgpr 26
		.amdhsa_next_free_sgpr 43
		.amdhsa_accum_offset 28
		.amdhsa_reserve_vcc 1
		.amdhsa_float_round_mode_32 0
		.amdhsa_float_round_mode_16_64 0
		.amdhsa_float_denorm_mode_32 3
		.amdhsa_float_denorm_mode_16_64 3
		.amdhsa_dx10_clamp 1
		.amdhsa_ieee_mode 1
		.amdhsa_fp16_overflow 0
		.amdhsa_tg_split 0
		.amdhsa_exception_fp_ieee_invalid_op 0
		.amdhsa_exception_fp_denorm_src 0
		.amdhsa_exception_fp_ieee_div_zero 0
		.amdhsa_exception_fp_ieee_overflow 0
		.amdhsa_exception_fp_ieee_underflow 0
		.amdhsa_exception_fp_ieee_inexact 0
		.amdhsa_exception_int_div_zero 0
	.end_amdhsa_kernel
	.section	.text._ZN4vllm3moe22topkGatingSoftplusSqrtILi8ELi32ELi4ELi16ELi32ELb0El14__hip_bfloat16EEvPKT6_PKbPfiPT5_PiiiibdPKfPKS9_SF_,"axG",@progbits,_ZN4vllm3moe22topkGatingSoftplusSqrtILi8ELi32ELi4ELi16ELi32ELb0El14__hip_bfloat16EEvPKT6_PKbPfiPT5_PiiiibdPKfPKS9_SF_,comdat
.Lfunc_end503:
	.size	_ZN4vllm3moe22topkGatingSoftplusSqrtILi8ELi32ELi4ELi16ELi32ELb0El14__hip_bfloat16EEvPKT6_PKbPfiPT5_PiiiibdPKfPKS9_SF_, .Lfunc_end503-_ZN4vllm3moe22topkGatingSoftplusSqrtILi8ELi32ELi4ELi16ELi32ELb0El14__hip_bfloat16EEvPKT6_PKbPfiPT5_PiiiibdPKfPKS9_SF_
                                        ; -- End function
	.section	.AMDGPU.csdata,"",@progbits
; Kernel info:
; codeLenInByte = 3752
; NumSgprs: 49
; NumVgprs: 26
; NumAgprs: 0
; TotalNumVgprs: 26
; ScratchSize: 0
; MemoryBound: 0
; FloatMode: 240
; IeeeMode: 1
; LDSByteSize: 0 bytes/workgroup (compile time only)
; SGPRBlocks: 6
; VGPRBlocks: 3
; NumSGPRsForWavesPerEU: 49
; NumVGPRsForWavesPerEU: 26
; AccumOffset: 28
; Occupancy: 8
; WaveLimiterHint : 0
; COMPUTE_PGM_RSRC2:SCRATCH_EN: 0
; COMPUTE_PGM_RSRC2:USER_SGPR: 2
; COMPUTE_PGM_RSRC2:TRAP_HANDLER: 0
; COMPUTE_PGM_RSRC2:TGID_X_EN: 1
; COMPUTE_PGM_RSRC2:TGID_Y_EN: 0
; COMPUTE_PGM_RSRC2:TGID_Z_EN: 0
; COMPUTE_PGM_RSRC2:TIDIG_COMP_CNT: 1
; COMPUTE_PGM_RSRC3_GFX90A:ACCUM_OFFSET: 6
; COMPUTE_PGM_RSRC3_GFX90A:TG_SPLIT: 0
	.section	.text._ZN4vllm3moe22topkGatingSoftplusSqrtILi8ELi64ELi4ELi16ELi64ELb1El14__hip_bfloat16EEvPKT6_PKbPfiPT5_PiiiibdPKfPKS9_SF_,"axG",@progbits,_ZN4vllm3moe22topkGatingSoftplusSqrtILi8ELi64ELi4ELi16ELi64ELb1El14__hip_bfloat16EEvPKT6_PKbPfiPT5_PiiiibdPKfPKS9_SF_,comdat
	.protected	_ZN4vllm3moe22topkGatingSoftplusSqrtILi8ELi64ELi4ELi16ELi64ELb1El14__hip_bfloat16EEvPKT6_PKbPfiPT5_PiiiibdPKfPKS9_SF_ ; -- Begin function _ZN4vllm3moe22topkGatingSoftplusSqrtILi8ELi64ELi4ELi16ELi64ELb1El14__hip_bfloat16EEvPKT6_PKbPfiPT5_PiiiibdPKfPKS9_SF_
	.globl	_ZN4vllm3moe22topkGatingSoftplusSqrtILi8ELi64ELi4ELi16ELi64ELb1El14__hip_bfloat16EEvPKT6_PKbPfiPT5_PiiiibdPKfPKS9_SF_
	.p2align	8
	.type	_ZN4vllm3moe22topkGatingSoftplusSqrtILi8ELi64ELi4ELi16ELi64ELb1El14__hip_bfloat16EEvPKT6_PKbPfiPT5_PiiiibdPKfPKS9_SF_,@function
_ZN4vllm3moe22topkGatingSoftplusSqrtILi8ELi64ELi4ELi16ELi64ELb1El14__hip_bfloat16EEvPKT6_PKbPfiPT5_PiiiibdPKfPKS9_SF_: ; @_ZN4vllm3moe22topkGatingSoftplusSqrtILi8ELi64ELi4ELi16ELi64ELb1El14__hip_bfloat16EEvPKT6_PKbPfiPT5_PiiiibdPKfPKS9_SF_
; %bb.0:
	s_load_dword s3, s[0:1], 0x18
	v_bfe_u32 v1, v0, 10, 10
	v_and_b32_e32 v8, 0x3ff, v0
	s_lshl_b32 s2, s2, 5
	v_lshlrev_b32_e32 v1, 3, v1
	v_lshrrev_b32_e32 v0, 3, v8
	v_add3_u32 v6, s2, v1, v0
	s_waitcnt lgkmcnt(0)
	v_cmp_gt_i32_e32 vcc, s3, v6
	s_and_saveexec_b64 s[2:3], vcc
	s_cbranch_execz .LBB504_31
; %bb.1:
	s_load_dwordx4 s[8:11], s[0:1], 0x50
	s_load_dwordx2 s[2:3], s[0:1], 0x0
	s_load_dword s12, s[0:1], 0x30
	v_lshlrev_b32_e32 v0, 6, v6
	v_lshlrev_b32_e32 v4, 3, v8
	v_ashrrev_i32_e32 v1, 31, v0
	v_and_b32_e32 v12, 56, v4
	s_waitcnt lgkmcnt(0)
	v_mov_b32_e32 v2, s8
	v_mov_b32_e32 v3, s9
	v_lshl_add_u64 v[0:1], v[0:1], 1, s[2:3]
	v_lshlrev_b32_e32 v4, 1, v12
	v_mov_b32_e32 v5, 0
	v_ashrrev_i32_e32 v7, 31, v6
	v_lshl_add_u64 v[2:3], v[6:7], 3, v[2:3]
	v_lshl_add_u64 v[0:1], v[0:1], 0, v[4:5]
	global_load_dwordx2 v[10:11], v[2:3], off
	s_ashr_i32 s13, s12, 31
	global_load_dwordx4 v[0:3], v[0:1], off
	s_mov_b32 s23, 0x800000
	v_mov_b32_e32 v4, 0x4f800000
	s_mov_b32 s21, 0x3f317217
	s_mov_b32 s22, 0x7f800000
	v_mov_b32_e32 v7, 0x41b17218
	s_mov_b32 s17, 0x41a00000
	s_mov_b32 s20, 0xf800000
	v_mov_b32_e32 v9, 0x260
	v_cmp_lt_i64_e64 s[18:19], s[12:13], 1
	s_mov_b32 s16, 0
	v_cmp_gt_i64_e64 s[14:15], s[12:13], 0
	s_waitcnt vmcnt(1)
	v_mul_lo_u32 v11, v11, s12
	v_mul_lo_u32 v13, v10, s13
	s_waitcnt vmcnt(0)
	v_and_b32_e32 v18, 0xffff0000, v0
	v_lshlrev_b32_e32 v19, 16, v0
	v_and_b32_e32 v20, 0xffff0000, v1
	v_lshlrev_b32_e32 v21, 16, v1
	v_mul_f32_e32 v0, 0x3fb8aa3b, v19
	v_mul_f32_e32 v1, 0x3fb8aa3b, v18
	v_exp_f32_e32 v14, v0
	v_exp_f32_e32 v15, v1
	v_mul_f32_e32 v16, 0x3fb8aa3b, v21
	v_mul_f32_e32 v17, 0x3fb8aa3b, v20
	v_exp_f32_e32 v16, v16
	v_exp_f32_e32 v17, v17
	v_mad_u64_u32 v[0:1], s[2:3], v10, s12, 0
	v_add3_u32 v1, v1, v13, v11
	v_pk_add_f32 v[10:11], v[14:15], 1.0 op_sel_hi:[1,0]
	v_pk_add_f32 v[14:15], v[16:17], 1.0 op_sel_hi:[1,0]
	v_cmp_gt_f32_e32 vcc, s23, v11
	v_cmp_gt_f32_e64 s[2:3], s23, v10
	v_cmp_gt_f32_e64 s[6:7], s23, v14
	v_cndmask_b32_e32 v13, 1.0, v4, vcc
	v_cndmask_b32_e64 v16, 1.0, v4, s[2:3]
	v_mul_f32_e32 v11, v11, v13
	v_mul_f32_e32 v10, v10, v16
	v_log_f32_e32 v11, v11
	v_log_f32_e32 v10, v10
	v_cmp_gt_f32_e64 s[4:5], s23, v15
	v_cndmask_b32_e64 v22, 1.0, v4, s[6:7]
	v_mul_f32_e32 v14, v14, v22
	v_cndmask_b32_e64 v17, 1.0, v4, s[4:5]
	v_mul_f32_e32 v15, v15, v17
	v_log_f32_e32 v22, v14
	v_mul_f32_e32 v14, 0x3f317217, v11
	v_log_f32_e32 v17, v15
	v_mul_f32_e32 v15, 0x3f317217, v10
	v_fma_f32 v14, v11, s21, -v14
	v_fma_f32 v15, v10, s21, -v15
	v_fmac_f32_e32 v14, 0x3377d1cf, v11
	v_cndmask_b32_e32 v13, 0, v7, vcc
	v_fmac_f32_e32 v15, 0x3377d1cf, v10
	v_fmac_f32_e32 v14, 0x3f317217, v11
	v_cmp_lt_f32_e64 vcc, |v11|, s22
	v_fmac_f32_e32 v15, 0x3f317217, v10
	v_cndmask_b32_e64 v16, 0, v7, s[2:3]
	v_cndmask_b32_e32 v11, v11, v14, vcc
	v_cmp_lt_f32_e64 vcc, |v10|, s22
	v_sub_f32_e32 v11, v11, v13
	v_mul_f32_e32 v23, 0x3f317217, v17
	v_cndmask_b32_e32 v10, v10, v15, vcc
	v_sub_f32_e32 v10, v10, v16
	v_cmp_lt_f32_e32 vcc, s17, v19
	v_fma_f32 v23, v17, s21, -v23
	v_fmac_f32_e32 v23, 0x3377d1cf, v17
	v_cndmask_b32_e32 v10, v10, v19, vcc
	v_cmp_lt_f32_e32 vcc, s17, v18
	v_mul_f32_e32 v14, 0x4f800000, v10
	v_cmp_gt_f32_e64 s[2:3], s20, v10
	v_cndmask_b32_e32 v11, v11, v18, vcc
	v_mul_f32_e32 v13, 0x4f800000, v11
	v_cmp_gt_f32_e32 vcc, s20, v11
	v_cndmask_b32_e64 v10, v10, v14, s[2:3]
	v_sqrt_f32_e32 v14, v10
	v_cndmask_b32_e32 v11, v11, v13, vcc
	v_sqrt_f32_e32 v13, v11
	v_fmac_f32_e32 v23, 0x3f317217, v17
	v_add_u32_e32 v18, -1, v14
	v_fma_f32 v26, -v18, v14, v10
	v_add_u32_e32 v15, -1, v13
	v_fma_f32 v24, -v15, v13, v11
	v_add_u32_e32 v16, 1, v13
	v_cmp_ge_f32_e64 s[8:9], 0, v24
	v_add_u32_e32 v19, 1, v14
	v_fma_f32 v25, -v16, v13, v11
	v_cndmask_b32_e64 v13, v13, v15, s[8:9]
	v_cmp_ge_f32_e64 s[8:9], 0, v26
	v_fma_f32 v27, -v19, v14, v10
	s_nop 0
	v_cndmask_b32_e64 v14, v14, v18, s[8:9]
	v_cmp_lt_f32_e64 s[8:9], 0, v25
	s_nop 1
	v_cndmask_b32_e64 v13, v13, v16, s[8:9]
	v_cmp_lt_f32_e64 s[8:9], 0, v27
	v_mul_f32_e32 v15, 0x37800000, v13
	v_cndmask_b32_e32 v13, v13, v15, vcc
	v_cndmask_b32_e64 v14, v14, v19, s[8:9]
	v_mul_f32_e32 v16, 0x37800000, v14
	v_cmp_class_f32_e32 vcc, v11, v9
	v_cndmask_b32_e64 v14, v14, v16, s[2:3]
	v_cmp_lt_f32_e64 s[2:3], s17, v21
	v_cndmask_b32_e32 v15, v13, v11, vcc
	v_cmp_class_f32_e32 vcc, v10, v9
	v_cndmask_b32_e64 v11, 0, v7, s[4:5]
	v_cndmask_b32_e64 v13, 0, v7, s[6:7]
	v_cndmask_b32_e32 v14, v14, v10, vcc
	v_cmp_lt_f32_e64 vcc, |v17|, s22
	s_nop 1
	v_cndmask_b32_e32 v10, v17, v23, vcc
	v_sub_f32_e32 v10, v10, v11
	v_mul_f32_e32 v11, 0x3f317217, v22
	v_fma_f32 v11, v22, s21, -v11
	v_fmac_f32_e32 v11, 0x3377d1cf, v22
	v_fmac_f32_e32 v11, 0x3f317217, v22
	v_cmp_lt_f32_e64 vcc, |v22|, s22
	s_nop 1
	v_cndmask_b32_e32 v11, v22, v11, vcc
	v_cmp_lt_f32_e32 vcc, s17, v20
	v_sub_f32_e32 v11, v11, v13
	v_cndmask_b32_e64 v11, v11, v21, s[2:3]
	v_cndmask_b32_e32 v10, v10, v20, vcc
	v_mul_f32_e32 v16, 0x4f800000, v10
	v_cmp_gt_f32_e32 vcc, s20, v10
	v_and_b32_e32 v20, 0xffff0000, v2
	v_lshlrev_b32_e32 v2, 16, v2
	v_cndmask_b32_e32 v10, v10, v16, vcc
	v_sqrt_f32_e32 v16, v10
	s_nop 0
	v_add_u32_e32 v13, -1, v16
	v_fma_f32 v17, -v13, v16, v10
	v_cmp_ge_f32_e64 s[2:3], 0, v17
	v_add_u32_e32 v17, 1, v16
	s_nop 0
	v_cndmask_b32_e64 v13, v16, v13, s[2:3]
	v_fma_f32 v16, -v17, v16, v10
	v_cmp_lt_f32_e64 s[2:3], 0, v16
	s_nop 1
	v_cndmask_b32_e64 v13, v13, v17, s[2:3]
	v_mul_f32_e32 v17, 0x4f800000, v11
	v_cmp_gt_f32_e64 s[2:3], s20, v11
	v_mul_f32_e32 v16, 0x37800000, v13
	v_cndmask_b32_e32 v13, v13, v16, vcc
	v_cndmask_b32_e64 v18, v11, v17, s[2:3]
	v_sqrt_f32_e32 v11, v18
	v_cmp_class_f32_e32 vcc, v10, v9
	v_add_u32_e32 v16, 1, v11
	s_nop 0
	v_cndmask_b32_e32 v17, v13, v10, vcc
	v_add_u32_e32 v10, -1, v11
	v_fma_f32 v13, -v10, v11, v18
	v_cmp_ge_f32_e32 vcc, 0, v13
	v_fma_f32 v19, -v16, v11, v18
	s_nop 0
	v_cndmask_b32_e32 v13, v11, v10, vcc
	v_mul_f32_e32 v10, 0x3fb8aa3b, v2
	v_mul_f32_e32 v11, 0x3fb8aa3b, v20
	v_exp_f32_e32 v10, v10
	v_exp_f32_e32 v11, v11
	v_cmp_lt_f32_e32 vcc, 0, v19
	v_pk_add_f32 v[10:11], v[10:11], 1.0 op_sel_hi:[1,0]
	s_nop 0
	v_cndmask_b32_e32 v13, v13, v16, vcc
	v_mul_f32_e32 v16, 0x37800000, v13
	v_cmp_gt_f32_e32 vcc, s23, v11
	v_cndmask_b32_e64 v13, v13, v16, s[2:3]
	v_cmp_class_f32_e64 s[2:3], v18, v9
	v_cndmask_b32_e32 v16, 1.0, v4, vcc
	v_mul_f32_e32 v11, v11, v16
	v_log_f32_e32 v11, v11
	v_cndmask_b32_e64 v16, v13, v18, s[2:3]
	v_cmp_gt_f32_e64 s[2:3], s23, v10
	scratch_store_dwordx4 off, v[14:17], off
	v_mul_f32_e32 v13, 0x3f317217, v11
	v_fma_f32 v13, v11, s21, -v13
	v_cndmask_b32_e64 v14, 1.0, v4, s[2:3]
	v_mul_f32_e32 v10, v10, v14
	v_log_f32_e32 v10, v10
	v_fmac_f32_e32 v13, 0x3377d1cf, v11
	v_fmac_f32_e32 v13, 0x3f317217, v11
	v_cmp_lt_f32_e64 s[4:5], |v11|, s22
	v_and_b32_e32 v16, 0xffff0000, v3
	v_lshlrev_b32_e32 v17, 16, v3
	v_cndmask_b32_e64 v11, v11, v13, s[4:5]
	v_cndmask_b32_e32 v13, 0, v7, vcc
	v_sub_f32_e32 v11, v11, v13
	v_mul_f32_e32 v13, 0x3f317217, v10
	v_fma_f32 v13, v10, s21, -v13
	v_fmac_f32_e32 v13, 0x3377d1cf, v10
	v_fmac_f32_e32 v13, 0x3f317217, v10
	v_cmp_lt_f32_e64 vcc, |v10|, s22
	v_mul_f32_e32 v3, 0x3fb8aa3b, v16
	v_exp_f32_e32 v3, v3
	v_cndmask_b32_e32 v10, v10, v13, vcc
	v_cmp_lt_f32_e32 vcc, s17, v20
	v_cndmask_b32_e64 v13, 0, v7, s[2:3]
	v_sub_f32_e32 v10, v10, v13
	v_cndmask_b32_e32 v11, v11, v20, vcc
	v_mul_f32_e32 v14, 0x4f800000, v11
	v_cmp_gt_f32_e32 vcc, s20, v11
	v_cmp_lt_f32_e64 s[2:3], s17, v2
	s_nop 0
	v_cndmask_b32_e32 v11, v11, v14, vcc
	v_sqrt_f32_e32 v14, v11
	v_cndmask_b32_e64 v2, v10, v2, s[2:3]
	v_add_u32_e32 v10, -1, v14
	v_fma_f32 v13, -v10, v14, v11
	v_cmp_ge_f32_e64 s[2:3], 0, v13
	v_add_u32_e32 v13, 1, v14
	s_nop 0
	v_cndmask_b32_e64 v10, v14, v10, s[2:3]
	v_fma_f32 v14, -v13, v14, v11
	v_cmp_lt_f32_e64 s[2:3], 0, v14
	v_mul_f32_e32 v14, 0x4f800000, v2
	s_nop 0
	v_cndmask_b32_e64 v10, v10, v13, s[2:3]
	v_cmp_gt_f32_e64 s[2:3], s20, v2
	v_mul_f32_e32 v13, 0x37800000, v10
	v_cndmask_b32_e32 v10, v10, v13, vcc
	v_cndmask_b32_e64 v14, v2, v14, s[2:3]
	v_sqrt_f32_e32 v2, v14
	v_cmp_class_f32_e32 vcc, v11, v9
	s_nop 1
	v_cndmask_b32_e32 v15, v10, v11, vcc
	v_add_u32_e32 v10, -1, v2
	v_fma_f32 v11, -v10, v2, v14
	v_cmp_ge_f32_e32 vcc, 0, v11
	v_add_u32_e32 v11, 1, v2
	v_fma_f32 v13, -v11, v2, v14
	v_cndmask_b32_e32 v10, v2, v10, vcc
	v_mul_f32_e32 v2, 0x3fb8aa3b, v17
	v_exp_f32_e32 v2, v2
	v_cmp_lt_f32_e32 vcc, 0, v13
	v_pk_add_f32 v[2:3], v[2:3], 1.0 op_sel_hi:[1,0]
	s_nop 0
	v_cndmask_b32_e32 v10, v10, v11, vcc
	v_cmp_gt_f32_e32 vcc, s23, v3
	v_mul_f32_e32 v11, 0x37800000, v10
	v_cndmask_b32_e64 v10, v10, v11, s[2:3]
	v_cndmask_b32_e32 v13, 1.0, v4, vcc
	v_mul_f32_e32 v3, v3, v13
	v_log_f32_e32 v3, v3
	v_cmp_class_f32_e64 s[2:3], v14, v9
	v_cmp_lt_f32_e64 s[4:5], |v3|, s22
	s_nop 0
	v_cndmask_b32_e64 v14, v10, v14, s[2:3]
	v_cmp_gt_f32_e64 s[2:3], s23, v2
	v_mul_f32_e32 v10, 0x3f317217, v3
	v_fma_f32 v10, v3, s21, -v10
	v_cndmask_b32_e64 v4, 1.0, v4, s[2:3]
	v_mul_f32_e32 v2, v2, v4
	v_log_f32_e32 v2, v2
	v_fmac_f32_e32 v10, 0x3377d1cf, v3
	v_fmac_f32_e32 v10, 0x3f317217, v3
	v_cndmask_b32_e64 v3, v3, v10, s[4:5]
	v_cndmask_b32_e32 v4, 0, v7, vcc
	v_sub_f32_e32 v3, v3, v4
	v_mul_f32_e32 v4, 0x3f317217, v2
	v_fma_f32 v4, v2, s21, -v4
	v_fmac_f32_e32 v4, 0x3377d1cf, v2
	v_fmac_f32_e32 v4, 0x3f317217, v2
	v_cmp_lt_f32_e64 vcc, |v2|, s22
	s_nop 1
	v_cndmask_b32_e32 v2, v2, v4, vcc
	v_cmp_lt_f32_e32 vcc, s17, v16
	v_cndmask_b32_e64 v4, 0, v7, s[2:3]
	v_sub_f32_e32 v2, v2, v4
	v_cndmask_b32_e32 v3, v3, v16, vcc
	v_mul_f32_e32 v7, 0x4f800000, v3
	v_cmp_gt_f32_e32 vcc, s20, v3
	v_cmp_lt_f32_e64 s[2:3], s17, v17
	s_nop 0
	v_cndmask_b32_e32 v3, v3, v7, vcc
	v_sqrt_f32_e32 v7, v3
	v_cndmask_b32_e64 v2, v2, v17, s[2:3]
	v_add_u32_e32 v4, -1, v7
	v_fma_f32 v10, -v4, v7, v3
	v_cmp_ge_f32_e64 s[2:3], 0, v10
	v_add_u32_e32 v10, 1, v7
	s_nop 0
	v_cndmask_b32_e64 v4, v7, v4, s[2:3]
	v_fma_f32 v7, -v10, v7, v3
	v_cmp_lt_f32_e64 s[2:3], 0, v7
	s_nop 1
	v_cndmask_b32_e64 v4, v4, v10, s[2:3]
	v_mul_f32_e32 v10, 0x4f800000, v2
	v_cmp_gt_f32_e64 s[2:3], s20, v2
	v_mul_f32_e32 v7, 0x37800000, v4
	v_cndmask_b32_e32 v4, v4, v7, vcc
	v_cndmask_b32_e64 v2, v2, v10, s[2:3]
	v_sqrt_f32_e32 v10, v2
	v_cmp_class_f32_e32 vcc, v3, v9
	s_nop 1
	v_cndmask_b32_e32 v17, v4, v3, vcc
	v_add_u32_e32 v3, -1, v10
	v_fma_f32 v4, -v3, v10, v2
	v_cmp_ge_f32_e32 vcc, 0, v4
	v_add_u32_e32 v4, 1, v10
	v_fma_f32 v7, -v4, v10, v2
	v_cndmask_b32_e32 v3, v10, v3, vcc
	v_cmp_lt_f32_e32 vcc, 0, v7
	s_nop 1
	v_cndmask_b32_e32 v3, v3, v4, vcc
	v_mul_f32_e32 v4, 0x37800000, v3
	v_cndmask_b32_e64 v3, v3, v4, s[2:3]
	v_cmp_class_f32_e32 vcc, v2, v9
	s_nop 1
	v_cndmask_b32_e32 v16, v3, v2, vcc
	v_lshl_add_u64 v[2:3], v[0:1], 3, s[10:11]
	s_and_b64 vcc, exec, s[18:19]
	v_mul_lo_u32 v0, v6, s12
	scratch_store_dwordx4 off, v[14:17], off offset:16
	s_cbranch_vccnz .LBB504_28
; %bb.2:
	s_load_dwordx2 s[4:5], s[0:1], 0x20
	s_cmp_lt_u32 s12, 4
	v_and_b32_e32 v4, 7, v8
	s_cbranch_scc1 .LBB504_21
; %bb.3:
	v_lshlrev_b32_e32 v5, 3, v4
	s_mov_b32 s7, 0
	s_and_b32 s16, s12, 0x7ffffffc
	v_ashrrev_i32_e32 v1, 31, v0
	v_sub_u32_e32 v13, 0, v5
	v_mov_b32_e32 v5, 0
	s_mov_b32 s6, s7
	s_branch .LBB504_5
.LBB504_4:                              ;   in Loop: Header=BB504_5 Depth=1
	s_or_b64 exec, exec, s[8:9]
	s_add_i32 s6, s6, 4
	s_cmp_eq_u32 s6, s16
	s_cbranch_scc1 .LBB504_21
.LBB504_5:                              ; =>This Loop Header: Depth=1
                                        ;     Child Loop BB504_7 Depth 2
                                        ;     Child Loop BB504_11 Depth 2
	;; [unrolled: 1-line block ×4, first 2 shown]
	v_lshl_add_u64 v[6:7], s[6:7], 3, v[2:3]
	global_load_dwordx2 v[8:9], v[6:7], off
	v_add_u32_e32 v10, s6, v0
	v_ashrrev_i32_e32 v11, 31, v10
	v_mov_b32_e32 v14, 0
	s_mov_b64 s[8:9], 0
	s_waitcnt lgkmcnt(0)
	v_lshl_add_u64 v[10:11], v[10:11], 3, s[4:5]
	s_mov_b32 s13, 0
	s_waitcnt vmcnt(0)
	v_ashrrev_i32_e32 v9, 31, v8
	v_add_u32_e32 v15, v13, v8
	s_branch .LBB504_7
.LBB504_6:                              ;   in Loop: Header=BB504_7 Depth=2
	s_or_b64 exec, exec, s[10:11]
	s_add_i32 s17, s13, 1
	s_cmp_gt_u32 s13, 6
	s_cselect_b64 s[2:3], -1, 0
	s_xor_b64 s[10:11], vcc, -1
	s_or_b64 s[2:3], s[10:11], s[2:3]
	s_and_b64 s[2:3], exec, s[2:3]
	v_add_u32_e32 v14, 4, v14
	s_or_b64 s[8:9], s[2:3], s[8:9]
	s_mov_b32 s13, s17
	s_andn2_b64 exec, exec, s[8:9]
	s_cbranch_execz .LBB504_9
.LBB504_7:                              ;   Parent Loop BB504_5 Depth=1
                                        ; =>  This Inner Loop Header: Depth=2
	v_cmp_ne_u32_e32 vcc, s13, v15
	v_cmp_eq_u32_e64 s[2:3], s13, v15
	s_and_saveexec_b64 s[10:11], s[2:3]
	s_cbranch_execz .LBB504_6
; %bb.8:                                ;   in Loop: Header=BB504_7 Depth=2
	scratch_load_dword v16, v14, off
	s_waitcnt vmcnt(0)
	v_add_f32_e32 v5, v5, v16
	global_store_dwordx2 v[10:11], v[8:9], off
	s_branch .LBB504_6
.LBB504_9:                              ;   in Loop: Header=BB504_5 Depth=1
	s_or_b64 exec, exec, s[8:9]
	global_load_dwordx2 v[10:11], v[6:7], off offset:8
	s_ashr_i32 s3, s6, 31
	s_mov_b32 s2, s6
	v_lshl_add_u64 v[8:9], s[2:3], 0, v[0:1]
	v_mov_b32_e32 v14, 0
	s_mov_b32 s13, 0
	v_lshl_add_u64 v[8:9], v[8:9], 3, s[4:5]
	s_mov_b64 s[8:9], 0
	s_waitcnt vmcnt(0)
	v_ashrrev_i32_e32 v11, 31, v10
	v_add_u32_e32 v15, v13, v10
	s_branch .LBB504_11
.LBB504_10:                             ;   in Loop: Header=BB504_11 Depth=2
	s_or_b64 exec, exec, s[10:11]
	s_add_i32 s17, s13, 1
	s_cmp_gt_u32 s13, 6
	s_cselect_b64 s[2:3], -1, 0
	s_xor_b64 s[10:11], vcc, -1
	s_or_b64 s[2:3], s[10:11], s[2:3]
	s_and_b64 s[2:3], exec, s[2:3]
	v_add_u32_e32 v14, 4, v14
	s_or_b64 s[8:9], s[2:3], s[8:9]
	s_mov_b32 s13, s17
	s_andn2_b64 exec, exec, s[8:9]
	s_cbranch_execz .LBB504_13
.LBB504_11:                             ;   Parent Loop BB504_5 Depth=1
                                        ; =>  This Inner Loop Header: Depth=2
	v_cmp_ne_u32_e32 vcc, s13, v15
	v_cmp_eq_u32_e64 s[2:3], s13, v15
	s_and_saveexec_b64 s[10:11], s[2:3]
	s_cbranch_execz .LBB504_10
; %bb.12:                               ;   in Loop: Header=BB504_11 Depth=2
	scratch_load_dword v16, v14, off
	s_waitcnt vmcnt(0)
	v_add_f32_e32 v5, v5, v16
	global_store_dwordx2 v[8:9], v[10:11], off offset:8
	s_branch .LBB504_10
.LBB504_13:                             ;   in Loop: Header=BB504_5 Depth=1
	s_or_b64 exec, exec, s[8:9]
	global_load_dwordx2 v[10:11], v[6:7], off offset:16
	v_mov_b32_e32 v14, 0
	s_mov_b32 s13, 0
	s_mov_b64 s[8:9], 0
	s_waitcnt vmcnt(0)
	v_ashrrev_i32_e32 v11, 31, v10
	v_add_u32_e32 v15, v13, v10
	s_branch .LBB504_15
.LBB504_14:                             ;   in Loop: Header=BB504_15 Depth=2
	s_or_b64 exec, exec, s[10:11]
	s_add_i32 s17, s13, 1
	s_cmp_gt_u32 s13, 6
	s_cselect_b64 s[2:3], -1, 0
	s_xor_b64 s[10:11], vcc, -1
	s_or_b64 s[2:3], s[10:11], s[2:3]
	s_and_b64 s[2:3], exec, s[2:3]
	v_add_u32_e32 v14, 4, v14
	s_or_b64 s[8:9], s[2:3], s[8:9]
	s_mov_b32 s13, s17
	s_andn2_b64 exec, exec, s[8:9]
	s_cbranch_execz .LBB504_17
.LBB504_15:                             ;   Parent Loop BB504_5 Depth=1
                                        ; =>  This Inner Loop Header: Depth=2
	v_cmp_ne_u32_e32 vcc, s13, v15
	v_cmp_eq_u32_e64 s[2:3], s13, v15
	s_and_saveexec_b64 s[10:11], s[2:3]
	s_cbranch_execz .LBB504_14
; %bb.16:                               ;   in Loop: Header=BB504_15 Depth=2
	scratch_load_dword v16, v14, off
	s_waitcnt vmcnt(0)
	v_add_f32_e32 v5, v5, v16
	global_store_dwordx2 v[8:9], v[10:11], off offset:16
	s_branch .LBB504_14
.LBB504_17:                             ;   in Loop: Header=BB504_5 Depth=1
	s_or_b64 exec, exec, s[8:9]
	global_load_dwordx2 v[6:7], v[6:7], off offset:24
	v_mov_b32_e32 v10, 0
	s_mov_b32 s13, 0
	s_mov_b64 s[8:9], 0
	s_waitcnt vmcnt(0)
	v_ashrrev_i32_e32 v7, 31, v6
	v_add_u32_e32 v11, v13, v6
	s_branch .LBB504_19
.LBB504_18:                             ;   in Loop: Header=BB504_19 Depth=2
	s_or_b64 exec, exec, s[10:11]
	s_add_i32 s17, s13, 1
	s_cmp_gt_u32 s13, 6
	s_cselect_b64 s[2:3], -1, 0
	s_xor_b64 s[10:11], vcc, -1
	s_or_b64 s[2:3], s[10:11], s[2:3]
	s_and_b64 s[2:3], exec, s[2:3]
	v_add_u32_e32 v10, 4, v10
	s_or_b64 s[8:9], s[2:3], s[8:9]
	s_mov_b32 s13, s17
	s_andn2_b64 exec, exec, s[8:9]
	s_cbranch_execz .LBB504_4
.LBB504_19:                             ;   Parent Loop BB504_5 Depth=1
                                        ; =>  This Inner Loop Header: Depth=2
	v_cmp_ne_u32_e32 vcc, s13, v11
	v_cmp_eq_u32_e64 s[2:3], s13, v11
	s_and_saveexec_b64 s[10:11], s[2:3]
	s_cbranch_execz .LBB504_18
; %bb.20:                               ;   in Loop: Header=BB504_19 Depth=2
	scratch_load_dword v14, v10, off
	s_waitcnt vmcnt(0)
	v_add_f32_e32 v5, v5, v14
	global_store_dwordx2 v[8:9], v[6:7], off offset:24
	s_branch .LBB504_18
.LBB504_21:
	s_and_b32 s10, s12, 3
	s_cmp_eq_u32 s10, 0
	s_mov_b32 s17, 0
	s_cbranch_scc1 .LBB504_28
; %bb.22:
	v_lshlrev_b32_e32 v1, 3, v4
	v_sub_u32_e32 v1, 0, v1
	s_mov_b32 s11, s17
	s_branch .LBB504_24
.LBB504_23:                             ;   in Loop: Header=BB504_24 Depth=1
	s_or_b64 exec, exec, s[6:7]
	s_add_i32 s16, s16, 1
	s_add_i32 s11, s11, 1
	s_cmp_lg_u32 s11, s10
	s_cbranch_scc0 .LBB504_28
.LBB504_24:                             ; =>This Loop Header: Depth=1
                                        ;     Child Loop BB504_26 Depth 2
	v_lshl_add_u64 v[6:7], s[16:17], 3, v[2:3]
	global_load_dwordx2 v[6:7], v[6:7], off
	v_add_u32_e32 v8, s16, v0
	v_ashrrev_i32_e32 v9, 31, v8
	v_mov_b32_e32 v4, 0
	s_mov_b32 s13, 0
	s_waitcnt lgkmcnt(0)
	v_lshl_add_u64 v[8:9], v[8:9], 3, s[4:5]
	s_mov_b64 s[6:7], 0
	s_waitcnt vmcnt(0)
	v_ashrrev_i32_e32 v7, 31, v6
	v_add_u32_e32 v10, v1, v6
	s_branch .LBB504_26
.LBB504_25:                             ;   in Loop: Header=BB504_26 Depth=2
	s_or_b64 exec, exec, s[8:9]
	s_add_i32 s18, s13, 1
	s_cmp_gt_u32 s13, 6
	s_cselect_b64 s[2:3], -1, 0
	s_xor_b64 s[8:9], vcc, -1
	s_or_b64 s[2:3], s[8:9], s[2:3]
	s_and_b64 s[2:3], exec, s[2:3]
	v_add_u32_e32 v4, 4, v4
	s_or_b64 s[6:7], s[2:3], s[6:7]
	s_mov_b32 s13, s18
	s_andn2_b64 exec, exec, s[6:7]
	s_cbranch_execz .LBB504_23
.LBB504_26:                             ;   Parent Loop BB504_24 Depth=1
                                        ; =>  This Inner Loop Header: Depth=2
	v_cmp_ne_u32_e32 vcc, s13, v10
	v_cmp_eq_u32_e64 s[2:3], s13, v10
	s_and_saveexec_b64 s[8:9], s[2:3]
	s_cbranch_execz .LBB504_25
; %bb.27:                               ;   in Loop: Header=BB504_26 Depth=2
	scratch_load_dword v11, v4, off
	s_waitcnt vmcnt(0)
	v_add_f32_e32 v5, v5, v11
	global_store_dwordx2 v[8:9], v[6:7], off
	s_branch .LBB504_25
.LBB504_28:
	s_waitcnt lgkmcnt(0)
	s_load_dword s4, s[0:1], 0x3c
	s_waitcnt lgkmcnt(0)
	s_bitcmp1_b32 s4, 0
	s_cselect_b64 s[2:3], -1, 0
	s_bitcmp0_b32 s4, 0
	s_cbranch_scc0 .LBB504_32
; %bb.29:
	s_load_dwordx2 s[4:5], s[0:1], 0x40
	s_andn2_b64 vcc, exec, s[2:3]
	s_waitcnt lgkmcnt(0)
	v_cvt_f32_f64_e32 v8, s[4:5]
	s_cbranch_vccz .LBB504_33
.LBB504_30:
	s_andn2_b64 vcc, exec, s[14:15]
	s_cbranch_vccz .LBB504_34
.LBB504_31:
	s_endpgm
.LBB504_32:
	v_mbcnt_lo_u32_b32 v1, -1, 0
	v_mbcnt_hi_u32_b32 v1, -1, v1
	v_and_b32_e32 v4, 0x78, v1
	v_add_u32_e32 v4, 8, v4
	v_xor_b32_e32 v6, 4, v1
	v_cmp_lt_i32_e32 vcc, v6, v4
	v_xor_b32_e32 v7, 2, v1
	s_nop 0
	v_cndmask_b32_e32 v6, v1, v6, vcc
	v_lshlrev_b32_e32 v6, 2, v6
	ds_bpermute_b32 v6, v6, v5
	v_cmp_lt_i32_e32 vcc, v7, v4
	s_waitcnt lgkmcnt(0)
	v_add_f32_e32 v5, v5, v6
	v_cndmask_b32_e32 v6, v1, v7, vcc
	v_lshlrev_b32_e32 v6, 2, v6
	ds_bpermute_b32 v6, v6, v5
	v_xor_b32_e32 v7, 1, v1
	v_cmp_lt_i32_e32 vcc, v7, v4
	s_waitcnt lgkmcnt(0)
	v_add_f32_e32 v5, v5, v6
	v_cndmask_b32_e32 v1, v1, v7, vcc
	v_lshlrev_b32_e32 v1, 2, v1
	ds_bpermute_b32 v1, v1, v5
	s_waitcnt lgkmcnt(0)
	v_add_f32_e32 v5, v5, v1
	s_load_dwordx2 s[4:5], s[0:1], 0x40
	s_andn2_b64 vcc, exec, s[2:3]
	s_waitcnt lgkmcnt(0)
	v_cvt_f32_f64_e32 v8, s[4:5]
	s_cbranch_vccnz .LBB504_30
.LBB504_33:
	v_cmp_lt_f32_e32 vcc, 0, v5
	s_nop 1
	v_cndmask_b32_e32 v1, 1.0, v5, vcc
	v_div_scale_f32 v4, s[2:3], v1, v1, v8
	v_rcp_f32_e32 v5, v4
	s_nop 0
	v_fma_f32 v6, -v4, v5, 1.0
	v_fmac_f32_e32 v5, v6, v5
	v_div_scale_f32 v6, vcc, v8, v1, v8
	v_mul_f32_e32 v7, v6, v5
	v_fma_f32 v9, -v4, v7, v6
	v_fmac_f32_e32 v7, v9, v5
	v_fma_f32 v4, -v4, v7, v6
	v_div_fmas_f32 v4, v4, v5, v7
	v_div_fixup_f32 v8, v4, v1, v8
	s_andn2_b64 vcc, exec, s[14:15]
	s_cbranch_vccnz .LBB504_31
.LBB504_34:
	s_load_dwordx2 s[14:15], s[0:1], 0x10
	v_mov_b32_e32 v1, 0
	v_or_b32_e32 v20, 4, v1
	v_or_b32_e32 v18, 8, v1
	;; [unrolled: 1-line block ×3, first 2 shown]
	v_add_u32_e32 v14, 16, v1
	v_add_u32_e32 v11, 20, v1
	;; [unrolled: 1-line block ×4, first 2 shown]
	v_or_b32_e32 v23, 1, v12
	v_or_b32_e32 v22, 2, v12
	;; [unrolled: 1-line block ×7, first 2 shown]
	s_cmp_eq_u32 s12, 1
	s_mov_b32 s16, 0
	s_cbranch_scc1 .LBB504_69
; %bb.35:
	v_ashrrev_i32_e32 v1, 31, v0
	s_waitcnt lgkmcnt(0)
	v_lshl_add_u64 v[4:5], v[0:1], 2, s[14:15]
	s_and_b32 s16, s12, 0x7ffffffe
	v_lshl_add_u64 v[4:5], v[4:5], 0, 4
	v_lshl_add_u64 v[6:7], v[2:3], 0, 8
	s_mov_b32 s13, 0
	s_branch .LBB504_37
.LBB504_36:                             ;   in Loop: Header=BB504_37 Depth=1
	s_or_b64 exec, exec, s[0:1]
	s_add_i32 s13, s13, 2
	v_lshl_add_u64 v[4:5], v[4:5], 0, 8
	s_cmp_eq_u32 s16, s13
	v_lshl_add_u64 v[6:7], v[6:7], 0, 16
	s_cbranch_scc1 .LBB504_69
.LBB504_37:                             ; =>This Inner Loop Header: Depth=1
	global_load_dword v24, v[6:7], off offset:-8
	v_mov_b32_e32 v1, 0
	s_waitcnt vmcnt(0)
	v_cmp_eq_u32_e32 vcc, v12, v24
	v_cmp_ne_u32_e64 s[0:1], v12, v24
	s_and_saveexec_b64 s[18:19], s[0:1]
	s_cbranch_execz .LBB504_51
; %bb.38:                               ;   in Loop: Header=BB504_37 Depth=1
	v_cmp_eq_u32_e64 s[0:1], v23, v24
	v_cmp_ne_u32_e64 s[2:3], v23, v24
	v_mov_b32_e32 v1, v20
	s_and_saveexec_b64 s[20:21], s[2:3]
	s_cbranch_execz .LBB504_50
; %bb.39:                               ;   in Loop: Header=BB504_37 Depth=1
	v_cmp_eq_u32_e64 s[2:3], v22, v24
	v_cmp_ne_u32_e64 s[4:5], v22, v24
	v_mov_b32_e32 v1, v18
	;; [unrolled: 6-line block ×6, first 2 shown]
	s_and_saveexec_b64 s[34:35], s[10:11]
	s_xor_b64 s[34:35], exec, s[34:35]
; %bb.44:                               ;   in Loop: Header=BB504_37 Depth=1
	v_cmp_eq_u32_e64 s[10:11], v13, v24
	s_andn2_b64 s[30:31], s[30:31], exec
	s_and_b64 s[10:11], s[10:11], exec
	s_or_b64 s[30:31], s[30:31], s[10:11]
	v_mov_b32_e32 v1, v10
; %bb.45:                               ;   in Loop: Header=BB504_37 Depth=1
	s_or_b64 exec, exec, s[34:35]
	s_andn2_b64 s[8:9], s[8:9], exec
	s_and_b64 s[10:11], s[30:31], exec
	s_or_b64 s[8:9], s[8:9], s[10:11]
.LBB504_46:                             ;   in Loop: Header=BB504_37 Depth=1
	s_or_b64 exec, exec, s[28:29]
	s_andn2_b64 s[6:7], s[6:7], exec
	s_and_b64 s[8:9], s[8:9], exec
	s_or_b64 s[6:7], s[6:7], s[8:9]
.LBB504_47:                             ;   in Loop: Header=BB504_37 Depth=1
	s_or_b64 exec, exec, s[26:27]
	s_andn2_b64 s[4:5], s[4:5], exec
	s_and_b64 s[6:7], s[6:7], exec
	s_or_b64 s[4:5], s[4:5], s[6:7]
.LBB504_48:                             ;   in Loop: Header=BB504_37 Depth=1
	s_or_b64 exec, exec, s[24:25]
	s_andn2_b64 s[2:3], s[2:3], exec
	s_and_b64 s[4:5], s[4:5], exec
	s_or_b64 s[2:3], s[2:3], s[4:5]
.LBB504_49:                             ;   in Loop: Header=BB504_37 Depth=1
	s_or_b64 exec, exec, s[22:23]
	s_andn2_b64 s[0:1], s[0:1], exec
	s_and_b64 s[2:3], s[2:3], exec
	s_or_b64 s[0:1], s[0:1], s[2:3]
.LBB504_50:                             ;   in Loop: Header=BB504_37 Depth=1
	s_or_b64 exec, exec, s[20:21]
	s_andn2_b64 s[2:3], vcc, exec
	s_and_b64 s[0:1], s[0:1], exec
	s_or_b64 vcc, s[2:3], s[0:1]
.LBB504_51:                             ;   in Loop: Header=BB504_37 Depth=1
	s_or_b64 exec, exec, s[18:19]
	s_and_saveexec_b64 s[0:1], vcc
	s_cbranch_execz .LBB504_53
; %bb.52:                               ;   in Loop: Header=BB504_37 Depth=1
	scratch_load_dword v1, v1, off
	v_add_u32_e32 v24, s13, v0
	v_ashrrev_i32_e32 v25, 31, v24
	v_lshl_add_u64 v[24:25], v[24:25], 2, s[14:15]
	s_waitcnt vmcnt(0)
	v_mul_f32_e32 v1, v8, v1
	global_store_dword v[24:25], v1, off
.LBB504_53:                             ;   in Loop: Header=BB504_37 Depth=1
	s_or_b64 exec, exec, s[0:1]
	global_load_dword v24, v[6:7], off
	v_mov_b32_e32 v1, 0
	s_waitcnt vmcnt(0)
	v_cmp_eq_u32_e64 s[8:9], v12, v24
	v_cmp_ne_u32_e32 vcc, v12, v24
	s_and_saveexec_b64 s[10:11], vcc
	s_cbranch_execz .LBB504_67
; %bb.54:                               ;   in Loop: Header=BB504_37 Depth=1
	v_cmp_eq_u32_e32 vcc, v23, v24
	v_cmp_ne_u32_e64 s[0:1], v23, v24
	v_mov_b32_e32 v1, v20
	s_and_saveexec_b64 s[18:19], s[0:1]
	s_cbranch_execz .LBB504_66
; %bb.55:                               ;   in Loop: Header=BB504_37 Depth=1
	v_cmp_eq_u32_e64 s[0:1], v22, v24
	v_cmp_ne_u32_e64 s[2:3], v22, v24
	v_mov_b32_e32 v1, v18
	s_and_saveexec_b64 s[20:21], s[2:3]
	s_cbranch_execz .LBB504_65
; %bb.56:                               ;   in Loop: Header=BB504_37 Depth=1
	v_cmp_eq_u32_e64 s[2:3], v21, v24
	;; [unrolled: 6-line block ×5, first 2 shown]
	v_cmp_ne_u32_e64 s[6:7], v15, v24
	v_mov_b32_e32 v1, v9
	s_and_saveexec_b64 s[34:35], s[6:7]
; %bb.60:                               ;   in Loop: Header=BB504_37 Depth=1
	v_cmp_eq_u32_e64 s[6:7], v13, v24
	s_andn2_b64 s[30:31], s[30:31], exec
	s_and_b64 s[6:7], s[6:7], exec
	s_or_b64 s[30:31], s[30:31], s[6:7]
	v_mov_b32_e32 v1, v10
; %bb.61:                               ;   in Loop: Header=BB504_37 Depth=1
	s_or_b64 exec, exec, s[34:35]
	s_andn2_b64 s[6:7], s[26:27], exec
	s_and_b64 s[26:27], s[30:31], exec
	s_or_b64 s[26:27], s[6:7], s[26:27]
.LBB504_62:                             ;   in Loop: Header=BB504_37 Depth=1
	s_or_b64 exec, exec, s[28:29]
	s_andn2_b64 s[4:5], s[4:5], exec
	s_and_b64 s[6:7], s[26:27], exec
	s_or_b64 s[4:5], s[4:5], s[6:7]
.LBB504_63:                             ;   in Loop: Header=BB504_37 Depth=1
	s_or_b64 exec, exec, s[24:25]
	s_andn2_b64 s[2:3], s[2:3], exec
	s_and_b64 s[4:5], s[4:5], exec
	s_or_b64 s[2:3], s[2:3], s[4:5]
.LBB504_64:                             ;   in Loop: Header=BB504_37 Depth=1
	s_or_b64 exec, exec, s[22:23]
	s_andn2_b64 s[0:1], s[0:1], exec
	s_and_b64 s[2:3], s[2:3], exec
	s_or_b64 s[0:1], s[0:1], s[2:3]
.LBB504_65:                             ;   in Loop: Header=BB504_37 Depth=1
	s_or_b64 exec, exec, s[20:21]
	s_andn2_b64 s[2:3], vcc, exec
	s_and_b64 s[0:1], s[0:1], exec
	s_or_b64 vcc, s[2:3], s[0:1]
.LBB504_66:                             ;   in Loop: Header=BB504_37 Depth=1
	s_or_b64 exec, exec, s[18:19]
	s_andn2_b64 s[0:1], s[8:9], exec
	s_and_b64 s[2:3], vcc, exec
	s_or_b64 s[8:9], s[0:1], s[2:3]
.LBB504_67:                             ;   in Loop: Header=BB504_37 Depth=1
	s_or_b64 exec, exec, s[10:11]
	s_and_saveexec_b64 s[0:1], s[8:9]
	s_cbranch_execz .LBB504_36
; %bb.68:                               ;   in Loop: Header=BB504_37 Depth=1
	scratch_load_dword v1, v1, off
	s_waitcnt vmcnt(0)
	v_mul_f32_e32 v1, v8, v1
	global_store_dword v[4:5], v1, off
	s_branch .LBB504_36
.LBB504_69:
	s_bitcmp0_b32 s12, 0
	s_mov_b32 s17, 0
	s_cbranch_scc1 .LBB504_31
; %bb.70:
	v_lshl_add_u64 v[2:3], s[16:17], 3, v[2:3]
	global_load_dword v1, v[2:3], off
	v_mov_b32_e32 v2, 0
	s_waitcnt vmcnt(0)
	v_cmp_eq_u32_e64 s[8:9], v12, v1
	v_cmp_ne_u32_e32 vcc, v12, v1
	s_and_saveexec_b64 s[10:11], vcc
	s_cbranch_execz .LBB504_84
; %bb.71:
	v_cmp_eq_u32_e32 vcc, v23, v1
	v_cmp_ne_u32_e64 s[0:1], v23, v1
	s_and_saveexec_b64 s[12:13], s[0:1]
	s_cbranch_execz .LBB504_83
; %bb.72:
	v_cmp_eq_u32_e64 s[0:1], v22, v1
	v_cmp_ne_u32_e64 s[2:3], v22, v1
	s_and_saveexec_b64 s[18:19], s[2:3]
	s_cbranch_execz .LBB504_82
; %bb.73:
	v_cmp_eq_u32_e64 s[2:3], v21, v1
	;; [unrolled: 5-line block ×5, first 2 shown]
	v_cmp_ne_u32_e64 s[6:7], v15, v1
	s_and_saveexec_b64 s[30:31], s[6:7]
; %bb.77:
	v_cmp_eq_u32_e64 s[6:7], v13, v1
	s_andn2_b64 s[28:29], s[28:29], exec
	s_and_b64 s[6:7], s[6:7], exec
	s_or_b64 s[28:29], s[28:29], s[6:7]
	v_mov_b32_e32 v9, v10
; %bb.78:
	s_or_b64 exec, exec, s[30:31]
	s_andn2_b64 s[6:7], s[24:25], exec
	s_and_b64 s[24:25], s[28:29], exec
	s_or_b64 s[24:25], s[6:7], s[24:25]
	v_mov_b32_e32 v11, v9
.LBB504_79:
	s_or_b64 exec, exec, s[26:27]
	s_andn2_b64 s[4:5], s[4:5], exec
	s_and_b64 s[6:7], s[24:25], exec
	s_or_b64 s[4:5], s[4:5], s[6:7]
	v_mov_b32_e32 v14, v11
.LBB504_80:
	s_or_b64 exec, exec, s[22:23]
	s_andn2_b64 s[2:3], s[2:3], exec
	s_and_b64 s[4:5], s[4:5], exec
	s_or_b64 s[2:3], s[2:3], s[4:5]
	v_mov_b32_e32 v16, v14
.LBB504_81:
	s_or_b64 exec, exec, s[20:21]
	s_andn2_b64 s[0:1], s[0:1], exec
	s_and_b64 s[2:3], s[2:3], exec
	s_or_b64 s[0:1], s[0:1], s[2:3]
	v_mov_b32_e32 v18, v16
.LBB504_82:
	s_or_b64 exec, exec, s[18:19]
	s_andn2_b64 s[2:3], vcc, exec
	s_and_b64 s[0:1], s[0:1], exec
	s_or_b64 vcc, s[2:3], s[0:1]
	v_mov_b32_e32 v20, v18
.LBB504_83:
	s_or_b64 exec, exec, s[12:13]
	s_andn2_b64 s[0:1], s[8:9], exec
	s_and_b64 s[2:3], vcc, exec
	s_or_b64 s[8:9], s[0:1], s[2:3]
	v_mov_b32_e32 v2, v20
.LBB504_84:
	s_or_b64 exec, exec, s[10:11]
	s_and_b64 exec, exec, s[8:9]
	s_cbranch_execz .LBB504_31
; %bb.85:
	scratch_load_dword v2, v2, off
	v_add_u32_e32 v0, s16, v0
	v_ashrrev_i32_e32 v1, 31, v0
	s_waitcnt lgkmcnt(0)
	v_lshl_add_u64 v[0:1], v[0:1], 2, s[14:15]
	s_waitcnt vmcnt(0)
	v_mul_f32_e32 v2, v8, v2
	global_store_dword v[0:1], v2, off
	s_endpgm
	.section	.rodata,"a",@progbits
	.p2align	6, 0x0
	.amdhsa_kernel _ZN4vllm3moe22topkGatingSoftplusSqrtILi8ELi64ELi4ELi16ELi64ELb1El14__hip_bfloat16EEvPKT6_PKbPfiPT5_PiiiibdPKfPKS9_SF_
		.amdhsa_group_segment_fixed_size 0
		.amdhsa_private_segment_fixed_size 48
		.amdhsa_kernarg_size 96
		.amdhsa_user_sgpr_count 2
		.amdhsa_user_sgpr_dispatch_ptr 0
		.amdhsa_user_sgpr_queue_ptr 0
		.amdhsa_user_sgpr_kernarg_segment_ptr 1
		.amdhsa_user_sgpr_dispatch_id 0
		.amdhsa_user_sgpr_kernarg_preload_length 0
		.amdhsa_user_sgpr_kernarg_preload_offset 0
		.amdhsa_user_sgpr_private_segment_size 0
		.amdhsa_uses_dynamic_stack 0
		.amdhsa_enable_private_segment 1
		.amdhsa_system_sgpr_workgroup_id_x 1
		.amdhsa_system_sgpr_workgroup_id_y 0
		.amdhsa_system_sgpr_workgroup_id_z 0
		.amdhsa_system_sgpr_workgroup_info 0
		.amdhsa_system_vgpr_workitem_id 1
		.amdhsa_next_free_vgpr 28
		.amdhsa_next_free_sgpr 36
		.amdhsa_accum_offset 28
		.amdhsa_reserve_vcc 1
		.amdhsa_float_round_mode_32 0
		.amdhsa_float_round_mode_16_64 0
		.amdhsa_float_denorm_mode_32 3
		.amdhsa_float_denorm_mode_16_64 3
		.amdhsa_dx10_clamp 1
		.amdhsa_ieee_mode 1
		.amdhsa_fp16_overflow 0
		.amdhsa_tg_split 0
		.amdhsa_exception_fp_ieee_invalid_op 0
		.amdhsa_exception_fp_denorm_src 0
		.amdhsa_exception_fp_ieee_div_zero 0
		.amdhsa_exception_fp_ieee_overflow 0
		.amdhsa_exception_fp_ieee_underflow 0
		.amdhsa_exception_fp_ieee_inexact 0
		.amdhsa_exception_int_div_zero 0
	.end_amdhsa_kernel
	.section	.text._ZN4vllm3moe22topkGatingSoftplusSqrtILi8ELi64ELi4ELi16ELi64ELb1El14__hip_bfloat16EEvPKT6_PKbPfiPT5_PiiiibdPKfPKS9_SF_,"axG",@progbits,_ZN4vllm3moe22topkGatingSoftplusSqrtILi8ELi64ELi4ELi16ELi64ELb1El14__hip_bfloat16EEvPKT6_PKbPfiPT5_PiiiibdPKfPKS9_SF_,comdat
.Lfunc_end504:
	.size	_ZN4vllm3moe22topkGatingSoftplusSqrtILi8ELi64ELi4ELi16ELi64ELb1El14__hip_bfloat16EEvPKT6_PKbPfiPT5_PiiiibdPKfPKS9_SF_, .Lfunc_end504-_ZN4vllm3moe22topkGatingSoftplusSqrtILi8ELi64ELi4ELi16ELi64ELb1El14__hip_bfloat16EEvPKT6_PKbPfiPT5_PiiiibdPKfPKS9_SF_
                                        ; -- End function
	.section	.AMDGPU.csdata,"",@progbits
; Kernel info:
; codeLenInByte = 4568
; NumSgprs: 42
; NumVgprs: 28
; NumAgprs: 0
; TotalNumVgprs: 28
; ScratchSize: 48
; MemoryBound: 0
; FloatMode: 240
; IeeeMode: 1
; LDSByteSize: 0 bytes/workgroup (compile time only)
; SGPRBlocks: 5
; VGPRBlocks: 3
; NumSGPRsForWavesPerEU: 42
; NumVGPRsForWavesPerEU: 28
; AccumOffset: 28
; Occupancy: 8
; WaveLimiterHint : 1
; COMPUTE_PGM_RSRC2:SCRATCH_EN: 1
; COMPUTE_PGM_RSRC2:USER_SGPR: 2
; COMPUTE_PGM_RSRC2:TRAP_HANDLER: 0
; COMPUTE_PGM_RSRC2:TGID_X_EN: 1
; COMPUTE_PGM_RSRC2:TGID_Y_EN: 0
; COMPUTE_PGM_RSRC2:TGID_Z_EN: 0
; COMPUTE_PGM_RSRC2:TIDIG_COMP_CNT: 1
; COMPUTE_PGM_RSRC3_GFX90A:ACCUM_OFFSET: 6
; COMPUTE_PGM_RSRC3_GFX90A:TG_SPLIT: 0
	.section	.text._ZN4vllm3moe22topkGatingSoftplusSqrtILi8ELi64ELi4ELi16ELi64ELb0El14__hip_bfloat16EEvPKT6_PKbPfiPT5_PiiiibdPKfPKS9_SF_,"axG",@progbits,_ZN4vllm3moe22topkGatingSoftplusSqrtILi8ELi64ELi4ELi16ELi64ELb0El14__hip_bfloat16EEvPKT6_PKbPfiPT5_PiiiibdPKfPKS9_SF_,comdat
	.protected	_ZN4vllm3moe22topkGatingSoftplusSqrtILi8ELi64ELi4ELi16ELi64ELb0El14__hip_bfloat16EEvPKT6_PKbPfiPT5_PiiiibdPKfPKS9_SF_ ; -- Begin function _ZN4vllm3moe22topkGatingSoftplusSqrtILi8ELi64ELi4ELi16ELi64ELb0El14__hip_bfloat16EEvPKT6_PKbPfiPT5_PiiiibdPKfPKS9_SF_
	.globl	_ZN4vllm3moe22topkGatingSoftplusSqrtILi8ELi64ELi4ELi16ELi64ELb0El14__hip_bfloat16EEvPKT6_PKbPfiPT5_PiiiibdPKfPKS9_SF_
	.p2align	8
	.type	_ZN4vllm3moe22topkGatingSoftplusSqrtILi8ELi64ELi4ELi16ELi64ELb0El14__hip_bfloat16EEvPKT6_PKbPfiPT5_PiiiibdPKfPKS9_SF_,@function
_ZN4vllm3moe22topkGatingSoftplusSqrtILi8ELi64ELi4ELi16ELi64ELb0El14__hip_bfloat16EEvPKT6_PKbPfiPT5_PiiiibdPKfPKS9_SF_: ; @_ZN4vllm3moe22topkGatingSoftplusSqrtILi8ELi64ELi4ELi16ELi64ELb0El14__hip_bfloat16EEvPKT6_PKbPfiPT5_PiiiibdPKfPKS9_SF_
; %bb.0:
	s_load_dword s33, s[0:1], 0x18
	v_bfe_u32 v1, v0, 10, 10
	v_and_b32_e32 v0, 0x3ff, v0
	s_lshl_b32 s2, s2, 5
	v_lshlrev_b32_e32 v1, 3, v1
	v_lshrrev_b32_e32 v2, 3, v0
	v_add3_u32 v8, s2, v1, v2
	s_waitcnt lgkmcnt(0)
	v_cmp_gt_i32_e32 vcc, s33, v8
	s_and_saveexec_b64 s[2:3], vcc
	s_cbranch_execz .LBB505_57
; %bb.1:
	s_load_dwordx4 s[4:7], s[0:1], 0x0
	s_load_dwordx2 s[34:35], s[0:1], 0x10
	s_waitcnt lgkmcnt(0)
	s_cmp_eq_u64 s[6:7], 0
	s_cbranch_scc1 .LBB505_3
; %bb.2:
	v_ashrrev_i32_e32 v9, 31, v8
	v_lshl_add_u64 v[2:3], s[6:7], 0, v[8:9]
	global_load_ubyte v1, v[2:3], off
	s_waitcnt vmcnt(0)
	v_and_b32_e32 v1, 1, v1
	v_cmp_eq_u32_e32 vcc, 1, v1
	s_xor_b64 s[2:3], vcc, -1
	s_orn2_b64 s[36:37], s[2:3], exec
	s_branch .LBB505_4
.LBB505_3:
	s_mov_b64 s[36:37], -1
.LBB505_4:
	v_lshlrev_b32_e32 v4, 6, v8
	v_mov_b32_e32 v2, s4
	v_mov_b32_e32 v3, s5
	v_ashrrev_i32_e32 v5, 31, v4
	v_and_b32_e32 v9, 7, v0
	v_lshl_add_u64 v[2:3], v[4:5], 1, v[2:3]
	v_mov_b32_e32 v1, 0
	v_lshlrev_b32_e32 v0, 4, v9
	v_lshl_add_u64 v[0:1], v[2:3], 0, v[0:1]
	global_load_dwordx4 v[4:7], v[0:1], off
	s_mov_b32 s12, 0x800000
	v_mov_b32_e32 v2, 0x4f800000
	s_mov_b32 s9, 0x3f317217
	s_mov_b32 s10, 0x7f800000
	v_mov_b32_e32 v3, 0x41b17218
	s_mov_b32 s8, 0x41a00000
	s_mov_b32 s11, 0xf800000
	s_load_dwordx4 s[20:23], s[0:1], 0x40
	v_lshlrev_b32_e32 v12, 3, v9
	s_waitcnt lgkmcnt(0)
	s_cmp_lg_u64 s[22:23], 0
	s_cselect_b64 s[6:7], -1, 0
	s_and_b64 s[2:3], exec, s[6:7]
	s_waitcnt vmcnt(0)
	v_lshlrev_b32_e32 v0, 16, v4
	v_mul_f32_e32 v1, 0x3fb8aa3b, v0
	v_exp_f32_e32 v10, v1
	v_mov_b32_e32 v1, 0x260
	v_add_f32_e32 v10, 1.0, v10
	v_cmp_gt_f32_e32 vcc, s12, v10
	s_nop 1
	v_cndmask_b32_e32 v11, 1.0, v2, vcc
	v_mul_f32_e32 v10, v10, v11
	v_log_f32_e32 v11, v10
	v_cndmask_b32_e32 v13, 0, v3, vcc
	v_lshlrev_b32_e32 v10, 2, v12
	v_mul_f32_e32 v14, 0x3f317217, v11
	v_fma_f32 v14, v11, s9, -v14
	v_fmac_f32_e32 v14, 0x3377d1cf, v11
	v_fmac_f32_e32 v14, 0x3f317217, v11
	v_cmp_lt_f32_e64 vcc, |v11|, s10
	s_nop 1
	v_cndmask_b32_e32 v11, v11, v14, vcc
	v_sub_f32_e32 v11, v11, v13
	v_cmp_lt_f32_e32 vcc, s8, v0
	s_nop 1
	v_cndmask_b32_e32 v0, v11, v0, vcc
	v_mul_f32_e32 v11, 0x4f800000, v0
	v_cmp_gt_f32_e32 vcc, s11, v0
	s_nop 1
	v_cndmask_b32_e32 v0, v0, v11, vcc
	v_sqrt_f32_e32 v11, v0
	s_nop 0
	v_add_u32_e32 v13, -1, v11
	v_add_u32_e32 v14, 1, v11
	v_fma_f32 v15, -v13, v11, v0
	v_fma_f32 v16, -v14, v11, v0
	v_cmp_ge_f32_e64 s[4:5], 0, v15
	s_nop 1
	v_cndmask_b32_e64 v11, v11, v13, s[4:5]
	v_cmp_lt_f32_e64 s[4:5], 0, v16
	s_nop 1
	v_cndmask_b32_e64 v11, v11, v14, s[4:5]
	v_mul_f32_e32 v13, 0x37800000, v11
	v_cndmask_b32_e32 v11, v11, v13, vcc
	v_cmp_class_f32_e32 vcc, v0, v1
	s_nop 1
	v_cndmask_b32_e32 v0, v11, v0, vcc
	s_mov_b64 vcc, s[2:3]
	s_cbranch_vccz .LBB505_6
; %bb.5:
	global_load_dword v11, v10, s[22:23]
	s_waitcnt vmcnt(0)
	v_add_f32_e32 v0, v0, v11
.LBB505_6:
	v_and_b32_e32 v4, 0xffff0000, v4
	v_mul_f32_e32 v11, 0x3fb8aa3b, v4
	v_exp_f32_e32 v11, v11
	s_nop 0
	v_add_f32_e32 v11, 1.0, v11
	v_cmp_gt_f32_e32 vcc, s12, v11
	s_nop 1
	v_cndmask_b32_e32 v2, 1.0, v2, vcc
	v_mul_f32_e32 v2, v11, v2
	v_log_f32_e32 v2, v2
	v_cndmask_b32_e32 v3, 0, v3, vcc
	v_mul_f32_e32 v11, 0x3f317217, v2
	v_fma_f32 v11, v2, s9, -v11
	v_fmac_f32_e32 v11, 0x3377d1cf, v2
	v_fmac_f32_e32 v11, 0x3f317217, v2
	v_cmp_lt_f32_e64 vcc, |v2|, s10
	s_nop 1
	v_cndmask_b32_e32 v2, v2, v11, vcc
	v_sub_f32_e32 v2, v2, v3
	v_cmp_lt_f32_e32 vcc, s8, v4
	s_nop 1
	v_cndmask_b32_e32 v2, v2, v4, vcc
	v_mul_f32_e32 v3, 0x4f800000, v2
	v_cmp_gt_f32_e32 vcc, s11, v2
	s_nop 1
	v_cndmask_b32_e32 v2, v2, v3, vcc
	v_sqrt_f32_e32 v3, v2
	v_cmp_class_f32_e64 s[4:5], v2, v1
	v_add_u32_e32 v4, -1, v3
	v_add_u32_e32 v11, 1, v3
	v_fma_f32 v13, -v4, v3, v2
	v_fma_f32 v14, -v11, v3, v2
	v_cmp_ge_f32_e64 s[2:3], 0, v13
	s_nop 1
	v_cndmask_b32_e64 v3, v3, v4, s[2:3]
	v_cmp_lt_f32_e64 s[2:3], 0, v14
	s_nop 1
	v_cndmask_b32_e64 v3, v3, v11, s[2:3]
	v_mul_f32_e32 v4, 0x37800000, v3
	v_cndmask_b32_e32 v3, v3, v4, vcc
	v_cndmask_b32_e64 v4, 0, 1, s[6:7]
	v_cmp_ne_u32_e64 s[2:3], 1, v4
	s_andn2_b64 vcc, exec, s[6:7]
	v_cndmask_b32_e64 v1, v3, v2, s[4:5]
	s_cbranch_vccnz .LBB505_8
; %bb.7:
	global_load_dword v2, v10, s[22:23] offset:4
	s_waitcnt vmcnt(0)
	v_add_f32_e32 v1, v1, v2
.LBB505_8:
	v_lshlrev_b32_e32 v2, 16, v5
	v_mul_f32_e32 v3, 0x3fb8aa3b, v2
	v_exp_f32_e32 v3, v3
	s_mov_b32 s10, 0x800000
	v_mov_b32_e32 v4, 0x4f800000
	s_mov_b32 s7, 0x3f317217
	v_add_f32_e32 v3, 1.0, v3
	v_cmp_gt_f32_e32 vcc, s10, v3
	s_mov_b32 s8, 0x7f800000
	s_mov_b32 s6, 0x41a00000
	v_cndmask_b32_e32 v11, 1.0, v4, vcc
	v_mul_f32_e32 v3, v3, v11
	v_log_f32_e32 v3, v3
	s_mov_b32 s9, 0xf800000
	v_mul_f32_e32 v11, 0x3f317217, v3
	v_fma_f32 v11, v3, s7, -v11
	v_fmac_f32_e32 v11, 0x3377d1cf, v3
	v_fmac_f32_e32 v11, 0x3f317217, v3
	v_cmp_lt_f32_e64 s[4:5], |v3|, s8
	s_nop 1
	v_cndmask_b32_e64 v3, v3, v11, s[4:5]
	v_mov_b32_e32 v11, 0x41b17218
	v_cndmask_b32_e32 v13, 0, v11, vcc
	v_sub_f32_e32 v3, v3, v13
	v_cmp_lt_f32_e32 vcc, s6, v2
	s_nop 1
	v_cndmask_b32_e32 v2, v3, v2, vcc
	v_mul_f32_e32 v3, 0x4f800000, v2
	v_cmp_gt_f32_e32 vcc, s9, v2
	s_nop 1
	v_cndmask_b32_e32 v2, v2, v3, vcc
	v_sqrt_f32_e32 v3, v2
	s_nop 0
	v_add_u32_e32 v13, -1, v3
	v_fma_f32 v14, -v13, v3, v2
	v_cmp_ge_f32_e64 s[4:5], 0, v14
	v_add_u32_e32 v14, 1, v3
	s_nop 0
	v_cndmask_b32_e64 v13, v3, v13, s[4:5]
	v_fma_f32 v3, -v14, v3, v2
	v_cmp_lt_f32_e64 s[4:5], 0, v3
	s_nop 1
	v_cndmask_b32_e64 v3, v13, v14, s[4:5]
	v_mul_f32_e32 v13, 0x37800000, v3
	v_cndmask_b32_e32 v13, v3, v13, vcc
	v_mov_b32_e32 v3, 0x260
	v_cmp_class_f32_e64 s[4:5], v2, v3
	s_and_b64 vcc, exec, s[2:3]
	s_nop 0
	v_cndmask_b32_e64 v2, v13, v2, s[4:5]
	s_cbranch_vccnz .LBB505_10
; %bb.9:
	global_load_dword v13, v10, s[22:23] offset:8
	s_waitcnt vmcnt(0)
	v_add_f32_e32 v2, v2, v13
.LBB505_10:
	v_and_b32_e32 v5, 0xffff0000, v5
	v_mul_f32_e32 v13, 0x3fb8aa3b, v5
	v_exp_f32_e32 v13, v13
	s_nop 0
	v_add_f32_e32 v13, 1.0, v13
	v_cmp_gt_f32_e32 vcc, s10, v13
	s_nop 1
	v_cndmask_b32_e32 v4, 1.0, v4, vcc
	v_mul_f32_e32 v4, v13, v4
	v_log_f32_e32 v4, v4
	v_cndmask_b32_e32 v11, 0, v11, vcc
	v_mul_f32_e32 v13, 0x3f317217, v4
	v_fma_f32 v13, v4, s7, -v13
	v_fmac_f32_e32 v13, 0x3377d1cf, v4
	v_fmac_f32_e32 v13, 0x3f317217, v4
	v_cmp_lt_f32_e64 vcc, |v4|, s8
	s_nop 1
	v_cndmask_b32_e32 v4, v4, v13, vcc
	v_sub_f32_e32 v4, v4, v11
	v_cmp_lt_f32_e32 vcc, s6, v5
	s_nop 1
	v_cndmask_b32_e32 v4, v4, v5, vcc
	v_mul_f32_e32 v5, 0x4f800000, v4
	v_cmp_gt_f32_e32 vcc, s9, v4
	s_nop 1
	v_cndmask_b32_e32 v4, v4, v5, vcc
	v_sqrt_f32_e32 v5, v4
	s_nop 0
	v_add_u32_e32 v11, -1, v5
	v_add_u32_e32 v13, 1, v5
	v_fma_f32 v14, -v11, v5, v4
	v_fma_f32 v15, -v13, v5, v4
	v_cmp_ge_f32_e64 s[4:5], 0, v14
	s_nop 1
	v_cndmask_b32_e64 v5, v5, v11, s[4:5]
	v_cmp_lt_f32_e64 s[4:5], 0, v15
	s_nop 1
	v_cndmask_b32_e64 v5, v5, v13, s[4:5]
	v_mul_f32_e32 v11, 0x37800000, v5
	v_cndmask_b32_e32 v5, v5, v11, vcc
	v_cmp_class_f32_e64 s[4:5], v4, v3
	s_and_b64 vcc, exec, s[2:3]
	s_nop 0
	v_cndmask_b32_e64 v3, v5, v4, s[4:5]
	s_cbranch_vccnz .LBB505_12
; %bb.11:
	global_load_dword v4, v10, s[22:23] offset:12
	s_waitcnt vmcnt(0)
	v_add_f32_e32 v3, v3, v4
.LBB505_12:
	v_lshlrev_b32_e32 v4, 16, v6
	v_mul_f32_e32 v5, 0x3fb8aa3b, v4
	v_exp_f32_e32 v5, v5
	v_mov_b32_e32 v11, 0x4f800000
	v_add_f32_e32 v5, 1.0, v5
	v_cmp_gt_f32_e32 vcc, s10, v5
	s_nop 1
	v_cndmask_b32_e32 v13, 1.0, v11, vcc
	v_mul_f32_e32 v5, v5, v13
	v_log_f32_e32 v5, v5
	s_nop 0
	v_mul_f32_e32 v13, 0x3f317217, v5
	v_fma_f32 v13, v5, s7, -v13
	v_fmac_f32_e32 v13, 0x3377d1cf, v5
	v_fmac_f32_e32 v13, 0x3f317217, v5
	v_cmp_lt_f32_e64 s[4:5], |v5|, s8
	s_nop 1
	v_cndmask_b32_e64 v5, v5, v13, s[4:5]
	v_mov_b32_e32 v13, 0x41b17218
	v_cndmask_b32_e32 v14, 0, v13, vcc
	v_sub_f32_e32 v5, v5, v14
	v_cmp_lt_f32_e32 vcc, s6, v4
	s_nop 1
	v_cndmask_b32_e32 v4, v5, v4, vcc
	v_mul_f32_e32 v5, 0x4f800000, v4
	v_cmp_gt_f32_e32 vcc, s9, v4
	s_nop 1
	v_cndmask_b32_e32 v4, v4, v5, vcc
	v_sqrt_f32_e32 v5, v4
	s_nop 0
	v_add_u32_e32 v14, -1, v5
	v_fma_f32 v15, -v14, v5, v4
	v_cmp_ge_f32_e64 s[4:5], 0, v15
	v_add_u32_e32 v15, 1, v5
	s_nop 0
	v_cndmask_b32_e64 v14, v5, v14, s[4:5]
	v_fma_f32 v5, -v15, v5, v4
	v_cmp_lt_f32_e64 s[4:5], 0, v5
	s_nop 1
	v_cndmask_b32_e64 v5, v14, v15, s[4:5]
	v_mul_f32_e32 v14, 0x37800000, v5
	v_cndmask_b32_e32 v14, v5, v14, vcc
	v_mov_b32_e32 v5, 0x260
	v_cmp_class_f32_e64 s[4:5], v4, v5
	s_and_b64 vcc, exec, s[2:3]
	s_nop 0
	v_cndmask_b32_e64 v4, v14, v4, s[4:5]
	s_cbranch_vccnz .LBB505_14
; %bb.13:
	global_load_dword v14, v10, s[22:23] offset:16
	s_waitcnt vmcnt(0)
	v_add_f32_e32 v4, v4, v14
.LBB505_14:
	v_and_b32_e32 v6, 0xffff0000, v6
	v_mul_f32_e32 v14, 0x3fb8aa3b, v6
	v_exp_f32_e32 v14, v14
	s_nop 0
	v_add_f32_e32 v14, 1.0, v14
	v_cmp_gt_f32_e32 vcc, s10, v14
	s_nop 1
	v_cndmask_b32_e32 v11, 1.0, v11, vcc
	v_mul_f32_e32 v11, v14, v11
	v_log_f32_e32 v11, v11
	v_cndmask_b32_e32 v13, 0, v13, vcc
	v_mul_f32_e32 v14, 0x3f317217, v11
	v_fma_f32 v14, v11, s7, -v14
	v_fmac_f32_e32 v14, 0x3377d1cf, v11
	v_fmac_f32_e32 v14, 0x3f317217, v11
	v_cmp_lt_f32_e64 vcc, |v11|, s8
	s_nop 1
	v_cndmask_b32_e32 v11, v11, v14, vcc
	v_sub_f32_e32 v11, v11, v13
	v_cmp_lt_f32_e32 vcc, s6, v6
	s_nop 1
	v_cndmask_b32_e32 v6, v11, v6, vcc
	v_mul_f32_e32 v11, 0x4f800000, v6
	v_cmp_gt_f32_e32 vcc, s9, v6
	s_nop 1
	v_cndmask_b32_e32 v6, v6, v11, vcc
	v_sqrt_f32_e32 v11, v6
	s_nop 0
	v_add_u32_e32 v13, -1, v11
	v_add_u32_e32 v14, 1, v11
	v_fma_f32 v15, -v13, v11, v6
	v_fma_f32 v16, -v14, v11, v6
	v_cmp_ge_f32_e64 s[4:5], 0, v15
	s_nop 1
	v_cndmask_b32_e64 v11, v11, v13, s[4:5]
	v_cmp_lt_f32_e64 s[4:5], 0, v16
	s_nop 1
	v_cndmask_b32_e64 v11, v11, v14, s[4:5]
	v_mul_f32_e32 v13, 0x37800000, v11
	v_cndmask_b32_e32 v11, v11, v13, vcc
	v_cmp_class_f32_e64 s[4:5], v6, v5
	s_and_b64 vcc, exec, s[2:3]
	s_nop 0
	v_cndmask_b32_e64 v5, v11, v6, s[4:5]
	s_cbranch_vccnz .LBB505_16
; %bb.15:
	global_load_dword v6, v10, s[22:23] offset:20
	s_waitcnt vmcnt(0)
	v_add_f32_e32 v5, v5, v6
.LBB505_16:
	v_lshlrev_b32_e32 v6, 16, v7
	v_mul_f32_e32 v11, 0x3fb8aa3b, v6
	v_exp_f32_e32 v11, v11
	v_mov_b32_e32 v13, 0x4f800000
	v_add_f32_e32 v11, 1.0, v11
	v_cmp_gt_f32_e32 vcc, s10, v11
	s_nop 1
	v_cndmask_b32_e32 v14, 1.0, v13, vcc
	v_mul_f32_e32 v11, v11, v14
	v_log_f32_e32 v11, v11
	s_nop 0
	v_mul_f32_e32 v14, 0x3f317217, v11
	v_fma_f32 v14, v11, s7, -v14
	v_fmac_f32_e32 v14, 0x3377d1cf, v11
	v_fmac_f32_e32 v14, 0x3f317217, v11
	v_cmp_lt_f32_e64 s[4:5], |v11|, s8
	s_nop 1
	v_cndmask_b32_e64 v11, v11, v14, s[4:5]
	v_mov_b32_e32 v14, 0x41b17218
	v_cndmask_b32_e32 v15, 0, v14, vcc
	v_sub_f32_e32 v11, v11, v15
	v_cmp_lt_f32_e32 vcc, s6, v6
	s_nop 1
	v_cndmask_b32_e32 v6, v11, v6, vcc
	v_mul_f32_e32 v11, 0x4f800000, v6
	v_cmp_gt_f32_e32 vcc, s9, v6
	s_nop 1
	v_cndmask_b32_e32 v6, v6, v11, vcc
	v_sqrt_f32_e32 v11, v6
	s_nop 0
	v_add_u32_e32 v15, -1, v11
	v_fma_f32 v16, -v15, v11, v6
	v_cmp_ge_f32_e64 s[4:5], 0, v16
	v_add_u32_e32 v16, 1, v11
	s_nop 0
	v_cndmask_b32_e64 v15, v11, v15, s[4:5]
	v_fma_f32 v11, -v16, v11, v6
	v_cmp_lt_f32_e64 s[4:5], 0, v11
	s_nop 1
	v_cndmask_b32_e64 v11, v15, v16, s[4:5]
	v_mul_f32_e32 v15, 0x37800000, v11
	v_cndmask_b32_e32 v15, v11, v15, vcc
	v_mov_b32_e32 v11, 0x260
	v_cmp_class_f32_e64 s[4:5], v6, v11
	s_and_b64 vcc, exec, s[2:3]
	s_nop 0
	v_cndmask_b32_e64 v6, v15, v6, s[4:5]
	s_cbranch_vccnz .LBB505_18
; %bb.17:
	global_load_dword v15, v10, s[22:23] offset:24
	s_waitcnt vmcnt(0)
	v_add_f32_e32 v6, v6, v15
.LBB505_18:
	v_and_b32_e32 v7, 0xffff0000, v7
	v_mul_f32_e32 v15, 0x3fb8aa3b, v7
	v_exp_f32_e32 v15, v15
	s_nop 0
	v_add_f32_e32 v15, 1.0, v15
	v_cmp_gt_f32_e32 vcc, s10, v15
	s_nop 1
	v_cndmask_b32_e32 v13, 1.0, v13, vcc
	v_mul_f32_e32 v13, v15, v13
	v_log_f32_e32 v13, v13
	v_cndmask_b32_e32 v14, 0, v14, vcc
	v_mul_f32_e32 v15, 0x3f317217, v13
	v_fma_f32 v15, v13, s7, -v15
	v_fmac_f32_e32 v15, 0x3377d1cf, v13
	v_fmac_f32_e32 v15, 0x3f317217, v13
	v_cmp_lt_f32_e64 vcc, |v13|, s8
	s_nop 1
	v_cndmask_b32_e32 v13, v13, v15, vcc
	v_sub_f32_e32 v13, v13, v14
	v_cmp_lt_f32_e32 vcc, s6, v7
	s_nop 1
	v_cndmask_b32_e32 v7, v13, v7, vcc
	v_mul_f32_e32 v13, 0x4f800000, v7
	v_cmp_gt_f32_e32 vcc, s9, v7
	s_nop 1
	v_cndmask_b32_e32 v7, v7, v13, vcc
	v_sqrt_f32_e32 v13, v7
	s_nop 0
	v_add_u32_e32 v14, -1, v13
	v_add_u32_e32 v15, 1, v13
	v_fma_f32 v16, -v14, v13, v7
	v_fma_f32 v17, -v15, v13, v7
	v_cmp_ge_f32_e64 s[4:5], 0, v16
	s_nop 1
	v_cndmask_b32_e64 v13, v13, v14, s[4:5]
	v_cmp_lt_f32_e64 s[4:5], 0, v17
	s_nop 1
	v_cndmask_b32_e64 v13, v13, v15, s[4:5]
	v_mul_f32_e32 v14, 0x37800000, v13
	v_cndmask_b32_e32 v13, v13, v14, vcc
	v_cmp_class_f32_e64 s[4:5], v7, v11
	s_and_b64 vcc, exec, s[2:3]
	s_nop 0
	v_cndmask_b32_e64 v7, v13, v7, s[4:5]
	s_cbranch_vccnz .LBB505_20
; %bb.19:
	global_load_dword v10, v10, s[22:23] offset:28
	s_waitcnt vmcnt(0)
	v_add_f32_e32 v7, v7, v10
.LBB505_20:
	s_load_dwordx4 s[24:27], s[0:1], 0x30
	s_mov_b32 s42, 0
	v_cmp_eq_u32_e64 s[6:7], 0, v9
	s_waitcnt lgkmcnt(0)
	s_bitcmp1_b32 s27, 0
	s_cselect_b64 s[4:5], -1, 0
	s_cmp_gt_i32 s24, 0
	s_cselect_b64 s[38:39], -1, 0
	s_and_b64 vcc, exec, s[38:39]
	s_cbranch_vccz .LBB505_43
; %bb.21:
	v_mbcnt_lo_u32_b32 v10, -1, 0
	v_mbcnt_hi_u32_b32 v10, -1, v10
	v_and_b32_e32 v11, 0x78, v10
	v_add_u32_e32 v11, 8, v11
	v_xor_b32_e32 v13, 4, v10
	v_cmp_lt_i32_e32 vcc, v13, v11
	s_load_dwordx4 s[28:31], s[0:1], 0x20
	v_mul_lo_u32 v14, v8, s24
	v_cndmask_b32_e32 v13, v10, v13, vcc
	v_lshlrev_b32_e32 v15, 2, v13
	v_xor_b32_e32 v13, 2, v10
	v_cmp_lt_i32_e32 vcc, v13, v11
	v_mov_b32_e32 v18, 0xc61c4000
	v_mov_b32_e32 v19, v8
	v_cndmask_b32_e32 v13, v10, v13, vcc
	v_lshlrev_b32_e32 v16, 2, v13
	v_xor_b32_e32 v13, 1, v10
	v_cmp_lt_i32_e32 vcc, v13, v11
	s_nop 1
	v_cndmask_b32_e32 v10, v10, v13, vcc
	v_lshlrev_b32_e32 v17, 2, v10
	v_mov_b32_e32 v13, 0
	s_branch .LBB505_24
.LBB505_22:                             ;   in Loop: Header=BB505_24 Depth=1
	s_or_b64 exec, exec, s[40:41]
.LBB505_23:                             ;   in Loop: Header=BB505_24 Depth=1
	s_cmp_eq_u32 s24, s42
	v_add_u32_e32 v19, s33, v19
	s_cbranch_scc1 .LBB505_44
.LBB505_24:                             ; =>This Inner Loop Header: Depth=1
	v_cmp_gt_f32_e32 vcc, v1, v0
	s_nop 1
	v_cndmask_b32_e32 v11, v0, v1, vcc
	v_cndmask_b32_e64 v10, 0, 1, vcc
	v_cmp_gt_f32_e32 vcc, v2, v11
	s_nop 1
	v_cndmask_b32_e32 v11, v11, v2, vcc
	v_cndmask_b32_e64 v10, v10, 2, vcc
	;; [unrolled: 4-line block ×6, first 2 shown]
	v_cmp_gt_f32_e32 vcc, v7, v11
	s_nop 1
	v_cndmask_b32_e64 v10, v10, 7, vcc
	v_cndmask_b32_e32 v20, v11, v7, vcc
	ds_bpermute_b32 v11, v15, v20
	v_or_b32_e32 v10, v12, v10
	s_waitcnt lgkmcnt(0)
	ds_bpermute_b32 v21, v15, v10
	s_waitcnt lgkmcnt(0)
	v_cmp_lt_f32_e64 s[8:9], v20, v11
	v_cmp_nlt_f32_e32 vcc, v20, v11
	s_and_saveexec_b64 s[10:11], vcc
; %bb.25:                               ;   in Loop: Header=BB505_24 Depth=1
	v_cmp_eq_f32_e32 vcc, v20, v11
	v_cmp_lt_i32_e64 s[0:1], v21, v10
	s_and_b64 s[0:1], vcc, s[0:1]
	s_andn2_b64 s[8:9], s[8:9], exec
	s_and_b64 s[0:1], s[0:1], exec
	s_or_b64 s[8:9], s[8:9], s[0:1]
; %bb.26:                               ;   in Loop: Header=BB505_24 Depth=1
	s_or_b64 exec, exec, s[10:11]
	s_and_saveexec_b64 s[0:1], s[8:9]
; %bb.27:                               ;   in Loop: Header=BB505_24 Depth=1
	v_mov_b32_e32 v20, v11
	v_mov_b32_e32 v10, v21
; %bb.28:                               ;   in Loop: Header=BB505_24 Depth=1
	s_or_b64 exec, exec, s[0:1]
	ds_bpermute_b32 v11, v16, v20
	ds_bpermute_b32 v21, v16, v10
	s_waitcnt lgkmcnt(1)
	v_cmp_lt_f32_e64 s[8:9], v20, v11
	v_cmp_nlt_f32_e32 vcc, v20, v11
	s_and_saveexec_b64 s[10:11], vcc
	s_cbranch_execz .LBB505_30
; %bb.29:                               ;   in Loop: Header=BB505_24 Depth=1
	v_cmp_eq_f32_e32 vcc, v20, v11
	s_waitcnt lgkmcnt(0)
	v_cmp_lt_i32_e64 s[0:1], v21, v10
	s_and_b64 s[0:1], vcc, s[0:1]
	s_andn2_b64 s[8:9], s[8:9], exec
	s_and_b64 s[0:1], s[0:1], exec
	s_or_b64 s[8:9], s[8:9], s[0:1]
.LBB505_30:                             ;   in Loop: Header=BB505_24 Depth=1
	s_or_b64 exec, exec, s[10:11]
	s_and_saveexec_b64 s[0:1], s[8:9]
	s_cbranch_execz .LBB505_32
; %bb.31:                               ;   in Loop: Header=BB505_24 Depth=1
	v_mov_b32_e32 v20, v11
	s_waitcnt lgkmcnt(0)
	v_mov_b32_e32 v10, v21
.LBB505_32:                             ;   in Loop: Header=BB505_24 Depth=1
	s_or_b64 exec, exec, s[0:1]
	ds_bpermute_b32 v11, v17, v20
	s_waitcnt lgkmcnt(1)
	ds_bpermute_b32 v21, v17, v10
	s_waitcnt lgkmcnt(1)
	v_cmp_lt_f32_e64 s[8:9], v20, v11
	v_cmp_nlt_f32_e32 vcc, v20, v11
	s_and_saveexec_b64 s[10:11], vcc
	s_cbranch_execnz .LBB505_36
; %bb.33:                               ;   in Loop: Header=BB505_24 Depth=1
	s_or_b64 exec, exec, s[10:11]
	s_and_saveexec_b64 s[0:1], s[8:9]
	s_cbranch_execnz .LBB505_37
.LBB505_34:                             ;   in Loop: Header=BB505_24 Depth=1
	s_or_b64 exec, exec, s[0:1]
	s_and_saveexec_b64 s[8:9], s[6:7]
	s_cbranch_execnz .LBB505_38
.LBB505_35:                             ;   in Loop: Header=BB505_24 Depth=1
	s_or_b64 exec, exec, s[8:9]
	s_add_i32 s42, s42, 1
	s_cmp_ge_i32 s42, s24
	s_cbranch_scc1 .LBB505_23
	s_branch .LBB505_41
.LBB505_36:                             ;   in Loop: Header=BB505_24 Depth=1
	v_cmp_eq_f32_e32 vcc, v20, v11
	s_waitcnt lgkmcnt(0)
	v_cmp_lt_i32_e64 s[0:1], v21, v10
	s_and_b64 s[0:1], vcc, s[0:1]
	s_andn2_b64 s[8:9], s[8:9], exec
	s_and_b64 s[0:1], s[0:1], exec
	s_or_b64 s[8:9], s[8:9], s[0:1]
	s_or_b64 exec, exec, s[10:11]
	s_and_saveexec_b64 s[0:1], s[8:9]
	s_cbranch_execz .LBB505_34
.LBB505_37:                             ;   in Loop: Header=BB505_24 Depth=1
	s_waitcnt lgkmcnt(0)
	v_mov_b32_e32 v10, v21
	v_mov_b32_e32 v20, v11
	s_or_b64 exec, exec, s[0:1]
	s_and_saveexec_b64 s[8:9], s[6:7]
	s_cbranch_execz .LBB505_35
.LBB505_38:                             ;   in Loop: Header=BB505_24 Depth=1
	s_and_b64 vcc, exec, s[2:3]
	s_cbranch_vccnz .LBB505_40
; %bb.39:                               ;   in Loop: Header=BB505_24 Depth=1
	v_ashrrev_i32_e32 v11, 31, v10
	v_lshl_add_u64 v[22:23], v[10:11], 2, s[22:23]
	global_load_dword v11, v[22:23], off
	s_waitcnt vmcnt(0)
	v_sub_f32_e32 v20, v20, v11
.LBB505_40:                             ;   in Loop: Header=BB505_24 Depth=1
	v_add_u32_e32 v22, s42, v14
	v_cmp_le_i32_e32 vcc, s25, v10
	v_cmp_gt_i32_e64 s[0:1], s26, v10
	v_ashrrev_i32_e32 v23, 31, v22
	s_and_b64 s[0:1], vcc, s[0:1]
	v_lshlrev_b64 v[24:25], 2, v[22:23]
	v_subrev_u32_e32 v11, s25, v10
	v_lshl_add_u64 v[26:27], s[34:35], 0, v[24:25]
	s_waitcnt lgkmcnt(0)
	v_ashrrev_i32_e32 v21, 31, v11
	s_and_b64 vcc, s[36:37], s[0:1]
	global_store_dword v[26:27], v20, off
	v_cndmask_b32_e32 v27, 0, v21, vcc
	v_cndmask_b32_e32 v26, 64, v11, vcc
	v_lshl_add_u64 v[22:23], v[22:23], 3, s[28:29]
	v_add_f32_e32 v11, v13, v20
	global_store_dwordx2 v[22:23], v[26:27], off
	v_lshl_add_u64 v[22:23], s[30:31], 0, v[24:25]
	v_cndmask_b32_e64 v13, v13, v11, s[4:5]
	global_store_dword v[22:23], v19, off
	s_or_b64 exec, exec, s[8:9]
	s_add_i32 s42, s42, 1
	s_cmp_ge_i32 s42, s24
	s_cbranch_scc1 .LBB505_23
.LBB505_41:                             ;   in Loop: Header=BB505_24 Depth=1
	v_ashrrev_i32_e32 v20, 31, v10
	v_lshrrev_b32_e32 v11, 29, v20
	v_add_u32_e32 v11, v10, v11
	v_ashrrev_i32_e32 v11, 3, v11
	s_waitcnt lgkmcnt(0)
	v_lshrrev_b32_e32 v21, 29, v11
	v_add_u32_e32 v21, v11, v21
	v_and_b32_e32 v21, -8, v21
	v_sub_u32_e32 v21, v11, v21
	v_cmp_eq_u32_e32 vcc, v9, v21
	s_and_saveexec_b64 s[40:41], vcc
	s_cbranch_execz .LBB505_22
; %bb.42:                               ;   in Loop: Header=BB505_24 Depth=1
	v_lshrrev_b32_e32 v20, 26, v20
	v_add_u32_e32 v20, v10, v20
	v_lshlrev_b32_e32 v11, 3, v11
	v_sub_u32_e32 v10, v10, v11
	v_ashrrev_i32_e32 v11, 6, v20
	v_lshl_add_u32 v10, v11, 3, v10
	v_cmp_ne_u32_e32 vcc, 6, v10
	v_cmp_ne_u32_e64 s[0:1], 5, v10
	v_cmp_ne_u32_e64 s[8:9], 4, v10
	;; [unrolled: 1-line block ×7, first 2 shown]
	v_cndmask_b32_e32 v6, v18, v6, vcc
	v_cndmask_b32_e64 v5, v18, v5, s[0:1]
	v_cndmask_b32_e64 v7, v18, v7, s[18:19]
	;; [unrolled: 1-line block ×7, first 2 shown]
	s_branch .LBB505_22
.LBB505_43:
	v_mov_b32_e32 v13, 0
.LBB505_44:
	v_cmp_eq_u32_e32 vcc, 0, v9
	s_and_b64 exec, exec, vcc
	s_cbranch_execz .LBB505_57
; %bb.45:
	s_andn2_b64 vcc, exec, s[4:5]
	v_cvt_f32_f64_e32 v0, s[20:21]
	s_cbranch_vccnz .LBB505_47
; %bb.46:
	v_cmp_lt_f32_e32 vcc, 0, v13
	s_nop 1
	v_cndmask_b32_e32 v1, 1.0, v13, vcc
	v_div_scale_f32 v2, s[0:1], v1, v1, v0
	v_rcp_f32_e32 v3, v2
	s_nop 0
	v_fma_f32 v4, -v2, v3, 1.0
	v_fmac_f32_e32 v3, v4, v3
	v_div_scale_f32 v4, vcc, v0, v1, v0
	v_mul_f32_e32 v5, v4, v3
	v_fma_f32 v6, -v2, v5, v4
	v_fmac_f32_e32 v5, v6, v3
	v_fma_f32 v2, -v2, v5, v4
	v_div_fmas_f32 v2, v2, v3, v5
	v_div_fixup_f32 v0, v2, v1, v0
.LBB505_47:
	s_andn2_b64 vcc, exec, s[38:39]
	s_cbranch_vccnz .LBB505_57
; %bb.48:
	v_mul_lo_u32 v2, v8, s24
	s_cmp_gt_u32 s24, 3
	v_ashrrev_i32_e32 v3, 31, v2
	s_cbranch_scc0 .LBB505_52
; %bb.49:
	s_and_b32 s0, s24, 0x7ffffffc
	v_lshl_add_u64 v[4:5], v[2:3], 2, s[34:35]
	v_mov_b32_e32 v1, v0
	v_lshl_add_u64 v[4:5], v[4:5], 0, 8
	s_mov_b32 s1, s0
.LBB505_50:                             ; =>This Inner Loop Header: Depth=1
	global_load_dwordx4 v[6:9], v[4:5], off offset:-8
	s_add_i32 s1, s1, -4
	s_cmp_lg_u32 s1, 0
	s_waitcnt vmcnt(0)
	v_pk_mul_f32 v[6:7], v[0:1], v[6:7]
	v_pk_mul_f32 v[8:9], v[0:1], v[8:9]
	global_store_dwordx4 v[4:5], v[6:9], off offset:-8
	v_lshl_add_u64 v[4:5], v[4:5], 0, 16
	s_cbranch_scc1 .LBB505_50
; %bb.51:
	s_cmp_lg_u32 s0, s24
	s_cselect_b64 s[2:3], -1, 0
	s_branch .LBB505_54
.LBB505_52:
	s_mov_b64 s[2:3], 0
                                        ; implicit-def: $sgpr0
	s_cbranch_execz .LBB505_54
; %bb.53:
	s_mov_b64 s[2:3], -1
	s_mov_b32 s0, 0
.LBB505_54:
	s_andn2_b64 vcc, exec, s[2:3]
	s_cbranch_vccnz .LBB505_57
; %bb.55:
	s_mov_b32 s1, 0
	v_lshl_add_u64 v[2:3], v[2:3], 0, s[0:1]
	s_sub_i32 s2, s24, s0
	v_lshl_add_u64 v[2:3], v[2:3], 2, s[34:35]
.LBB505_56:                             ; =>This Inner Loop Header: Depth=1
	global_load_dword v1, v[2:3], off
	s_add_i32 s2, s2, -1
	s_cmp_lg_u32 s2, 0
	s_waitcnt vmcnt(0)
	v_mul_f32_e32 v1, v0, v1
	global_store_dword v[2:3], v1, off
	v_lshl_add_u64 v[2:3], v[2:3], 0, 4
	s_cbranch_scc1 .LBB505_56
.LBB505_57:
	s_endpgm
	.section	.rodata,"a",@progbits
	.p2align	6, 0x0
	.amdhsa_kernel _ZN4vllm3moe22topkGatingSoftplusSqrtILi8ELi64ELi4ELi16ELi64ELb0El14__hip_bfloat16EEvPKT6_PKbPfiPT5_PiiiibdPKfPKS9_SF_
		.amdhsa_group_segment_fixed_size 0
		.amdhsa_private_segment_fixed_size 0
		.amdhsa_kernarg_size 96
		.amdhsa_user_sgpr_count 2
		.amdhsa_user_sgpr_dispatch_ptr 0
		.amdhsa_user_sgpr_queue_ptr 0
		.amdhsa_user_sgpr_kernarg_segment_ptr 1
		.amdhsa_user_sgpr_dispatch_id 0
		.amdhsa_user_sgpr_kernarg_preload_length 0
		.amdhsa_user_sgpr_kernarg_preload_offset 0
		.amdhsa_user_sgpr_private_segment_size 0
		.amdhsa_uses_dynamic_stack 0
		.amdhsa_enable_private_segment 0
		.amdhsa_system_sgpr_workgroup_id_x 1
		.amdhsa_system_sgpr_workgroup_id_y 0
		.amdhsa_system_sgpr_workgroup_id_z 0
		.amdhsa_system_sgpr_workgroup_info 0
		.amdhsa_system_vgpr_workitem_id 1
		.amdhsa_next_free_vgpr 28
		.amdhsa_next_free_sgpr 43
		.amdhsa_accum_offset 28
		.amdhsa_reserve_vcc 1
		.amdhsa_float_round_mode_32 0
		.amdhsa_float_round_mode_16_64 0
		.amdhsa_float_denorm_mode_32 3
		.amdhsa_float_denorm_mode_16_64 3
		.amdhsa_dx10_clamp 1
		.amdhsa_ieee_mode 1
		.amdhsa_fp16_overflow 0
		.amdhsa_tg_split 0
		.amdhsa_exception_fp_ieee_invalid_op 0
		.amdhsa_exception_fp_denorm_src 0
		.amdhsa_exception_fp_ieee_div_zero 0
		.amdhsa_exception_fp_ieee_overflow 0
		.amdhsa_exception_fp_ieee_underflow 0
		.amdhsa_exception_fp_ieee_inexact 0
		.amdhsa_exception_int_div_zero 0
	.end_amdhsa_kernel
	.section	.text._ZN4vllm3moe22topkGatingSoftplusSqrtILi8ELi64ELi4ELi16ELi64ELb0El14__hip_bfloat16EEvPKT6_PKbPfiPT5_PiiiibdPKfPKS9_SF_,"axG",@progbits,_ZN4vllm3moe22topkGatingSoftplusSqrtILi8ELi64ELi4ELi16ELi64ELb0El14__hip_bfloat16EEvPKT6_PKbPfiPT5_PiiiibdPKfPKS9_SF_,comdat
.Lfunc_end505:
	.size	_ZN4vllm3moe22topkGatingSoftplusSqrtILi8ELi64ELi4ELi16ELi64ELb0El14__hip_bfloat16EEvPKT6_PKbPfiPT5_PiiiibdPKfPKS9_SF_, .Lfunc_end505-_ZN4vllm3moe22topkGatingSoftplusSqrtILi8ELi64ELi4ELi16ELi64ELb0El14__hip_bfloat16EEvPKT6_PKbPfiPT5_PiiiibdPKfPKS9_SF_
                                        ; -- End function
	.section	.AMDGPU.csdata,"",@progbits
; Kernel info:
; codeLenInByte = 3872
; NumSgprs: 49
; NumVgprs: 28
; NumAgprs: 0
; TotalNumVgprs: 28
; ScratchSize: 0
; MemoryBound: 0
; FloatMode: 240
; IeeeMode: 1
; LDSByteSize: 0 bytes/workgroup (compile time only)
; SGPRBlocks: 6
; VGPRBlocks: 3
; NumSGPRsForWavesPerEU: 49
; NumVGPRsForWavesPerEU: 28
; AccumOffset: 28
; Occupancy: 8
; WaveLimiterHint : 0
; COMPUTE_PGM_RSRC2:SCRATCH_EN: 0
; COMPUTE_PGM_RSRC2:USER_SGPR: 2
; COMPUTE_PGM_RSRC2:TRAP_HANDLER: 0
; COMPUTE_PGM_RSRC2:TGID_X_EN: 1
; COMPUTE_PGM_RSRC2:TGID_Y_EN: 0
; COMPUTE_PGM_RSRC2:TGID_Z_EN: 0
; COMPUTE_PGM_RSRC2:TIDIG_COMP_CNT: 1
; COMPUTE_PGM_RSRC3_GFX90A:ACCUM_OFFSET: 6
; COMPUTE_PGM_RSRC3_GFX90A:TG_SPLIT: 0
	.section	.text._ZN4vllm3moe22topkGatingSoftplusSqrtILi8ELi64ELi4ELi16ELi32ELb1El14__hip_bfloat16EEvPKT6_PKbPfiPT5_PiiiibdPKfPKS9_SF_,"axG",@progbits,_ZN4vllm3moe22topkGatingSoftplusSqrtILi8ELi64ELi4ELi16ELi32ELb1El14__hip_bfloat16EEvPKT6_PKbPfiPT5_PiiiibdPKfPKS9_SF_,comdat
	.protected	_ZN4vllm3moe22topkGatingSoftplusSqrtILi8ELi64ELi4ELi16ELi32ELb1El14__hip_bfloat16EEvPKT6_PKbPfiPT5_PiiiibdPKfPKS9_SF_ ; -- Begin function _ZN4vllm3moe22topkGatingSoftplusSqrtILi8ELi64ELi4ELi16ELi32ELb1El14__hip_bfloat16EEvPKT6_PKbPfiPT5_PiiiibdPKfPKS9_SF_
	.globl	_ZN4vllm3moe22topkGatingSoftplusSqrtILi8ELi64ELi4ELi16ELi32ELb1El14__hip_bfloat16EEvPKT6_PKbPfiPT5_PiiiibdPKfPKS9_SF_
	.p2align	8
	.type	_ZN4vllm3moe22topkGatingSoftplusSqrtILi8ELi64ELi4ELi16ELi32ELb1El14__hip_bfloat16EEvPKT6_PKbPfiPT5_PiiiibdPKfPKS9_SF_,@function
_ZN4vllm3moe22topkGatingSoftplusSqrtILi8ELi64ELi4ELi16ELi32ELb1El14__hip_bfloat16EEvPKT6_PKbPfiPT5_PiiiibdPKfPKS9_SF_: ; @_ZN4vllm3moe22topkGatingSoftplusSqrtILi8ELi64ELi4ELi16ELi32ELb1El14__hip_bfloat16EEvPKT6_PKbPfiPT5_PiiiibdPKfPKS9_SF_
; %bb.0:
	s_load_dword s3, s[0:1], 0x18
	v_bfe_u32 v1, v0, 10, 10
	v_and_b32_e32 v8, 0x3ff, v0
	s_lshl_b32 s2, s2, 4
	v_lshlrev_b32_e32 v1, 2, v1
	v_lshrrev_b32_e32 v0, 3, v8
	v_add3_u32 v6, s2, v1, v0
	s_waitcnt lgkmcnt(0)
	v_cmp_gt_i32_e32 vcc, s3, v6
	s_and_saveexec_b64 s[2:3], vcc
	s_cbranch_execz .LBB506_31
; %bb.1:
	s_load_dwordx4 s[8:11], s[0:1], 0x50
	s_load_dwordx2 s[2:3], s[0:1], 0x0
	s_load_dword s12, s[0:1], 0x30
	v_lshlrev_b32_e32 v0, 6, v6
	v_lshlrev_b32_e32 v4, 3, v8
	v_ashrrev_i32_e32 v1, 31, v0
	v_and_b32_e32 v12, 56, v4
	s_waitcnt lgkmcnt(0)
	v_mov_b32_e32 v2, s8
	v_mov_b32_e32 v3, s9
	v_lshl_add_u64 v[0:1], v[0:1], 1, s[2:3]
	v_lshlrev_b32_e32 v4, 1, v12
	v_mov_b32_e32 v5, 0
	v_ashrrev_i32_e32 v7, 31, v6
	v_lshl_add_u64 v[2:3], v[6:7], 3, v[2:3]
	v_lshl_add_u64 v[0:1], v[0:1], 0, v[4:5]
	global_load_dwordx2 v[10:11], v[2:3], off
	s_ashr_i32 s13, s12, 31
	global_load_dwordx4 v[0:3], v[0:1], off
	s_mov_b32 s23, 0x800000
	v_mov_b32_e32 v4, 0x4f800000
	s_mov_b32 s21, 0x3f317217
	s_mov_b32 s22, 0x7f800000
	v_mov_b32_e32 v7, 0x41b17218
	s_mov_b32 s17, 0x41a00000
	s_mov_b32 s20, 0xf800000
	v_mov_b32_e32 v9, 0x260
	v_cmp_lt_i64_e64 s[18:19], s[12:13], 1
	s_mov_b32 s16, 0
	v_cmp_gt_i64_e64 s[14:15], s[12:13], 0
	s_waitcnt vmcnt(1)
	v_mul_lo_u32 v11, v11, s12
	v_mul_lo_u32 v13, v10, s13
	s_waitcnt vmcnt(0)
	v_and_b32_e32 v18, 0xffff0000, v0
	v_lshlrev_b32_e32 v19, 16, v0
	v_and_b32_e32 v20, 0xffff0000, v1
	v_lshlrev_b32_e32 v21, 16, v1
	v_mul_f32_e32 v0, 0x3fb8aa3b, v19
	v_mul_f32_e32 v1, 0x3fb8aa3b, v18
	v_exp_f32_e32 v14, v0
	v_exp_f32_e32 v15, v1
	v_mul_f32_e32 v16, 0x3fb8aa3b, v21
	v_mul_f32_e32 v17, 0x3fb8aa3b, v20
	v_exp_f32_e32 v16, v16
	v_exp_f32_e32 v17, v17
	v_mad_u64_u32 v[0:1], s[2:3], v10, s12, 0
	v_add3_u32 v1, v1, v13, v11
	v_pk_add_f32 v[10:11], v[14:15], 1.0 op_sel_hi:[1,0]
	v_pk_add_f32 v[14:15], v[16:17], 1.0 op_sel_hi:[1,0]
	v_cmp_gt_f32_e32 vcc, s23, v11
	v_cmp_gt_f32_e64 s[2:3], s23, v10
	v_cmp_gt_f32_e64 s[6:7], s23, v14
	v_cndmask_b32_e32 v13, 1.0, v4, vcc
	v_cndmask_b32_e64 v16, 1.0, v4, s[2:3]
	v_mul_f32_e32 v11, v11, v13
	v_mul_f32_e32 v10, v10, v16
	v_log_f32_e32 v11, v11
	v_log_f32_e32 v10, v10
	v_cmp_gt_f32_e64 s[4:5], s23, v15
	v_cndmask_b32_e64 v22, 1.0, v4, s[6:7]
	v_mul_f32_e32 v14, v14, v22
	v_cndmask_b32_e64 v17, 1.0, v4, s[4:5]
	v_mul_f32_e32 v15, v15, v17
	v_log_f32_e32 v22, v14
	v_mul_f32_e32 v14, 0x3f317217, v11
	v_log_f32_e32 v17, v15
	v_mul_f32_e32 v15, 0x3f317217, v10
	v_fma_f32 v14, v11, s21, -v14
	v_fma_f32 v15, v10, s21, -v15
	v_fmac_f32_e32 v14, 0x3377d1cf, v11
	v_cndmask_b32_e32 v13, 0, v7, vcc
	v_fmac_f32_e32 v15, 0x3377d1cf, v10
	v_fmac_f32_e32 v14, 0x3f317217, v11
	v_cmp_lt_f32_e64 vcc, |v11|, s22
	v_fmac_f32_e32 v15, 0x3f317217, v10
	v_cndmask_b32_e64 v16, 0, v7, s[2:3]
	v_cndmask_b32_e32 v11, v11, v14, vcc
	v_cmp_lt_f32_e64 vcc, |v10|, s22
	v_sub_f32_e32 v11, v11, v13
	v_mul_f32_e32 v23, 0x3f317217, v17
	v_cndmask_b32_e32 v10, v10, v15, vcc
	v_sub_f32_e32 v10, v10, v16
	v_cmp_lt_f32_e32 vcc, s17, v19
	v_fma_f32 v23, v17, s21, -v23
	v_fmac_f32_e32 v23, 0x3377d1cf, v17
	v_cndmask_b32_e32 v10, v10, v19, vcc
	v_cmp_lt_f32_e32 vcc, s17, v18
	v_mul_f32_e32 v14, 0x4f800000, v10
	v_cmp_gt_f32_e64 s[2:3], s20, v10
	v_cndmask_b32_e32 v11, v11, v18, vcc
	v_mul_f32_e32 v13, 0x4f800000, v11
	v_cmp_gt_f32_e32 vcc, s20, v11
	v_cndmask_b32_e64 v10, v10, v14, s[2:3]
	v_sqrt_f32_e32 v14, v10
	v_cndmask_b32_e32 v11, v11, v13, vcc
	v_sqrt_f32_e32 v13, v11
	v_fmac_f32_e32 v23, 0x3f317217, v17
	v_add_u32_e32 v18, -1, v14
	v_fma_f32 v26, -v18, v14, v10
	v_add_u32_e32 v15, -1, v13
	v_fma_f32 v24, -v15, v13, v11
	v_add_u32_e32 v16, 1, v13
	v_cmp_ge_f32_e64 s[8:9], 0, v24
	v_add_u32_e32 v19, 1, v14
	v_fma_f32 v25, -v16, v13, v11
	v_cndmask_b32_e64 v13, v13, v15, s[8:9]
	v_cmp_ge_f32_e64 s[8:9], 0, v26
	v_fma_f32 v27, -v19, v14, v10
	s_nop 0
	v_cndmask_b32_e64 v14, v14, v18, s[8:9]
	v_cmp_lt_f32_e64 s[8:9], 0, v25
	s_nop 1
	v_cndmask_b32_e64 v13, v13, v16, s[8:9]
	v_cmp_lt_f32_e64 s[8:9], 0, v27
	v_mul_f32_e32 v15, 0x37800000, v13
	v_cndmask_b32_e32 v13, v13, v15, vcc
	v_cndmask_b32_e64 v14, v14, v19, s[8:9]
	v_mul_f32_e32 v16, 0x37800000, v14
	v_cmp_class_f32_e32 vcc, v11, v9
	v_cndmask_b32_e64 v14, v14, v16, s[2:3]
	v_cmp_lt_f32_e64 s[2:3], s17, v21
	v_cndmask_b32_e32 v15, v13, v11, vcc
	v_cmp_class_f32_e32 vcc, v10, v9
	v_cndmask_b32_e64 v11, 0, v7, s[4:5]
	v_cndmask_b32_e64 v13, 0, v7, s[6:7]
	v_cndmask_b32_e32 v14, v14, v10, vcc
	v_cmp_lt_f32_e64 vcc, |v17|, s22
	s_nop 1
	v_cndmask_b32_e32 v10, v17, v23, vcc
	v_sub_f32_e32 v10, v10, v11
	v_mul_f32_e32 v11, 0x3f317217, v22
	v_fma_f32 v11, v22, s21, -v11
	v_fmac_f32_e32 v11, 0x3377d1cf, v22
	v_fmac_f32_e32 v11, 0x3f317217, v22
	v_cmp_lt_f32_e64 vcc, |v22|, s22
	s_nop 1
	v_cndmask_b32_e32 v11, v22, v11, vcc
	v_cmp_lt_f32_e32 vcc, s17, v20
	v_sub_f32_e32 v11, v11, v13
	v_cndmask_b32_e64 v11, v11, v21, s[2:3]
	v_cndmask_b32_e32 v10, v10, v20, vcc
	v_mul_f32_e32 v16, 0x4f800000, v10
	v_cmp_gt_f32_e32 vcc, s20, v10
	v_and_b32_e32 v20, 0xffff0000, v2
	v_lshlrev_b32_e32 v2, 16, v2
	v_cndmask_b32_e32 v10, v10, v16, vcc
	v_sqrt_f32_e32 v16, v10
	s_nop 0
	v_add_u32_e32 v13, -1, v16
	v_fma_f32 v17, -v13, v16, v10
	v_cmp_ge_f32_e64 s[2:3], 0, v17
	v_add_u32_e32 v17, 1, v16
	s_nop 0
	v_cndmask_b32_e64 v13, v16, v13, s[2:3]
	v_fma_f32 v16, -v17, v16, v10
	v_cmp_lt_f32_e64 s[2:3], 0, v16
	s_nop 1
	v_cndmask_b32_e64 v13, v13, v17, s[2:3]
	v_mul_f32_e32 v17, 0x4f800000, v11
	v_cmp_gt_f32_e64 s[2:3], s20, v11
	v_mul_f32_e32 v16, 0x37800000, v13
	v_cndmask_b32_e32 v13, v13, v16, vcc
	v_cndmask_b32_e64 v18, v11, v17, s[2:3]
	v_sqrt_f32_e32 v11, v18
	v_cmp_class_f32_e32 vcc, v10, v9
	v_add_u32_e32 v16, 1, v11
	s_nop 0
	v_cndmask_b32_e32 v17, v13, v10, vcc
	v_add_u32_e32 v10, -1, v11
	v_fma_f32 v13, -v10, v11, v18
	v_cmp_ge_f32_e32 vcc, 0, v13
	v_fma_f32 v19, -v16, v11, v18
	s_nop 0
	v_cndmask_b32_e32 v13, v11, v10, vcc
	v_mul_f32_e32 v10, 0x3fb8aa3b, v2
	v_mul_f32_e32 v11, 0x3fb8aa3b, v20
	v_exp_f32_e32 v10, v10
	v_exp_f32_e32 v11, v11
	v_cmp_lt_f32_e32 vcc, 0, v19
	v_pk_add_f32 v[10:11], v[10:11], 1.0 op_sel_hi:[1,0]
	s_nop 0
	v_cndmask_b32_e32 v13, v13, v16, vcc
	v_mul_f32_e32 v16, 0x37800000, v13
	v_cmp_gt_f32_e32 vcc, s23, v11
	v_cndmask_b32_e64 v13, v13, v16, s[2:3]
	v_cmp_class_f32_e64 s[2:3], v18, v9
	v_cndmask_b32_e32 v16, 1.0, v4, vcc
	v_mul_f32_e32 v11, v11, v16
	v_log_f32_e32 v11, v11
	v_cndmask_b32_e64 v16, v13, v18, s[2:3]
	v_cmp_gt_f32_e64 s[2:3], s23, v10
	scratch_store_dwordx4 off, v[14:17], off
	v_mul_f32_e32 v13, 0x3f317217, v11
	v_fma_f32 v13, v11, s21, -v13
	v_cndmask_b32_e64 v14, 1.0, v4, s[2:3]
	v_mul_f32_e32 v10, v10, v14
	v_log_f32_e32 v10, v10
	v_fmac_f32_e32 v13, 0x3377d1cf, v11
	v_fmac_f32_e32 v13, 0x3f317217, v11
	v_cmp_lt_f32_e64 s[4:5], |v11|, s22
	v_and_b32_e32 v16, 0xffff0000, v3
	v_lshlrev_b32_e32 v17, 16, v3
	v_cndmask_b32_e64 v11, v11, v13, s[4:5]
	v_cndmask_b32_e32 v13, 0, v7, vcc
	v_sub_f32_e32 v11, v11, v13
	v_mul_f32_e32 v13, 0x3f317217, v10
	v_fma_f32 v13, v10, s21, -v13
	v_fmac_f32_e32 v13, 0x3377d1cf, v10
	v_fmac_f32_e32 v13, 0x3f317217, v10
	v_cmp_lt_f32_e64 vcc, |v10|, s22
	v_mul_f32_e32 v3, 0x3fb8aa3b, v16
	v_exp_f32_e32 v3, v3
	v_cndmask_b32_e32 v10, v10, v13, vcc
	v_cmp_lt_f32_e32 vcc, s17, v20
	v_cndmask_b32_e64 v13, 0, v7, s[2:3]
	v_sub_f32_e32 v10, v10, v13
	v_cndmask_b32_e32 v11, v11, v20, vcc
	v_mul_f32_e32 v14, 0x4f800000, v11
	v_cmp_gt_f32_e32 vcc, s20, v11
	v_cmp_lt_f32_e64 s[2:3], s17, v2
	s_nop 0
	v_cndmask_b32_e32 v11, v11, v14, vcc
	v_sqrt_f32_e32 v14, v11
	v_cndmask_b32_e64 v2, v10, v2, s[2:3]
	v_add_u32_e32 v10, -1, v14
	v_fma_f32 v13, -v10, v14, v11
	v_cmp_ge_f32_e64 s[2:3], 0, v13
	v_add_u32_e32 v13, 1, v14
	s_nop 0
	v_cndmask_b32_e64 v10, v14, v10, s[2:3]
	v_fma_f32 v14, -v13, v14, v11
	v_cmp_lt_f32_e64 s[2:3], 0, v14
	v_mul_f32_e32 v14, 0x4f800000, v2
	s_nop 0
	v_cndmask_b32_e64 v10, v10, v13, s[2:3]
	v_cmp_gt_f32_e64 s[2:3], s20, v2
	v_mul_f32_e32 v13, 0x37800000, v10
	v_cndmask_b32_e32 v10, v10, v13, vcc
	v_cndmask_b32_e64 v14, v2, v14, s[2:3]
	v_sqrt_f32_e32 v2, v14
	v_cmp_class_f32_e32 vcc, v11, v9
	s_nop 1
	v_cndmask_b32_e32 v15, v10, v11, vcc
	v_add_u32_e32 v10, -1, v2
	v_fma_f32 v11, -v10, v2, v14
	v_cmp_ge_f32_e32 vcc, 0, v11
	v_add_u32_e32 v11, 1, v2
	v_fma_f32 v13, -v11, v2, v14
	v_cndmask_b32_e32 v10, v2, v10, vcc
	v_mul_f32_e32 v2, 0x3fb8aa3b, v17
	v_exp_f32_e32 v2, v2
	v_cmp_lt_f32_e32 vcc, 0, v13
	v_pk_add_f32 v[2:3], v[2:3], 1.0 op_sel_hi:[1,0]
	s_nop 0
	v_cndmask_b32_e32 v10, v10, v11, vcc
	v_cmp_gt_f32_e32 vcc, s23, v3
	v_mul_f32_e32 v11, 0x37800000, v10
	v_cndmask_b32_e64 v10, v10, v11, s[2:3]
	v_cndmask_b32_e32 v13, 1.0, v4, vcc
	v_mul_f32_e32 v3, v3, v13
	v_log_f32_e32 v3, v3
	v_cmp_class_f32_e64 s[2:3], v14, v9
	v_cmp_lt_f32_e64 s[4:5], |v3|, s22
	s_nop 0
	v_cndmask_b32_e64 v14, v10, v14, s[2:3]
	v_cmp_gt_f32_e64 s[2:3], s23, v2
	v_mul_f32_e32 v10, 0x3f317217, v3
	v_fma_f32 v10, v3, s21, -v10
	v_cndmask_b32_e64 v4, 1.0, v4, s[2:3]
	v_mul_f32_e32 v2, v2, v4
	v_log_f32_e32 v2, v2
	v_fmac_f32_e32 v10, 0x3377d1cf, v3
	v_fmac_f32_e32 v10, 0x3f317217, v3
	v_cndmask_b32_e64 v3, v3, v10, s[4:5]
	v_cndmask_b32_e32 v4, 0, v7, vcc
	v_sub_f32_e32 v3, v3, v4
	v_mul_f32_e32 v4, 0x3f317217, v2
	v_fma_f32 v4, v2, s21, -v4
	v_fmac_f32_e32 v4, 0x3377d1cf, v2
	v_fmac_f32_e32 v4, 0x3f317217, v2
	v_cmp_lt_f32_e64 vcc, |v2|, s22
	s_nop 1
	v_cndmask_b32_e32 v2, v2, v4, vcc
	v_cmp_lt_f32_e32 vcc, s17, v16
	v_cndmask_b32_e64 v4, 0, v7, s[2:3]
	v_sub_f32_e32 v2, v2, v4
	v_cndmask_b32_e32 v3, v3, v16, vcc
	v_mul_f32_e32 v7, 0x4f800000, v3
	v_cmp_gt_f32_e32 vcc, s20, v3
	v_cmp_lt_f32_e64 s[2:3], s17, v17
	s_nop 0
	v_cndmask_b32_e32 v3, v3, v7, vcc
	v_sqrt_f32_e32 v7, v3
	v_cndmask_b32_e64 v2, v2, v17, s[2:3]
	v_add_u32_e32 v4, -1, v7
	v_fma_f32 v10, -v4, v7, v3
	v_cmp_ge_f32_e64 s[2:3], 0, v10
	v_add_u32_e32 v10, 1, v7
	s_nop 0
	v_cndmask_b32_e64 v4, v7, v4, s[2:3]
	v_fma_f32 v7, -v10, v7, v3
	v_cmp_lt_f32_e64 s[2:3], 0, v7
	s_nop 1
	v_cndmask_b32_e64 v4, v4, v10, s[2:3]
	v_mul_f32_e32 v10, 0x4f800000, v2
	v_cmp_gt_f32_e64 s[2:3], s20, v2
	v_mul_f32_e32 v7, 0x37800000, v4
	v_cndmask_b32_e32 v4, v4, v7, vcc
	v_cndmask_b32_e64 v2, v2, v10, s[2:3]
	v_sqrt_f32_e32 v10, v2
	v_cmp_class_f32_e32 vcc, v3, v9
	s_nop 1
	v_cndmask_b32_e32 v17, v4, v3, vcc
	v_add_u32_e32 v3, -1, v10
	v_fma_f32 v4, -v3, v10, v2
	v_cmp_ge_f32_e32 vcc, 0, v4
	v_add_u32_e32 v4, 1, v10
	v_fma_f32 v7, -v4, v10, v2
	v_cndmask_b32_e32 v3, v10, v3, vcc
	v_cmp_lt_f32_e32 vcc, 0, v7
	s_nop 1
	v_cndmask_b32_e32 v3, v3, v4, vcc
	v_mul_f32_e32 v4, 0x37800000, v3
	v_cndmask_b32_e64 v3, v3, v4, s[2:3]
	v_cmp_class_f32_e32 vcc, v2, v9
	s_nop 1
	v_cndmask_b32_e32 v16, v3, v2, vcc
	v_lshl_add_u64 v[2:3], v[0:1], 3, s[10:11]
	s_and_b64 vcc, exec, s[18:19]
	v_mul_lo_u32 v0, v6, s12
	scratch_store_dwordx4 off, v[14:17], off offset:16
	s_cbranch_vccnz .LBB506_28
; %bb.2:
	s_load_dwordx2 s[4:5], s[0:1], 0x20
	s_cmp_lt_u32 s12, 4
	v_and_b32_e32 v4, 7, v8
	s_cbranch_scc1 .LBB506_21
; %bb.3:
	v_lshlrev_b32_e32 v5, 3, v4
	s_mov_b32 s7, 0
	s_and_b32 s16, s12, 0x7ffffffc
	v_ashrrev_i32_e32 v1, 31, v0
	v_sub_u32_e32 v13, 0, v5
	v_mov_b32_e32 v5, 0
	s_mov_b32 s6, s7
	s_branch .LBB506_5
.LBB506_4:                              ;   in Loop: Header=BB506_5 Depth=1
	s_or_b64 exec, exec, s[8:9]
	s_add_i32 s6, s6, 4
	s_cmp_eq_u32 s6, s16
	s_cbranch_scc1 .LBB506_21
.LBB506_5:                              ; =>This Loop Header: Depth=1
                                        ;     Child Loop BB506_7 Depth 2
                                        ;     Child Loop BB506_11 Depth 2
                                        ;     Child Loop BB506_15 Depth 2
                                        ;     Child Loop BB506_19 Depth 2
	v_lshl_add_u64 v[6:7], s[6:7], 3, v[2:3]
	global_load_dwordx2 v[8:9], v[6:7], off
	v_add_u32_e32 v10, s6, v0
	v_ashrrev_i32_e32 v11, 31, v10
	v_mov_b32_e32 v14, 0
	s_mov_b64 s[8:9], 0
	s_waitcnt lgkmcnt(0)
	v_lshl_add_u64 v[10:11], v[10:11], 3, s[4:5]
	s_mov_b32 s13, 0
	s_waitcnt vmcnt(0)
	v_ashrrev_i32_e32 v9, 31, v8
	v_add_u32_e32 v15, v13, v8
	s_branch .LBB506_7
.LBB506_6:                              ;   in Loop: Header=BB506_7 Depth=2
	s_or_b64 exec, exec, s[10:11]
	s_add_i32 s17, s13, 1
	s_cmp_gt_u32 s13, 6
	s_cselect_b64 s[2:3], -1, 0
	s_xor_b64 s[10:11], vcc, -1
	s_or_b64 s[2:3], s[10:11], s[2:3]
	s_and_b64 s[2:3], exec, s[2:3]
	v_add_u32_e32 v14, 4, v14
	s_or_b64 s[8:9], s[2:3], s[8:9]
	s_mov_b32 s13, s17
	s_andn2_b64 exec, exec, s[8:9]
	s_cbranch_execz .LBB506_9
.LBB506_7:                              ;   Parent Loop BB506_5 Depth=1
                                        ; =>  This Inner Loop Header: Depth=2
	v_cmp_ne_u32_e32 vcc, s13, v15
	v_cmp_eq_u32_e64 s[2:3], s13, v15
	s_and_saveexec_b64 s[10:11], s[2:3]
	s_cbranch_execz .LBB506_6
; %bb.8:                                ;   in Loop: Header=BB506_7 Depth=2
	scratch_load_dword v16, v14, off
	s_waitcnt vmcnt(0)
	v_add_f32_e32 v5, v5, v16
	global_store_dwordx2 v[10:11], v[8:9], off
	s_branch .LBB506_6
.LBB506_9:                              ;   in Loop: Header=BB506_5 Depth=1
	s_or_b64 exec, exec, s[8:9]
	global_load_dwordx2 v[10:11], v[6:7], off offset:8
	s_ashr_i32 s3, s6, 31
	s_mov_b32 s2, s6
	v_lshl_add_u64 v[8:9], s[2:3], 0, v[0:1]
	v_mov_b32_e32 v14, 0
	s_mov_b32 s13, 0
	v_lshl_add_u64 v[8:9], v[8:9], 3, s[4:5]
	s_mov_b64 s[8:9], 0
	s_waitcnt vmcnt(0)
	v_ashrrev_i32_e32 v11, 31, v10
	v_add_u32_e32 v15, v13, v10
	s_branch .LBB506_11
.LBB506_10:                             ;   in Loop: Header=BB506_11 Depth=2
	s_or_b64 exec, exec, s[10:11]
	s_add_i32 s17, s13, 1
	s_cmp_gt_u32 s13, 6
	s_cselect_b64 s[2:3], -1, 0
	s_xor_b64 s[10:11], vcc, -1
	s_or_b64 s[2:3], s[10:11], s[2:3]
	s_and_b64 s[2:3], exec, s[2:3]
	v_add_u32_e32 v14, 4, v14
	s_or_b64 s[8:9], s[2:3], s[8:9]
	s_mov_b32 s13, s17
	s_andn2_b64 exec, exec, s[8:9]
	s_cbranch_execz .LBB506_13
.LBB506_11:                             ;   Parent Loop BB506_5 Depth=1
                                        ; =>  This Inner Loop Header: Depth=2
	v_cmp_ne_u32_e32 vcc, s13, v15
	v_cmp_eq_u32_e64 s[2:3], s13, v15
	s_and_saveexec_b64 s[10:11], s[2:3]
	s_cbranch_execz .LBB506_10
; %bb.12:                               ;   in Loop: Header=BB506_11 Depth=2
	scratch_load_dword v16, v14, off
	s_waitcnt vmcnt(0)
	v_add_f32_e32 v5, v5, v16
	global_store_dwordx2 v[8:9], v[10:11], off offset:8
	s_branch .LBB506_10
.LBB506_13:                             ;   in Loop: Header=BB506_5 Depth=1
	s_or_b64 exec, exec, s[8:9]
	global_load_dwordx2 v[10:11], v[6:7], off offset:16
	v_mov_b32_e32 v14, 0
	s_mov_b32 s13, 0
	s_mov_b64 s[8:9], 0
	s_waitcnt vmcnt(0)
	v_ashrrev_i32_e32 v11, 31, v10
	v_add_u32_e32 v15, v13, v10
	s_branch .LBB506_15
.LBB506_14:                             ;   in Loop: Header=BB506_15 Depth=2
	s_or_b64 exec, exec, s[10:11]
	s_add_i32 s17, s13, 1
	s_cmp_gt_u32 s13, 6
	s_cselect_b64 s[2:3], -1, 0
	s_xor_b64 s[10:11], vcc, -1
	s_or_b64 s[2:3], s[10:11], s[2:3]
	s_and_b64 s[2:3], exec, s[2:3]
	v_add_u32_e32 v14, 4, v14
	s_or_b64 s[8:9], s[2:3], s[8:9]
	s_mov_b32 s13, s17
	s_andn2_b64 exec, exec, s[8:9]
	s_cbranch_execz .LBB506_17
.LBB506_15:                             ;   Parent Loop BB506_5 Depth=1
                                        ; =>  This Inner Loop Header: Depth=2
	v_cmp_ne_u32_e32 vcc, s13, v15
	v_cmp_eq_u32_e64 s[2:3], s13, v15
	s_and_saveexec_b64 s[10:11], s[2:3]
	s_cbranch_execz .LBB506_14
; %bb.16:                               ;   in Loop: Header=BB506_15 Depth=2
	scratch_load_dword v16, v14, off
	s_waitcnt vmcnt(0)
	v_add_f32_e32 v5, v5, v16
	global_store_dwordx2 v[8:9], v[10:11], off offset:16
	s_branch .LBB506_14
.LBB506_17:                             ;   in Loop: Header=BB506_5 Depth=1
	s_or_b64 exec, exec, s[8:9]
	global_load_dwordx2 v[6:7], v[6:7], off offset:24
	v_mov_b32_e32 v10, 0
	s_mov_b32 s13, 0
	s_mov_b64 s[8:9], 0
	s_waitcnt vmcnt(0)
	v_ashrrev_i32_e32 v7, 31, v6
	v_add_u32_e32 v11, v13, v6
	s_branch .LBB506_19
.LBB506_18:                             ;   in Loop: Header=BB506_19 Depth=2
	s_or_b64 exec, exec, s[10:11]
	s_add_i32 s17, s13, 1
	s_cmp_gt_u32 s13, 6
	s_cselect_b64 s[2:3], -1, 0
	s_xor_b64 s[10:11], vcc, -1
	s_or_b64 s[2:3], s[10:11], s[2:3]
	s_and_b64 s[2:3], exec, s[2:3]
	v_add_u32_e32 v10, 4, v10
	s_or_b64 s[8:9], s[2:3], s[8:9]
	s_mov_b32 s13, s17
	s_andn2_b64 exec, exec, s[8:9]
	s_cbranch_execz .LBB506_4
.LBB506_19:                             ;   Parent Loop BB506_5 Depth=1
                                        ; =>  This Inner Loop Header: Depth=2
	v_cmp_ne_u32_e32 vcc, s13, v11
	v_cmp_eq_u32_e64 s[2:3], s13, v11
	s_and_saveexec_b64 s[10:11], s[2:3]
	s_cbranch_execz .LBB506_18
; %bb.20:                               ;   in Loop: Header=BB506_19 Depth=2
	scratch_load_dword v14, v10, off
	s_waitcnt vmcnt(0)
	v_add_f32_e32 v5, v5, v14
	global_store_dwordx2 v[8:9], v[6:7], off offset:24
	s_branch .LBB506_18
.LBB506_21:
	s_and_b32 s10, s12, 3
	s_cmp_eq_u32 s10, 0
	s_mov_b32 s17, 0
	s_cbranch_scc1 .LBB506_28
; %bb.22:
	v_lshlrev_b32_e32 v1, 3, v4
	v_sub_u32_e32 v1, 0, v1
	s_mov_b32 s11, s17
	s_branch .LBB506_24
.LBB506_23:                             ;   in Loop: Header=BB506_24 Depth=1
	s_or_b64 exec, exec, s[6:7]
	s_add_i32 s16, s16, 1
	s_add_i32 s11, s11, 1
	s_cmp_lg_u32 s11, s10
	s_cbranch_scc0 .LBB506_28
.LBB506_24:                             ; =>This Loop Header: Depth=1
                                        ;     Child Loop BB506_26 Depth 2
	v_lshl_add_u64 v[6:7], s[16:17], 3, v[2:3]
	global_load_dwordx2 v[6:7], v[6:7], off
	v_add_u32_e32 v8, s16, v0
	v_ashrrev_i32_e32 v9, 31, v8
	v_mov_b32_e32 v4, 0
	s_mov_b32 s13, 0
	s_waitcnt lgkmcnt(0)
	v_lshl_add_u64 v[8:9], v[8:9], 3, s[4:5]
	s_mov_b64 s[6:7], 0
	s_waitcnt vmcnt(0)
	v_ashrrev_i32_e32 v7, 31, v6
	v_add_u32_e32 v10, v1, v6
	s_branch .LBB506_26
.LBB506_25:                             ;   in Loop: Header=BB506_26 Depth=2
	s_or_b64 exec, exec, s[8:9]
	s_add_i32 s18, s13, 1
	s_cmp_gt_u32 s13, 6
	s_cselect_b64 s[2:3], -1, 0
	s_xor_b64 s[8:9], vcc, -1
	s_or_b64 s[2:3], s[8:9], s[2:3]
	s_and_b64 s[2:3], exec, s[2:3]
	v_add_u32_e32 v4, 4, v4
	s_or_b64 s[6:7], s[2:3], s[6:7]
	s_mov_b32 s13, s18
	s_andn2_b64 exec, exec, s[6:7]
	s_cbranch_execz .LBB506_23
.LBB506_26:                             ;   Parent Loop BB506_24 Depth=1
                                        ; =>  This Inner Loop Header: Depth=2
	v_cmp_ne_u32_e32 vcc, s13, v10
	v_cmp_eq_u32_e64 s[2:3], s13, v10
	s_and_saveexec_b64 s[8:9], s[2:3]
	s_cbranch_execz .LBB506_25
; %bb.27:                               ;   in Loop: Header=BB506_26 Depth=2
	scratch_load_dword v11, v4, off
	s_waitcnt vmcnt(0)
	v_add_f32_e32 v5, v5, v11
	global_store_dwordx2 v[8:9], v[6:7], off
	s_branch .LBB506_25
.LBB506_28:
	s_waitcnt lgkmcnt(0)
	s_load_dword s4, s[0:1], 0x3c
	s_waitcnt lgkmcnt(0)
	s_bitcmp1_b32 s4, 0
	s_cselect_b64 s[2:3], -1, 0
	s_bitcmp0_b32 s4, 0
	s_cbranch_scc0 .LBB506_32
; %bb.29:
	s_load_dwordx2 s[4:5], s[0:1], 0x40
	s_andn2_b64 vcc, exec, s[2:3]
	s_waitcnt lgkmcnt(0)
	v_cvt_f32_f64_e32 v8, s[4:5]
	s_cbranch_vccz .LBB506_33
.LBB506_30:
	s_andn2_b64 vcc, exec, s[14:15]
	s_cbranch_vccz .LBB506_34
.LBB506_31:
	s_endpgm
.LBB506_32:
	v_mbcnt_lo_u32_b32 v1, -1, 0
	v_mbcnt_hi_u32_b32 v1, -1, v1
	v_and_b32_e32 v4, 0x78, v1
	v_add_u32_e32 v4, 8, v4
	v_xor_b32_e32 v6, 4, v1
	v_cmp_lt_i32_e32 vcc, v6, v4
	v_xor_b32_e32 v7, 2, v1
	s_nop 0
	v_cndmask_b32_e32 v6, v1, v6, vcc
	v_lshlrev_b32_e32 v6, 2, v6
	ds_bpermute_b32 v6, v6, v5
	v_cmp_lt_i32_e32 vcc, v7, v4
	s_waitcnt lgkmcnt(0)
	v_add_f32_e32 v5, v5, v6
	v_cndmask_b32_e32 v6, v1, v7, vcc
	v_lshlrev_b32_e32 v6, 2, v6
	ds_bpermute_b32 v6, v6, v5
	v_xor_b32_e32 v7, 1, v1
	v_cmp_lt_i32_e32 vcc, v7, v4
	s_waitcnt lgkmcnt(0)
	v_add_f32_e32 v5, v5, v6
	v_cndmask_b32_e32 v1, v1, v7, vcc
	v_lshlrev_b32_e32 v1, 2, v1
	ds_bpermute_b32 v1, v1, v5
	s_waitcnt lgkmcnt(0)
	v_add_f32_e32 v5, v5, v1
	s_load_dwordx2 s[4:5], s[0:1], 0x40
	s_andn2_b64 vcc, exec, s[2:3]
	s_waitcnt lgkmcnt(0)
	v_cvt_f32_f64_e32 v8, s[4:5]
	s_cbranch_vccnz .LBB506_30
.LBB506_33:
	v_cmp_lt_f32_e32 vcc, 0, v5
	s_nop 1
	v_cndmask_b32_e32 v1, 1.0, v5, vcc
	v_div_scale_f32 v4, s[2:3], v1, v1, v8
	v_rcp_f32_e32 v5, v4
	s_nop 0
	v_fma_f32 v6, -v4, v5, 1.0
	v_fmac_f32_e32 v5, v6, v5
	v_div_scale_f32 v6, vcc, v8, v1, v8
	v_mul_f32_e32 v7, v6, v5
	v_fma_f32 v9, -v4, v7, v6
	v_fmac_f32_e32 v7, v9, v5
	v_fma_f32 v4, -v4, v7, v6
	v_div_fmas_f32 v4, v4, v5, v7
	v_div_fixup_f32 v8, v4, v1, v8
	s_andn2_b64 vcc, exec, s[14:15]
	s_cbranch_vccnz .LBB506_31
.LBB506_34:
	s_load_dwordx2 s[14:15], s[0:1], 0x10
	v_mov_b32_e32 v1, 0
	v_or_b32_e32 v20, 4, v1
	v_or_b32_e32 v18, 8, v1
	;; [unrolled: 1-line block ×3, first 2 shown]
	v_add_u32_e32 v14, 16, v1
	v_add_u32_e32 v11, 20, v1
	;; [unrolled: 1-line block ×4, first 2 shown]
	v_or_b32_e32 v23, 1, v12
	v_or_b32_e32 v22, 2, v12
	;; [unrolled: 1-line block ×7, first 2 shown]
	s_cmp_eq_u32 s12, 1
	s_mov_b32 s16, 0
	s_cbranch_scc1 .LBB506_69
; %bb.35:
	v_ashrrev_i32_e32 v1, 31, v0
	s_waitcnt lgkmcnt(0)
	v_lshl_add_u64 v[4:5], v[0:1], 2, s[14:15]
	s_and_b32 s16, s12, 0x7ffffffe
	v_lshl_add_u64 v[4:5], v[4:5], 0, 4
	v_lshl_add_u64 v[6:7], v[2:3], 0, 8
	s_mov_b32 s13, 0
	s_branch .LBB506_37
.LBB506_36:                             ;   in Loop: Header=BB506_37 Depth=1
	s_or_b64 exec, exec, s[0:1]
	s_add_i32 s13, s13, 2
	v_lshl_add_u64 v[4:5], v[4:5], 0, 8
	s_cmp_eq_u32 s16, s13
	v_lshl_add_u64 v[6:7], v[6:7], 0, 16
	s_cbranch_scc1 .LBB506_69
.LBB506_37:                             ; =>This Inner Loop Header: Depth=1
	global_load_dword v24, v[6:7], off offset:-8
	v_mov_b32_e32 v1, 0
	s_waitcnt vmcnt(0)
	v_cmp_eq_u32_e32 vcc, v12, v24
	v_cmp_ne_u32_e64 s[0:1], v12, v24
	s_and_saveexec_b64 s[18:19], s[0:1]
	s_cbranch_execz .LBB506_51
; %bb.38:                               ;   in Loop: Header=BB506_37 Depth=1
	v_cmp_eq_u32_e64 s[0:1], v23, v24
	v_cmp_ne_u32_e64 s[2:3], v23, v24
	v_mov_b32_e32 v1, v20
	s_and_saveexec_b64 s[20:21], s[2:3]
	s_cbranch_execz .LBB506_50
; %bb.39:                               ;   in Loop: Header=BB506_37 Depth=1
	v_cmp_eq_u32_e64 s[2:3], v22, v24
	v_cmp_ne_u32_e64 s[4:5], v22, v24
	v_mov_b32_e32 v1, v18
	s_and_saveexec_b64 s[22:23], s[4:5]
	s_cbranch_execz .LBB506_49
; %bb.40:                               ;   in Loop: Header=BB506_37 Depth=1
	v_cmp_eq_u32_e64 s[4:5], v21, v24
	v_cmp_ne_u32_e64 s[6:7], v21, v24
	v_mov_b32_e32 v1, v16
	s_and_saveexec_b64 s[24:25], s[6:7]
	s_cbranch_execz .LBB506_48
; %bb.41:                               ;   in Loop: Header=BB506_37 Depth=1
	v_cmp_eq_u32_e64 s[6:7], v19, v24
	v_cmp_ne_u32_e64 s[8:9], v19, v24
	v_mov_b32_e32 v1, v14
	s_and_saveexec_b64 s[26:27], s[8:9]
	s_cbranch_execz .LBB506_47
; %bb.42:                               ;   in Loop: Header=BB506_37 Depth=1
	v_cmp_eq_u32_e64 s[8:9], v17, v24
	v_cmp_ne_u32_e64 s[10:11], v17, v24
	v_mov_b32_e32 v1, v11
	s_and_saveexec_b64 s[28:29], s[10:11]
	s_cbranch_execz .LBB506_46
; %bb.43:                               ;   in Loop: Header=BB506_37 Depth=1
	v_cmp_eq_u32_e64 s[30:31], v15, v24
	v_cmp_ne_u32_e64 s[10:11], v15, v24
	v_mov_b32_e32 v1, v9
	s_and_saveexec_b64 s[34:35], s[10:11]
	s_xor_b64 s[34:35], exec, s[34:35]
; %bb.44:                               ;   in Loop: Header=BB506_37 Depth=1
	v_cmp_eq_u32_e64 s[10:11], v13, v24
	s_andn2_b64 s[30:31], s[30:31], exec
	s_and_b64 s[10:11], s[10:11], exec
	s_or_b64 s[30:31], s[30:31], s[10:11]
	v_mov_b32_e32 v1, v10
; %bb.45:                               ;   in Loop: Header=BB506_37 Depth=1
	s_or_b64 exec, exec, s[34:35]
	s_andn2_b64 s[8:9], s[8:9], exec
	s_and_b64 s[10:11], s[30:31], exec
	s_or_b64 s[8:9], s[8:9], s[10:11]
.LBB506_46:                             ;   in Loop: Header=BB506_37 Depth=1
	s_or_b64 exec, exec, s[28:29]
	s_andn2_b64 s[6:7], s[6:7], exec
	s_and_b64 s[8:9], s[8:9], exec
	s_or_b64 s[6:7], s[6:7], s[8:9]
.LBB506_47:                             ;   in Loop: Header=BB506_37 Depth=1
	s_or_b64 exec, exec, s[26:27]
	s_andn2_b64 s[4:5], s[4:5], exec
	s_and_b64 s[6:7], s[6:7], exec
	s_or_b64 s[4:5], s[4:5], s[6:7]
.LBB506_48:                             ;   in Loop: Header=BB506_37 Depth=1
	s_or_b64 exec, exec, s[24:25]
	s_andn2_b64 s[2:3], s[2:3], exec
	s_and_b64 s[4:5], s[4:5], exec
	s_or_b64 s[2:3], s[2:3], s[4:5]
.LBB506_49:                             ;   in Loop: Header=BB506_37 Depth=1
	s_or_b64 exec, exec, s[22:23]
	s_andn2_b64 s[0:1], s[0:1], exec
	s_and_b64 s[2:3], s[2:3], exec
	s_or_b64 s[0:1], s[0:1], s[2:3]
.LBB506_50:                             ;   in Loop: Header=BB506_37 Depth=1
	s_or_b64 exec, exec, s[20:21]
	s_andn2_b64 s[2:3], vcc, exec
	s_and_b64 s[0:1], s[0:1], exec
	s_or_b64 vcc, s[2:3], s[0:1]
.LBB506_51:                             ;   in Loop: Header=BB506_37 Depth=1
	s_or_b64 exec, exec, s[18:19]
	s_and_saveexec_b64 s[0:1], vcc
	s_cbranch_execz .LBB506_53
; %bb.52:                               ;   in Loop: Header=BB506_37 Depth=1
	scratch_load_dword v1, v1, off
	v_add_u32_e32 v24, s13, v0
	v_ashrrev_i32_e32 v25, 31, v24
	v_lshl_add_u64 v[24:25], v[24:25], 2, s[14:15]
	s_waitcnt vmcnt(0)
	v_mul_f32_e32 v1, v8, v1
	global_store_dword v[24:25], v1, off
.LBB506_53:                             ;   in Loop: Header=BB506_37 Depth=1
	s_or_b64 exec, exec, s[0:1]
	global_load_dword v24, v[6:7], off
	v_mov_b32_e32 v1, 0
	s_waitcnt vmcnt(0)
	v_cmp_eq_u32_e64 s[8:9], v12, v24
	v_cmp_ne_u32_e32 vcc, v12, v24
	s_and_saveexec_b64 s[10:11], vcc
	s_cbranch_execz .LBB506_67
; %bb.54:                               ;   in Loop: Header=BB506_37 Depth=1
	v_cmp_eq_u32_e32 vcc, v23, v24
	v_cmp_ne_u32_e64 s[0:1], v23, v24
	v_mov_b32_e32 v1, v20
	s_and_saveexec_b64 s[18:19], s[0:1]
	s_cbranch_execz .LBB506_66
; %bb.55:                               ;   in Loop: Header=BB506_37 Depth=1
	v_cmp_eq_u32_e64 s[0:1], v22, v24
	v_cmp_ne_u32_e64 s[2:3], v22, v24
	v_mov_b32_e32 v1, v18
	s_and_saveexec_b64 s[20:21], s[2:3]
	s_cbranch_execz .LBB506_65
; %bb.56:                               ;   in Loop: Header=BB506_37 Depth=1
	v_cmp_eq_u32_e64 s[2:3], v21, v24
	;; [unrolled: 6-line block ×5, first 2 shown]
	v_cmp_ne_u32_e64 s[6:7], v15, v24
	v_mov_b32_e32 v1, v9
	s_and_saveexec_b64 s[34:35], s[6:7]
; %bb.60:                               ;   in Loop: Header=BB506_37 Depth=1
	v_cmp_eq_u32_e64 s[6:7], v13, v24
	s_andn2_b64 s[30:31], s[30:31], exec
	s_and_b64 s[6:7], s[6:7], exec
	s_or_b64 s[30:31], s[30:31], s[6:7]
	v_mov_b32_e32 v1, v10
; %bb.61:                               ;   in Loop: Header=BB506_37 Depth=1
	s_or_b64 exec, exec, s[34:35]
	s_andn2_b64 s[6:7], s[26:27], exec
	s_and_b64 s[26:27], s[30:31], exec
	s_or_b64 s[26:27], s[6:7], s[26:27]
.LBB506_62:                             ;   in Loop: Header=BB506_37 Depth=1
	s_or_b64 exec, exec, s[28:29]
	s_andn2_b64 s[4:5], s[4:5], exec
	s_and_b64 s[6:7], s[26:27], exec
	s_or_b64 s[4:5], s[4:5], s[6:7]
.LBB506_63:                             ;   in Loop: Header=BB506_37 Depth=1
	s_or_b64 exec, exec, s[24:25]
	s_andn2_b64 s[2:3], s[2:3], exec
	s_and_b64 s[4:5], s[4:5], exec
	s_or_b64 s[2:3], s[2:3], s[4:5]
.LBB506_64:                             ;   in Loop: Header=BB506_37 Depth=1
	s_or_b64 exec, exec, s[22:23]
	s_andn2_b64 s[0:1], s[0:1], exec
	s_and_b64 s[2:3], s[2:3], exec
	s_or_b64 s[0:1], s[0:1], s[2:3]
.LBB506_65:                             ;   in Loop: Header=BB506_37 Depth=1
	s_or_b64 exec, exec, s[20:21]
	s_andn2_b64 s[2:3], vcc, exec
	s_and_b64 s[0:1], s[0:1], exec
	s_or_b64 vcc, s[2:3], s[0:1]
.LBB506_66:                             ;   in Loop: Header=BB506_37 Depth=1
	s_or_b64 exec, exec, s[18:19]
	s_andn2_b64 s[0:1], s[8:9], exec
	s_and_b64 s[2:3], vcc, exec
	s_or_b64 s[8:9], s[0:1], s[2:3]
.LBB506_67:                             ;   in Loop: Header=BB506_37 Depth=1
	s_or_b64 exec, exec, s[10:11]
	s_and_saveexec_b64 s[0:1], s[8:9]
	s_cbranch_execz .LBB506_36
; %bb.68:                               ;   in Loop: Header=BB506_37 Depth=1
	scratch_load_dword v1, v1, off
	s_waitcnt vmcnt(0)
	v_mul_f32_e32 v1, v8, v1
	global_store_dword v[4:5], v1, off
	s_branch .LBB506_36
.LBB506_69:
	s_bitcmp0_b32 s12, 0
	s_mov_b32 s17, 0
	s_cbranch_scc1 .LBB506_31
; %bb.70:
	v_lshl_add_u64 v[2:3], s[16:17], 3, v[2:3]
	global_load_dword v1, v[2:3], off
	v_mov_b32_e32 v2, 0
	s_waitcnt vmcnt(0)
	v_cmp_eq_u32_e64 s[8:9], v12, v1
	v_cmp_ne_u32_e32 vcc, v12, v1
	s_and_saveexec_b64 s[10:11], vcc
	s_cbranch_execz .LBB506_84
; %bb.71:
	v_cmp_eq_u32_e32 vcc, v23, v1
	v_cmp_ne_u32_e64 s[0:1], v23, v1
	s_and_saveexec_b64 s[12:13], s[0:1]
	s_cbranch_execz .LBB506_83
; %bb.72:
	v_cmp_eq_u32_e64 s[0:1], v22, v1
	v_cmp_ne_u32_e64 s[2:3], v22, v1
	s_and_saveexec_b64 s[18:19], s[2:3]
	s_cbranch_execz .LBB506_82
; %bb.73:
	v_cmp_eq_u32_e64 s[2:3], v21, v1
	;; [unrolled: 5-line block ×5, first 2 shown]
	v_cmp_ne_u32_e64 s[6:7], v15, v1
	s_and_saveexec_b64 s[30:31], s[6:7]
; %bb.77:
	v_cmp_eq_u32_e64 s[6:7], v13, v1
	s_andn2_b64 s[28:29], s[28:29], exec
	s_and_b64 s[6:7], s[6:7], exec
	s_or_b64 s[28:29], s[28:29], s[6:7]
	v_mov_b32_e32 v9, v10
; %bb.78:
	s_or_b64 exec, exec, s[30:31]
	s_andn2_b64 s[6:7], s[24:25], exec
	s_and_b64 s[24:25], s[28:29], exec
	s_or_b64 s[24:25], s[6:7], s[24:25]
	v_mov_b32_e32 v11, v9
.LBB506_79:
	s_or_b64 exec, exec, s[26:27]
	s_andn2_b64 s[4:5], s[4:5], exec
	s_and_b64 s[6:7], s[24:25], exec
	s_or_b64 s[4:5], s[4:5], s[6:7]
	v_mov_b32_e32 v14, v11
.LBB506_80:
	s_or_b64 exec, exec, s[22:23]
	s_andn2_b64 s[2:3], s[2:3], exec
	s_and_b64 s[4:5], s[4:5], exec
	s_or_b64 s[2:3], s[2:3], s[4:5]
	v_mov_b32_e32 v16, v14
.LBB506_81:
	s_or_b64 exec, exec, s[20:21]
	s_andn2_b64 s[0:1], s[0:1], exec
	s_and_b64 s[2:3], s[2:3], exec
	s_or_b64 s[0:1], s[0:1], s[2:3]
	v_mov_b32_e32 v18, v16
.LBB506_82:
	s_or_b64 exec, exec, s[18:19]
	s_andn2_b64 s[2:3], vcc, exec
	s_and_b64 s[0:1], s[0:1], exec
	s_or_b64 vcc, s[2:3], s[0:1]
	v_mov_b32_e32 v20, v18
.LBB506_83:
	s_or_b64 exec, exec, s[12:13]
	s_andn2_b64 s[0:1], s[8:9], exec
	s_and_b64 s[2:3], vcc, exec
	s_or_b64 s[8:9], s[0:1], s[2:3]
	v_mov_b32_e32 v2, v20
.LBB506_84:
	s_or_b64 exec, exec, s[10:11]
	s_and_b64 exec, exec, s[8:9]
	s_cbranch_execz .LBB506_31
; %bb.85:
	scratch_load_dword v2, v2, off
	v_add_u32_e32 v0, s16, v0
	v_ashrrev_i32_e32 v1, 31, v0
	s_waitcnt lgkmcnt(0)
	v_lshl_add_u64 v[0:1], v[0:1], 2, s[14:15]
	s_waitcnt vmcnt(0)
	v_mul_f32_e32 v2, v8, v2
	global_store_dword v[0:1], v2, off
	s_endpgm
	.section	.rodata,"a",@progbits
	.p2align	6, 0x0
	.amdhsa_kernel _ZN4vllm3moe22topkGatingSoftplusSqrtILi8ELi64ELi4ELi16ELi32ELb1El14__hip_bfloat16EEvPKT6_PKbPfiPT5_PiiiibdPKfPKS9_SF_
		.amdhsa_group_segment_fixed_size 0
		.amdhsa_private_segment_fixed_size 48
		.amdhsa_kernarg_size 96
		.amdhsa_user_sgpr_count 2
		.amdhsa_user_sgpr_dispatch_ptr 0
		.amdhsa_user_sgpr_queue_ptr 0
		.amdhsa_user_sgpr_kernarg_segment_ptr 1
		.amdhsa_user_sgpr_dispatch_id 0
		.amdhsa_user_sgpr_kernarg_preload_length 0
		.amdhsa_user_sgpr_kernarg_preload_offset 0
		.amdhsa_user_sgpr_private_segment_size 0
		.amdhsa_uses_dynamic_stack 0
		.amdhsa_enable_private_segment 1
		.amdhsa_system_sgpr_workgroup_id_x 1
		.amdhsa_system_sgpr_workgroup_id_y 0
		.amdhsa_system_sgpr_workgroup_id_z 0
		.amdhsa_system_sgpr_workgroup_info 0
		.amdhsa_system_vgpr_workitem_id 1
		.amdhsa_next_free_vgpr 28
		.amdhsa_next_free_sgpr 36
		.amdhsa_accum_offset 28
		.amdhsa_reserve_vcc 1
		.amdhsa_float_round_mode_32 0
		.amdhsa_float_round_mode_16_64 0
		.amdhsa_float_denorm_mode_32 3
		.amdhsa_float_denorm_mode_16_64 3
		.amdhsa_dx10_clamp 1
		.amdhsa_ieee_mode 1
		.amdhsa_fp16_overflow 0
		.amdhsa_tg_split 0
		.amdhsa_exception_fp_ieee_invalid_op 0
		.amdhsa_exception_fp_denorm_src 0
		.amdhsa_exception_fp_ieee_div_zero 0
		.amdhsa_exception_fp_ieee_overflow 0
		.amdhsa_exception_fp_ieee_underflow 0
		.amdhsa_exception_fp_ieee_inexact 0
		.amdhsa_exception_int_div_zero 0
	.end_amdhsa_kernel
	.section	.text._ZN4vllm3moe22topkGatingSoftplusSqrtILi8ELi64ELi4ELi16ELi32ELb1El14__hip_bfloat16EEvPKT6_PKbPfiPT5_PiiiibdPKfPKS9_SF_,"axG",@progbits,_ZN4vllm3moe22topkGatingSoftplusSqrtILi8ELi64ELi4ELi16ELi32ELb1El14__hip_bfloat16EEvPKT6_PKbPfiPT5_PiiiibdPKfPKS9_SF_,comdat
.Lfunc_end506:
	.size	_ZN4vllm3moe22topkGatingSoftplusSqrtILi8ELi64ELi4ELi16ELi32ELb1El14__hip_bfloat16EEvPKT6_PKbPfiPT5_PiiiibdPKfPKS9_SF_, .Lfunc_end506-_ZN4vllm3moe22topkGatingSoftplusSqrtILi8ELi64ELi4ELi16ELi32ELb1El14__hip_bfloat16EEvPKT6_PKbPfiPT5_PiiiibdPKfPKS9_SF_
                                        ; -- End function
	.section	.AMDGPU.csdata,"",@progbits
; Kernel info:
; codeLenInByte = 4568
; NumSgprs: 42
; NumVgprs: 28
; NumAgprs: 0
; TotalNumVgprs: 28
; ScratchSize: 48
; MemoryBound: 0
; FloatMode: 240
; IeeeMode: 1
; LDSByteSize: 0 bytes/workgroup (compile time only)
; SGPRBlocks: 5
; VGPRBlocks: 3
; NumSGPRsForWavesPerEU: 42
; NumVGPRsForWavesPerEU: 28
; AccumOffset: 28
; Occupancy: 8
; WaveLimiterHint : 1
; COMPUTE_PGM_RSRC2:SCRATCH_EN: 1
; COMPUTE_PGM_RSRC2:USER_SGPR: 2
; COMPUTE_PGM_RSRC2:TRAP_HANDLER: 0
; COMPUTE_PGM_RSRC2:TGID_X_EN: 1
; COMPUTE_PGM_RSRC2:TGID_Y_EN: 0
; COMPUTE_PGM_RSRC2:TGID_Z_EN: 0
; COMPUTE_PGM_RSRC2:TIDIG_COMP_CNT: 1
; COMPUTE_PGM_RSRC3_GFX90A:ACCUM_OFFSET: 6
; COMPUTE_PGM_RSRC3_GFX90A:TG_SPLIT: 0
	.section	.text._ZN4vllm3moe22topkGatingSoftplusSqrtILi8ELi64ELi4ELi16ELi32ELb0El14__hip_bfloat16EEvPKT6_PKbPfiPT5_PiiiibdPKfPKS9_SF_,"axG",@progbits,_ZN4vllm3moe22topkGatingSoftplusSqrtILi8ELi64ELi4ELi16ELi32ELb0El14__hip_bfloat16EEvPKT6_PKbPfiPT5_PiiiibdPKfPKS9_SF_,comdat
	.protected	_ZN4vllm3moe22topkGatingSoftplusSqrtILi8ELi64ELi4ELi16ELi32ELb0El14__hip_bfloat16EEvPKT6_PKbPfiPT5_PiiiibdPKfPKS9_SF_ ; -- Begin function _ZN4vllm3moe22topkGatingSoftplusSqrtILi8ELi64ELi4ELi16ELi32ELb0El14__hip_bfloat16EEvPKT6_PKbPfiPT5_PiiiibdPKfPKS9_SF_
	.globl	_ZN4vllm3moe22topkGatingSoftplusSqrtILi8ELi64ELi4ELi16ELi32ELb0El14__hip_bfloat16EEvPKT6_PKbPfiPT5_PiiiibdPKfPKS9_SF_
	.p2align	8
	.type	_ZN4vllm3moe22topkGatingSoftplusSqrtILi8ELi64ELi4ELi16ELi32ELb0El14__hip_bfloat16EEvPKT6_PKbPfiPT5_PiiiibdPKfPKS9_SF_,@function
_ZN4vllm3moe22topkGatingSoftplusSqrtILi8ELi64ELi4ELi16ELi32ELb0El14__hip_bfloat16EEvPKT6_PKbPfiPT5_PiiiibdPKfPKS9_SF_: ; @_ZN4vllm3moe22topkGatingSoftplusSqrtILi8ELi64ELi4ELi16ELi32ELb0El14__hip_bfloat16EEvPKT6_PKbPfiPT5_PiiiibdPKfPKS9_SF_
; %bb.0:
	s_load_dword s33, s[0:1], 0x18
	v_bfe_u32 v1, v0, 10, 10
	v_and_b32_e32 v0, 0x3ff, v0
	s_lshl_b32 s2, s2, 4
	v_lshlrev_b32_e32 v1, 2, v1
	v_lshrrev_b32_e32 v2, 3, v0
	v_add3_u32 v8, s2, v1, v2
	s_waitcnt lgkmcnt(0)
	v_cmp_gt_i32_e32 vcc, s33, v8
	s_and_saveexec_b64 s[2:3], vcc
	s_cbranch_execz .LBB507_57
; %bb.1:
	s_load_dwordx4 s[4:7], s[0:1], 0x0
	s_load_dwordx2 s[34:35], s[0:1], 0x10
	s_waitcnt lgkmcnt(0)
	s_cmp_eq_u64 s[6:7], 0
	s_cbranch_scc1 .LBB507_3
; %bb.2:
	v_ashrrev_i32_e32 v9, 31, v8
	v_lshl_add_u64 v[2:3], s[6:7], 0, v[8:9]
	global_load_ubyte v1, v[2:3], off
	s_waitcnt vmcnt(0)
	v_and_b32_e32 v1, 1, v1
	v_cmp_eq_u32_e32 vcc, 1, v1
	s_xor_b64 s[2:3], vcc, -1
	s_orn2_b64 s[36:37], s[2:3], exec
	s_branch .LBB507_4
.LBB507_3:
	s_mov_b64 s[36:37], -1
.LBB507_4:
	v_lshlrev_b32_e32 v4, 6, v8
	v_mov_b32_e32 v2, s4
	v_mov_b32_e32 v3, s5
	v_ashrrev_i32_e32 v5, 31, v4
	v_and_b32_e32 v9, 7, v0
	v_lshl_add_u64 v[2:3], v[4:5], 1, v[2:3]
	v_mov_b32_e32 v1, 0
	v_lshlrev_b32_e32 v0, 4, v9
	v_lshl_add_u64 v[0:1], v[2:3], 0, v[0:1]
	global_load_dwordx4 v[4:7], v[0:1], off
	s_mov_b32 s12, 0x800000
	v_mov_b32_e32 v2, 0x4f800000
	s_mov_b32 s9, 0x3f317217
	s_mov_b32 s10, 0x7f800000
	v_mov_b32_e32 v3, 0x41b17218
	s_mov_b32 s8, 0x41a00000
	s_mov_b32 s11, 0xf800000
	s_load_dwordx4 s[20:23], s[0:1], 0x40
	v_lshlrev_b32_e32 v12, 3, v9
	s_waitcnt lgkmcnt(0)
	s_cmp_lg_u64 s[22:23], 0
	s_cselect_b64 s[6:7], -1, 0
	s_and_b64 s[2:3], exec, s[6:7]
	s_waitcnt vmcnt(0)
	v_lshlrev_b32_e32 v0, 16, v4
	v_mul_f32_e32 v1, 0x3fb8aa3b, v0
	v_exp_f32_e32 v10, v1
	v_mov_b32_e32 v1, 0x260
	v_add_f32_e32 v10, 1.0, v10
	v_cmp_gt_f32_e32 vcc, s12, v10
	s_nop 1
	v_cndmask_b32_e32 v11, 1.0, v2, vcc
	v_mul_f32_e32 v10, v10, v11
	v_log_f32_e32 v11, v10
	v_cndmask_b32_e32 v13, 0, v3, vcc
	v_lshlrev_b32_e32 v10, 2, v12
	v_mul_f32_e32 v14, 0x3f317217, v11
	v_fma_f32 v14, v11, s9, -v14
	v_fmac_f32_e32 v14, 0x3377d1cf, v11
	v_fmac_f32_e32 v14, 0x3f317217, v11
	v_cmp_lt_f32_e64 vcc, |v11|, s10
	s_nop 1
	v_cndmask_b32_e32 v11, v11, v14, vcc
	v_sub_f32_e32 v11, v11, v13
	v_cmp_lt_f32_e32 vcc, s8, v0
	s_nop 1
	v_cndmask_b32_e32 v0, v11, v0, vcc
	v_mul_f32_e32 v11, 0x4f800000, v0
	v_cmp_gt_f32_e32 vcc, s11, v0
	s_nop 1
	v_cndmask_b32_e32 v0, v0, v11, vcc
	v_sqrt_f32_e32 v11, v0
	s_nop 0
	v_add_u32_e32 v13, -1, v11
	v_add_u32_e32 v14, 1, v11
	v_fma_f32 v15, -v13, v11, v0
	v_fma_f32 v16, -v14, v11, v0
	v_cmp_ge_f32_e64 s[4:5], 0, v15
	s_nop 1
	v_cndmask_b32_e64 v11, v11, v13, s[4:5]
	v_cmp_lt_f32_e64 s[4:5], 0, v16
	s_nop 1
	v_cndmask_b32_e64 v11, v11, v14, s[4:5]
	v_mul_f32_e32 v13, 0x37800000, v11
	v_cndmask_b32_e32 v11, v11, v13, vcc
	v_cmp_class_f32_e32 vcc, v0, v1
	s_nop 1
	v_cndmask_b32_e32 v0, v11, v0, vcc
	s_mov_b64 vcc, s[2:3]
	s_cbranch_vccz .LBB507_6
; %bb.5:
	global_load_dword v11, v10, s[22:23]
	s_waitcnt vmcnt(0)
	v_add_f32_e32 v0, v0, v11
.LBB507_6:
	v_and_b32_e32 v4, 0xffff0000, v4
	v_mul_f32_e32 v11, 0x3fb8aa3b, v4
	v_exp_f32_e32 v11, v11
	s_nop 0
	v_add_f32_e32 v11, 1.0, v11
	v_cmp_gt_f32_e32 vcc, s12, v11
	s_nop 1
	v_cndmask_b32_e32 v2, 1.0, v2, vcc
	v_mul_f32_e32 v2, v11, v2
	v_log_f32_e32 v2, v2
	v_cndmask_b32_e32 v3, 0, v3, vcc
	v_mul_f32_e32 v11, 0x3f317217, v2
	v_fma_f32 v11, v2, s9, -v11
	v_fmac_f32_e32 v11, 0x3377d1cf, v2
	v_fmac_f32_e32 v11, 0x3f317217, v2
	v_cmp_lt_f32_e64 vcc, |v2|, s10
	s_nop 1
	v_cndmask_b32_e32 v2, v2, v11, vcc
	v_sub_f32_e32 v2, v2, v3
	v_cmp_lt_f32_e32 vcc, s8, v4
	s_nop 1
	v_cndmask_b32_e32 v2, v2, v4, vcc
	v_mul_f32_e32 v3, 0x4f800000, v2
	v_cmp_gt_f32_e32 vcc, s11, v2
	s_nop 1
	v_cndmask_b32_e32 v2, v2, v3, vcc
	v_sqrt_f32_e32 v3, v2
	v_cmp_class_f32_e64 s[4:5], v2, v1
	v_add_u32_e32 v4, -1, v3
	v_add_u32_e32 v11, 1, v3
	v_fma_f32 v13, -v4, v3, v2
	v_fma_f32 v14, -v11, v3, v2
	v_cmp_ge_f32_e64 s[2:3], 0, v13
	s_nop 1
	v_cndmask_b32_e64 v3, v3, v4, s[2:3]
	v_cmp_lt_f32_e64 s[2:3], 0, v14
	s_nop 1
	v_cndmask_b32_e64 v3, v3, v11, s[2:3]
	v_mul_f32_e32 v4, 0x37800000, v3
	v_cndmask_b32_e32 v3, v3, v4, vcc
	v_cndmask_b32_e64 v4, 0, 1, s[6:7]
	v_cmp_ne_u32_e64 s[2:3], 1, v4
	s_andn2_b64 vcc, exec, s[6:7]
	v_cndmask_b32_e64 v1, v3, v2, s[4:5]
	s_cbranch_vccnz .LBB507_8
; %bb.7:
	global_load_dword v2, v10, s[22:23] offset:4
	s_waitcnt vmcnt(0)
	v_add_f32_e32 v1, v1, v2
.LBB507_8:
	v_lshlrev_b32_e32 v2, 16, v5
	v_mul_f32_e32 v3, 0x3fb8aa3b, v2
	v_exp_f32_e32 v3, v3
	s_mov_b32 s10, 0x800000
	v_mov_b32_e32 v4, 0x4f800000
	s_mov_b32 s7, 0x3f317217
	v_add_f32_e32 v3, 1.0, v3
	v_cmp_gt_f32_e32 vcc, s10, v3
	s_mov_b32 s8, 0x7f800000
	s_mov_b32 s6, 0x41a00000
	v_cndmask_b32_e32 v11, 1.0, v4, vcc
	v_mul_f32_e32 v3, v3, v11
	v_log_f32_e32 v3, v3
	s_mov_b32 s9, 0xf800000
	v_mul_f32_e32 v11, 0x3f317217, v3
	v_fma_f32 v11, v3, s7, -v11
	v_fmac_f32_e32 v11, 0x3377d1cf, v3
	v_fmac_f32_e32 v11, 0x3f317217, v3
	v_cmp_lt_f32_e64 s[4:5], |v3|, s8
	s_nop 1
	v_cndmask_b32_e64 v3, v3, v11, s[4:5]
	v_mov_b32_e32 v11, 0x41b17218
	v_cndmask_b32_e32 v13, 0, v11, vcc
	v_sub_f32_e32 v3, v3, v13
	v_cmp_lt_f32_e32 vcc, s6, v2
	s_nop 1
	v_cndmask_b32_e32 v2, v3, v2, vcc
	v_mul_f32_e32 v3, 0x4f800000, v2
	v_cmp_gt_f32_e32 vcc, s9, v2
	s_nop 1
	v_cndmask_b32_e32 v2, v2, v3, vcc
	v_sqrt_f32_e32 v3, v2
	s_nop 0
	v_add_u32_e32 v13, -1, v3
	v_fma_f32 v14, -v13, v3, v2
	v_cmp_ge_f32_e64 s[4:5], 0, v14
	v_add_u32_e32 v14, 1, v3
	s_nop 0
	v_cndmask_b32_e64 v13, v3, v13, s[4:5]
	v_fma_f32 v3, -v14, v3, v2
	v_cmp_lt_f32_e64 s[4:5], 0, v3
	s_nop 1
	v_cndmask_b32_e64 v3, v13, v14, s[4:5]
	v_mul_f32_e32 v13, 0x37800000, v3
	v_cndmask_b32_e32 v13, v3, v13, vcc
	v_mov_b32_e32 v3, 0x260
	v_cmp_class_f32_e64 s[4:5], v2, v3
	s_and_b64 vcc, exec, s[2:3]
	s_nop 0
	v_cndmask_b32_e64 v2, v13, v2, s[4:5]
	s_cbranch_vccnz .LBB507_10
; %bb.9:
	global_load_dword v13, v10, s[22:23] offset:8
	s_waitcnt vmcnt(0)
	v_add_f32_e32 v2, v2, v13
.LBB507_10:
	v_and_b32_e32 v5, 0xffff0000, v5
	v_mul_f32_e32 v13, 0x3fb8aa3b, v5
	v_exp_f32_e32 v13, v13
	s_nop 0
	v_add_f32_e32 v13, 1.0, v13
	v_cmp_gt_f32_e32 vcc, s10, v13
	s_nop 1
	v_cndmask_b32_e32 v4, 1.0, v4, vcc
	v_mul_f32_e32 v4, v13, v4
	v_log_f32_e32 v4, v4
	v_cndmask_b32_e32 v11, 0, v11, vcc
	v_mul_f32_e32 v13, 0x3f317217, v4
	v_fma_f32 v13, v4, s7, -v13
	v_fmac_f32_e32 v13, 0x3377d1cf, v4
	v_fmac_f32_e32 v13, 0x3f317217, v4
	v_cmp_lt_f32_e64 vcc, |v4|, s8
	s_nop 1
	v_cndmask_b32_e32 v4, v4, v13, vcc
	v_sub_f32_e32 v4, v4, v11
	v_cmp_lt_f32_e32 vcc, s6, v5
	s_nop 1
	v_cndmask_b32_e32 v4, v4, v5, vcc
	v_mul_f32_e32 v5, 0x4f800000, v4
	v_cmp_gt_f32_e32 vcc, s9, v4
	s_nop 1
	v_cndmask_b32_e32 v4, v4, v5, vcc
	v_sqrt_f32_e32 v5, v4
	s_nop 0
	v_add_u32_e32 v11, -1, v5
	v_add_u32_e32 v13, 1, v5
	v_fma_f32 v14, -v11, v5, v4
	v_fma_f32 v15, -v13, v5, v4
	v_cmp_ge_f32_e64 s[4:5], 0, v14
	s_nop 1
	v_cndmask_b32_e64 v5, v5, v11, s[4:5]
	v_cmp_lt_f32_e64 s[4:5], 0, v15
	s_nop 1
	v_cndmask_b32_e64 v5, v5, v13, s[4:5]
	v_mul_f32_e32 v11, 0x37800000, v5
	v_cndmask_b32_e32 v5, v5, v11, vcc
	v_cmp_class_f32_e64 s[4:5], v4, v3
	s_and_b64 vcc, exec, s[2:3]
	s_nop 0
	v_cndmask_b32_e64 v3, v5, v4, s[4:5]
	s_cbranch_vccnz .LBB507_12
; %bb.11:
	global_load_dword v4, v10, s[22:23] offset:12
	s_waitcnt vmcnt(0)
	v_add_f32_e32 v3, v3, v4
.LBB507_12:
	v_lshlrev_b32_e32 v4, 16, v6
	v_mul_f32_e32 v5, 0x3fb8aa3b, v4
	v_exp_f32_e32 v5, v5
	v_mov_b32_e32 v11, 0x4f800000
	v_add_f32_e32 v5, 1.0, v5
	v_cmp_gt_f32_e32 vcc, s10, v5
	s_nop 1
	v_cndmask_b32_e32 v13, 1.0, v11, vcc
	v_mul_f32_e32 v5, v5, v13
	v_log_f32_e32 v5, v5
	s_nop 0
	v_mul_f32_e32 v13, 0x3f317217, v5
	v_fma_f32 v13, v5, s7, -v13
	v_fmac_f32_e32 v13, 0x3377d1cf, v5
	v_fmac_f32_e32 v13, 0x3f317217, v5
	v_cmp_lt_f32_e64 s[4:5], |v5|, s8
	s_nop 1
	v_cndmask_b32_e64 v5, v5, v13, s[4:5]
	v_mov_b32_e32 v13, 0x41b17218
	v_cndmask_b32_e32 v14, 0, v13, vcc
	v_sub_f32_e32 v5, v5, v14
	v_cmp_lt_f32_e32 vcc, s6, v4
	s_nop 1
	v_cndmask_b32_e32 v4, v5, v4, vcc
	v_mul_f32_e32 v5, 0x4f800000, v4
	v_cmp_gt_f32_e32 vcc, s9, v4
	s_nop 1
	v_cndmask_b32_e32 v4, v4, v5, vcc
	v_sqrt_f32_e32 v5, v4
	s_nop 0
	v_add_u32_e32 v14, -1, v5
	v_fma_f32 v15, -v14, v5, v4
	v_cmp_ge_f32_e64 s[4:5], 0, v15
	v_add_u32_e32 v15, 1, v5
	s_nop 0
	v_cndmask_b32_e64 v14, v5, v14, s[4:5]
	v_fma_f32 v5, -v15, v5, v4
	v_cmp_lt_f32_e64 s[4:5], 0, v5
	s_nop 1
	v_cndmask_b32_e64 v5, v14, v15, s[4:5]
	v_mul_f32_e32 v14, 0x37800000, v5
	v_cndmask_b32_e32 v14, v5, v14, vcc
	v_mov_b32_e32 v5, 0x260
	v_cmp_class_f32_e64 s[4:5], v4, v5
	s_and_b64 vcc, exec, s[2:3]
	s_nop 0
	v_cndmask_b32_e64 v4, v14, v4, s[4:5]
	s_cbranch_vccnz .LBB507_14
; %bb.13:
	global_load_dword v14, v10, s[22:23] offset:16
	s_waitcnt vmcnt(0)
	v_add_f32_e32 v4, v4, v14
.LBB507_14:
	v_and_b32_e32 v6, 0xffff0000, v6
	v_mul_f32_e32 v14, 0x3fb8aa3b, v6
	v_exp_f32_e32 v14, v14
	s_nop 0
	v_add_f32_e32 v14, 1.0, v14
	v_cmp_gt_f32_e32 vcc, s10, v14
	s_nop 1
	v_cndmask_b32_e32 v11, 1.0, v11, vcc
	v_mul_f32_e32 v11, v14, v11
	v_log_f32_e32 v11, v11
	v_cndmask_b32_e32 v13, 0, v13, vcc
	v_mul_f32_e32 v14, 0x3f317217, v11
	v_fma_f32 v14, v11, s7, -v14
	v_fmac_f32_e32 v14, 0x3377d1cf, v11
	v_fmac_f32_e32 v14, 0x3f317217, v11
	v_cmp_lt_f32_e64 vcc, |v11|, s8
	s_nop 1
	v_cndmask_b32_e32 v11, v11, v14, vcc
	v_sub_f32_e32 v11, v11, v13
	v_cmp_lt_f32_e32 vcc, s6, v6
	s_nop 1
	v_cndmask_b32_e32 v6, v11, v6, vcc
	v_mul_f32_e32 v11, 0x4f800000, v6
	v_cmp_gt_f32_e32 vcc, s9, v6
	s_nop 1
	v_cndmask_b32_e32 v6, v6, v11, vcc
	v_sqrt_f32_e32 v11, v6
	s_nop 0
	v_add_u32_e32 v13, -1, v11
	v_add_u32_e32 v14, 1, v11
	v_fma_f32 v15, -v13, v11, v6
	v_fma_f32 v16, -v14, v11, v6
	v_cmp_ge_f32_e64 s[4:5], 0, v15
	s_nop 1
	v_cndmask_b32_e64 v11, v11, v13, s[4:5]
	v_cmp_lt_f32_e64 s[4:5], 0, v16
	s_nop 1
	v_cndmask_b32_e64 v11, v11, v14, s[4:5]
	v_mul_f32_e32 v13, 0x37800000, v11
	v_cndmask_b32_e32 v11, v11, v13, vcc
	v_cmp_class_f32_e64 s[4:5], v6, v5
	s_and_b64 vcc, exec, s[2:3]
	s_nop 0
	v_cndmask_b32_e64 v5, v11, v6, s[4:5]
	s_cbranch_vccnz .LBB507_16
; %bb.15:
	global_load_dword v6, v10, s[22:23] offset:20
	s_waitcnt vmcnt(0)
	v_add_f32_e32 v5, v5, v6
.LBB507_16:
	v_lshlrev_b32_e32 v6, 16, v7
	v_mul_f32_e32 v11, 0x3fb8aa3b, v6
	v_exp_f32_e32 v11, v11
	v_mov_b32_e32 v13, 0x4f800000
	v_add_f32_e32 v11, 1.0, v11
	v_cmp_gt_f32_e32 vcc, s10, v11
	s_nop 1
	v_cndmask_b32_e32 v14, 1.0, v13, vcc
	v_mul_f32_e32 v11, v11, v14
	v_log_f32_e32 v11, v11
	s_nop 0
	v_mul_f32_e32 v14, 0x3f317217, v11
	v_fma_f32 v14, v11, s7, -v14
	v_fmac_f32_e32 v14, 0x3377d1cf, v11
	v_fmac_f32_e32 v14, 0x3f317217, v11
	v_cmp_lt_f32_e64 s[4:5], |v11|, s8
	s_nop 1
	v_cndmask_b32_e64 v11, v11, v14, s[4:5]
	v_mov_b32_e32 v14, 0x41b17218
	v_cndmask_b32_e32 v15, 0, v14, vcc
	v_sub_f32_e32 v11, v11, v15
	v_cmp_lt_f32_e32 vcc, s6, v6
	s_nop 1
	v_cndmask_b32_e32 v6, v11, v6, vcc
	v_mul_f32_e32 v11, 0x4f800000, v6
	v_cmp_gt_f32_e32 vcc, s9, v6
	s_nop 1
	v_cndmask_b32_e32 v6, v6, v11, vcc
	v_sqrt_f32_e32 v11, v6
	s_nop 0
	v_add_u32_e32 v15, -1, v11
	v_fma_f32 v16, -v15, v11, v6
	v_cmp_ge_f32_e64 s[4:5], 0, v16
	v_add_u32_e32 v16, 1, v11
	s_nop 0
	v_cndmask_b32_e64 v15, v11, v15, s[4:5]
	v_fma_f32 v11, -v16, v11, v6
	v_cmp_lt_f32_e64 s[4:5], 0, v11
	s_nop 1
	v_cndmask_b32_e64 v11, v15, v16, s[4:5]
	v_mul_f32_e32 v15, 0x37800000, v11
	v_cndmask_b32_e32 v15, v11, v15, vcc
	v_mov_b32_e32 v11, 0x260
	v_cmp_class_f32_e64 s[4:5], v6, v11
	s_and_b64 vcc, exec, s[2:3]
	s_nop 0
	v_cndmask_b32_e64 v6, v15, v6, s[4:5]
	s_cbranch_vccnz .LBB507_18
; %bb.17:
	global_load_dword v15, v10, s[22:23] offset:24
	s_waitcnt vmcnt(0)
	v_add_f32_e32 v6, v6, v15
.LBB507_18:
	v_and_b32_e32 v7, 0xffff0000, v7
	v_mul_f32_e32 v15, 0x3fb8aa3b, v7
	v_exp_f32_e32 v15, v15
	s_nop 0
	v_add_f32_e32 v15, 1.0, v15
	v_cmp_gt_f32_e32 vcc, s10, v15
	s_nop 1
	v_cndmask_b32_e32 v13, 1.0, v13, vcc
	v_mul_f32_e32 v13, v15, v13
	v_log_f32_e32 v13, v13
	v_cndmask_b32_e32 v14, 0, v14, vcc
	v_mul_f32_e32 v15, 0x3f317217, v13
	v_fma_f32 v15, v13, s7, -v15
	v_fmac_f32_e32 v15, 0x3377d1cf, v13
	v_fmac_f32_e32 v15, 0x3f317217, v13
	v_cmp_lt_f32_e64 vcc, |v13|, s8
	s_nop 1
	v_cndmask_b32_e32 v13, v13, v15, vcc
	v_sub_f32_e32 v13, v13, v14
	v_cmp_lt_f32_e32 vcc, s6, v7
	s_nop 1
	v_cndmask_b32_e32 v7, v13, v7, vcc
	v_mul_f32_e32 v13, 0x4f800000, v7
	v_cmp_gt_f32_e32 vcc, s9, v7
	s_nop 1
	v_cndmask_b32_e32 v7, v7, v13, vcc
	v_sqrt_f32_e32 v13, v7
	s_nop 0
	v_add_u32_e32 v14, -1, v13
	v_add_u32_e32 v15, 1, v13
	v_fma_f32 v16, -v14, v13, v7
	v_fma_f32 v17, -v15, v13, v7
	v_cmp_ge_f32_e64 s[4:5], 0, v16
	s_nop 1
	v_cndmask_b32_e64 v13, v13, v14, s[4:5]
	v_cmp_lt_f32_e64 s[4:5], 0, v17
	s_nop 1
	v_cndmask_b32_e64 v13, v13, v15, s[4:5]
	v_mul_f32_e32 v14, 0x37800000, v13
	v_cndmask_b32_e32 v13, v13, v14, vcc
	v_cmp_class_f32_e64 s[4:5], v7, v11
	s_and_b64 vcc, exec, s[2:3]
	s_nop 0
	v_cndmask_b32_e64 v7, v13, v7, s[4:5]
	s_cbranch_vccnz .LBB507_20
; %bb.19:
	global_load_dword v10, v10, s[22:23] offset:28
	s_waitcnt vmcnt(0)
	v_add_f32_e32 v7, v7, v10
.LBB507_20:
	s_load_dwordx4 s[24:27], s[0:1], 0x30
	s_mov_b32 s42, 0
	v_cmp_eq_u32_e64 s[6:7], 0, v9
	s_waitcnt lgkmcnt(0)
	s_bitcmp1_b32 s27, 0
	s_cselect_b64 s[4:5], -1, 0
	s_cmp_gt_i32 s24, 0
	s_cselect_b64 s[38:39], -1, 0
	s_and_b64 vcc, exec, s[38:39]
	s_cbranch_vccz .LBB507_43
; %bb.21:
	v_mbcnt_lo_u32_b32 v10, -1, 0
	v_mbcnt_hi_u32_b32 v10, -1, v10
	v_and_b32_e32 v11, 0x78, v10
	v_add_u32_e32 v11, 8, v11
	v_xor_b32_e32 v13, 4, v10
	v_cmp_lt_i32_e32 vcc, v13, v11
	s_load_dwordx4 s[28:31], s[0:1], 0x20
	v_mul_lo_u32 v14, v8, s24
	v_cndmask_b32_e32 v13, v10, v13, vcc
	v_lshlrev_b32_e32 v15, 2, v13
	v_xor_b32_e32 v13, 2, v10
	v_cmp_lt_i32_e32 vcc, v13, v11
	v_mov_b32_e32 v18, 0xc61c4000
	v_mov_b32_e32 v19, v8
	v_cndmask_b32_e32 v13, v10, v13, vcc
	v_lshlrev_b32_e32 v16, 2, v13
	v_xor_b32_e32 v13, 1, v10
	v_cmp_lt_i32_e32 vcc, v13, v11
	s_nop 1
	v_cndmask_b32_e32 v10, v10, v13, vcc
	v_lshlrev_b32_e32 v17, 2, v10
	v_mov_b32_e32 v13, 0
	s_branch .LBB507_24
.LBB507_22:                             ;   in Loop: Header=BB507_24 Depth=1
	s_or_b64 exec, exec, s[40:41]
.LBB507_23:                             ;   in Loop: Header=BB507_24 Depth=1
	s_cmp_eq_u32 s24, s42
	v_add_u32_e32 v19, s33, v19
	s_cbranch_scc1 .LBB507_44
.LBB507_24:                             ; =>This Inner Loop Header: Depth=1
	v_cmp_gt_f32_e32 vcc, v1, v0
	s_nop 1
	v_cndmask_b32_e32 v11, v0, v1, vcc
	v_cndmask_b32_e64 v10, 0, 1, vcc
	v_cmp_gt_f32_e32 vcc, v2, v11
	s_nop 1
	v_cndmask_b32_e32 v11, v11, v2, vcc
	v_cndmask_b32_e64 v10, v10, 2, vcc
	;; [unrolled: 4-line block ×6, first 2 shown]
	v_cmp_gt_f32_e32 vcc, v7, v11
	s_nop 1
	v_cndmask_b32_e64 v10, v10, 7, vcc
	v_cndmask_b32_e32 v20, v11, v7, vcc
	ds_bpermute_b32 v11, v15, v20
	v_or_b32_e32 v10, v12, v10
	s_waitcnt lgkmcnt(0)
	ds_bpermute_b32 v21, v15, v10
	s_waitcnt lgkmcnt(0)
	v_cmp_lt_f32_e64 s[8:9], v20, v11
	v_cmp_nlt_f32_e32 vcc, v20, v11
	s_and_saveexec_b64 s[10:11], vcc
; %bb.25:                               ;   in Loop: Header=BB507_24 Depth=1
	v_cmp_eq_f32_e32 vcc, v20, v11
	v_cmp_lt_i32_e64 s[0:1], v21, v10
	s_and_b64 s[0:1], vcc, s[0:1]
	s_andn2_b64 s[8:9], s[8:9], exec
	s_and_b64 s[0:1], s[0:1], exec
	s_or_b64 s[8:9], s[8:9], s[0:1]
; %bb.26:                               ;   in Loop: Header=BB507_24 Depth=1
	s_or_b64 exec, exec, s[10:11]
	s_and_saveexec_b64 s[0:1], s[8:9]
; %bb.27:                               ;   in Loop: Header=BB507_24 Depth=1
	v_mov_b32_e32 v20, v11
	v_mov_b32_e32 v10, v21
; %bb.28:                               ;   in Loop: Header=BB507_24 Depth=1
	s_or_b64 exec, exec, s[0:1]
	ds_bpermute_b32 v11, v16, v20
	ds_bpermute_b32 v21, v16, v10
	s_waitcnt lgkmcnt(1)
	v_cmp_lt_f32_e64 s[8:9], v20, v11
	v_cmp_nlt_f32_e32 vcc, v20, v11
	s_and_saveexec_b64 s[10:11], vcc
	s_cbranch_execz .LBB507_30
; %bb.29:                               ;   in Loop: Header=BB507_24 Depth=1
	v_cmp_eq_f32_e32 vcc, v20, v11
	s_waitcnt lgkmcnt(0)
	v_cmp_lt_i32_e64 s[0:1], v21, v10
	s_and_b64 s[0:1], vcc, s[0:1]
	s_andn2_b64 s[8:9], s[8:9], exec
	s_and_b64 s[0:1], s[0:1], exec
	s_or_b64 s[8:9], s[8:9], s[0:1]
.LBB507_30:                             ;   in Loop: Header=BB507_24 Depth=1
	s_or_b64 exec, exec, s[10:11]
	s_and_saveexec_b64 s[0:1], s[8:9]
	s_cbranch_execz .LBB507_32
; %bb.31:                               ;   in Loop: Header=BB507_24 Depth=1
	v_mov_b32_e32 v20, v11
	s_waitcnt lgkmcnt(0)
	v_mov_b32_e32 v10, v21
.LBB507_32:                             ;   in Loop: Header=BB507_24 Depth=1
	s_or_b64 exec, exec, s[0:1]
	ds_bpermute_b32 v11, v17, v20
	s_waitcnt lgkmcnt(1)
	ds_bpermute_b32 v21, v17, v10
	s_waitcnt lgkmcnt(1)
	v_cmp_lt_f32_e64 s[8:9], v20, v11
	v_cmp_nlt_f32_e32 vcc, v20, v11
	s_and_saveexec_b64 s[10:11], vcc
	s_cbranch_execnz .LBB507_36
; %bb.33:                               ;   in Loop: Header=BB507_24 Depth=1
	s_or_b64 exec, exec, s[10:11]
	s_and_saveexec_b64 s[0:1], s[8:9]
	s_cbranch_execnz .LBB507_37
.LBB507_34:                             ;   in Loop: Header=BB507_24 Depth=1
	s_or_b64 exec, exec, s[0:1]
	s_and_saveexec_b64 s[8:9], s[6:7]
	s_cbranch_execnz .LBB507_38
.LBB507_35:                             ;   in Loop: Header=BB507_24 Depth=1
	s_or_b64 exec, exec, s[8:9]
	s_add_i32 s42, s42, 1
	s_cmp_ge_i32 s42, s24
	s_cbranch_scc1 .LBB507_23
	s_branch .LBB507_41
.LBB507_36:                             ;   in Loop: Header=BB507_24 Depth=1
	v_cmp_eq_f32_e32 vcc, v20, v11
	s_waitcnt lgkmcnt(0)
	v_cmp_lt_i32_e64 s[0:1], v21, v10
	s_and_b64 s[0:1], vcc, s[0:1]
	s_andn2_b64 s[8:9], s[8:9], exec
	s_and_b64 s[0:1], s[0:1], exec
	s_or_b64 s[8:9], s[8:9], s[0:1]
	s_or_b64 exec, exec, s[10:11]
	s_and_saveexec_b64 s[0:1], s[8:9]
	s_cbranch_execz .LBB507_34
.LBB507_37:                             ;   in Loop: Header=BB507_24 Depth=1
	s_waitcnt lgkmcnt(0)
	v_mov_b32_e32 v10, v21
	v_mov_b32_e32 v20, v11
	s_or_b64 exec, exec, s[0:1]
	s_and_saveexec_b64 s[8:9], s[6:7]
	s_cbranch_execz .LBB507_35
.LBB507_38:                             ;   in Loop: Header=BB507_24 Depth=1
	s_and_b64 vcc, exec, s[2:3]
	s_cbranch_vccnz .LBB507_40
; %bb.39:                               ;   in Loop: Header=BB507_24 Depth=1
	v_ashrrev_i32_e32 v11, 31, v10
	v_lshl_add_u64 v[22:23], v[10:11], 2, s[22:23]
	global_load_dword v11, v[22:23], off
	s_waitcnt vmcnt(0)
	v_sub_f32_e32 v20, v20, v11
.LBB507_40:                             ;   in Loop: Header=BB507_24 Depth=1
	v_add_u32_e32 v22, s42, v14
	v_cmp_le_i32_e32 vcc, s25, v10
	v_cmp_gt_i32_e64 s[0:1], s26, v10
	v_ashrrev_i32_e32 v23, 31, v22
	s_and_b64 s[0:1], vcc, s[0:1]
	v_lshlrev_b64 v[24:25], 2, v[22:23]
	v_subrev_u32_e32 v11, s25, v10
	v_lshl_add_u64 v[26:27], s[34:35], 0, v[24:25]
	s_waitcnt lgkmcnt(0)
	v_ashrrev_i32_e32 v21, 31, v11
	s_and_b64 vcc, s[36:37], s[0:1]
	global_store_dword v[26:27], v20, off
	v_cndmask_b32_e32 v27, 0, v21, vcc
	v_cndmask_b32_e32 v26, 64, v11, vcc
	v_lshl_add_u64 v[22:23], v[22:23], 3, s[28:29]
	v_add_f32_e32 v11, v13, v20
	global_store_dwordx2 v[22:23], v[26:27], off
	v_lshl_add_u64 v[22:23], s[30:31], 0, v[24:25]
	v_cndmask_b32_e64 v13, v13, v11, s[4:5]
	global_store_dword v[22:23], v19, off
	s_or_b64 exec, exec, s[8:9]
	s_add_i32 s42, s42, 1
	s_cmp_ge_i32 s42, s24
	s_cbranch_scc1 .LBB507_23
.LBB507_41:                             ;   in Loop: Header=BB507_24 Depth=1
	v_ashrrev_i32_e32 v20, 31, v10
	v_lshrrev_b32_e32 v11, 29, v20
	v_add_u32_e32 v11, v10, v11
	v_ashrrev_i32_e32 v11, 3, v11
	s_waitcnt lgkmcnt(0)
	v_lshrrev_b32_e32 v21, 29, v11
	v_add_u32_e32 v21, v11, v21
	v_and_b32_e32 v21, -8, v21
	v_sub_u32_e32 v21, v11, v21
	v_cmp_eq_u32_e32 vcc, v9, v21
	s_and_saveexec_b64 s[40:41], vcc
	s_cbranch_execz .LBB507_22
; %bb.42:                               ;   in Loop: Header=BB507_24 Depth=1
	v_lshrrev_b32_e32 v20, 26, v20
	v_add_u32_e32 v20, v10, v20
	v_lshlrev_b32_e32 v11, 3, v11
	v_sub_u32_e32 v10, v10, v11
	v_ashrrev_i32_e32 v11, 6, v20
	v_lshl_add_u32 v10, v11, 3, v10
	v_cmp_ne_u32_e32 vcc, 6, v10
	v_cmp_ne_u32_e64 s[0:1], 5, v10
	v_cmp_ne_u32_e64 s[8:9], 4, v10
	v_cmp_ne_u32_e64 s[10:11], 3, v10
	v_cmp_ne_u32_e64 s[12:13], 2, v10
	v_cmp_ne_u32_e64 s[14:15], 1, v10
	v_cmp_ne_u32_e64 s[16:17], 0, v10
	v_cmp_ne_u32_e64 s[18:19], 7, v10
	v_cndmask_b32_e32 v6, v18, v6, vcc
	v_cndmask_b32_e64 v5, v18, v5, s[0:1]
	v_cndmask_b32_e64 v7, v18, v7, s[18:19]
	;; [unrolled: 1-line block ×7, first 2 shown]
	s_branch .LBB507_22
.LBB507_43:
	v_mov_b32_e32 v13, 0
.LBB507_44:
	v_cmp_eq_u32_e32 vcc, 0, v9
	s_and_b64 exec, exec, vcc
	s_cbranch_execz .LBB507_57
; %bb.45:
	s_andn2_b64 vcc, exec, s[4:5]
	v_cvt_f32_f64_e32 v0, s[20:21]
	s_cbranch_vccnz .LBB507_47
; %bb.46:
	v_cmp_lt_f32_e32 vcc, 0, v13
	s_nop 1
	v_cndmask_b32_e32 v1, 1.0, v13, vcc
	v_div_scale_f32 v2, s[0:1], v1, v1, v0
	v_rcp_f32_e32 v3, v2
	s_nop 0
	v_fma_f32 v4, -v2, v3, 1.0
	v_fmac_f32_e32 v3, v4, v3
	v_div_scale_f32 v4, vcc, v0, v1, v0
	v_mul_f32_e32 v5, v4, v3
	v_fma_f32 v6, -v2, v5, v4
	v_fmac_f32_e32 v5, v6, v3
	v_fma_f32 v2, -v2, v5, v4
	v_div_fmas_f32 v2, v2, v3, v5
	v_div_fixup_f32 v0, v2, v1, v0
.LBB507_47:
	s_andn2_b64 vcc, exec, s[38:39]
	s_cbranch_vccnz .LBB507_57
; %bb.48:
	v_mul_lo_u32 v2, v8, s24
	s_cmp_gt_u32 s24, 3
	v_ashrrev_i32_e32 v3, 31, v2
	s_cbranch_scc0 .LBB507_52
; %bb.49:
	s_and_b32 s0, s24, 0x7ffffffc
	v_lshl_add_u64 v[4:5], v[2:3], 2, s[34:35]
	v_mov_b32_e32 v1, v0
	v_lshl_add_u64 v[4:5], v[4:5], 0, 8
	s_mov_b32 s1, s0
.LBB507_50:                             ; =>This Inner Loop Header: Depth=1
	global_load_dwordx4 v[6:9], v[4:5], off offset:-8
	s_add_i32 s1, s1, -4
	s_cmp_lg_u32 s1, 0
	s_waitcnt vmcnt(0)
	v_pk_mul_f32 v[6:7], v[0:1], v[6:7]
	v_pk_mul_f32 v[8:9], v[0:1], v[8:9]
	global_store_dwordx4 v[4:5], v[6:9], off offset:-8
	v_lshl_add_u64 v[4:5], v[4:5], 0, 16
	s_cbranch_scc1 .LBB507_50
; %bb.51:
	s_cmp_lg_u32 s0, s24
	s_cselect_b64 s[2:3], -1, 0
	s_branch .LBB507_54
.LBB507_52:
	s_mov_b64 s[2:3], 0
                                        ; implicit-def: $sgpr0
	s_cbranch_execz .LBB507_54
; %bb.53:
	s_mov_b64 s[2:3], -1
	s_mov_b32 s0, 0
.LBB507_54:
	s_andn2_b64 vcc, exec, s[2:3]
	s_cbranch_vccnz .LBB507_57
; %bb.55:
	s_mov_b32 s1, 0
	v_lshl_add_u64 v[2:3], v[2:3], 0, s[0:1]
	s_sub_i32 s2, s24, s0
	v_lshl_add_u64 v[2:3], v[2:3], 2, s[34:35]
.LBB507_56:                             ; =>This Inner Loop Header: Depth=1
	global_load_dword v1, v[2:3], off
	s_add_i32 s2, s2, -1
	s_cmp_lg_u32 s2, 0
	s_waitcnt vmcnt(0)
	v_mul_f32_e32 v1, v0, v1
	global_store_dword v[2:3], v1, off
	v_lshl_add_u64 v[2:3], v[2:3], 0, 4
	s_cbranch_scc1 .LBB507_56
.LBB507_57:
	s_endpgm
	.section	.rodata,"a",@progbits
	.p2align	6, 0x0
	.amdhsa_kernel _ZN4vllm3moe22topkGatingSoftplusSqrtILi8ELi64ELi4ELi16ELi32ELb0El14__hip_bfloat16EEvPKT6_PKbPfiPT5_PiiiibdPKfPKS9_SF_
		.amdhsa_group_segment_fixed_size 0
		.amdhsa_private_segment_fixed_size 0
		.amdhsa_kernarg_size 96
		.amdhsa_user_sgpr_count 2
		.amdhsa_user_sgpr_dispatch_ptr 0
		.amdhsa_user_sgpr_queue_ptr 0
		.amdhsa_user_sgpr_kernarg_segment_ptr 1
		.amdhsa_user_sgpr_dispatch_id 0
		.amdhsa_user_sgpr_kernarg_preload_length 0
		.amdhsa_user_sgpr_kernarg_preload_offset 0
		.amdhsa_user_sgpr_private_segment_size 0
		.amdhsa_uses_dynamic_stack 0
		.amdhsa_enable_private_segment 0
		.amdhsa_system_sgpr_workgroup_id_x 1
		.amdhsa_system_sgpr_workgroup_id_y 0
		.amdhsa_system_sgpr_workgroup_id_z 0
		.amdhsa_system_sgpr_workgroup_info 0
		.amdhsa_system_vgpr_workitem_id 1
		.amdhsa_next_free_vgpr 28
		.amdhsa_next_free_sgpr 43
		.amdhsa_accum_offset 28
		.amdhsa_reserve_vcc 1
		.amdhsa_float_round_mode_32 0
		.amdhsa_float_round_mode_16_64 0
		.amdhsa_float_denorm_mode_32 3
		.amdhsa_float_denorm_mode_16_64 3
		.amdhsa_dx10_clamp 1
		.amdhsa_ieee_mode 1
		.amdhsa_fp16_overflow 0
		.amdhsa_tg_split 0
		.amdhsa_exception_fp_ieee_invalid_op 0
		.amdhsa_exception_fp_denorm_src 0
		.amdhsa_exception_fp_ieee_div_zero 0
		.amdhsa_exception_fp_ieee_overflow 0
		.amdhsa_exception_fp_ieee_underflow 0
		.amdhsa_exception_fp_ieee_inexact 0
		.amdhsa_exception_int_div_zero 0
	.end_amdhsa_kernel
	.section	.text._ZN4vllm3moe22topkGatingSoftplusSqrtILi8ELi64ELi4ELi16ELi32ELb0El14__hip_bfloat16EEvPKT6_PKbPfiPT5_PiiiibdPKfPKS9_SF_,"axG",@progbits,_ZN4vllm3moe22topkGatingSoftplusSqrtILi8ELi64ELi4ELi16ELi32ELb0El14__hip_bfloat16EEvPKT6_PKbPfiPT5_PiiiibdPKfPKS9_SF_,comdat
.Lfunc_end507:
	.size	_ZN4vllm3moe22topkGatingSoftplusSqrtILi8ELi64ELi4ELi16ELi32ELb0El14__hip_bfloat16EEvPKT6_PKbPfiPT5_PiiiibdPKfPKS9_SF_, .Lfunc_end507-_ZN4vllm3moe22topkGatingSoftplusSqrtILi8ELi64ELi4ELi16ELi32ELb0El14__hip_bfloat16EEvPKT6_PKbPfiPT5_PiiiibdPKfPKS9_SF_
                                        ; -- End function
	.section	.AMDGPU.csdata,"",@progbits
; Kernel info:
; codeLenInByte = 3872
; NumSgprs: 49
; NumVgprs: 28
; NumAgprs: 0
; TotalNumVgprs: 28
; ScratchSize: 0
; MemoryBound: 0
; FloatMode: 240
; IeeeMode: 1
; LDSByteSize: 0 bytes/workgroup (compile time only)
; SGPRBlocks: 6
; VGPRBlocks: 3
; NumSGPRsForWavesPerEU: 49
; NumVGPRsForWavesPerEU: 28
; AccumOffset: 28
; Occupancy: 8
; WaveLimiterHint : 0
; COMPUTE_PGM_RSRC2:SCRATCH_EN: 0
; COMPUTE_PGM_RSRC2:USER_SGPR: 2
; COMPUTE_PGM_RSRC2:TRAP_HANDLER: 0
; COMPUTE_PGM_RSRC2:TGID_X_EN: 1
; COMPUTE_PGM_RSRC2:TGID_Y_EN: 0
; COMPUTE_PGM_RSRC2:TGID_Z_EN: 0
; COMPUTE_PGM_RSRC2:TIDIG_COMP_CNT: 1
; COMPUTE_PGM_RSRC3_GFX90A:ACCUM_OFFSET: 6
; COMPUTE_PGM_RSRC3_GFX90A:TG_SPLIT: 0
	.section	.text._ZN4vllm3moe22topkGatingSoftplusSqrtILi8ELi128ELi4ELi16ELi64ELb1El14__hip_bfloat16EEvPKT6_PKbPfiPT5_PiiiibdPKfPKS9_SF_,"axG",@progbits,_ZN4vllm3moe22topkGatingSoftplusSqrtILi8ELi128ELi4ELi16ELi64ELb1El14__hip_bfloat16EEvPKT6_PKbPfiPT5_PiiiibdPKfPKS9_SF_,comdat
	.protected	_ZN4vllm3moe22topkGatingSoftplusSqrtILi8ELi128ELi4ELi16ELi64ELb1El14__hip_bfloat16EEvPKT6_PKbPfiPT5_PiiiibdPKfPKS9_SF_ ; -- Begin function _ZN4vllm3moe22topkGatingSoftplusSqrtILi8ELi128ELi4ELi16ELi64ELb1El14__hip_bfloat16EEvPKT6_PKbPfiPT5_PiiiibdPKfPKS9_SF_
	.globl	_ZN4vllm3moe22topkGatingSoftplusSqrtILi8ELi128ELi4ELi16ELi64ELb1El14__hip_bfloat16EEvPKT6_PKbPfiPT5_PiiiibdPKfPKS9_SF_
	.p2align	8
	.type	_ZN4vllm3moe22topkGatingSoftplusSqrtILi8ELi128ELi4ELi16ELi64ELb1El14__hip_bfloat16EEvPKT6_PKbPfiPT5_PiiiibdPKfPKS9_SF_,@function
_ZN4vllm3moe22topkGatingSoftplusSqrtILi8ELi128ELi4ELi16ELi64ELb1El14__hip_bfloat16EEvPKT6_PKbPfiPT5_PiiiibdPKfPKS9_SF_: ; @_ZN4vllm3moe22topkGatingSoftplusSqrtILi8ELi128ELi4ELi16ELi64ELb1El14__hip_bfloat16EEvPKT6_PKbPfiPT5_PiiiibdPKfPKS9_SF_
; %bb.0:
	s_load_dword s3, s[0:1], 0x18
	v_bfe_u32 v1, v0, 10, 10
	v_and_b32_e32 v8, 0x3ff, v0
	s_lshl_b32 s2, s2, 4
	v_lshlrev_b32_e32 v1, 2, v1
	v_lshrrev_b32_e32 v0, 4, v8
	v_add3_u32 v6, s2, v1, v0
	s_waitcnt lgkmcnt(0)
	v_cmp_gt_i32_e32 vcc, s3, v6
	s_and_saveexec_b64 s[2:3], vcc
	s_cbranch_execz .LBB508_31
; %bb.1:
	s_load_dwordx4 s[8:11], s[0:1], 0x50
	s_load_dwordx2 s[2:3], s[0:1], 0x0
	s_load_dword s12, s[0:1], 0x30
	v_lshlrev_b32_e32 v0, 7, v6
	v_lshlrev_b32_e32 v4, 3, v8
	v_ashrrev_i32_e32 v1, 31, v0
	v_and_b32_e32 v12, 0x78, v4
	s_waitcnt lgkmcnt(0)
	v_mov_b32_e32 v2, s8
	v_mov_b32_e32 v3, s9
	v_lshl_add_u64 v[0:1], v[0:1], 1, s[2:3]
	v_lshlrev_b32_e32 v4, 1, v12
	v_mov_b32_e32 v5, 0
	v_ashrrev_i32_e32 v7, 31, v6
	v_lshl_add_u64 v[2:3], v[6:7], 3, v[2:3]
	v_lshl_add_u64 v[0:1], v[0:1], 0, v[4:5]
	global_load_dwordx2 v[10:11], v[2:3], off
	s_ashr_i32 s13, s12, 31
	global_load_dwordx4 v[0:3], v[0:1], off
	s_mov_b32 s23, 0x800000
	v_mov_b32_e32 v4, 0x4f800000
	s_mov_b32 s21, 0x3f317217
	s_mov_b32 s22, 0x7f800000
	v_mov_b32_e32 v7, 0x41b17218
	s_mov_b32 s17, 0x41a00000
	s_mov_b32 s20, 0xf800000
	v_mov_b32_e32 v9, 0x260
	v_cmp_lt_i64_e64 s[18:19], s[12:13], 1
	s_mov_b32 s16, 0
	v_cmp_gt_i64_e64 s[14:15], s[12:13], 0
	s_waitcnt vmcnt(1)
	v_mul_lo_u32 v11, v11, s12
	v_mul_lo_u32 v13, v10, s13
	s_waitcnt vmcnt(0)
	v_and_b32_e32 v18, 0xffff0000, v0
	v_lshlrev_b32_e32 v19, 16, v0
	v_and_b32_e32 v20, 0xffff0000, v1
	v_lshlrev_b32_e32 v21, 16, v1
	v_mul_f32_e32 v0, 0x3fb8aa3b, v19
	v_mul_f32_e32 v1, 0x3fb8aa3b, v18
	v_exp_f32_e32 v14, v0
	v_exp_f32_e32 v15, v1
	v_mul_f32_e32 v16, 0x3fb8aa3b, v21
	v_mul_f32_e32 v17, 0x3fb8aa3b, v20
	v_exp_f32_e32 v16, v16
	v_exp_f32_e32 v17, v17
	v_mad_u64_u32 v[0:1], s[2:3], v10, s12, 0
	v_add3_u32 v1, v1, v13, v11
	v_pk_add_f32 v[10:11], v[14:15], 1.0 op_sel_hi:[1,0]
	v_pk_add_f32 v[14:15], v[16:17], 1.0 op_sel_hi:[1,0]
	v_cmp_gt_f32_e32 vcc, s23, v11
	v_cmp_gt_f32_e64 s[2:3], s23, v10
	v_cmp_gt_f32_e64 s[6:7], s23, v14
	v_cndmask_b32_e32 v13, 1.0, v4, vcc
	v_cndmask_b32_e64 v16, 1.0, v4, s[2:3]
	v_mul_f32_e32 v11, v11, v13
	v_mul_f32_e32 v10, v10, v16
	v_log_f32_e32 v11, v11
	v_log_f32_e32 v10, v10
	v_cmp_gt_f32_e64 s[4:5], s23, v15
	v_cndmask_b32_e64 v22, 1.0, v4, s[6:7]
	v_mul_f32_e32 v14, v14, v22
	v_cndmask_b32_e64 v17, 1.0, v4, s[4:5]
	v_mul_f32_e32 v15, v15, v17
	v_log_f32_e32 v22, v14
	v_mul_f32_e32 v14, 0x3f317217, v11
	v_log_f32_e32 v17, v15
	v_mul_f32_e32 v15, 0x3f317217, v10
	v_fma_f32 v14, v11, s21, -v14
	v_fma_f32 v15, v10, s21, -v15
	v_fmac_f32_e32 v14, 0x3377d1cf, v11
	v_cndmask_b32_e32 v13, 0, v7, vcc
	v_fmac_f32_e32 v15, 0x3377d1cf, v10
	v_fmac_f32_e32 v14, 0x3f317217, v11
	v_cmp_lt_f32_e64 vcc, |v11|, s22
	v_fmac_f32_e32 v15, 0x3f317217, v10
	v_cndmask_b32_e64 v16, 0, v7, s[2:3]
	v_cndmask_b32_e32 v11, v11, v14, vcc
	v_cmp_lt_f32_e64 vcc, |v10|, s22
	v_sub_f32_e32 v11, v11, v13
	v_mul_f32_e32 v23, 0x3f317217, v17
	v_cndmask_b32_e32 v10, v10, v15, vcc
	v_sub_f32_e32 v10, v10, v16
	v_cmp_lt_f32_e32 vcc, s17, v19
	v_fma_f32 v23, v17, s21, -v23
	v_fmac_f32_e32 v23, 0x3377d1cf, v17
	v_cndmask_b32_e32 v10, v10, v19, vcc
	v_cmp_lt_f32_e32 vcc, s17, v18
	v_mul_f32_e32 v14, 0x4f800000, v10
	v_cmp_gt_f32_e64 s[2:3], s20, v10
	v_cndmask_b32_e32 v11, v11, v18, vcc
	v_mul_f32_e32 v13, 0x4f800000, v11
	v_cmp_gt_f32_e32 vcc, s20, v11
	v_cndmask_b32_e64 v10, v10, v14, s[2:3]
	v_sqrt_f32_e32 v14, v10
	v_cndmask_b32_e32 v11, v11, v13, vcc
	v_sqrt_f32_e32 v13, v11
	v_fmac_f32_e32 v23, 0x3f317217, v17
	v_add_u32_e32 v18, -1, v14
	v_fma_f32 v26, -v18, v14, v10
	v_add_u32_e32 v15, -1, v13
	v_fma_f32 v24, -v15, v13, v11
	v_add_u32_e32 v16, 1, v13
	v_cmp_ge_f32_e64 s[8:9], 0, v24
	v_add_u32_e32 v19, 1, v14
	v_fma_f32 v25, -v16, v13, v11
	v_cndmask_b32_e64 v13, v13, v15, s[8:9]
	v_cmp_ge_f32_e64 s[8:9], 0, v26
	v_fma_f32 v27, -v19, v14, v10
	s_nop 0
	v_cndmask_b32_e64 v14, v14, v18, s[8:9]
	v_cmp_lt_f32_e64 s[8:9], 0, v25
	s_nop 1
	v_cndmask_b32_e64 v13, v13, v16, s[8:9]
	v_cmp_lt_f32_e64 s[8:9], 0, v27
	v_mul_f32_e32 v15, 0x37800000, v13
	v_cndmask_b32_e32 v13, v13, v15, vcc
	v_cndmask_b32_e64 v14, v14, v19, s[8:9]
	v_mul_f32_e32 v16, 0x37800000, v14
	v_cmp_class_f32_e32 vcc, v11, v9
	v_cndmask_b32_e64 v14, v14, v16, s[2:3]
	v_cmp_lt_f32_e64 s[2:3], s17, v21
	v_cndmask_b32_e32 v15, v13, v11, vcc
	v_cmp_class_f32_e32 vcc, v10, v9
	v_cndmask_b32_e64 v11, 0, v7, s[4:5]
	v_cndmask_b32_e64 v13, 0, v7, s[6:7]
	v_cndmask_b32_e32 v14, v14, v10, vcc
	v_cmp_lt_f32_e64 vcc, |v17|, s22
	s_nop 1
	v_cndmask_b32_e32 v10, v17, v23, vcc
	v_sub_f32_e32 v10, v10, v11
	v_mul_f32_e32 v11, 0x3f317217, v22
	v_fma_f32 v11, v22, s21, -v11
	v_fmac_f32_e32 v11, 0x3377d1cf, v22
	v_fmac_f32_e32 v11, 0x3f317217, v22
	v_cmp_lt_f32_e64 vcc, |v22|, s22
	s_nop 1
	v_cndmask_b32_e32 v11, v22, v11, vcc
	v_cmp_lt_f32_e32 vcc, s17, v20
	v_sub_f32_e32 v11, v11, v13
	v_cndmask_b32_e64 v11, v11, v21, s[2:3]
	v_cndmask_b32_e32 v10, v10, v20, vcc
	v_mul_f32_e32 v16, 0x4f800000, v10
	v_cmp_gt_f32_e32 vcc, s20, v10
	v_and_b32_e32 v20, 0xffff0000, v2
	v_lshlrev_b32_e32 v2, 16, v2
	v_cndmask_b32_e32 v10, v10, v16, vcc
	v_sqrt_f32_e32 v16, v10
	s_nop 0
	v_add_u32_e32 v13, -1, v16
	v_fma_f32 v17, -v13, v16, v10
	v_cmp_ge_f32_e64 s[2:3], 0, v17
	v_add_u32_e32 v17, 1, v16
	s_nop 0
	v_cndmask_b32_e64 v13, v16, v13, s[2:3]
	v_fma_f32 v16, -v17, v16, v10
	v_cmp_lt_f32_e64 s[2:3], 0, v16
	s_nop 1
	v_cndmask_b32_e64 v13, v13, v17, s[2:3]
	v_mul_f32_e32 v17, 0x4f800000, v11
	v_cmp_gt_f32_e64 s[2:3], s20, v11
	v_mul_f32_e32 v16, 0x37800000, v13
	v_cndmask_b32_e32 v13, v13, v16, vcc
	v_cndmask_b32_e64 v18, v11, v17, s[2:3]
	v_sqrt_f32_e32 v11, v18
	v_cmp_class_f32_e32 vcc, v10, v9
	v_add_u32_e32 v16, 1, v11
	s_nop 0
	v_cndmask_b32_e32 v17, v13, v10, vcc
	v_add_u32_e32 v10, -1, v11
	v_fma_f32 v13, -v10, v11, v18
	v_cmp_ge_f32_e32 vcc, 0, v13
	v_fma_f32 v19, -v16, v11, v18
	s_nop 0
	v_cndmask_b32_e32 v13, v11, v10, vcc
	v_mul_f32_e32 v10, 0x3fb8aa3b, v2
	v_mul_f32_e32 v11, 0x3fb8aa3b, v20
	v_exp_f32_e32 v10, v10
	v_exp_f32_e32 v11, v11
	v_cmp_lt_f32_e32 vcc, 0, v19
	v_pk_add_f32 v[10:11], v[10:11], 1.0 op_sel_hi:[1,0]
	s_nop 0
	v_cndmask_b32_e32 v13, v13, v16, vcc
	v_mul_f32_e32 v16, 0x37800000, v13
	v_cmp_gt_f32_e32 vcc, s23, v11
	v_cndmask_b32_e64 v13, v13, v16, s[2:3]
	v_cmp_class_f32_e64 s[2:3], v18, v9
	v_cndmask_b32_e32 v16, 1.0, v4, vcc
	v_mul_f32_e32 v11, v11, v16
	v_log_f32_e32 v11, v11
	v_cndmask_b32_e64 v16, v13, v18, s[2:3]
	v_cmp_gt_f32_e64 s[2:3], s23, v10
	scratch_store_dwordx4 off, v[14:17], off
	v_mul_f32_e32 v13, 0x3f317217, v11
	v_fma_f32 v13, v11, s21, -v13
	v_cndmask_b32_e64 v14, 1.0, v4, s[2:3]
	v_mul_f32_e32 v10, v10, v14
	v_log_f32_e32 v10, v10
	v_fmac_f32_e32 v13, 0x3377d1cf, v11
	v_fmac_f32_e32 v13, 0x3f317217, v11
	v_cmp_lt_f32_e64 s[4:5], |v11|, s22
	v_and_b32_e32 v16, 0xffff0000, v3
	v_lshlrev_b32_e32 v17, 16, v3
	v_cndmask_b32_e64 v11, v11, v13, s[4:5]
	v_cndmask_b32_e32 v13, 0, v7, vcc
	v_sub_f32_e32 v11, v11, v13
	v_mul_f32_e32 v13, 0x3f317217, v10
	v_fma_f32 v13, v10, s21, -v13
	v_fmac_f32_e32 v13, 0x3377d1cf, v10
	v_fmac_f32_e32 v13, 0x3f317217, v10
	v_cmp_lt_f32_e64 vcc, |v10|, s22
	v_mul_f32_e32 v3, 0x3fb8aa3b, v16
	v_exp_f32_e32 v3, v3
	v_cndmask_b32_e32 v10, v10, v13, vcc
	v_cmp_lt_f32_e32 vcc, s17, v20
	v_cndmask_b32_e64 v13, 0, v7, s[2:3]
	v_sub_f32_e32 v10, v10, v13
	v_cndmask_b32_e32 v11, v11, v20, vcc
	v_mul_f32_e32 v14, 0x4f800000, v11
	v_cmp_gt_f32_e32 vcc, s20, v11
	v_cmp_lt_f32_e64 s[2:3], s17, v2
	s_nop 0
	v_cndmask_b32_e32 v11, v11, v14, vcc
	v_sqrt_f32_e32 v14, v11
	v_cndmask_b32_e64 v2, v10, v2, s[2:3]
	v_add_u32_e32 v10, -1, v14
	v_fma_f32 v13, -v10, v14, v11
	v_cmp_ge_f32_e64 s[2:3], 0, v13
	v_add_u32_e32 v13, 1, v14
	s_nop 0
	v_cndmask_b32_e64 v10, v14, v10, s[2:3]
	v_fma_f32 v14, -v13, v14, v11
	v_cmp_lt_f32_e64 s[2:3], 0, v14
	v_mul_f32_e32 v14, 0x4f800000, v2
	s_nop 0
	v_cndmask_b32_e64 v10, v10, v13, s[2:3]
	v_cmp_gt_f32_e64 s[2:3], s20, v2
	v_mul_f32_e32 v13, 0x37800000, v10
	v_cndmask_b32_e32 v10, v10, v13, vcc
	v_cndmask_b32_e64 v14, v2, v14, s[2:3]
	v_sqrt_f32_e32 v2, v14
	v_cmp_class_f32_e32 vcc, v11, v9
	s_nop 1
	v_cndmask_b32_e32 v15, v10, v11, vcc
	v_add_u32_e32 v10, -1, v2
	v_fma_f32 v11, -v10, v2, v14
	v_cmp_ge_f32_e32 vcc, 0, v11
	v_add_u32_e32 v11, 1, v2
	v_fma_f32 v13, -v11, v2, v14
	v_cndmask_b32_e32 v10, v2, v10, vcc
	v_mul_f32_e32 v2, 0x3fb8aa3b, v17
	v_exp_f32_e32 v2, v2
	v_cmp_lt_f32_e32 vcc, 0, v13
	v_pk_add_f32 v[2:3], v[2:3], 1.0 op_sel_hi:[1,0]
	s_nop 0
	v_cndmask_b32_e32 v10, v10, v11, vcc
	v_cmp_gt_f32_e32 vcc, s23, v3
	v_mul_f32_e32 v11, 0x37800000, v10
	v_cndmask_b32_e64 v10, v10, v11, s[2:3]
	v_cndmask_b32_e32 v13, 1.0, v4, vcc
	v_mul_f32_e32 v3, v3, v13
	v_log_f32_e32 v3, v3
	v_cmp_class_f32_e64 s[2:3], v14, v9
	v_cmp_lt_f32_e64 s[4:5], |v3|, s22
	s_nop 0
	v_cndmask_b32_e64 v14, v10, v14, s[2:3]
	v_cmp_gt_f32_e64 s[2:3], s23, v2
	v_mul_f32_e32 v10, 0x3f317217, v3
	v_fma_f32 v10, v3, s21, -v10
	v_cndmask_b32_e64 v4, 1.0, v4, s[2:3]
	v_mul_f32_e32 v2, v2, v4
	v_log_f32_e32 v2, v2
	v_fmac_f32_e32 v10, 0x3377d1cf, v3
	v_fmac_f32_e32 v10, 0x3f317217, v3
	v_cndmask_b32_e64 v3, v3, v10, s[4:5]
	v_cndmask_b32_e32 v4, 0, v7, vcc
	v_sub_f32_e32 v3, v3, v4
	v_mul_f32_e32 v4, 0x3f317217, v2
	v_fma_f32 v4, v2, s21, -v4
	v_fmac_f32_e32 v4, 0x3377d1cf, v2
	v_fmac_f32_e32 v4, 0x3f317217, v2
	v_cmp_lt_f32_e64 vcc, |v2|, s22
	s_nop 1
	v_cndmask_b32_e32 v2, v2, v4, vcc
	v_cmp_lt_f32_e32 vcc, s17, v16
	v_cndmask_b32_e64 v4, 0, v7, s[2:3]
	v_sub_f32_e32 v2, v2, v4
	v_cndmask_b32_e32 v3, v3, v16, vcc
	v_mul_f32_e32 v7, 0x4f800000, v3
	v_cmp_gt_f32_e32 vcc, s20, v3
	v_cmp_lt_f32_e64 s[2:3], s17, v17
	s_nop 0
	v_cndmask_b32_e32 v3, v3, v7, vcc
	v_sqrt_f32_e32 v7, v3
	v_cndmask_b32_e64 v2, v2, v17, s[2:3]
	v_add_u32_e32 v4, -1, v7
	v_fma_f32 v10, -v4, v7, v3
	v_cmp_ge_f32_e64 s[2:3], 0, v10
	v_add_u32_e32 v10, 1, v7
	s_nop 0
	v_cndmask_b32_e64 v4, v7, v4, s[2:3]
	v_fma_f32 v7, -v10, v7, v3
	v_cmp_lt_f32_e64 s[2:3], 0, v7
	s_nop 1
	v_cndmask_b32_e64 v4, v4, v10, s[2:3]
	v_mul_f32_e32 v10, 0x4f800000, v2
	v_cmp_gt_f32_e64 s[2:3], s20, v2
	v_mul_f32_e32 v7, 0x37800000, v4
	v_cndmask_b32_e32 v4, v4, v7, vcc
	v_cndmask_b32_e64 v2, v2, v10, s[2:3]
	v_sqrt_f32_e32 v10, v2
	v_cmp_class_f32_e32 vcc, v3, v9
	s_nop 1
	v_cndmask_b32_e32 v17, v4, v3, vcc
	v_add_u32_e32 v3, -1, v10
	v_fma_f32 v4, -v3, v10, v2
	v_cmp_ge_f32_e32 vcc, 0, v4
	v_add_u32_e32 v4, 1, v10
	v_fma_f32 v7, -v4, v10, v2
	v_cndmask_b32_e32 v3, v10, v3, vcc
	v_cmp_lt_f32_e32 vcc, 0, v7
	s_nop 1
	v_cndmask_b32_e32 v3, v3, v4, vcc
	v_mul_f32_e32 v4, 0x37800000, v3
	v_cndmask_b32_e64 v3, v3, v4, s[2:3]
	v_cmp_class_f32_e32 vcc, v2, v9
	s_nop 1
	v_cndmask_b32_e32 v16, v3, v2, vcc
	v_lshl_add_u64 v[2:3], v[0:1], 3, s[10:11]
	s_and_b64 vcc, exec, s[18:19]
	v_mul_lo_u32 v0, v6, s12
	scratch_store_dwordx4 off, v[14:17], off offset:16
	s_cbranch_vccnz .LBB508_28
; %bb.2:
	s_load_dwordx2 s[4:5], s[0:1], 0x20
	s_cmp_lt_u32 s12, 4
	v_and_b32_e32 v4, 15, v8
	s_cbranch_scc1 .LBB508_21
; %bb.3:
	v_lshlrev_b32_e32 v5, 3, v4
	s_mov_b32 s7, 0
	s_and_b32 s16, s12, 0x7ffffffc
	v_ashrrev_i32_e32 v1, 31, v0
	v_sub_u32_e32 v13, 0, v5
	v_mov_b32_e32 v5, 0
	s_mov_b32 s6, s7
	s_branch .LBB508_5
.LBB508_4:                              ;   in Loop: Header=BB508_5 Depth=1
	s_or_b64 exec, exec, s[8:9]
	s_add_i32 s6, s6, 4
	s_cmp_eq_u32 s6, s16
	s_cbranch_scc1 .LBB508_21
.LBB508_5:                              ; =>This Loop Header: Depth=1
                                        ;     Child Loop BB508_7 Depth 2
                                        ;     Child Loop BB508_11 Depth 2
	;; [unrolled: 1-line block ×4, first 2 shown]
	v_lshl_add_u64 v[6:7], s[6:7], 3, v[2:3]
	global_load_dwordx2 v[8:9], v[6:7], off
	v_add_u32_e32 v10, s6, v0
	v_ashrrev_i32_e32 v11, 31, v10
	v_mov_b32_e32 v14, 0
	s_mov_b64 s[8:9], 0
	s_waitcnt lgkmcnt(0)
	v_lshl_add_u64 v[10:11], v[10:11], 3, s[4:5]
	s_mov_b32 s13, 0
	s_waitcnt vmcnt(0)
	v_ashrrev_i32_e32 v9, 31, v8
	v_add_u32_e32 v15, v13, v8
	s_branch .LBB508_7
.LBB508_6:                              ;   in Loop: Header=BB508_7 Depth=2
	s_or_b64 exec, exec, s[10:11]
	s_add_i32 s17, s13, 1
	s_cmp_gt_u32 s13, 6
	s_cselect_b64 s[2:3], -1, 0
	s_xor_b64 s[10:11], vcc, -1
	s_or_b64 s[2:3], s[10:11], s[2:3]
	s_and_b64 s[2:3], exec, s[2:3]
	v_add_u32_e32 v14, 4, v14
	s_or_b64 s[8:9], s[2:3], s[8:9]
	s_mov_b32 s13, s17
	s_andn2_b64 exec, exec, s[8:9]
	s_cbranch_execz .LBB508_9
.LBB508_7:                              ;   Parent Loop BB508_5 Depth=1
                                        ; =>  This Inner Loop Header: Depth=2
	v_cmp_ne_u32_e32 vcc, s13, v15
	v_cmp_eq_u32_e64 s[2:3], s13, v15
	s_and_saveexec_b64 s[10:11], s[2:3]
	s_cbranch_execz .LBB508_6
; %bb.8:                                ;   in Loop: Header=BB508_7 Depth=2
	scratch_load_dword v16, v14, off
	s_waitcnt vmcnt(0)
	v_add_f32_e32 v5, v5, v16
	global_store_dwordx2 v[10:11], v[8:9], off
	s_branch .LBB508_6
.LBB508_9:                              ;   in Loop: Header=BB508_5 Depth=1
	s_or_b64 exec, exec, s[8:9]
	global_load_dwordx2 v[10:11], v[6:7], off offset:8
	s_ashr_i32 s3, s6, 31
	s_mov_b32 s2, s6
	v_lshl_add_u64 v[8:9], s[2:3], 0, v[0:1]
	v_mov_b32_e32 v14, 0
	s_mov_b32 s13, 0
	v_lshl_add_u64 v[8:9], v[8:9], 3, s[4:5]
	s_mov_b64 s[8:9], 0
	s_waitcnt vmcnt(0)
	v_ashrrev_i32_e32 v11, 31, v10
	v_add_u32_e32 v15, v13, v10
	s_branch .LBB508_11
.LBB508_10:                             ;   in Loop: Header=BB508_11 Depth=2
	s_or_b64 exec, exec, s[10:11]
	s_add_i32 s17, s13, 1
	s_cmp_gt_u32 s13, 6
	s_cselect_b64 s[2:3], -1, 0
	s_xor_b64 s[10:11], vcc, -1
	s_or_b64 s[2:3], s[10:11], s[2:3]
	s_and_b64 s[2:3], exec, s[2:3]
	v_add_u32_e32 v14, 4, v14
	s_or_b64 s[8:9], s[2:3], s[8:9]
	s_mov_b32 s13, s17
	s_andn2_b64 exec, exec, s[8:9]
	s_cbranch_execz .LBB508_13
.LBB508_11:                             ;   Parent Loop BB508_5 Depth=1
                                        ; =>  This Inner Loop Header: Depth=2
	v_cmp_ne_u32_e32 vcc, s13, v15
	v_cmp_eq_u32_e64 s[2:3], s13, v15
	s_and_saveexec_b64 s[10:11], s[2:3]
	s_cbranch_execz .LBB508_10
; %bb.12:                               ;   in Loop: Header=BB508_11 Depth=2
	scratch_load_dword v16, v14, off
	s_waitcnt vmcnt(0)
	v_add_f32_e32 v5, v5, v16
	global_store_dwordx2 v[8:9], v[10:11], off offset:8
	s_branch .LBB508_10
.LBB508_13:                             ;   in Loop: Header=BB508_5 Depth=1
	s_or_b64 exec, exec, s[8:9]
	global_load_dwordx2 v[10:11], v[6:7], off offset:16
	v_mov_b32_e32 v14, 0
	s_mov_b32 s13, 0
	s_mov_b64 s[8:9], 0
	s_waitcnt vmcnt(0)
	v_ashrrev_i32_e32 v11, 31, v10
	v_add_u32_e32 v15, v13, v10
	s_branch .LBB508_15
.LBB508_14:                             ;   in Loop: Header=BB508_15 Depth=2
	s_or_b64 exec, exec, s[10:11]
	s_add_i32 s17, s13, 1
	s_cmp_gt_u32 s13, 6
	s_cselect_b64 s[2:3], -1, 0
	s_xor_b64 s[10:11], vcc, -1
	s_or_b64 s[2:3], s[10:11], s[2:3]
	s_and_b64 s[2:3], exec, s[2:3]
	v_add_u32_e32 v14, 4, v14
	s_or_b64 s[8:9], s[2:3], s[8:9]
	s_mov_b32 s13, s17
	s_andn2_b64 exec, exec, s[8:9]
	s_cbranch_execz .LBB508_17
.LBB508_15:                             ;   Parent Loop BB508_5 Depth=1
                                        ; =>  This Inner Loop Header: Depth=2
	v_cmp_ne_u32_e32 vcc, s13, v15
	v_cmp_eq_u32_e64 s[2:3], s13, v15
	s_and_saveexec_b64 s[10:11], s[2:3]
	s_cbranch_execz .LBB508_14
; %bb.16:                               ;   in Loop: Header=BB508_15 Depth=2
	scratch_load_dword v16, v14, off
	s_waitcnt vmcnt(0)
	v_add_f32_e32 v5, v5, v16
	global_store_dwordx2 v[8:9], v[10:11], off offset:16
	s_branch .LBB508_14
.LBB508_17:                             ;   in Loop: Header=BB508_5 Depth=1
	s_or_b64 exec, exec, s[8:9]
	global_load_dwordx2 v[6:7], v[6:7], off offset:24
	v_mov_b32_e32 v10, 0
	s_mov_b32 s13, 0
	s_mov_b64 s[8:9], 0
	s_waitcnt vmcnt(0)
	v_ashrrev_i32_e32 v7, 31, v6
	v_add_u32_e32 v11, v13, v6
	s_branch .LBB508_19
.LBB508_18:                             ;   in Loop: Header=BB508_19 Depth=2
	s_or_b64 exec, exec, s[10:11]
	s_add_i32 s17, s13, 1
	s_cmp_gt_u32 s13, 6
	s_cselect_b64 s[2:3], -1, 0
	s_xor_b64 s[10:11], vcc, -1
	s_or_b64 s[2:3], s[10:11], s[2:3]
	s_and_b64 s[2:3], exec, s[2:3]
	v_add_u32_e32 v10, 4, v10
	s_or_b64 s[8:9], s[2:3], s[8:9]
	s_mov_b32 s13, s17
	s_andn2_b64 exec, exec, s[8:9]
	s_cbranch_execz .LBB508_4
.LBB508_19:                             ;   Parent Loop BB508_5 Depth=1
                                        ; =>  This Inner Loop Header: Depth=2
	v_cmp_ne_u32_e32 vcc, s13, v11
	v_cmp_eq_u32_e64 s[2:3], s13, v11
	s_and_saveexec_b64 s[10:11], s[2:3]
	s_cbranch_execz .LBB508_18
; %bb.20:                               ;   in Loop: Header=BB508_19 Depth=2
	scratch_load_dword v14, v10, off
	s_waitcnt vmcnt(0)
	v_add_f32_e32 v5, v5, v14
	global_store_dwordx2 v[8:9], v[6:7], off offset:24
	s_branch .LBB508_18
.LBB508_21:
	s_and_b32 s10, s12, 3
	s_cmp_eq_u32 s10, 0
	s_mov_b32 s17, 0
	s_cbranch_scc1 .LBB508_28
; %bb.22:
	v_lshlrev_b32_e32 v1, 3, v4
	v_sub_u32_e32 v1, 0, v1
	s_mov_b32 s11, s17
	s_branch .LBB508_24
.LBB508_23:                             ;   in Loop: Header=BB508_24 Depth=1
	s_or_b64 exec, exec, s[6:7]
	s_add_i32 s16, s16, 1
	s_add_i32 s11, s11, 1
	s_cmp_lg_u32 s11, s10
	s_cbranch_scc0 .LBB508_28
.LBB508_24:                             ; =>This Loop Header: Depth=1
                                        ;     Child Loop BB508_26 Depth 2
	v_lshl_add_u64 v[6:7], s[16:17], 3, v[2:3]
	global_load_dwordx2 v[6:7], v[6:7], off
	v_add_u32_e32 v8, s16, v0
	v_ashrrev_i32_e32 v9, 31, v8
	v_mov_b32_e32 v4, 0
	s_mov_b32 s13, 0
	s_waitcnt lgkmcnt(0)
	v_lshl_add_u64 v[8:9], v[8:9], 3, s[4:5]
	s_mov_b64 s[6:7], 0
	s_waitcnt vmcnt(0)
	v_ashrrev_i32_e32 v7, 31, v6
	v_add_u32_e32 v10, v1, v6
	s_branch .LBB508_26
.LBB508_25:                             ;   in Loop: Header=BB508_26 Depth=2
	s_or_b64 exec, exec, s[8:9]
	s_add_i32 s18, s13, 1
	s_cmp_gt_u32 s13, 6
	s_cselect_b64 s[2:3], -1, 0
	s_xor_b64 s[8:9], vcc, -1
	s_or_b64 s[2:3], s[8:9], s[2:3]
	s_and_b64 s[2:3], exec, s[2:3]
	v_add_u32_e32 v4, 4, v4
	s_or_b64 s[6:7], s[2:3], s[6:7]
	s_mov_b32 s13, s18
	s_andn2_b64 exec, exec, s[6:7]
	s_cbranch_execz .LBB508_23
.LBB508_26:                             ;   Parent Loop BB508_24 Depth=1
                                        ; =>  This Inner Loop Header: Depth=2
	v_cmp_ne_u32_e32 vcc, s13, v10
	v_cmp_eq_u32_e64 s[2:3], s13, v10
	s_and_saveexec_b64 s[8:9], s[2:3]
	s_cbranch_execz .LBB508_25
; %bb.27:                               ;   in Loop: Header=BB508_26 Depth=2
	scratch_load_dword v11, v4, off
	s_waitcnt vmcnt(0)
	v_add_f32_e32 v5, v5, v11
	global_store_dwordx2 v[8:9], v[6:7], off
	s_branch .LBB508_25
.LBB508_28:
	s_waitcnt lgkmcnt(0)
	s_load_dword s4, s[0:1], 0x3c
	s_waitcnt lgkmcnt(0)
	s_bitcmp1_b32 s4, 0
	s_cselect_b64 s[2:3], -1, 0
	s_bitcmp0_b32 s4, 0
	s_cbranch_scc0 .LBB508_32
; %bb.29:
	s_load_dwordx2 s[4:5], s[0:1], 0x40
	s_andn2_b64 vcc, exec, s[2:3]
	s_waitcnt lgkmcnt(0)
	v_cvt_f32_f64_e32 v8, s[4:5]
	s_cbranch_vccz .LBB508_33
.LBB508_30:
	s_andn2_b64 vcc, exec, s[14:15]
	s_cbranch_vccz .LBB508_34
.LBB508_31:
	s_endpgm
.LBB508_32:
	v_mbcnt_lo_u32_b32 v1, -1, 0
	v_mbcnt_hi_u32_b32 v1, -1, v1
	v_and_b32_e32 v4, 0x70, v1
	v_add_u32_e32 v4, 16, v4
	v_xor_b32_e32 v6, 8, v1
	v_cmp_lt_i32_e32 vcc, v6, v4
	v_xor_b32_e32 v7, 4, v1
	s_nop 0
	v_cndmask_b32_e32 v6, v1, v6, vcc
	v_lshlrev_b32_e32 v6, 2, v6
	ds_bpermute_b32 v6, v6, v5
	v_cmp_lt_i32_e32 vcc, v7, v4
	s_waitcnt lgkmcnt(0)
	v_add_f32_e32 v5, v5, v6
	v_cndmask_b32_e32 v6, v1, v7, vcc
	v_lshlrev_b32_e32 v6, 2, v6
	ds_bpermute_b32 v6, v6, v5
	v_xor_b32_e32 v7, 2, v1
	v_cmp_lt_i32_e32 vcc, v7, v4
	s_waitcnt lgkmcnt(0)
	v_add_f32_e32 v5, v5, v6
	v_cndmask_b32_e32 v6, v1, v7, vcc
	v_lshlrev_b32_e32 v6, 2, v6
	ds_bpermute_b32 v6, v6, v5
	v_xor_b32_e32 v7, 1, v1
	v_cmp_lt_i32_e32 vcc, v7, v4
	s_waitcnt lgkmcnt(0)
	v_add_f32_e32 v5, v5, v6
	v_cndmask_b32_e32 v1, v1, v7, vcc
	v_lshlrev_b32_e32 v1, 2, v1
	ds_bpermute_b32 v1, v1, v5
	s_waitcnt lgkmcnt(0)
	v_add_f32_e32 v5, v5, v1
	s_load_dwordx2 s[4:5], s[0:1], 0x40
	s_andn2_b64 vcc, exec, s[2:3]
	s_waitcnt lgkmcnt(0)
	v_cvt_f32_f64_e32 v8, s[4:5]
	s_cbranch_vccnz .LBB508_30
.LBB508_33:
	v_cmp_lt_f32_e32 vcc, 0, v5
	s_nop 1
	v_cndmask_b32_e32 v1, 1.0, v5, vcc
	v_div_scale_f32 v4, s[2:3], v1, v1, v8
	v_rcp_f32_e32 v5, v4
	s_nop 0
	v_fma_f32 v6, -v4, v5, 1.0
	v_fmac_f32_e32 v5, v6, v5
	v_div_scale_f32 v6, vcc, v8, v1, v8
	v_mul_f32_e32 v7, v6, v5
	v_fma_f32 v9, -v4, v7, v6
	v_fmac_f32_e32 v7, v9, v5
	v_fma_f32 v4, -v4, v7, v6
	v_div_fmas_f32 v4, v4, v5, v7
	v_div_fixup_f32 v8, v4, v1, v8
	s_andn2_b64 vcc, exec, s[14:15]
	s_cbranch_vccnz .LBB508_31
.LBB508_34:
	s_load_dwordx2 s[14:15], s[0:1], 0x10
	v_mov_b32_e32 v1, 0
	v_or_b32_e32 v20, 4, v1
	v_or_b32_e32 v18, 8, v1
	;; [unrolled: 1-line block ×3, first 2 shown]
	v_add_u32_e32 v14, 16, v1
	v_add_u32_e32 v11, 20, v1
	;; [unrolled: 1-line block ×4, first 2 shown]
	v_or_b32_e32 v23, 1, v12
	v_or_b32_e32 v22, 2, v12
	;; [unrolled: 1-line block ×7, first 2 shown]
	s_cmp_eq_u32 s12, 1
	s_mov_b32 s16, 0
	s_cbranch_scc1 .LBB508_69
; %bb.35:
	v_ashrrev_i32_e32 v1, 31, v0
	s_waitcnt lgkmcnt(0)
	v_lshl_add_u64 v[4:5], v[0:1], 2, s[14:15]
	s_and_b32 s16, s12, 0x7ffffffe
	v_lshl_add_u64 v[4:5], v[4:5], 0, 4
	v_lshl_add_u64 v[6:7], v[2:3], 0, 8
	s_mov_b32 s13, 0
	s_branch .LBB508_37
.LBB508_36:                             ;   in Loop: Header=BB508_37 Depth=1
	s_or_b64 exec, exec, s[0:1]
	s_add_i32 s13, s13, 2
	v_lshl_add_u64 v[4:5], v[4:5], 0, 8
	s_cmp_eq_u32 s16, s13
	v_lshl_add_u64 v[6:7], v[6:7], 0, 16
	s_cbranch_scc1 .LBB508_69
.LBB508_37:                             ; =>This Inner Loop Header: Depth=1
	global_load_dword v24, v[6:7], off offset:-8
	v_mov_b32_e32 v1, 0
	s_waitcnt vmcnt(0)
	v_cmp_eq_u32_e32 vcc, v12, v24
	v_cmp_ne_u32_e64 s[0:1], v12, v24
	s_and_saveexec_b64 s[18:19], s[0:1]
	s_cbranch_execz .LBB508_51
; %bb.38:                               ;   in Loop: Header=BB508_37 Depth=1
	v_cmp_eq_u32_e64 s[0:1], v23, v24
	v_cmp_ne_u32_e64 s[2:3], v23, v24
	v_mov_b32_e32 v1, v20
	s_and_saveexec_b64 s[20:21], s[2:3]
	s_cbranch_execz .LBB508_50
; %bb.39:                               ;   in Loop: Header=BB508_37 Depth=1
	v_cmp_eq_u32_e64 s[2:3], v22, v24
	v_cmp_ne_u32_e64 s[4:5], v22, v24
	v_mov_b32_e32 v1, v18
	;; [unrolled: 6-line block ×6, first 2 shown]
	s_and_saveexec_b64 s[34:35], s[10:11]
	s_xor_b64 s[34:35], exec, s[34:35]
; %bb.44:                               ;   in Loop: Header=BB508_37 Depth=1
	v_cmp_eq_u32_e64 s[10:11], v13, v24
	s_andn2_b64 s[30:31], s[30:31], exec
	s_and_b64 s[10:11], s[10:11], exec
	s_or_b64 s[30:31], s[30:31], s[10:11]
	v_mov_b32_e32 v1, v10
; %bb.45:                               ;   in Loop: Header=BB508_37 Depth=1
	s_or_b64 exec, exec, s[34:35]
	s_andn2_b64 s[8:9], s[8:9], exec
	s_and_b64 s[10:11], s[30:31], exec
	s_or_b64 s[8:9], s[8:9], s[10:11]
.LBB508_46:                             ;   in Loop: Header=BB508_37 Depth=1
	s_or_b64 exec, exec, s[28:29]
	s_andn2_b64 s[6:7], s[6:7], exec
	s_and_b64 s[8:9], s[8:9], exec
	s_or_b64 s[6:7], s[6:7], s[8:9]
.LBB508_47:                             ;   in Loop: Header=BB508_37 Depth=1
	s_or_b64 exec, exec, s[26:27]
	s_andn2_b64 s[4:5], s[4:5], exec
	s_and_b64 s[6:7], s[6:7], exec
	s_or_b64 s[4:5], s[4:5], s[6:7]
.LBB508_48:                             ;   in Loop: Header=BB508_37 Depth=1
	s_or_b64 exec, exec, s[24:25]
	s_andn2_b64 s[2:3], s[2:3], exec
	s_and_b64 s[4:5], s[4:5], exec
	s_or_b64 s[2:3], s[2:3], s[4:5]
.LBB508_49:                             ;   in Loop: Header=BB508_37 Depth=1
	s_or_b64 exec, exec, s[22:23]
	s_andn2_b64 s[0:1], s[0:1], exec
	s_and_b64 s[2:3], s[2:3], exec
	s_or_b64 s[0:1], s[0:1], s[2:3]
.LBB508_50:                             ;   in Loop: Header=BB508_37 Depth=1
	s_or_b64 exec, exec, s[20:21]
	s_andn2_b64 s[2:3], vcc, exec
	s_and_b64 s[0:1], s[0:1], exec
	s_or_b64 vcc, s[2:3], s[0:1]
.LBB508_51:                             ;   in Loop: Header=BB508_37 Depth=1
	s_or_b64 exec, exec, s[18:19]
	s_and_saveexec_b64 s[0:1], vcc
	s_cbranch_execz .LBB508_53
; %bb.52:                               ;   in Loop: Header=BB508_37 Depth=1
	scratch_load_dword v1, v1, off
	v_add_u32_e32 v24, s13, v0
	v_ashrrev_i32_e32 v25, 31, v24
	v_lshl_add_u64 v[24:25], v[24:25], 2, s[14:15]
	s_waitcnt vmcnt(0)
	v_mul_f32_e32 v1, v8, v1
	global_store_dword v[24:25], v1, off
.LBB508_53:                             ;   in Loop: Header=BB508_37 Depth=1
	s_or_b64 exec, exec, s[0:1]
	global_load_dword v24, v[6:7], off
	v_mov_b32_e32 v1, 0
	s_waitcnt vmcnt(0)
	v_cmp_eq_u32_e64 s[8:9], v12, v24
	v_cmp_ne_u32_e32 vcc, v12, v24
	s_and_saveexec_b64 s[10:11], vcc
	s_cbranch_execz .LBB508_67
; %bb.54:                               ;   in Loop: Header=BB508_37 Depth=1
	v_cmp_eq_u32_e32 vcc, v23, v24
	v_cmp_ne_u32_e64 s[0:1], v23, v24
	v_mov_b32_e32 v1, v20
	s_and_saveexec_b64 s[18:19], s[0:1]
	s_cbranch_execz .LBB508_66
; %bb.55:                               ;   in Loop: Header=BB508_37 Depth=1
	v_cmp_eq_u32_e64 s[0:1], v22, v24
	v_cmp_ne_u32_e64 s[2:3], v22, v24
	v_mov_b32_e32 v1, v18
	s_and_saveexec_b64 s[20:21], s[2:3]
	s_cbranch_execz .LBB508_65
; %bb.56:                               ;   in Loop: Header=BB508_37 Depth=1
	v_cmp_eq_u32_e64 s[2:3], v21, v24
	;; [unrolled: 6-line block ×5, first 2 shown]
	v_cmp_ne_u32_e64 s[6:7], v15, v24
	v_mov_b32_e32 v1, v9
	s_and_saveexec_b64 s[34:35], s[6:7]
; %bb.60:                               ;   in Loop: Header=BB508_37 Depth=1
	v_cmp_eq_u32_e64 s[6:7], v13, v24
	s_andn2_b64 s[30:31], s[30:31], exec
	s_and_b64 s[6:7], s[6:7], exec
	s_or_b64 s[30:31], s[30:31], s[6:7]
	v_mov_b32_e32 v1, v10
; %bb.61:                               ;   in Loop: Header=BB508_37 Depth=1
	s_or_b64 exec, exec, s[34:35]
	s_andn2_b64 s[6:7], s[26:27], exec
	s_and_b64 s[26:27], s[30:31], exec
	s_or_b64 s[26:27], s[6:7], s[26:27]
.LBB508_62:                             ;   in Loop: Header=BB508_37 Depth=1
	s_or_b64 exec, exec, s[28:29]
	s_andn2_b64 s[4:5], s[4:5], exec
	s_and_b64 s[6:7], s[26:27], exec
	s_or_b64 s[4:5], s[4:5], s[6:7]
.LBB508_63:                             ;   in Loop: Header=BB508_37 Depth=1
	s_or_b64 exec, exec, s[24:25]
	s_andn2_b64 s[2:3], s[2:3], exec
	s_and_b64 s[4:5], s[4:5], exec
	s_or_b64 s[2:3], s[2:3], s[4:5]
.LBB508_64:                             ;   in Loop: Header=BB508_37 Depth=1
	s_or_b64 exec, exec, s[22:23]
	s_andn2_b64 s[0:1], s[0:1], exec
	s_and_b64 s[2:3], s[2:3], exec
	s_or_b64 s[0:1], s[0:1], s[2:3]
.LBB508_65:                             ;   in Loop: Header=BB508_37 Depth=1
	s_or_b64 exec, exec, s[20:21]
	s_andn2_b64 s[2:3], vcc, exec
	s_and_b64 s[0:1], s[0:1], exec
	s_or_b64 vcc, s[2:3], s[0:1]
.LBB508_66:                             ;   in Loop: Header=BB508_37 Depth=1
	s_or_b64 exec, exec, s[18:19]
	s_andn2_b64 s[0:1], s[8:9], exec
	s_and_b64 s[2:3], vcc, exec
	s_or_b64 s[8:9], s[0:1], s[2:3]
.LBB508_67:                             ;   in Loop: Header=BB508_37 Depth=1
	s_or_b64 exec, exec, s[10:11]
	s_and_saveexec_b64 s[0:1], s[8:9]
	s_cbranch_execz .LBB508_36
; %bb.68:                               ;   in Loop: Header=BB508_37 Depth=1
	scratch_load_dword v1, v1, off
	s_waitcnt vmcnt(0)
	v_mul_f32_e32 v1, v8, v1
	global_store_dword v[4:5], v1, off
	s_branch .LBB508_36
.LBB508_69:
	s_bitcmp0_b32 s12, 0
	s_mov_b32 s17, 0
	s_cbranch_scc1 .LBB508_31
; %bb.70:
	v_lshl_add_u64 v[2:3], s[16:17], 3, v[2:3]
	global_load_dword v1, v[2:3], off
	v_mov_b32_e32 v2, 0
	s_waitcnt vmcnt(0)
	v_cmp_eq_u32_e64 s[8:9], v12, v1
	v_cmp_ne_u32_e32 vcc, v12, v1
	s_and_saveexec_b64 s[10:11], vcc
	s_cbranch_execz .LBB508_84
; %bb.71:
	v_cmp_eq_u32_e32 vcc, v23, v1
	v_cmp_ne_u32_e64 s[0:1], v23, v1
	s_and_saveexec_b64 s[12:13], s[0:1]
	s_cbranch_execz .LBB508_83
; %bb.72:
	v_cmp_eq_u32_e64 s[0:1], v22, v1
	v_cmp_ne_u32_e64 s[2:3], v22, v1
	s_and_saveexec_b64 s[18:19], s[2:3]
	s_cbranch_execz .LBB508_82
; %bb.73:
	v_cmp_eq_u32_e64 s[2:3], v21, v1
	;; [unrolled: 5-line block ×5, first 2 shown]
	v_cmp_ne_u32_e64 s[6:7], v15, v1
	s_and_saveexec_b64 s[30:31], s[6:7]
; %bb.77:
	v_cmp_eq_u32_e64 s[6:7], v13, v1
	s_andn2_b64 s[28:29], s[28:29], exec
	s_and_b64 s[6:7], s[6:7], exec
	s_or_b64 s[28:29], s[28:29], s[6:7]
	v_mov_b32_e32 v9, v10
; %bb.78:
	s_or_b64 exec, exec, s[30:31]
	s_andn2_b64 s[6:7], s[24:25], exec
	s_and_b64 s[24:25], s[28:29], exec
	s_or_b64 s[24:25], s[6:7], s[24:25]
	v_mov_b32_e32 v11, v9
.LBB508_79:
	s_or_b64 exec, exec, s[26:27]
	s_andn2_b64 s[4:5], s[4:5], exec
	s_and_b64 s[6:7], s[24:25], exec
	s_or_b64 s[4:5], s[4:5], s[6:7]
	v_mov_b32_e32 v14, v11
.LBB508_80:
	s_or_b64 exec, exec, s[22:23]
	s_andn2_b64 s[2:3], s[2:3], exec
	s_and_b64 s[4:5], s[4:5], exec
	s_or_b64 s[2:3], s[2:3], s[4:5]
	v_mov_b32_e32 v16, v14
.LBB508_81:
	s_or_b64 exec, exec, s[20:21]
	s_andn2_b64 s[0:1], s[0:1], exec
	s_and_b64 s[2:3], s[2:3], exec
	s_or_b64 s[0:1], s[0:1], s[2:3]
	v_mov_b32_e32 v18, v16
.LBB508_82:
	s_or_b64 exec, exec, s[18:19]
	s_andn2_b64 s[2:3], vcc, exec
	s_and_b64 s[0:1], s[0:1], exec
	s_or_b64 vcc, s[2:3], s[0:1]
	v_mov_b32_e32 v20, v18
.LBB508_83:
	s_or_b64 exec, exec, s[12:13]
	s_andn2_b64 s[0:1], s[8:9], exec
	s_and_b64 s[2:3], vcc, exec
	s_or_b64 s[8:9], s[0:1], s[2:3]
	v_mov_b32_e32 v2, v20
.LBB508_84:
	s_or_b64 exec, exec, s[10:11]
	s_and_b64 exec, exec, s[8:9]
	s_cbranch_execz .LBB508_31
; %bb.85:
	scratch_load_dword v2, v2, off
	v_add_u32_e32 v0, s16, v0
	v_ashrrev_i32_e32 v1, 31, v0
	s_waitcnt lgkmcnt(0)
	v_lshl_add_u64 v[0:1], v[0:1], 2, s[14:15]
	s_waitcnt vmcnt(0)
	v_mul_f32_e32 v2, v8, v2
	global_store_dword v[0:1], v2, off
	s_endpgm
	.section	.rodata,"a",@progbits
	.p2align	6, 0x0
	.amdhsa_kernel _ZN4vllm3moe22topkGatingSoftplusSqrtILi8ELi128ELi4ELi16ELi64ELb1El14__hip_bfloat16EEvPKT6_PKbPfiPT5_PiiiibdPKfPKS9_SF_
		.amdhsa_group_segment_fixed_size 0
		.amdhsa_private_segment_fixed_size 48
		.amdhsa_kernarg_size 96
		.amdhsa_user_sgpr_count 2
		.amdhsa_user_sgpr_dispatch_ptr 0
		.amdhsa_user_sgpr_queue_ptr 0
		.amdhsa_user_sgpr_kernarg_segment_ptr 1
		.amdhsa_user_sgpr_dispatch_id 0
		.amdhsa_user_sgpr_kernarg_preload_length 0
		.amdhsa_user_sgpr_kernarg_preload_offset 0
		.amdhsa_user_sgpr_private_segment_size 0
		.amdhsa_uses_dynamic_stack 0
		.amdhsa_enable_private_segment 1
		.amdhsa_system_sgpr_workgroup_id_x 1
		.amdhsa_system_sgpr_workgroup_id_y 0
		.amdhsa_system_sgpr_workgroup_id_z 0
		.amdhsa_system_sgpr_workgroup_info 0
		.amdhsa_system_vgpr_workitem_id 1
		.amdhsa_next_free_vgpr 28
		.amdhsa_next_free_sgpr 36
		.amdhsa_accum_offset 28
		.amdhsa_reserve_vcc 1
		.amdhsa_float_round_mode_32 0
		.amdhsa_float_round_mode_16_64 0
		.amdhsa_float_denorm_mode_32 3
		.amdhsa_float_denorm_mode_16_64 3
		.amdhsa_dx10_clamp 1
		.amdhsa_ieee_mode 1
		.amdhsa_fp16_overflow 0
		.amdhsa_tg_split 0
		.amdhsa_exception_fp_ieee_invalid_op 0
		.amdhsa_exception_fp_denorm_src 0
		.amdhsa_exception_fp_ieee_div_zero 0
		.amdhsa_exception_fp_ieee_overflow 0
		.amdhsa_exception_fp_ieee_underflow 0
		.amdhsa_exception_fp_ieee_inexact 0
		.amdhsa_exception_int_div_zero 0
	.end_amdhsa_kernel
	.section	.text._ZN4vllm3moe22topkGatingSoftplusSqrtILi8ELi128ELi4ELi16ELi64ELb1El14__hip_bfloat16EEvPKT6_PKbPfiPT5_PiiiibdPKfPKS9_SF_,"axG",@progbits,_ZN4vllm3moe22topkGatingSoftplusSqrtILi8ELi128ELi4ELi16ELi64ELb1El14__hip_bfloat16EEvPKT6_PKbPfiPT5_PiiiibdPKfPKS9_SF_,comdat
.Lfunc_end508:
	.size	_ZN4vllm3moe22topkGatingSoftplusSqrtILi8ELi128ELi4ELi16ELi64ELb1El14__hip_bfloat16EEvPKT6_PKbPfiPT5_PiiiibdPKfPKS9_SF_, .Lfunc_end508-_ZN4vllm3moe22topkGatingSoftplusSqrtILi8ELi128ELi4ELi16ELi64ELb1El14__hip_bfloat16EEvPKT6_PKbPfiPT5_PiiiibdPKfPKS9_SF_
                                        ; -- End function
	.section	.AMDGPU.csdata,"",@progbits
; Kernel info:
; codeLenInByte = 4604
; NumSgprs: 42
; NumVgprs: 28
; NumAgprs: 0
; TotalNumVgprs: 28
; ScratchSize: 48
; MemoryBound: 0
; FloatMode: 240
; IeeeMode: 1
; LDSByteSize: 0 bytes/workgroup (compile time only)
; SGPRBlocks: 5
; VGPRBlocks: 3
; NumSGPRsForWavesPerEU: 42
; NumVGPRsForWavesPerEU: 28
; AccumOffset: 28
; Occupancy: 8
; WaveLimiterHint : 1
; COMPUTE_PGM_RSRC2:SCRATCH_EN: 1
; COMPUTE_PGM_RSRC2:USER_SGPR: 2
; COMPUTE_PGM_RSRC2:TRAP_HANDLER: 0
; COMPUTE_PGM_RSRC2:TGID_X_EN: 1
; COMPUTE_PGM_RSRC2:TGID_Y_EN: 0
; COMPUTE_PGM_RSRC2:TGID_Z_EN: 0
; COMPUTE_PGM_RSRC2:TIDIG_COMP_CNT: 1
; COMPUTE_PGM_RSRC3_GFX90A:ACCUM_OFFSET: 6
; COMPUTE_PGM_RSRC3_GFX90A:TG_SPLIT: 0
	.section	.text._ZN4vllm3moe22topkGatingSoftplusSqrtILi8ELi128ELi4ELi16ELi64ELb0El14__hip_bfloat16EEvPKT6_PKbPfiPT5_PiiiibdPKfPKS9_SF_,"axG",@progbits,_ZN4vllm3moe22topkGatingSoftplusSqrtILi8ELi128ELi4ELi16ELi64ELb0El14__hip_bfloat16EEvPKT6_PKbPfiPT5_PiiiibdPKfPKS9_SF_,comdat
	.protected	_ZN4vllm3moe22topkGatingSoftplusSqrtILi8ELi128ELi4ELi16ELi64ELb0El14__hip_bfloat16EEvPKT6_PKbPfiPT5_PiiiibdPKfPKS9_SF_ ; -- Begin function _ZN4vllm3moe22topkGatingSoftplusSqrtILi8ELi128ELi4ELi16ELi64ELb0El14__hip_bfloat16EEvPKT6_PKbPfiPT5_PiiiibdPKfPKS9_SF_
	.globl	_ZN4vllm3moe22topkGatingSoftplusSqrtILi8ELi128ELi4ELi16ELi64ELb0El14__hip_bfloat16EEvPKT6_PKbPfiPT5_PiiiibdPKfPKS9_SF_
	.p2align	8
	.type	_ZN4vllm3moe22topkGatingSoftplusSqrtILi8ELi128ELi4ELi16ELi64ELb0El14__hip_bfloat16EEvPKT6_PKbPfiPT5_PiiiibdPKfPKS9_SF_,@function
_ZN4vllm3moe22topkGatingSoftplusSqrtILi8ELi128ELi4ELi16ELi64ELb0El14__hip_bfloat16EEvPKT6_PKbPfiPT5_PiiiibdPKfPKS9_SF_: ; @_ZN4vllm3moe22topkGatingSoftplusSqrtILi8ELi128ELi4ELi16ELi64ELb0El14__hip_bfloat16EEvPKT6_PKbPfiPT5_PiiiibdPKfPKS9_SF_
; %bb.0:
	s_load_dword s33, s[0:1], 0x18
	v_bfe_u32 v1, v0, 10, 10
	v_and_b32_e32 v0, 0x3ff, v0
	s_lshl_b32 s2, s2, 4
	v_lshlrev_b32_e32 v1, 2, v1
	v_lshrrev_b32_e32 v2, 4, v0
	v_add3_u32 v8, s2, v1, v2
	s_waitcnt lgkmcnt(0)
	v_cmp_gt_i32_e32 vcc, s33, v8
	s_and_saveexec_b64 s[2:3], vcc
	s_cbranch_execz .LBB509_61
; %bb.1:
	s_load_dwordx4 s[4:7], s[0:1], 0x0
	s_load_dwordx2 s[34:35], s[0:1], 0x10
	s_waitcnt lgkmcnt(0)
	s_cmp_eq_u64 s[6:7], 0
	s_cbranch_scc1 .LBB509_3
; %bb.2:
	v_ashrrev_i32_e32 v9, 31, v8
	v_lshl_add_u64 v[2:3], s[6:7], 0, v[8:9]
	global_load_ubyte v1, v[2:3], off
	s_waitcnt vmcnt(0)
	v_and_b32_e32 v1, 1, v1
	v_cmp_eq_u32_e32 vcc, 1, v1
	s_xor_b64 s[2:3], vcc, -1
	s_orn2_b64 s[36:37], s[2:3], exec
	s_branch .LBB509_4
.LBB509_3:
	s_mov_b64 s[36:37], -1
.LBB509_4:
	v_lshlrev_b32_e32 v4, 7, v8
	v_mov_b32_e32 v2, s4
	v_mov_b32_e32 v3, s5
	v_ashrrev_i32_e32 v5, 31, v4
	v_and_b32_e32 v9, 15, v0
	v_lshl_add_u64 v[2:3], v[4:5], 1, v[2:3]
	v_mov_b32_e32 v1, 0
	v_lshlrev_b32_e32 v0, 4, v9
	v_lshl_add_u64 v[0:1], v[2:3], 0, v[0:1]
	global_load_dwordx4 v[4:7], v[0:1], off
	s_mov_b32 s12, 0x800000
	v_mov_b32_e32 v2, 0x4f800000
	s_mov_b32 s9, 0x3f317217
	s_mov_b32 s10, 0x7f800000
	v_mov_b32_e32 v3, 0x41b17218
	s_mov_b32 s8, 0x41a00000
	s_mov_b32 s11, 0xf800000
	s_load_dwordx4 s[20:23], s[0:1], 0x40
	v_lshlrev_b32_e32 v12, 3, v9
	s_waitcnt lgkmcnt(0)
	s_cmp_lg_u64 s[22:23], 0
	s_cselect_b64 s[6:7], -1, 0
	s_and_b64 s[2:3], exec, s[6:7]
	s_waitcnt vmcnt(0)
	v_lshlrev_b32_e32 v0, 16, v4
	v_mul_f32_e32 v1, 0x3fb8aa3b, v0
	v_exp_f32_e32 v10, v1
	v_mov_b32_e32 v1, 0x260
	v_add_f32_e32 v10, 1.0, v10
	v_cmp_gt_f32_e32 vcc, s12, v10
	s_nop 1
	v_cndmask_b32_e32 v11, 1.0, v2, vcc
	v_mul_f32_e32 v10, v10, v11
	v_log_f32_e32 v11, v10
	v_cndmask_b32_e32 v13, 0, v3, vcc
	v_lshlrev_b32_e32 v10, 2, v12
	v_mul_f32_e32 v14, 0x3f317217, v11
	v_fma_f32 v14, v11, s9, -v14
	v_fmac_f32_e32 v14, 0x3377d1cf, v11
	v_fmac_f32_e32 v14, 0x3f317217, v11
	v_cmp_lt_f32_e64 vcc, |v11|, s10
	s_nop 1
	v_cndmask_b32_e32 v11, v11, v14, vcc
	v_sub_f32_e32 v11, v11, v13
	v_cmp_lt_f32_e32 vcc, s8, v0
	s_nop 1
	v_cndmask_b32_e32 v0, v11, v0, vcc
	v_mul_f32_e32 v11, 0x4f800000, v0
	v_cmp_gt_f32_e32 vcc, s11, v0
	s_nop 1
	v_cndmask_b32_e32 v0, v0, v11, vcc
	v_sqrt_f32_e32 v11, v0
	s_nop 0
	v_add_u32_e32 v13, -1, v11
	v_add_u32_e32 v14, 1, v11
	v_fma_f32 v15, -v13, v11, v0
	v_fma_f32 v16, -v14, v11, v0
	v_cmp_ge_f32_e64 s[4:5], 0, v15
	s_nop 1
	v_cndmask_b32_e64 v11, v11, v13, s[4:5]
	v_cmp_lt_f32_e64 s[4:5], 0, v16
	s_nop 1
	v_cndmask_b32_e64 v11, v11, v14, s[4:5]
	v_mul_f32_e32 v13, 0x37800000, v11
	v_cndmask_b32_e32 v11, v11, v13, vcc
	v_cmp_class_f32_e32 vcc, v0, v1
	s_nop 1
	v_cndmask_b32_e32 v0, v11, v0, vcc
	s_mov_b64 vcc, s[2:3]
	s_cbranch_vccz .LBB509_6
; %bb.5:
	global_load_dword v11, v10, s[22:23]
	s_waitcnt vmcnt(0)
	v_add_f32_e32 v0, v0, v11
.LBB509_6:
	v_and_b32_e32 v4, 0xffff0000, v4
	v_mul_f32_e32 v11, 0x3fb8aa3b, v4
	v_exp_f32_e32 v11, v11
	s_nop 0
	v_add_f32_e32 v11, 1.0, v11
	v_cmp_gt_f32_e32 vcc, s12, v11
	s_nop 1
	v_cndmask_b32_e32 v2, 1.0, v2, vcc
	v_mul_f32_e32 v2, v11, v2
	v_log_f32_e32 v2, v2
	v_cndmask_b32_e32 v3, 0, v3, vcc
	v_mul_f32_e32 v11, 0x3f317217, v2
	v_fma_f32 v11, v2, s9, -v11
	v_fmac_f32_e32 v11, 0x3377d1cf, v2
	v_fmac_f32_e32 v11, 0x3f317217, v2
	v_cmp_lt_f32_e64 vcc, |v2|, s10
	s_nop 1
	v_cndmask_b32_e32 v2, v2, v11, vcc
	v_sub_f32_e32 v2, v2, v3
	v_cmp_lt_f32_e32 vcc, s8, v4
	s_nop 1
	v_cndmask_b32_e32 v2, v2, v4, vcc
	v_mul_f32_e32 v3, 0x4f800000, v2
	v_cmp_gt_f32_e32 vcc, s11, v2
	s_nop 1
	v_cndmask_b32_e32 v2, v2, v3, vcc
	v_sqrt_f32_e32 v3, v2
	v_cmp_class_f32_e64 s[4:5], v2, v1
	v_add_u32_e32 v4, -1, v3
	v_add_u32_e32 v11, 1, v3
	v_fma_f32 v13, -v4, v3, v2
	v_fma_f32 v14, -v11, v3, v2
	v_cmp_ge_f32_e64 s[2:3], 0, v13
	s_nop 1
	v_cndmask_b32_e64 v3, v3, v4, s[2:3]
	v_cmp_lt_f32_e64 s[2:3], 0, v14
	s_nop 1
	v_cndmask_b32_e64 v3, v3, v11, s[2:3]
	v_mul_f32_e32 v4, 0x37800000, v3
	v_cndmask_b32_e32 v3, v3, v4, vcc
	v_cndmask_b32_e64 v4, 0, 1, s[6:7]
	v_cmp_ne_u32_e64 s[2:3], 1, v4
	s_andn2_b64 vcc, exec, s[6:7]
	v_cndmask_b32_e64 v1, v3, v2, s[4:5]
	s_cbranch_vccnz .LBB509_8
; %bb.7:
	global_load_dword v2, v10, s[22:23] offset:4
	s_waitcnt vmcnt(0)
	v_add_f32_e32 v1, v1, v2
.LBB509_8:
	v_lshlrev_b32_e32 v2, 16, v5
	v_mul_f32_e32 v3, 0x3fb8aa3b, v2
	v_exp_f32_e32 v3, v3
	s_mov_b32 s10, 0x800000
	v_mov_b32_e32 v4, 0x4f800000
	s_mov_b32 s7, 0x3f317217
	v_add_f32_e32 v3, 1.0, v3
	v_cmp_gt_f32_e32 vcc, s10, v3
	s_mov_b32 s8, 0x7f800000
	s_mov_b32 s6, 0x41a00000
	v_cndmask_b32_e32 v11, 1.0, v4, vcc
	v_mul_f32_e32 v3, v3, v11
	v_log_f32_e32 v3, v3
	s_mov_b32 s9, 0xf800000
	v_mul_f32_e32 v11, 0x3f317217, v3
	v_fma_f32 v11, v3, s7, -v11
	v_fmac_f32_e32 v11, 0x3377d1cf, v3
	v_fmac_f32_e32 v11, 0x3f317217, v3
	v_cmp_lt_f32_e64 s[4:5], |v3|, s8
	s_nop 1
	v_cndmask_b32_e64 v3, v3, v11, s[4:5]
	v_mov_b32_e32 v11, 0x41b17218
	v_cndmask_b32_e32 v13, 0, v11, vcc
	v_sub_f32_e32 v3, v3, v13
	v_cmp_lt_f32_e32 vcc, s6, v2
	s_nop 1
	v_cndmask_b32_e32 v2, v3, v2, vcc
	v_mul_f32_e32 v3, 0x4f800000, v2
	v_cmp_gt_f32_e32 vcc, s9, v2
	s_nop 1
	v_cndmask_b32_e32 v2, v2, v3, vcc
	v_sqrt_f32_e32 v3, v2
	s_nop 0
	v_add_u32_e32 v13, -1, v3
	v_fma_f32 v14, -v13, v3, v2
	v_cmp_ge_f32_e64 s[4:5], 0, v14
	v_add_u32_e32 v14, 1, v3
	s_nop 0
	v_cndmask_b32_e64 v13, v3, v13, s[4:5]
	v_fma_f32 v3, -v14, v3, v2
	v_cmp_lt_f32_e64 s[4:5], 0, v3
	s_nop 1
	v_cndmask_b32_e64 v3, v13, v14, s[4:5]
	v_mul_f32_e32 v13, 0x37800000, v3
	v_cndmask_b32_e32 v13, v3, v13, vcc
	v_mov_b32_e32 v3, 0x260
	v_cmp_class_f32_e64 s[4:5], v2, v3
	s_and_b64 vcc, exec, s[2:3]
	s_nop 0
	v_cndmask_b32_e64 v2, v13, v2, s[4:5]
	s_cbranch_vccnz .LBB509_10
; %bb.9:
	global_load_dword v13, v10, s[22:23] offset:8
	s_waitcnt vmcnt(0)
	v_add_f32_e32 v2, v2, v13
.LBB509_10:
	v_and_b32_e32 v5, 0xffff0000, v5
	v_mul_f32_e32 v13, 0x3fb8aa3b, v5
	v_exp_f32_e32 v13, v13
	s_nop 0
	v_add_f32_e32 v13, 1.0, v13
	v_cmp_gt_f32_e32 vcc, s10, v13
	s_nop 1
	v_cndmask_b32_e32 v4, 1.0, v4, vcc
	v_mul_f32_e32 v4, v13, v4
	v_log_f32_e32 v4, v4
	v_cndmask_b32_e32 v11, 0, v11, vcc
	v_mul_f32_e32 v13, 0x3f317217, v4
	v_fma_f32 v13, v4, s7, -v13
	v_fmac_f32_e32 v13, 0x3377d1cf, v4
	v_fmac_f32_e32 v13, 0x3f317217, v4
	v_cmp_lt_f32_e64 vcc, |v4|, s8
	s_nop 1
	v_cndmask_b32_e32 v4, v4, v13, vcc
	v_sub_f32_e32 v4, v4, v11
	v_cmp_lt_f32_e32 vcc, s6, v5
	s_nop 1
	v_cndmask_b32_e32 v4, v4, v5, vcc
	v_mul_f32_e32 v5, 0x4f800000, v4
	v_cmp_gt_f32_e32 vcc, s9, v4
	s_nop 1
	v_cndmask_b32_e32 v4, v4, v5, vcc
	v_sqrt_f32_e32 v5, v4
	s_nop 0
	v_add_u32_e32 v11, -1, v5
	v_add_u32_e32 v13, 1, v5
	v_fma_f32 v14, -v11, v5, v4
	v_fma_f32 v15, -v13, v5, v4
	v_cmp_ge_f32_e64 s[4:5], 0, v14
	s_nop 1
	v_cndmask_b32_e64 v5, v5, v11, s[4:5]
	v_cmp_lt_f32_e64 s[4:5], 0, v15
	s_nop 1
	v_cndmask_b32_e64 v5, v5, v13, s[4:5]
	v_mul_f32_e32 v11, 0x37800000, v5
	v_cndmask_b32_e32 v5, v5, v11, vcc
	v_cmp_class_f32_e64 s[4:5], v4, v3
	s_and_b64 vcc, exec, s[2:3]
	s_nop 0
	v_cndmask_b32_e64 v3, v5, v4, s[4:5]
	s_cbranch_vccnz .LBB509_12
; %bb.11:
	global_load_dword v4, v10, s[22:23] offset:12
	s_waitcnt vmcnt(0)
	v_add_f32_e32 v3, v3, v4
.LBB509_12:
	v_lshlrev_b32_e32 v4, 16, v6
	v_mul_f32_e32 v5, 0x3fb8aa3b, v4
	v_exp_f32_e32 v5, v5
	v_mov_b32_e32 v11, 0x4f800000
	v_add_f32_e32 v5, 1.0, v5
	v_cmp_gt_f32_e32 vcc, s10, v5
	s_nop 1
	v_cndmask_b32_e32 v13, 1.0, v11, vcc
	v_mul_f32_e32 v5, v5, v13
	v_log_f32_e32 v5, v5
	s_nop 0
	v_mul_f32_e32 v13, 0x3f317217, v5
	v_fma_f32 v13, v5, s7, -v13
	v_fmac_f32_e32 v13, 0x3377d1cf, v5
	v_fmac_f32_e32 v13, 0x3f317217, v5
	v_cmp_lt_f32_e64 s[4:5], |v5|, s8
	s_nop 1
	v_cndmask_b32_e64 v5, v5, v13, s[4:5]
	v_mov_b32_e32 v13, 0x41b17218
	v_cndmask_b32_e32 v14, 0, v13, vcc
	v_sub_f32_e32 v5, v5, v14
	v_cmp_lt_f32_e32 vcc, s6, v4
	s_nop 1
	v_cndmask_b32_e32 v4, v5, v4, vcc
	v_mul_f32_e32 v5, 0x4f800000, v4
	v_cmp_gt_f32_e32 vcc, s9, v4
	s_nop 1
	v_cndmask_b32_e32 v4, v4, v5, vcc
	v_sqrt_f32_e32 v5, v4
	s_nop 0
	v_add_u32_e32 v14, -1, v5
	v_fma_f32 v15, -v14, v5, v4
	v_cmp_ge_f32_e64 s[4:5], 0, v15
	v_add_u32_e32 v15, 1, v5
	s_nop 0
	v_cndmask_b32_e64 v14, v5, v14, s[4:5]
	v_fma_f32 v5, -v15, v5, v4
	v_cmp_lt_f32_e64 s[4:5], 0, v5
	s_nop 1
	v_cndmask_b32_e64 v5, v14, v15, s[4:5]
	v_mul_f32_e32 v14, 0x37800000, v5
	v_cndmask_b32_e32 v14, v5, v14, vcc
	v_mov_b32_e32 v5, 0x260
	v_cmp_class_f32_e64 s[4:5], v4, v5
	s_and_b64 vcc, exec, s[2:3]
	s_nop 0
	v_cndmask_b32_e64 v4, v14, v4, s[4:5]
	s_cbranch_vccnz .LBB509_14
; %bb.13:
	global_load_dword v14, v10, s[22:23] offset:16
	s_waitcnt vmcnt(0)
	v_add_f32_e32 v4, v4, v14
.LBB509_14:
	v_and_b32_e32 v6, 0xffff0000, v6
	v_mul_f32_e32 v14, 0x3fb8aa3b, v6
	v_exp_f32_e32 v14, v14
	s_nop 0
	v_add_f32_e32 v14, 1.0, v14
	v_cmp_gt_f32_e32 vcc, s10, v14
	s_nop 1
	v_cndmask_b32_e32 v11, 1.0, v11, vcc
	v_mul_f32_e32 v11, v14, v11
	v_log_f32_e32 v11, v11
	v_cndmask_b32_e32 v13, 0, v13, vcc
	v_mul_f32_e32 v14, 0x3f317217, v11
	v_fma_f32 v14, v11, s7, -v14
	v_fmac_f32_e32 v14, 0x3377d1cf, v11
	v_fmac_f32_e32 v14, 0x3f317217, v11
	v_cmp_lt_f32_e64 vcc, |v11|, s8
	s_nop 1
	v_cndmask_b32_e32 v11, v11, v14, vcc
	v_sub_f32_e32 v11, v11, v13
	v_cmp_lt_f32_e32 vcc, s6, v6
	s_nop 1
	v_cndmask_b32_e32 v6, v11, v6, vcc
	v_mul_f32_e32 v11, 0x4f800000, v6
	v_cmp_gt_f32_e32 vcc, s9, v6
	s_nop 1
	v_cndmask_b32_e32 v6, v6, v11, vcc
	v_sqrt_f32_e32 v11, v6
	s_nop 0
	v_add_u32_e32 v13, -1, v11
	v_add_u32_e32 v14, 1, v11
	v_fma_f32 v15, -v13, v11, v6
	v_fma_f32 v16, -v14, v11, v6
	v_cmp_ge_f32_e64 s[4:5], 0, v15
	s_nop 1
	v_cndmask_b32_e64 v11, v11, v13, s[4:5]
	v_cmp_lt_f32_e64 s[4:5], 0, v16
	s_nop 1
	v_cndmask_b32_e64 v11, v11, v14, s[4:5]
	v_mul_f32_e32 v13, 0x37800000, v11
	v_cndmask_b32_e32 v11, v11, v13, vcc
	v_cmp_class_f32_e64 s[4:5], v6, v5
	s_and_b64 vcc, exec, s[2:3]
	s_nop 0
	v_cndmask_b32_e64 v5, v11, v6, s[4:5]
	s_cbranch_vccnz .LBB509_16
; %bb.15:
	global_load_dword v6, v10, s[22:23] offset:20
	s_waitcnt vmcnt(0)
	v_add_f32_e32 v5, v5, v6
.LBB509_16:
	v_lshlrev_b32_e32 v6, 16, v7
	v_mul_f32_e32 v11, 0x3fb8aa3b, v6
	v_exp_f32_e32 v11, v11
	v_mov_b32_e32 v13, 0x4f800000
	v_add_f32_e32 v11, 1.0, v11
	v_cmp_gt_f32_e32 vcc, s10, v11
	s_nop 1
	v_cndmask_b32_e32 v14, 1.0, v13, vcc
	v_mul_f32_e32 v11, v11, v14
	v_log_f32_e32 v11, v11
	s_nop 0
	v_mul_f32_e32 v14, 0x3f317217, v11
	v_fma_f32 v14, v11, s7, -v14
	v_fmac_f32_e32 v14, 0x3377d1cf, v11
	v_fmac_f32_e32 v14, 0x3f317217, v11
	v_cmp_lt_f32_e64 s[4:5], |v11|, s8
	s_nop 1
	v_cndmask_b32_e64 v11, v11, v14, s[4:5]
	v_mov_b32_e32 v14, 0x41b17218
	v_cndmask_b32_e32 v15, 0, v14, vcc
	v_sub_f32_e32 v11, v11, v15
	v_cmp_lt_f32_e32 vcc, s6, v6
	s_nop 1
	v_cndmask_b32_e32 v6, v11, v6, vcc
	v_mul_f32_e32 v11, 0x4f800000, v6
	v_cmp_gt_f32_e32 vcc, s9, v6
	s_nop 1
	v_cndmask_b32_e32 v6, v6, v11, vcc
	v_sqrt_f32_e32 v11, v6
	s_nop 0
	v_add_u32_e32 v15, -1, v11
	v_fma_f32 v16, -v15, v11, v6
	v_cmp_ge_f32_e64 s[4:5], 0, v16
	v_add_u32_e32 v16, 1, v11
	s_nop 0
	v_cndmask_b32_e64 v15, v11, v15, s[4:5]
	v_fma_f32 v11, -v16, v11, v6
	v_cmp_lt_f32_e64 s[4:5], 0, v11
	s_nop 1
	v_cndmask_b32_e64 v11, v15, v16, s[4:5]
	v_mul_f32_e32 v15, 0x37800000, v11
	v_cndmask_b32_e32 v15, v11, v15, vcc
	v_mov_b32_e32 v11, 0x260
	v_cmp_class_f32_e64 s[4:5], v6, v11
	s_and_b64 vcc, exec, s[2:3]
	s_nop 0
	v_cndmask_b32_e64 v6, v15, v6, s[4:5]
	s_cbranch_vccnz .LBB509_18
; %bb.17:
	global_load_dword v15, v10, s[22:23] offset:24
	s_waitcnt vmcnt(0)
	v_add_f32_e32 v6, v6, v15
.LBB509_18:
	v_and_b32_e32 v7, 0xffff0000, v7
	v_mul_f32_e32 v15, 0x3fb8aa3b, v7
	v_exp_f32_e32 v15, v15
	s_nop 0
	v_add_f32_e32 v15, 1.0, v15
	v_cmp_gt_f32_e32 vcc, s10, v15
	s_nop 1
	v_cndmask_b32_e32 v13, 1.0, v13, vcc
	v_mul_f32_e32 v13, v15, v13
	v_log_f32_e32 v13, v13
	v_cndmask_b32_e32 v14, 0, v14, vcc
	v_mul_f32_e32 v15, 0x3f317217, v13
	v_fma_f32 v15, v13, s7, -v15
	v_fmac_f32_e32 v15, 0x3377d1cf, v13
	v_fmac_f32_e32 v15, 0x3f317217, v13
	v_cmp_lt_f32_e64 vcc, |v13|, s8
	s_nop 1
	v_cndmask_b32_e32 v13, v13, v15, vcc
	v_sub_f32_e32 v13, v13, v14
	v_cmp_lt_f32_e32 vcc, s6, v7
	s_nop 1
	v_cndmask_b32_e32 v7, v13, v7, vcc
	v_mul_f32_e32 v13, 0x4f800000, v7
	v_cmp_gt_f32_e32 vcc, s9, v7
	s_nop 1
	v_cndmask_b32_e32 v7, v7, v13, vcc
	v_sqrt_f32_e32 v13, v7
	s_nop 0
	v_add_u32_e32 v14, -1, v13
	v_add_u32_e32 v15, 1, v13
	v_fma_f32 v16, -v14, v13, v7
	v_fma_f32 v17, -v15, v13, v7
	v_cmp_ge_f32_e64 s[4:5], 0, v16
	s_nop 1
	v_cndmask_b32_e64 v13, v13, v14, s[4:5]
	v_cmp_lt_f32_e64 s[4:5], 0, v17
	s_nop 1
	v_cndmask_b32_e64 v13, v13, v15, s[4:5]
	v_mul_f32_e32 v14, 0x37800000, v13
	v_cndmask_b32_e32 v13, v13, v14, vcc
	v_cmp_class_f32_e64 s[4:5], v7, v11
	s_and_b64 vcc, exec, s[2:3]
	s_nop 0
	v_cndmask_b32_e64 v7, v13, v7, s[4:5]
	s_cbranch_vccnz .LBB509_20
; %bb.19:
	global_load_dword v10, v10, s[22:23] offset:28
	s_waitcnt vmcnt(0)
	v_add_f32_e32 v7, v7, v10
.LBB509_20:
	s_load_dwordx4 s[24:27], s[0:1], 0x30
	s_mov_b32 s42, 0
	v_cmp_eq_u32_e64 s[6:7], 0, v9
	s_waitcnt lgkmcnt(0)
	s_bitcmp1_b32 s27, 0
	s_cselect_b64 s[4:5], -1, 0
	s_cmp_gt_i32 s24, 0
	s_cselect_b64 s[38:39], -1, 0
	s_and_b64 vcc, exec, s[38:39]
	s_cbranch_vccz .LBB509_47
; %bb.21:
	v_mbcnt_lo_u32_b32 v10, -1, 0
	v_mbcnt_hi_u32_b32 v10, -1, v10
	v_and_b32_e32 v11, 0x70, v10
	v_add_u32_e32 v11, 16, v11
	v_xor_b32_e32 v13, 8, v10
	v_cmp_lt_i32_e32 vcc, v13, v11
	s_load_dwordx4 s[28:31], s[0:1], 0x20
	v_mul_lo_u32 v14, v8, s24
	v_cndmask_b32_e32 v13, v10, v13, vcc
	v_lshlrev_b32_e32 v15, 2, v13
	v_xor_b32_e32 v13, 4, v10
	v_cmp_lt_i32_e32 vcc, v13, v11
	v_mov_b32_e32 v19, 0x80
	v_mov_b32_e32 v20, 0xc61c4000
	v_cndmask_b32_e32 v13, v10, v13, vcc
	v_lshlrev_b32_e32 v16, 2, v13
	v_xor_b32_e32 v13, 2, v10
	v_cmp_lt_i32_e32 vcc, v13, v11
	v_mov_b32_e32 v21, v8
	s_nop 0
	v_cndmask_b32_e32 v13, v10, v13, vcc
	v_lshlrev_b32_e32 v17, 2, v13
	v_xor_b32_e32 v13, 1, v10
	v_cmp_lt_i32_e32 vcc, v13, v11
	s_nop 1
	v_cndmask_b32_e32 v10, v10, v13, vcc
	v_lshlrev_b32_e32 v18, 2, v10
	v_mov_b32_e32 v13, 0
	s_branch .LBB509_24
.LBB509_22:                             ;   in Loop: Header=BB509_24 Depth=1
	s_or_b64 exec, exec, s[40:41]
.LBB509_23:                             ;   in Loop: Header=BB509_24 Depth=1
	s_cmp_eq_u32 s24, s42
	v_add_u32_e32 v21, s33, v21
	s_cbranch_scc1 .LBB509_48
.LBB509_24:                             ; =>This Inner Loop Header: Depth=1
	v_cmp_gt_f32_e32 vcc, v1, v0
	s_nop 1
	v_cndmask_b32_e32 v11, v0, v1, vcc
	v_cndmask_b32_e64 v10, 0, 1, vcc
	v_cmp_gt_f32_e32 vcc, v2, v11
	s_nop 1
	v_cndmask_b32_e32 v11, v11, v2, vcc
	v_cndmask_b32_e64 v10, v10, 2, vcc
	v_cmp_gt_f32_e32 vcc, v3, v11
	s_nop 1
	v_cndmask_b32_e32 v11, v11, v3, vcc
	v_cndmask_b32_e64 v10, v10, 3, vcc
	v_cmp_gt_f32_e32 vcc, v4, v11
	s_nop 1
	v_cndmask_b32_e32 v11, v11, v4, vcc
	v_cndmask_b32_e64 v10, v10, 4, vcc
	v_cmp_gt_f32_e32 vcc, v5, v11
	s_nop 1
	v_cndmask_b32_e32 v11, v11, v5, vcc
	v_cndmask_b32_e64 v10, v10, 5, vcc
	v_cmp_gt_f32_e32 vcc, v6, v11
	s_nop 1
	v_cndmask_b32_e32 v11, v11, v6, vcc
	v_cndmask_b32_e64 v10, v10, 6, vcc
	v_cmp_gt_f32_e32 vcc, v7, v11
	s_nop 1
	v_cndmask_b32_e64 v10, v10, 7, vcc
	v_cndmask_b32_e32 v22, v11, v7, vcc
	ds_bpermute_b32 v11, v15, v22
	v_or_b32_e32 v10, v12, v10
	s_waitcnt lgkmcnt(0)
	ds_bpermute_b32 v23, v15, v10
	s_waitcnt lgkmcnt(0)
	v_cmp_lt_f32_e64 s[8:9], v22, v11
	v_cmp_nlt_f32_e32 vcc, v22, v11
	s_and_saveexec_b64 s[10:11], vcc
; %bb.25:                               ;   in Loop: Header=BB509_24 Depth=1
	v_cmp_eq_f32_e32 vcc, v22, v11
	v_cmp_lt_i32_e64 s[0:1], v23, v10
	s_and_b64 s[0:1], vcc, s[0:1]
	s_andn2_b64 s[8:9], s[8:9], exec
	s_and_b64 s[0:1], s[0:1], exec
	s_or_b64 s[8:9], s[8:9], s[0:1]
; %bb.26:                               ;   in Loop: Header=BB509_24 Depth=1
	s_or_b64 exec, exec, s[10:11]
	s_and_saveexec_b64 s[0:1], s[8:9]
; %bb.27:                               ;   in Loop: Header=BB509_24 Depth=1
	v_mov_b32_e32 v22, v11
	v_mov_b32_e32 v10, v23
; %bb.28:                               ;   in Loop: Header=BB509_24 Depth=1
	s_or_b64 exec, exec, s[0:1]
	ds_bpermute_b32 v11, v16, v22
	ds_bpermute_b32 v23, v16, v10
	s_waitcnt lgkmcnt(1)
	v_cmp_lt_f32_e64 s[8:9], v22, v11
	v_cmp_nlt_f32_e32 vcc, v22, v11
	s_and_saveexec_b64 s[10:11], vcc
	s_cbranch_execz .LBB509_30
; %bb.29:                               ;   in Loop: Header=BB509_24 Depth=1
	v_cmp_eq_f32_e32 vcc, v22, v11
	s_waitcnt lgkmcnt(0)
	v_cmp_lt_i32_e64 s[0:1], v23, v10
	s_and_b64 s[0:1], vcc, s[0:1]
	s_andn2_b64 s[8:9], s[8:9], exec
	s_and_b64 s[0:1], s[0:1], exec
	s_or_b64 s[8:9], s[8:9], s[0:1]
.LBB509_30:                             ;   in Loop: Header=BB509_24 Depth=1
	s_or_b64 exec, exec, s[10:11]
	s_and_saveexec_b64 s[0:1], s[8:9]
	s_cbranch_execz .LBB509_32
; %bb.31:                               ;   in Loop: Header=BB509_24 Depth=1
	v_mov_b32_e32 v22, v11
	s_waitcnt lgkmcnt(0)
	v_mov_b32_e32 v10, v23
.LBB509_32:                             ;   in Loop: Header=BB509_24 Depth=1
	s_or_b64 exec, exec, s[0:1]
	ds_bpermute_b32 v11, v17, v22
	s_waitcnt lgkmcnt(1)
	ds_bpermute_b32 v23, v17, v10
	s_waitcnt lgkmcnt(1)
	v_cmp_lt_f32_e64 s[8:9], v22, v11
	v_cmp_nlt_f32_e32 vcc, v22, v11
	s_and_saveexec_b64 s[10:11], vcc
	s_cbranch_execz .LBB509_34
; %bb.33:                               ;   in Loop: Header=BB509_24 Depth=1
	v_cmp_eq_f32_e32 vcc, v22, v11
	s_waitcnt lgkmcnt(0)
	v_cmp_lt_i32_e64 s[0:1], v23, v10
	s_and_b64 s[0:1], vcc, s[0:1]
	s_andn2_b64 s[8:9], s[8:9], exec
	s_and_b64 s[0:1], s[0:1], exec
	s_or_b64 s[8:9], s[8:9], s[0:1]
.LBB509_34:                             ;   in Loop: Header=BB509_24 Depth=1
	s_or_b64 exec, exec, s[10:11]
	s_and_saveexec_b64 s[0:1], s[8:9]
	s_cbranch_execz .LBB509_36
; %bb.35:                               ;   in Loop: Header=BB509_24 Depth=1
	v_mov_b32_e32 v22, v11
	s_waitcnt lgkmcnt(0)
	v_mov_b32_e32 v10, v23
.LBB509_36:                             ;   in Loop: Header=BB509_24 Depth=1
	s_or_b64 exec, exec, s[0:1]
	ds_bpermute_b32 v11, v18, v22
	s_waitcnt lgkmcnt(1)
	ds_bpermute_b32 v23, v18, v10
	s_waitcnt lgkmcnt(1)
	v_cmp_lt_f32_e64 s[8:9], v22, v11
	v_cmp_nlt_f32_e32 vcc, v22, v11
	s_and_saveexec_b64 s[10:11], vcc
	s_cbranch_execnz .LBB509_40
; %bb.37:                               ;   in Loop: Header=BB509_24 Depth=1
	s_or_b64 exec, exec, s[10:11]
	s_and_saveexec_b64 s[0:1], s[8:9]
	s_cbranch_execnz .LBB509_41
.LBB509_38:                             ;   in Loop: Header=BB509_24 Depth=1
	s_or_b64 exec, exec, s[0:1]
	s_and_saveexec_b64 s[8:9], s[6:7]
	s_cbranch_execnz .LBB509_42
.LBB509_39:                             ;   in Loop: Header=BB509_24 Depth=1
	s_or_b64 exec, exec, s[8:9]
	s_add_i32 s42, s42, 1
	s_cmp_ge_i32 s42, s24
	s_cbranch_scc1 .LBB509_23
	s_branch .LBB509_45
.LBB509_40:                             ;   in Loop: Header=BB509_24 Depth=1
	v_cmp_eq_f32_e32 vcc, v22, v11
	s_waitcnt lgkmcnt(0)
	v_cmp_lt_i32_e64 s[0:1], v23, v10
	s_and_b64 s[0:1], vcc, s[0:1]
	s_andn2_b64 s[8:9], s[8:9], exec
	s_and_b64 s[0:1], s[0:1], exec
	s_or_b64 s[8:9], s[8:9], s[0:1]
	s_or_b64 exec, exec, s[10:11]
	s_and_saveexec_b64 s[0:1], s[8:9]
	s_cbranch_execz .LBB509_38
.LBB509_41:                             ;   in Loop: Header=BB509_24 Depth=1
	s_waitcnt lgkmcnt(0)
	v_mov_b32_e32 v10, v23
	v_mov_b32_e32 v22, v11
	s_or_b64 exec, exec, s[0:1]
	s_and_saveexec_b64 s[8:9], s[6:7]
	s_cbranch_execz .LBB509_39
.LBB509_42:                             ;   in Loop: Header=BB509_24 Depth=1
	s_and_b64 vcc, exec, s[2:3]
	s_cbranch_vccnz .LBB509_44
; %bb.43:                               ;   in Loop: Header=BB509_24 Depth=1
	v_ashrrev_i32_e32 v11, 31, v10
	v_lshl_add_u64 v[24:25], v[10:11], 2, s[22:23]
	global_load_dword v11, v[24:25], off
	s_waitcnt vmcnt(0)
	v_sub_f32_e32 v22, v22, v11
.LBB509_44:                             ;   in Loop: Header=BB509_24 Depth=1
	v_add_u32_e32 v24, s42, v14
	v_cmp_le_i32_e32 vcc, s25, v10
	v_cmp_gt_i32_e64 s[0:1], s26, v10
	v_ashrrev_i32_e32 v25, 31, v24
	s_and_b64 s[0:1], vcc, s[0:1]
	v_lshlrev_b64 v[26:27], 2, v[24:25]
	v_subrev_u32_e32 v11, s25, v10
	v_lshl_add_u64 v[28:29], s[34:35], 0, v[26:27]
	s_waitcnt lgkmcnt(0)
	v_ashrrev_i32_e32 v23, 31, v11
	s_and_b64 vcc, s[36:37], s[0:1]
	global_store_dword v[28:29], v22, off
	v_cndmask_b32_e32 v29, 0, v23, vcc
	v_cndmask_b32_e32 v28, v19, v11, vcc
	v_lshl_add_u64 v[24:25], v[24:25], 3, s[28:29]
	v_add_f32_e32 v11, v13, v22
	global_store_dwordx2 v[24:25], v[28:29], off
	v_lshl_add_u64 v[24:25], s[30:31], 0, v[26:27]
	v_cndmask_b32_e64 v13, v13, v11, s[4:5]
	global_store_dword v[24:25], v21, off
	s_or_b64 exec, exec, s[8:9]
	s_add_i32 s42, s42, 1
	s_cmp_ge_i32 s42, s24
	s_cbranch_scc1 .LBB509_23
.LBB509_45:                             ;   in Loop: Header=BB509_24 Depth=1
	v_ashrrev_i32_e32 v22, 31, v10
	v_lshrrev_b32_e32 v11, 29, v22
	v_add_u32_e32 v11, v10, v11
	v_ashrrev_i32_e32 v11, 3, v11
	s_waitcnt lgkmcnt(0)
	v_lshrrev_b32_e32 v23, 28, v11
	v_add_u32_e32 v23, v11, v23
	v_and_b32_e32 v23, -16, v23
	v_sub_u32_e32 v23, v11, v23
	v_cmp_eq_u32_e32 vcc, v9, v23
	s_and_saveexec_b64 s[40:41], vcc
	s_cbranch_execz .LBB509_22
; %bb.46:                               ;   in Loop: Header=BB509_24 Depth=1
	v_lshrrev_b32_e32 v22, 25, v22
	v_add_u32_e32 v22, v10, v22
	v_lshlrev_b32_e32 v11, 3, v11
	v_sub_u32_e32 v10, v10, v11
	v_ashrrev_i32_e32 v11, 7, v22
	v_lshl_add_u32 v10, v11, 3, v10
	v_cmp_ne_u32_e32 vcc, 6, v10
	v_cmp_ne_u32_e64 s[0:1], 5, v10
	v_cmp_ne_u32_e64 s[8:9], 4, v10
	;; [unrolled: 1-line block ×7, first 2 shown]
	v_cndmask_b32_e32 v6, v20, v6, vcc
	v_cndmask_b32_e64 v5, v20, v5, s[0:1]
	v_cndmask_b32_e64 v7, v20, v7, s[18:19]
	;; [unrolled: 1-line block ×7, first 2 shown]
	s_branch .LBB509_22
.LBB509_47:
	v_mov_b32_e32 v13, 0
.LBB509_48:
	v_cmp_eq_u32_e32 vcc, 0, v9
	s_and_b64 exec, exec, vcc
	s_cbranch_execz .LBB509_61
; %bb.49:
	s_andn2_b64 vcc, exec, s[4:5]
	v_cvt_f32_f64_e32 v0, s[20:21]
	s_cbranch_vccnz .LBB509_51
; %bb.50:
	v_cmp_lt_f32_e32 vcc, 0, v13
	s_nop 1
	v_cndmask_b32_e32 v1, 1.0, v13, vcc
	v_div_scale_f32 v2, s[0:1], v1, v1, v0
	v_rcp_f32_e32 v3, v2
	s_nop 0
	v_fma_f32 v4, -v2, v3, 1.0
	v_fmac_f32_e32 v3, v4, v3
	v_div_scale_f32 v4, vcc, v0, v1, v0
	v_mul_f32_e32 v5, v4, v3
	v_fma_f32 v6, -v2, v5, v4
	v_fmac_f32_e32 v5, v6, v3
	v_fma_f32 v2, -v2, v5, v4
	v_div_fmas_f32 v2, v2, v3, v5
	v_div_fixup_f32 v0, v2, v1, v0
.LBB509_51:
	s_andn2_b64 vcc, exec, s[38:39]
	s_cbranch_vccnz .LBB509_61
; %bb.52:
	v_mul_lo_u32 v2, v8, s24
	s_cmp_gt_u32 s24, 3
	v_ashrrev_i32_e32 v3, 31, v2
	s_cbranch_scc0 .LBB509_56
; %bb.53:
	s_and_b32 s0, s24, 0x7ffffffc
	v_lshl_add_u64 v[4:5], v[2:3], 2, s[34:35]
	v_mov_b32_e32 v1, v0
	v_lshl_add_u64 v[4:5], v[4:5], 0, 8
	s_mov_b32 s1, s0
.LBB509_54:                             ; =>This Inner Loop Header: Depth=1
	global_load_dwordx4 v[6:9], v[4:5], off offset:-8
	s_add_i32 s1, s1, -4
	s_cmp_lg_u32 s1, 0
	s_waitcnt vmcnt(0)
	v_pk_mul_f32 v[6:7], v[0:1], v[6:7]
	v_pk_mul_f32 v[8:9], v[0:1], v[8:9]
	global_store_dwordx4 v[4:5], v[6:9], off offset:-8
	v_lshl_add_u64 v[4:5], v[4:5], 0, 16
	s_cbranch_scc1 .LBB509_54
; %bb.55:
	s_cmp_lg_u32 s0, s24
	s_cselect_b64 s[2:3], -1, 0
	s_branch .LBB509_58
.LBB509_56:
	s_mov_b64 s[2:3], 0
                                        ; implicit-def: $sgpr0
	s_cbranch_execz .LBB509_58
; %bb.57:
	s_mov_b64 s[2:3], -1
	s_mov_b32 s0, 0
.LBB509_58:
	s_andn2_b64 vcc, exec, s[2:3]
	s_cbranch_vccnz .LBB509_61
; %bb.59:
	s_mov_b32 s1, 0
	v_lshl_add_u64 v[2:3], v[2:3], 0, s[0:1]
	s_sub_i32 s2, s24, s0
	v_lshl_add_u64 v[2:3], v[2:3], 2, s[34:35]
.LBB509_60:                             ; =>This Inner Loop Header: Depth=1
	global_load_dword v1, v[2:3], off
	s_add_i32 s2, s2, -1
	s_cmp_lg_u32 s2, 0
	s_waitcnt vmcnt(0)
	v_mul_f32_e32 v1, v0, v1
	global_store_dword v[2:3], v1, off
	v_lshl_add_u64 v[2:3], v[2:3], 0, 4
	s_cbranch_scc1 .LBB509_60
.LBB509_61:
	s_endpgm
	.section	.rodata,"a",@progbits
	.p2align	6, 0x0
	.amdhsa_kernel _ZN4vllm3moe22topkGatingSoftplusSqrtILi8ELi128ELi4ELi16ELi64ELb0El14__hip_bfloat16EEvPKT6_PKbPfiPT5_PiiiibdPKfPKS9_SF_
		.amdhsa_group_segment_fixed_size 0
		.amdhsa_private_segment_fixed_size 0
		.amdhsa_kernarg_size 96
		.amdhsa_user_sgpr_count 2
		.amdhsa_user_sgpr_dispatch_ptr 0
		.amdhsa_user_sgpr_queue_ptr 0
		.amdhsa_user_sgpr_kernarg_segment_ptr 1
		.amdhsa_user_sgpr_dispatch_id 0
		.amdhsa_user_sgpr_kernarg_preload_length 0
		.amdhsa_user_sgpr_kernarg_preload_offset 0
		.amdhsa_user_sgpr_private_segment_size 0
		.amdhsa_uses_dynamic_stack 0
		.amdhsa_enable_private_segment 0
		.amdhsa_system_sgpr_workgroup_id_x 1
		.amdhsa_system_sgpr_workgroup_id_y 0
		.amdhsa_system_sgpr_workgroup_id_z 0
		.amdhsa_system_sgpr_workgroup_info 0
		.amdhsa_system_vgpr_workitem_id 1
		.amdhsa_next_free_vgpr 30
		.amdhsa_next_free_sgpr 43
		.amdhsa_accum_offset 32
		.amdhsa_reserve_vcc 1
		.amdhsa_float_round_mode_32 0
		.amdhsa_float_round_mode_16_64 0
		.amdhsa_float_denorm_mode_32 3
		.amdhsa_float_denorm_mode_16_64 3
		.amdhsa_dx10_clamp 1
		.amdhsa_ieee_mode 1
		.amdhsa_fp16_overflow 0
		.amdhsa_tg_split 0
		.amdhsa_exception_fp_ieee_invalid_op 0
		.amdhsa_exception_fp_denorm_src 0
		.amdhsa_exception_fp_ieee_div_zero 0
		.amdhsa_exception_fp_ieee_overflow 0
		.amdhsa_exception_fp_ieee_underflow 0
		.amdhsa_exception_fp_ieee_inexact 0
		.amdhsa_exception_int_div_zero 0
	.end_amdhsa_kernel
	.section	.text._ZN4vllm3moe22topkGatingSoftplusSqrtILi8ELi128ELi4ELi16ELi64ELb0El14__hip_bfloat16EEvPKT6_PKbPfiPT5_PiiiibdPKfPKS9_SF_,"axG",@progbits,_ZN4vllm3moe22topkGatingSoftplusSqrtILi8ELi128ELi4ELi16ELi64ELb0El14__hip_bfloat16EEvPKT6_PKbPfiPT5_PiiiibdPKfPKS9_SF_,comdat
.Lfunc_end509:
	.size	_ZN4vllm3moe22topkGatingSoftplusSqrtILi8ELi128ELi4ELi16ELi64ELb0El14__hip_bfloat16EEvPKT6_PKbPfiPT5_PiiiibdPKfPKS9_SF_, .Lfunc_end509-_ZN4vllm3moe22topkGatingSoftplusSqrtILi8ELi128ELi4ELi16ELi64ELb0El14__hip_bfloat16EEvPKT6_PKbPfiPT5_PiiiibdPKfPKS9_SF_
                                        ; -- End function
	.section	.AMDGPU.csdata,"",@progbits
; Kernel info:
; codeLenInByte = 4004
; NumSgprs: 49
; NumVgprs: 30
; NumAgprs: 0
; TotalNumVgprs: 30
; ScratchSize: 0
; MemoryBound: 0
; FloatMode: 240
; IeeeMode: 1
; LDSByteSize: 0 bytes/workgroup (compile time only)
; SGPRBlocks: 6
; VGPRBlocks: 3
; NumSGPRsForWavesPerEU: 49
; NumVGPRsForWavesPerEU: 30
; AccumOffset: 32
; Occupancy: 8
; WaveLimiterHint : 0
; COMPUTE_PGM_RSRC2:SCRATCH_EN: 0
; COMPUTE_PGM_RSRC2:USER_SGPR: 2
; COMPUTE_PGM_RSRC2:TRAP_HANDLER: 0
; COMPUTE_PGM_RSRC2:TGID_X_EN: 1
; COMPUTE_PGM_RSRC2:TGID_Y_EN: 0
; COMPUTE_PGM_RSRC2:TGID_Z_EN: 0
; COMPUTE_PGM_RSRC2:TIDIG_COMP_CNT: 1
; COMPUTE_PGM_RSRC3_GFX90A:ACCUM_OFFSET: 7
; COMPUTE_PGM_RSRC3_GFX90A:TG_SPLIT: 0
	.section	.text._ZN4vllm3moe22topkGatingSoftplusSqrtILi8ELi128ELi4ELi16ELi32ELb1El14__hip_bfloat16EEvPKT6_PKbPfiPT5_PiiiibdPKfPKS9_SF_,"axG",@progbits,_ZN4vllm3moe22topkGatingSoftplusSqrtILi8ELi128ELi4ELi16ELi32ELb1El14__hip_bfloat16EEvPKT6_PKbPfiPT5_PiiiibdPKfPKS9_SF_,comdat
	.protected	_ZN4vllm3moe22topkGatingSoftplusSqrtILi8ELi128ELi4ELi16ELi32ELb1El14__hip_bfloat16EEvPKT6_PKbPfiPT5_PiiiibdPKfPKS9_SF_ ; -- Begin function _ZN4vllm3moe22topkGatingSoftplusSqrtILi8ELi128ELi4ELi16ELi32ELb1El14__hip_bfloat16EEvPKT6_PKbPfiPT5_PiiiibdPKfPKS9_SF_
	.globl	_ZN4vllm3moe22topkGatingSoftplusSqrtILi8ELi128ELi4ELi16ELi32ELb1El14__hip_bfloat16EEvPKT6_PKbPfiPT5_PiiiibdPKfPKS9_SF_
	.p2align	8
	.type	_ZN4vllm3moe22topkGatingSoftplusSqrtILi8ELi128ELi4ELi16ELi32ELb1El14__hip_bfloat16EEvPKT6_PKbPfiPT5_PiiiibdPKfPKS9_SF_,@function
_ZN4vllm3moe22topkGatingSoftplusSqrtILi8ELi128ELi4ELi16ELi32ELb1El14__hip_bfloat16EEvPKT6_PKbPfiPT5_PiiiibdPKfPKS9_SF_: ; @_ZN4vllm3moe22topkGatingSoftplusSqrtILi8ELi128ELi4ELi16ELi32ELb1El14__hip_bfloat16EEvPKT6_PKbPfiPT5_PiiiibdPKfPKS9_SF_
; %bb.0:
	s_load_dword s3, s[0:1], 0x18
	v_bfe_u32 v1, v0, 10, 10
	v_and_b32_e32 v8, 0x3ff, v0
	s_lshl_b32 s2, s2, 3
	v_lshlrev_b32_e32 v1, 1, v1
	v_lshrrev_b32_e32 v0, 4, v8
	v_add3_u32 v6, s2, v1, v0
	s_waitcnt lgkmcnt(0)
	v_cmp_gt_i32_e32 vcc, s3, v6
	s_and_saveexec_b64 s[2:3], vcc
	s_cbranch_execz .LBB510_31
; %bb.1:
	s_load_dwordx4 s[8:11], s[0:1], 0x50
	s_load_dwordx2 s[2:3], s[0:1], 0x0
	s_load_dword s12, s[0:1], 0x30
	v_lshlrev_b32_e32 v0, 7, v6
	v_lshlrev_b32_e32 v4, 3, v8
	v_ashrrev_i32_e32 v1, 31, v0
	v_and_b32_e32 v12, 0x78, v4
	s_waitcnt lgkmcnt(0)
	v_mov_b32_e32 v2, s8
	v_mov_b32_e32 v3, s9
	v_lshl_add_u64 v[0:1], v[0:1], 1, s[2:3]
	v_lshlrev_b32_e32 v4, 1, v12
	v_mov_b32_e32 v5, 0
	v_ashrrev_i32_e32 v7, 31, v6
	v_lshl_add_u64 v[2:3], v[6:7], 3, v[2:3]
	v_lshl_add_u64 v[0:1], v[0:1], 0, v[4:5]
	global_load_dwordx2 v[10:11], v[2:3], off
	s_ashr_i32 s13, s12, 31
	global_load_dwordx4 v[0:3], v[0:1], off
	s_mov_b32 s23, 0x800000
	v_mov_b32_e32 v4, 0x4f800000
	s_mov_b32 s21, 0x3f317217
	s_mov_b32 s22, 0x7f800000
	v_mov_b32_e32 v7, 0x41b17218
	s_mov_b32 s17, 0x41a00000
	s_mov_b32 s20, 0xf800000
	v_mov_b32_e32 v9, 0x260
	v_cmp_lt_i64_e64 s[18:19], s[12:13], 1
	s_mov_b32 s16, 0
	v_cmp_gt_i64_e64 s[14:15], s[12:13], 0
	s_waitcnt vmcnt(1)
	v_mul_lo_u32 v11, v11, s12
	v_mul_lo_u32 v13, v10, s13
	s_waitcnt vmcnt(0)
	v_and_b32_e32 v18, 0xffff0000, v0
	v_lshlrev_b32_e32 v19, 16, v0
	v_and_b32_e32 v20, 0xffff0000, v1
	v_lshlrev_b32_e32 v21, 16, v1
	v_mul_f32_e32 v0, 0x3fb8aa3b, v19
	v_mul_f32_e32 v1, 0x3fb8aa3b, v18
	v_exp_f32_e32 v14, v0
	v_exp_f32_e32 v15, v1
	v_mul_f32_e32 v16, 0x3fb8aa3b, v21
	v_mul_f32_e32 v17, 0x3fb8aa3b, v20
	v_exp_f32_e32 v16, v16
	v_exp_f32_e32 v17, v17
	v_mad_u64_u32 v[0:1], s[2:3], v10, s12, 0
	v_add3_u32 v1, v1, v13, v11
	v_pk_add_f32 v[10:11], v[14:15], 1.0 op_sel_hi:[1,0]
	v_pk_add_f32 v[14:15], v[16:17], 1.0 op_sel_hi:[1,0]
	v_cmp_gt_f32_e32 vcc, s23, v11
	v_cmp_gt_f32_e64 s[2:3], s23, v10
	v_cmp_gt_f32_e64 s[6:7], s23, v14
	v_cndmask_b32_e32 v13, 1.0, v4, vcc
	v_cndmask_b32_e64 v16, 1.0, v4, s[2:3]
	v_mul_f32_e32 v11, v11, v13
	v_mul_f32_e32 v10, v10, v16
	v_log_f32_e32 v11, v11
	v_log_f32_e32 v10, v10
	v_cmp_gt_f32_e64 s[4:5], s23, v15
	v_cndmask_b32_e64 v22, 1.0, v4, s[6:7]
	v_mul_f32_e32 v14, v14, v22
	v_cndmask_b32_e64 v17, 1.0, v4, s[4:5]
	v_mul_f32_e32 v15, v15, v17
	v_log_f32_e32 v22, v14
	v_mul_f32_e32 v14, 0x3f317217, v11
	v_log_f32_e32 v17, v15
	v_mul_f32_e32 v15, 0x3f317217, v10
	v_fma_f32 v14, v11, s21, -v14
	v_fma_f32 v15, v10, s21, -v15
	v_fmac_f32_e32 v14, 0x3377d1cf, v11
	v_cndmask_b32_e32 v13, 0, v7, vcc
	v_fmac_f32_e32 v15, 0x3377d1cf, v10
	v_fmac_f32_e32 v14, 0x3f317217, v11
	v_cmp_lt_f32_e64 vcc, |v11|, s22
	v_fmac_f32_e32 v15, 0x3f317217, v10
	v_cndmask_b32_e64 v16, 0, v7, s[2:3]
	v_cndmask_b32_e32 v11, v11, v14, vcc
	v_cmp_lt_f32_e64 vcc, |v10|, s22
	v_sub_f32_e32 v11, v11, v13
	v_mul_f32_e32 v23, 0x3f317217, v17
	v_cndmask_b32_e32 v10, v10, v15, vcc
	v_sub_f32_e32 v10, v10, v16
	v_cmp_lt_f32_e32 vcc, s17, v19
	v_fma_f32 v23, v17, s21, -v23
	v_fmac_f32_e32 v23, 0x3377d1cf, v17
	v_cndmask_b32_e32 v10, v10, v19, vcc
	v_cmp_lt_f32_e32 vcc, s17, v18
	v_mul_f32_e32 v14, 0x4f800000, v10
	v_cmp_gt_f32_e64 s[2:3], s20, v10
	v_cndmask_b32_e32 v11, v11, v18, vcc
	v_mul_f32_e32 v13, 0x4f800000, v11
	v_cmp_gt_f32_e32 vcc, s20, v11
	v_cndmask_b32_e64 v10, v10, v14, s[2:3]
	v_sqrt_f32_e32 v14, v10
	v_cndmask_b32_e32 v11, v11, v13, vcc
	v_sqrt_f32_e32 v13, v11
	v_fmac_f32_e32 v23, 0x3f317217, v17
	v_add_u32_e32 v18, -1, v14
	v_fma_f32 v26, -v18, v14, v10
	v_add_u32_e32 v15, -1, v13
	v_fma_f32 v24, -v15, v13, v11
	v_add_u32_e32 v16, 1, v13
	v_cmp_ge_f32_e64 s[8:9], 0, v24
	v_add_u32_e32 v19, 1, v14
	v_fma_f32 v25, -v16, v13, v11
	v_cndmask_b32_e64 v13, v13, v15, s[8:9]
	v_cmp_ge_f32_e64 s[8:9], 0, v26
	v_fma_f32 v27, -v19, v14, v10
	s_nop 0
	v_cndmask_b32_e64 v14, v14, v18, s[8:9]
	v_cmp_lt_f32_e64 s[8:9], 0, v25
	s_nop 1
	v_cndmask_b32_e64 v13, v13, v16, s[8:9]
	v_cmp_lt_f32_e64 s[8:9], 0, v27
	v_mul_f32_e32 v15, 0x37800000, v13
	v_cndmask_b32_e32 v13, v13, v15, vcc
	v_cndmask_b32_e64 v14, v14, v19, s[8:9]
	v_mul_f32_e32 v16, 0x37800000, v14
	v_cmp_class_f32_e32 vcc, v11, v9
	v_cndmask_b32_e64 v14, v14, v16, s[2:3]
	v_cmp_lt_f32_e64 s[2:3], s17, v21
	v_cndmask_b32_e32 v15, v13, v11, vcc
	v_cmp_class_f32_e32 vcc, v10, v9
	v_cndmask_b32_e64 v11, 0, v7, s[4:5]
	v_cndmask_b32_e64 v13, 0, v7, s[6:7]
	v_cndmask_b32_e32 v14, v14, v10, vcc
	v_cmp_lt_f32_e64 vcc, |v17|, s22
	s_nop 1
	v_cndmask_b32_e32 v10, v17, v23, vcc
	v_sub_f32_e32 v10, v10, v11
	v_mul_f32_e32 v11, 0x3f317217, v22
	v_fma_f32 v11, v22, s21, -v11
	v_fmac_f32_e32 v11, 0x3377d1cf, v22
	v_fmac_f32_e32 v11, 0x3f317217, v22
	v_cmp_lt_f32_e64 vcc, |v22|, s22
	s_nop 1
	v_cndmask_b32_e32 v11, v22, v11, vcc
	v_cmp_lt_f32_e32 vcc, s17, v20
	v_sub_f32_e32 v11, v11, v13
	v_cndmask_b32_e64 v11, v11, v21, s[2:3]
	v_cndmask_b32_e32 v10, v10, v20, vcc
	v_mul_f32_e32 v16, 0x4f800000, v10
	v_cmp_gt_f32_e32 vcc, s20, v10
	v_and_b32_e32 v20, 0xffff0000, v2
	v_lshlrev_b32_e32 v2, 16, v2
	v_cndmask_b32_e32 v10, v10, v16, vcc
	v_sqrt_f32_e32 v16, v10
	s_nop 0
	v_add_u32_e32 v13, -1, v16
	v_fma_f32 v17, -v13, v16, v10
	v_cmp_ge_f32_e64 s[2:3], 0, v17
	v_add_u32_e32 v17, 1, v16
	s_nop 0
	v_cndmask_b32_e64 v13, v16, v13, s[2:3]
	v_fma_f32 v16, -v17, v16, v10
	v_cmp_lt_f32_e64 s[2:3], 0, v16
	s_nop 1
	v_cndmask_b32_e64 v13, v13, v17, s[2:3]
	v_mul_f32_e32 v17, 0x4f800000, v11
	v_cmp_gt_f32_e64 s[2:3], s20, v11
	v_mul_f32_e32 v16, 0x37800000, v13
	v_cndmask_b32_e32 v13, v13, v16, vcc
	v_cndmask_b32_e64 v18, v11, v17, s[2:3]
	v_sqrt_f32_e32 v11, v18
	v_cmp_class_f32_e32 vcc, v10, v9
	v_add_u32_e32 v16, 1, v11
	s_nop 0
	v_cndmask_b32_e32 v17, v13, v10, vcc
	v_add_u32_e32 v10, -1, v11
	v_fma_f32 v13, -v10, v11, v18
	v_cmp_ge_f32_e32 vcc, 0, v13
	v_fma_f32 v19, -v16, v11, v18
	s_nop 0
	v_cndmask_b32_e32 v13, v11, v10, vcc
	v_mul_f32_e32 v10, 0x3fb8aa3b, v2
	v_mul_f32_e32 v11, 0x3fb8aa3b, v20
	v_exp_f32_e32 v10, v10
	v_exp_f32_e32 v11, v11
	v_cmp_lt_f32_e32 vcc, 0, v19
	v_pk_add_f32 v[10:11], v[10:11], 1.0 op_sel_hi:[1,0]
	s_nop 0
	v_cndmask_b32_e32 v13, v13, v16, vcc
	v_mul_f32_e32 v16, 0x37800000, v13
	v_cmp_gt_f32_e32 vcc, s23, v11
	v_cndmask_b32_e64 v13, v13, v16, s[2:3]
	v_cmp_class_f32_e64 s[2:3], v18, v9
	v_cndmask_b32_e32 v16, 1.0, v4, vcc
	v_mul_f32_e32 v11, v11, v16
	v_log_f32_e32 v11, v11
	v_cndmask_b32_e64 v16, v13, v18, s[2:3]
	v_cmp_gt_f32_e64 s[2:3], s23, v10
	scratch_store_dwordx4 off, v[14:17], off
	v_mul_f32_e32 v13, 0x3f317217, v11
	v_fma_f32 v13, v11, s21, -v13
	v_cndmask_b32_e64 v14, 1.0, v4, s[2:3]
	v_mul_f32_e32 v10, v10, v14
	v_log_f32_e32 v10, v10
	v_fmac_f32_e32 v13, 0x3377d1cf, v11
	v_fmac_f32_e32 v13, 0x3f317217, v11
	v_cmp_lt_f32_e64 s[4:5], |v11|, s22
	v_and_b32_e32 v16, 0xffff0000, v3
	v_lshlrev_b32_e32 v17, 16, v3
	v_cndmask_b32_e64 v11, v11, v13, s[4:5]
	v_cndmask_b32_e32 v13, 0, v7, vcc
	v_sub_f32_e32 v11, v11, v13
	v_mul_f32_e32 v13, 0x3f317217, v10
	v_fma_f32 v13, v10, s21, -v13
	v_fmac_f32_e32 v13, 0x3377d1cf, v10
	v_fmac_f32_e32 v13, 0x3f317217, v10
	v_cmp_lt_f32_e64 vcc, |v10|, s22
	v_mul_f32_e32 v3, 0x3fb8aa3b, v16
	v_exp_f32_e32 v3, v3
	v_cndmask_b32_e32 v10, v10, v13, vcc
	v_cmp_lt_f32_e32 vcc, s17, v20
	v_cndmask_b32_e64 v13, 0, v7, s[2:3]
	v_sub_f32_e32 v10, v10, v13
	v_cndmask_b32_e32 v11, v11, v20, vcc
	v_mul_f32_e32 v14, 0x4f800000, v11
	v_cmp_gt_f32_e32 vcc, s20, v11
	v_cmp_lt_f32_e64 s[2:3], s17, v2
	s_nop 0
	v_cndmask_b32_e32 v11, v11, v14, vcc
	v_sqrt_f32_e32 v14, v11
	v_cndmask_b32_e64 v2, v10, v2, s[2:3]
	v_add_u32_e32 v10, -1, v14
	v_fma_f32 v13, -v10, v14, v11
	v_cmp_ge_f32_e64 s[2:3], 0, v13
	v_add_u32_e32 v13, 1, v14
	s_nop 0
	v_cndmask_b32_e64 v10, v14, v10, s[2:3]
	v_fma_f32 v14, -v13, v14, v11
	v_cmp_lt_f32_e64 s[2:3], 0, v14
	v_mul_f32_e32 v14, 0x4f800000, v2
	s_nop 0
	v_cndmask_b32_e64 v10, v10, v13, s[2:3]
	v_cmp_gt_f32_e64 s[2:3], s20, v2
	v_mul_f32_e32 v13, 0x37800000, v10
	v_cndmask_b32_e32 v10, v10, v13, vcc
	v_cndmask_b32_e64 v14, v2, v14, s[2:3]
	v_sqrt_f32_e32 v2, v14
	v_cmp_class_f32_e32 vcc, v11, v9
	s_nop 1
	v_cndmask_b32_e32 v15, v10, v11, vcc
	v_add_u32_e32 v10, -1, v2
	v_fma_f32 v11, -v10, v2, v14
	v_cmp_ge_f32_e32 vcc, 0, v11
	v_add_u32_e32 v11, 1, v2
	v_fma_f32 v13, -v11, v2, v14
	v_cndmask_b32_e32 v10, v2, v10, vcc
	v_mul_f32_e32 v2, 0x3fb8aa3b, v17
	v_exp_f32_e32 v2, v2
	v_cmp_lt_f32_e32 vcc, 0, v13
	v_pk_add_f32 v[2:3], v[2:3], 1.0 op_sel_hi:[1,0]
	s_nop 0
	v_cndmask_b32_e32 v10, v10, v11, vcc
	v_cmp_gt_f32_e32 vcc, s23, v3
	v_mul_f32_e32 v11, 0x37800000, v10
	v_cndmask_b32_e64 v10, v10, v11, s[2:3]
	v_cndmask_b32_e32 v13, 1.0, v4, vcc
	v_mul_f32_e32 v3, v3, v13
	v_log_f32_e32 v3, v3
	v_cmp_class_f32_e64 s[2:3], v14, v9
	v_cmp_lt_f32_e64 s[4:5], |v3|, s22
	s_nop 0
	v_cndmask_b32_e64 v14, v10, v14, s[2:3]
	v_cmp_gt_f32_e64 s[2:3], s23, v2
	v_mul_f32_e32 v10, 0x3f317217, v3
	v_fma_f32 v10, v3, s21, -v10
	v_cndmask_b32_e64 v4, 1.0, v4, s[2:3]
	v_mul_f32_e32 v2, v2, v4
	v_log_f32_e32 v2, v2
	v_fmac_f32_e32 v10, 0x3377d1cf, v3
	v_fmac_f32_e32 v10, 0x3f317217, v3
	v_cndmask_b32_e64 v3, v3, v10, s[4:5]
	v_cndmask_b32_e32 v4, 0, v7, vcc
	v_sub_f32_e32 v3, v3, v4
	v_mul_f32_e32 v4, 0x3f317217, v2
	v_fma_f32 v4, v2, s21, -v4
	v_fmac_f32_e32 v4, 0x3377d1cf, v2
	v_fmac_f32_e32 v4, 0x3f317217, v2
	v_cmp_lt_f32_e64 vcc, |v2|, s22
	s_nop 1
	v_cndmask_b32_e32 v2, v2, v4, vcc
	v_cmp_lt_f32_e32 vcc, s17, v16
	v_cndmask_b32_e64 v4, 0, v7, s[2:3]
	v_sub_f32_e32 v2, v2, v4
	v_cndmask_b32_e32 v3, v3, v16, vcc
	v_mul_f32_e32 v7, 0x4f800000, v3
	v_cmp_gt_f32_e32 vcc, s20, v3
	v_cmp_lt_f32_e64 s[2:3], s17, v17
	s_nop 0
	v_cndmask_b32_e32 v3, v3, v7, vcc
	v_sqrt_f32_e32 v7, v3
	v_cndmask_b32_e64 v2, v2, v17, s[2:3]
	v_add_u32_e32 v4, -1, v7
	v_fma_f32 v10, -v4, v7, v3
	v_cmp_ge_f32_e64 s[2:3], 0, v10
	v_add_u32_e32 v10, 1, v7
	s_nop 0
	v_cndmask_b32_e64 v4, v7, v4, s[2:3]
	v_fma_f32 v7, -v10, v7, v3
	v_cmp_lt_f32_e64 s[2:3], 0, v7
	s_nop 1
	v_cndmask_b32_e64 v4, v4, v10, s[2:3]
	v_mul_f32_e32 v10, 0x4f800000, v2
	v_cmp_gt_f32_e64 s[2:3], s20, v2
	v_mul_f32_e32 v7, 0x37800000, v4
	v_cndmask_b32_e32 v4, v4, v7, vcc
	v_cndmask_b32_e64 v2, v2, v10, s[2:3]
	v_sqrt_f32_e32 v10, v2
	v_cmp_class_f32_e32 vcc, v3, v9
	s_nop 1
	v_cndmask_b32_e32 v17, v4, v3, vcc
	v_add_u32_e32 v3, -1, v10
	v_fma_f32 v4, -v3, v10, v2
	v_cmp_ge_f32_e32 vcc, 0, v4
	v_add_u32_e32 v4, 1, v10
	v_fma_f32 v7, -v4, v10, v2
	v_cndmask_b32_e32 v3, v10, v3, vcc
	v_cmp_lt_f32_e32 vcc, 0, v7
	s_nop 1
	v_cndmask_b32_e32 v3, v3, v4, vcc
	v_mul_f32_e32 v4, 0x37800000, v3
	v_cndmask_b32_e64 v3, v3, v4, s[2:3]
	v_cmp_class_f32_e32 vcc, v2, v9
	s_nop 1
	v_cndmask_b32_e32 v16, v3, v2, vcc
	v_lshl_add_u64 v[2:3], v[0:1], 3, s[10:11]
	s_and_b64 vcc, exec, s[18:19]
	v_mul_lo_u32 v0, v6, s12
	scratch_store_dwordx4 off, v[14:17], off offset:16
	s_cbranch_vccnz .LBB510_28
; %bb.2:
	s_load_dwordx2 s[4:5], s[0:1], 0x20
	s_cmp_lt_u32 s12, 4
	v_and_b32_e32 v4, 15, v8
	s_cbranch_scc1 .LBB510_21
; %bb.3:
	v_lshlrev_b32_e32 v5, 3, v4
	s_mov_b32 s7, 0
	s_and_b32 s16, s12, 0x7ffffffc
	v_ashrrev_i32_e32 v1, 31, v0
	v_sub_u32_e32 v13, 0, v5
	v_mov_b32_e32 v5, 0
	s_mov_b32 s6, s7
	s_branch .LBB510_5
.LBB510_4:                              ;   in Loop: Header=BB510_5 Depth=1
	s_or_b64 exec, exec, s[8:9]
	s_add_i32 s6, s6, 4
	s_cmp_eq_u32 s6, s16
	s_cbranch_scc1 .LBB510_21
.LBB510_5:                              ; =>This Loop Header: Depth=1
                                        ;     Child Loop BB510_7 Depth 2
                                        ;     Child Loop BB510_11 Depth 2
	;; [unrolled: 1-line block ×4, first 2 shown]
	v_lshl_add_u64 v[6:7], s[6:7], 3, v[2:3]
	global_load_dwordx2 v[8:9], v[6:7], off
	v_add_u32_e32 v10, s6, v0
	v_ashrrev_i32_e32 v11, 31, v10
	v_mov_b32_e32 v14, 0
	s_mov_b64 s[8:9], 0
	s_waitcnt lgkmcnt(0)
	v_lshl_add_u64 v[10:11], v[10:11], 3, s[4:5]
	s_mov_b32 s13, 0
	s_waitcnt vmcnt(0)
	v_ashrrev_i32_e32 v9, 31, v8
	v_add_u32_e32 v15, v13, v8
	s_branch .LBB510_7
.LBB510_6:                              ;   in Loop: Header=BB510_7 Depth=2
	s_or_b64 exec, exec, s[10:11]
	s_add_i32 s17, s13, 1
	s_cmp_gt_u32 s13, 6
	s_cselect_b64 s[2:3], -1, 0
	s_xor_b64 s[10:11], vcc, -1
	s_or_b64 s[2:3], s[10:11], s[2:3]
	s_and_b64 s[2:3], exec, s[2:3]
	v_add_u32_e32 v14, 4, v14
	s_or_b64 s[8:9], s[2:3], s[8:9]
	s_mov_b32 s13, s17
	s_andn2_b64 exec, exec, s[8:9]
	s_cbranch_execz .LBB510_9
.LBB510_7:                              ;   Parent Loop BB510_5 Depth=1
                                        ; =>  This Inner Loop Header: Depth=2
	v_cmp_ne_u32_e32 vcc, s13, v15
	v_cmp_eq_u32_e64 s[2:3], s13, v15
	s_and_saveexec_b64 s[10:11], s[2:3]
	s_cbranch_execz .LBB510_6
; %bb.8:                                ;   in Loop: Header=BB510_7 Depth=2
	scratch_load_dword v16, v14, off
	s_waitcnt vmcnt(0)
	v_add_f32_e32 v5, v5, v16
	global_store_dwordx2 v[10:11], v[8:9], off
	s_branch .LBB510_6
.LBB510_9:                              ;   in Loop: Header=BB510_5 Depth=1
	s_or_b64 exec, exec, s[8:9]
	global_load_dwordx2 v[10:11], v[6:7], off offset:8
	s_ashr_i32 s3, s6, 31
	s_mov_b32 s2, s6
	v_lshl_add_u64 v[8:9], s[2:3], 0, v[0:1]
	v_mov_b32_e32 v14, 0
	s_mov_b32 s13, 0
	v_lshl_add_u64 v[8:9], v[8:9], 3, s[4:5]
	s_mov_b64 s[8:9], 0
	s_waitcnt vmcnt(0)
	v_ashrrev_i32_e32 v11, 31, v10
	v_add_u32_e32 v15, v13, v10
	s_branch .LBB510_11
.LBB510_10:                             ;   in Loop: Header=BB510_11 Depth=2
	s_or_b64 exec, exec, s[10:11]
	s_add_i32 s17, s13, 1
	s_cmp_gt_u32 s13, 6
	s_cselect_b64 s[2:3], -1, 0
	s_xor_b64 s[10:11], vcc, -1
	s_or_b64 s[2:3], s[10:11], s[2:3]
	s_and_b64 s[2:3], exec, s[2:3]
	v_add_u32_e32 v14, 4, v14
	s_or_b64 s[8:9], s[2:3], s[8:9]
	s_mov_b32 s13, s17
	s_andn2_b64 exec, exec, s[8:9]
	s_cbranch_execz .LBB510_13
.LBB510_11:                             ;   Parent Loop BB510_5 Depth=1
                                        ; =>  This Inner Loop Header: Depth=2
	v_cmp_ne_u32_e32 vcc, s13, v15
	v_cmp_eq_u32_e64 s[2:3], s13, v15
	s_and_saveexec_b64 s[10:11], s[2:3]
	s_cbranch_execz .LBB510_10
; %bb.12:                               ;   in Loop: Header=BB510_11 Depth=2
	scratch_load_dword v16, v14, off
	s_waitcnt vmcnt(0)
	v_add_f32_e32 v5, v5, v16
	global_store_dwordx2 v[8:9], v[10:11], off offset:8
	s_branch .LBB510_10
.LBB510_13:                             ;   in Loop: Header=BB510_5 Depth=1
	s_or_b64 exec, exec, s[8:9]
	global_load_dwordx2 v[10:11], v[6:7], off offset:16
	v_mov_b32_e32 v14, 0
	s_mov_b32 s13, 0
	s_mov_b64 s[8:9], 0
	s_waitcnt vmcnt(0)
	v_ashrrev_i32_e32 v11, 31, v10
	v_add_u32_e32 v15, v13, v10
	s_branch .LBB510_15
.LBB510_14:                             ;   in Loop: Header=BB510_15 Depth=2
	s_or_b64 exec, exec, s[10:11]
	s_add_i32 s17, s13, 1
	s_cmp_gt_u32 s13, 6
	s_cselect_b64 s[2:3], -1, 0
	s_xor_b64 s[10:11], vcc, -1
	s_or_b64 s[2:3], s[10:11], s[2:3]
	s_and_b64 s[2:3], exec, s[2:3]
	v_add_u32_e32 v14, 4, v14
	s_or_b64 s[8:9], s[2:3], s[8:9]
	s_mov_b32 s13, s17
	s_andn2_b64 exec, exec, s[8:9]
	s_cbranch_execz .LBB510_17
.LBB510_15:                             ;   Parent Loop BB510_5 Depth=1
                                        ; =>  This Inner Loop Header: Depth=2
	v_cmp_ne_u32_e32 vcc, s13, v15
	v_cmp_eq_u32_e64 s[2:3], s13, v15
	s_and_saveexec_b64 s[10:11], s[2:3]
	s_cbranch_execz .LBB510_14
; %bb.16:                               ;   in Loop: Header=BB510_15 Depth=2
	scratch_load_dword v16, v14, off
	s_waitcnt vmcnt(0)
	v_add_f32_e32 v5, v5, v16
	global_store_dwordx2 v[8:9], v[10:11], off offset:16
	s_branch .LBB510_14
.LBB510_17:                             ;   in Loop: Header=BB510_5 Depth=1
	s_or_b64 exec, exec, s[8:9]
	global_load_dwordx2 v[6:7], v[6:7], off offset:24
	v_mov_b32_e32 v10, 0
	s_mov_b32 s13, 0
	s_mov_b64 s[8:9], 0
	s_waitcnt vmcnt(0)
	v_ashrrev_i32_e32 v7, 31, v6
	v_add_u32_e32 v11, v13, v6
	s_branch .LBB510_19
.LBB510_18:                             ;   in Loop: Header=BB510_19 Depth=2
	s_or_b64 exec, exec, s[10:11]
	s_add_i32 s17, s13, 1
	s_cmp_gt_u32 s13, 6
	s_cselect_b64 s[2:3], -1, 0
	s_xor_b64 s[10:11], vcc, -1
	s_or_b64 s[2:3], s[10:11], s[2:3]
	s_and_b64 s[2:3], exec, s[2:3]
	v_add_u32_e32 v10, 4, v10
	s_or_b64 s[8:9], s[2:3], s[8:9]
	s_mov_b32 s13, s17
	s_andn2_b64 exec, exec, s[8:9]
	s_cbranch_execz .LBB510_4
.LBB510_19:                             ;   Parent Loop BB510_5 Depth=1
                                        ; =>  This Inner Loop Header: Depth=2
	v_cmp_ne_u32_e32 vcc, s13, v11
	v_cmp_eq_u32_e64 s[2:3], s13, v11
	s_and_saveexec_b64 s[10:11], s[2:3]
	s_cbranch_execz .LBB510_18
; %bb.20:                               ;   in Loop: Header=BB510_19 Depth=2
	scratch_load_dword v14, v10, off
	s_waitcnt vmcnt(0)
	v_add_f32_e32 v5, v5, v14
	global_store_dwordx2 v[8:9], v[6:7], off offset:24
	s_branch .LBB510_18
.LBB510_21:
	s_and_b32 s10, s12, 3
	s_cmp_eq_u32 s10, 0
	s_mov_b32 s17, 0
	s_cbranch_scc1 .LBB510_28
; %bb.22:
	v_lshlrev_b32_e32 v1, 3, v4
	v_sub_u32_e32 v1, 0, v1
	s_mov_b32 s11, s17
	s_branch .LBB510_24
.LBB510_23:                             ;   in Loop: Header=BB510_24 Depth=1
	s_or_b64 exec, exec, s[6:7]
	s_add_i32 s16, s16, 1
	s_add_i32 s11, s11, 1
	s_cmp_lg_u32 s11, s10
	s_cbranch_scc0 .LBB510_28
.LBB510_24:                             ; =>This Loop Header: Depth=1
                                        ;     Child Loop BB510_26 Depth 2
	v_lshl_add_u64 v[6:7], s[16:17], 3, v[2:3]
	global_load_dwordx2 v[6:7], v[6:7], off
	v_add_u32_e32 v8, s16, v0
	v_ashrrev_i32_e32 v9, 31, v8
	v_mov_b32_e32 v4, 0
	s_mov_b32 s13, 0
	s_waitcnt lgkmcnt(0)
	v_lshl_add_u64 v[8:9], v[8:9], 3, s[4:5]
	s_mov_b64 s[6:7], 0
	s_waitcnt vmcnt(0)
	v_ashrrev_i32_e32 v7, 31, v6
	v_add_u32_e32 v10, v1, v6
	s_branch .LBB510_26
.LBB510_25:                             ;   in Loop: Header=BB510_26 Depth=2
	s_or_b64 exec, exec, s[8:9]
	s_add_i32 s18, s13, 1
	s_cmp_gt_u32 s13, 6
	s_cselect_b64 s[2:3], -1, 0
	s_xor_b64 s[8:9], vcc, -1
	s_or_b64 s[2:3], s[8:9], s[2:3]
	s_and_b64 s[2:3], exec, s[2:3]
	v_add_u32_e32 v4, 4, v4
	s_or_b64 s[6:7], s[2:3], s[6:7]
	s_mov_b32 s13, s18
	s_andn2_b64 exec, exec, s[6:7]
	s_cbranch_execz .LBB510_23
.LBB510_26:                             ;   Parent Loop BB510_24 Depth=1
                                        ; =>  This Inner Loop Header: Depth=2
	v_cmp_ne_u32_e32 vcc, s13, v10
	v_cmp_eq_u32_e64 s[2:3], s13, v10
	s_and_saveexec_b64 s[8:9], s[2:3]
	s_cbranch_execz .LBB510_25
; %bb.27:                               ;   in Loop: Header=BB510_26 Depth=2
	scratch_load_dword v11, v4, off
	s_waitcnt vmcnt(0)
	v_add_f32_e32 v5, v5, v11
	global_store_dwordx2 v[8:9], v[6:7], off
	s_branch .LBB510_25
.LBB510_28:
	s_waitcnt lgkmcnt(0)
	s_load_dword s4, s[0:1], 0x3c
	s_waitcnt lgkmcnt(0)
	s_bitcmp1_b32 s4, 0
	s_cselect_b64 s[2:3], -1, 0
	s_bitcmp0_b32 s4, 0
	s_cbranch_scc0 .LBB510_32
; %bb.29:
	s_load_dwordx2 s[4:5], s[0:1], 0x40
	s_andn2_b64 vcc, exec, s[2:3]
	s_waitcnt lgkmcnt(0)
	v_cvt_f32_f64_e32 v8, s[4:5]
	s_cbranch_vccz .LBB510_33
.LBB510_30:
	s_andn2_b64 vcc, exec, s[14:15]
	s_cbranch_vccz .LBB510_34
.LBB510_31:
	s_endpgm
.LBB510_32:
	v_mbcnt_lo_u32_b32 v1, -1, 0
	v_mbcnt_hi_u32_b32 v1, -1, v1
	v_and_b32_e32 v4, 0x70, v1
	v_add_u32_e32 v4, 16, v4
	v_xor_b32_e32 v6, 8, v1
	v_cmp_lt_i32_e32 vcc, v6, v4
	v_xor_b32_e32 v7, 4, v1
	s_nop 0
	v_cndmask_b32_e32 v6, v1, v6, vcc
	v_lshlrev_b32_e32 v6, 2, v6
	ds_bpermute_b32 v6, v6, v5
	v_cmp_lt_i32_e32 vcc, v7, v4
	s_waitcnt lgkmcnt(0)
	v_add_f32_e32 v5, v5, v6
	v_cndmask_b32_e32 v6, v1, v7, vcc
	v_lshlrev_b32_e32 v6, 2, v6
	ds_bpermute_b32 v6, v6, v5
	v_xor_b32_e32 v7, 2, v1
	v_cmp_lt_i32_e32 vcc, v7, v4
	s_waitcnt lgkmcnt(0)
	v_add_f32_e32 v5, v5, v6
	v_cndmask_b32_e32 v6, v1, v7, vcc
	v_lshlrev_b32_e32 v6, 2, v6
	ds_bpermute_b32 v6, v6, v5
	v_xor_b32_e32 v7, 1, v1
	v_cmp_lt_i32_e32 vcc, v7, v4
	s_waitcnt lgkmcnt(0)
	v_add_f32_e32 v5, v5, v6
	v_cndmask_b32_e32 v1, v1, v7, vcc
	v_lshlrev_b32_e32 v1, 2, v1
	ds_bpermute_b32 v1, v1, v5
	s_waitcnt lgkmcnt(0)
	v_add_f32_e32 v5, v5, v1
	s_load_dwordx2 s[4:5], s[0:1], 0x40
	s_andn2_b64 vcc, exec, s[2:3]
	s_waitcnt lgkmcnt(0)
	v_cvt_f32_f64_e32 v8, s[4:5]
	s_cbranch_vccnz .LBB510_30
.LBB510_33:
	v_cmp_lt_f32_e32 vcc, 0, v5
	s_nop 1
	v_cndmask_b32_e32 v1, 1.0, v5, vcc
	v_div_scale_f32 v4, s[2:3], v1, v1, v8
	v_rcp_f32_e32 v5, v4
	s_nop 0
	v_fma_f32 v6, -v4, v5, 1.0
	v_fmac_f32_e32 v5, v6, v5
	v_div_scale_f32 v6, vcc, v8, v1, v8
	v_mul_f32_e32 v7, v6, v5
	v_fma_f32 v9, -v4, v7, v6
	v_fmac_f32_e32 v7, v9, v5
	v_fma_f32 v4, -v4, v7, v6
	v_div_fmas_f32 v4, v4, v5, v7
	v_div_fixup_f32 v8, v4, v1, v8
	s_andn2_b64 vcc, exec, s[14:15]
	s_cbranch_vccnz .LBB510_31
.LBB510_34:
	s_load_dwordx2 s[14:15], s[0:1], 0x10
	v_mov_b32_e32 v1, 0
	v_or_b32_e32 v20, 4, v1
	v_or_b32_e32 v18, 8, v1
	;; [unrolled: 1-line block ×3, first 2 shown]
	v_add_u32_e32 v14, 16, v1
	v_add_u32_e32 v11, 20, v1
	;; [unrolled: 1-line block ×4, first 2 shown]
	v_or_b32_e32 v23, 1, v12
	v_or_b32_e32 v22, 2, v12
	;; [unrolled: 1-line block ×7, first 2 shown]
	s_cmp_eq_u32 s12, 1
	s_mov_b32 s16, 0
	s_cbranch_scc1 .LBB510_69
; %bb.35:
	v_ashrrev_i32_e32 v1, 31, v0
	s_waitcnt lgkmcnt(0)
	v_lshl_add_u64 v[4:5], v[0:1], 2, s[14:15]
	s_and_b32 s16, s12, 0x7ffffffe
	v_lshl_add_u64 v[4:5], v[4:5], 0, 4
	v_lshl_add_u64 v[6:7], v[2:3], 0, 8
	s_mov_b32 s13, 0
	s_branch .LBB510_37
.LBB510_36:                             ;   in Loop: Header=BB510_37 Depth=1
	s_or_b64 exec, exec, s[0:1]
	s_add_i32 s13, s13, 2
	v_lshl_add_u64 v[4:5], v[4:5], 0, 8
	s_cmp_eq_u32 s16, s13
	v_lshl_add_u64 v[6:7], v[6:7], 0, 16
	s_cbranch_scc1 .LBB510_69
.LBB510_37:                             ; =>This Inner Loop Header: Depth=1
	global_load_dword v24, v[6:7], off offset:-8
	v_mov_b32_e32 v1, 0
	s_waitcnt vmcnt(0)
	v_cmp_eq_u32_e32 vcc, v12, v24
	v_cmp_ne_u32_e64 s[0:1], v12, v24
	s_and_saveexec_b64 s[18:19], s[0:1]
	s_cbranch_execz .LBB510_51
; %bb.38:                               ;   in Loop: Header=BB510_37 Depth=1
	v_cmp_eq_u32_e64 s[0:1], v23, v24
	v_cmp_ne_u32_e64 s[2:3], v23, v24
	v_mov_b32_e32 v1, v20
	s_and_saveexec_b64 s[20:21], s[2:3]
	s_cbranch_execz .LBB510_50
; %bb.39:                               ;   in Loop: Header=BB510_37 Depth=1
	v_cmp_eq_u32_e64 s[2:3], v22, v24
	v_cmp_ne_u32_e64 s[4:5], v22, v24
	v_mov_b32_e32 v1, v18
	;; [unrolled: 6-line block ×6, first 2 shown]
	s_and_saveexec_b64 s[34:35], s[10:11]
	s_xor_b64 s[34:35], exec, s[34:35]
; %bb.44:                               ;   in Loop: Header=BB510_37 Depth=1
	v_cmp_eq_u32_e64 s[10:11], v13, v24
	s_andn2_b64 s[30:31], s[30:31], exec
	s_and_b64 s[10:11], s[10:11], exec
	s_or_b64 s[30:31], s[30:31], s[10:11]
	v_mov_b32_e32 v1, v10
; %bb.45:                               ;   in Loop: Header=BB510_37 Depth=1
	s_or_b64 exec, exec, s[34:35]
	s_andn2_b64 s[8:9], s[8:9], exec
	s_and_b64 s[10:11], s[30:31], exec
	s_or_b64 s[8:9], s[8:9], s[10:11]
.LBB510_46:                             ;   in Loop: Header=BB510_37 Depth=1
	s_or_b64 exec, exec, s[28:29]
	s_andn2_b64 s[6:7], s[6:7], exec
	s_and_b64 s[8:9], s[8:9], exec
	s_or_b64 s[6:7], s[6:7], s[8:9]
.LBB510_47:                             ;   in Loop: Header=BB510_37 Depth=1
	s_or_b64 exec, exec, s[26:27]
	s_andn2_b64 s[4:5], s[4:5], exec
	s_and_b64 s[6:7], s[6:7], exec
	s_or_b64 s[4:5], s[4:5], s[6:7]
.LBB510_48:                             ;   in Loop: Header=BB510_37 Depth=1
	s_or_b64 exec, exec, s[24:25]
	s_andn2_b64 s[2:3], s[2:3], exec
	s_and_b64 s[4:5], s[4:5], exec
	s_or_b64 s[2:3], s[2:3], s[4:5]
.LBB510_49:                             ;   in Loop: Header=BB510_37 Depth=1
	s_or_b64 exec, exec, s[22:23]
	s_andn2_b64 s[0:1], s[0:1], exec
	s_and_b64 s[2:3], s[2:3], exec
	s_or_b64 s[0:1], s[0:1], s[2:3]
.LBB510_50:                             ;   in Loop: Header=BB510_37 Depth=1
	s_or_b64 exec, exec, s[20:21]
	s_andn2_b64 s[2:3], vcc, exec
	s_and_b64 s[0:1], s[0:1], exec
	s_or_b64 vcc, s[2:3], s[0:1]
.LBB510_51:                             ;   in Loop: Header=BB510_37 Depth=1
	s_or_b64 exec, exec, s[18:19]
	s_and_saveexec_b64 s[0:1], vcc
	s_cbranch_execz .LBB510_53
; %bb.52:                               ;   in Loop: Header=BB510_37 Depth=1
	scratch_load_dword v1, v1, off
	v_add_u32_e32 v24, s13, v0
	v_ashrrev_i32_e32 v25, 31, v24
	v_lshl_add_u64 v[24:25], v[24:25], 2, s[14:15]
	s_waitcnt vmcnt(0)
	v_mul_f32_e32 v1, v8, v1
	global_store_dword v[24:25], v1, off
.LBB510_53:                             ;   in Loop: Header=BB510_37 Depth=1
	s_or_b64 exec, exec, s[0:1]
	global_load_dword v24, v[6:7], off
	v_mov_b32_e32 v1, 0
	s_waitcnt vmcnt(0)
	v_cmp_eq_u32_e64 s[8:9], v12, v24
	v_cmp_ne_u32_e32 vcc, v12, v24
	s_and_saveexec_b64 s[10:11], vcc
	s_cbranch_execz .LBB510_67
; %bb.54:                               ;   in Loop: Header=BB510_37 Depth=1
	v_cmp_eq_u32_e32 vcc, v23, v24
	v_cmp_ne_u32_e64 s[0:1], v23, v24
	v_mov_b32_e32 v1, v20
	s_and_saveexec_b64 s[18:19], s[0:1]
	s_cbranch_execz .LBB510_66
; %bb.55:                               ;   in Loop: Header=BB510_37 Depth=1
	v_cmp_eq_u32_e64 s[0:1], v22, v24
	v_cmp_ne_u32_e64 s[2:3], v22, v24
	v_mov_b32_e32 v1, v18
	s_and_saveexec_b64 s[20:21], s[2:3]
	s_cbranch_execz .LBB510_65
; %bb.56:                               ;   in Loop: Header=BB510_37 Depth=1
	v_cmp_eq_u32_e64 s[2:3], v21, v24
	;; [unrolled: 6-line block ×5, first 2 shown]
	v_cmp_ne_u32_e64 s[6:7], v15, v24
	v_mov_b32_e32 v1, v9
	s_and_saveexec_b64 s[34:35], s[6:7]
; %bb.60:                               ;   in Loop: Header=BB510_37 Depth=1
	v_cmp_eq_u32_e64 s[6:7], v13, v24
	s_andn2_b64 s[30:31], s[30:31], exec
	s_and_b64 s[6:7], s[6:7], exec
	s_or_b64 s[30:31], s[30:31], s[6:7]
	v_mov_b32_e32 v1, v10
; %bb.61:                               ;   in Loop: Header=BB510_37 Depth=1
	s_or_b64 exec, exec, s[34:35]
	s_andn2_b64 s[6:7], s[26:27], exec
	s_and_b64 s[26:27], s[30:31], exec
	s_or_b64 s[26:27], s[6:7], s[26:27]
.LBB510_62:                             ;   in Loop: Header=BB510_37 Depth=1
	s_or_b64 exec, exec, s[28:29]
	s_andn2_b64 s[4:5], s[4:5], exec
	s_and_b64 s[6:7], s[26:27], exec
	s_or_b64 s[4:5], s[4:5], s[6:7]
.LBB510_63:                             ;   in Loop: Header=BB510_37 Depth=1
	s_or_b64 exec, exec, s[24:25]
	s_andn2_b64 s[2:3], s[2:3], exec
	s_and_b64 s[4:5], s[4:5], exec
	s_or_b64 s[2:3], s[2:3], s[4:5]
.LBB510_64:                             ;   in Loop: Header=BB510_37 Depth=1
	s_or_b64 exec, exec, s[22:23]
	s_andn2_b64 s[0:1], s[0:1], exec
	s_and_b64 s[2:3], s[2:3], exec
	s_or_b64 s[0:1], s[0:1], s[2:3]
.LBB510_65:                             ;   in Loop: Header=BB510_37 Depth=1
	s_or_b64 exec, exec, s[20:21]
	s_andn2_b64 s[2:3], vcc, exec
	s_and_b64 s[0:1], s[0:1], exec
	s_or_b64 vcc, s[2:3], s[0:1]
.LBB510_66:                             ;   in Loop: Header=BB510_37 Depth=1
	s_or_b64 exec, exec, s[18:19]
	s_andn2_b64 s[0:1], s[8:9], exec
	s_and_b64 s[2:3], vcc, exec
	s_or_b64 s[8:9], s[0:1], s[2:3]
.LBB510_67:                             ;   in Loop: Header=BB510_37 Depth=1
	s_or_b64 exec, exec, s[10:11]
	s_and_saveexec_b64 s[0:1], s[8:9]
	s_cbranch_execz .LBB510_36
; %bb.68:                               ;   in Loop: Header=BB510_37 Depth=1
	scratch_load_dword v1, v1, off
	s_waitcnt vmcnt(0)
	v_mul_f32_e32 v1, v8, v1
	global_store_dword v[4:5], v1, off
	s_branch .LBB510_36
.LBB510_69:
	s_bitcmp0_b32 s12, 0
	s_mov_b32 s17, 0
	s_cbranch_scc1 .LBB510_31
; %bb.70:
	v_lshl_add_u64 v[2:3], s[16:17], 3, v[2:3]
	global_load_dword v1, v[2:3], off
	v_mov_b32_e32 v2, 0
	s_waitcnt vmcnt(0)
	v_cmp_eq_u32_e64 s[8:9], v12, v1
	v_cmp_ne_u32_e32 vcc, v12, v1
	s_and_saveexec_b64 s[10:11], vcc
	s_cbranch_execz .LBB510_84
; %bb.71:
	v_cmp_eq_u32_e32 vcc, v23, v1
	v_cmp_ne_u32_e64 s[0:1], v23, v1
	s_and_saveexec_b64 s[12:13], s[0:1]
	s_cbranch_execz .LBB510_83
; %bb.72:
	v_cmp_eq_u32_e64 s[0:1], v22, v1
	v_cmp_ne_u32_e64 s[2:3], v22, v1
	s_and_saveexec_b64 s[18:19], s[2:3]
	s_cbranch_execz .LBB510_82
; %bb.73:
	v_cmp_eq_u32_e64 s[2:3], v21, v1
	;; [unrolled: 5-line block ×5, first 2 shown]
	v_cmp_ne_u32_e64 s[6:7], v15, v1
	s_and_saveexec_b64 s[30:31], s[6:7]
; %bb.77:
	v_cmp_eq_u32_e64 s[6:7], v13, v1
	s_andn2_b64 s[28:29], s[28:29], exec
	s_and_b64 s[6:7], s[6:7], exec
	s_or_b64 s[28:29], s[28:29], s[6:7]
	v_mov_b32_e32 v9, v10
; %bb.78:
	s_or_b64 exec, exec, s[30:31]
	s_andn2_b64 s[6:7], s[24:25], exec
	s_and_b64 s[24:25], s[28:29], exec
	s_or_b64 s[24:25], s[6:7], s[24:25]
	v_mov_b32_e32 v11, v9
.LBB510_79:
	s_or_b64 exec, exec, s[26:27]
	s_andn2_b64 s[4:5], s[4:5], exec
	s_and_b64 s[6:7], s[24:25], exec
	s_or_b64 s[4:5], s[4:5], s[6:7]
	v_mov_b32_e32 v14, v11
.LBB510_80:
	s_or_b64 exec, exec, s[22:23]
	s_andn2_b64 s[2:3], s[2:3], exec
	s_and_b64 s[4:5], s[4:5], exec
	s_or_b64 s[2:3], s[2:3], s[4:5]
	v_mov_b32_e32 v16, v14
.LBB510_81:
	s_or_b64 exec, exec, s[20:21]
	s_andn2_b64 s[0:1], s[0:1], exec
	s_and_b64 s[2:3], s[2:3], exec
	s_or_b64 s[0:1], s[0:1], s[2:3]
	v_mov_b32_e32 v18, v16
.LBB510_82:
	s_or_b64 exec, exec, s[18:19]
	s_andn2_b64 s[2:3], vcc, exec
	s_and_b64 s[0:1], s[0:1], exec
	s_or_b64 vcc, s[2:3], s[0:1]
	v_mov_b32_e32 v20, v18
.LBB510_83:
	s_or_b64 exec, exec, s[12:13]
	s_andn2_b64 s[0:1], s[8:9], exec
	s_and_b64 s[2:3], vcc, exec
	s_or_b64 s[8:9], s[0:1], s[2:3]
	v_mov_b32_e32 v2, v20
.LBB510_84:
	s_or_b64 exec, exec, s[10:11]
	s_and_b64 exec, exec, s[8:9]
	s_cbranch_execz .LBB510_31
; %bb.85:
	scratch_load_dword v2, v2, off
	v_add_u32_e32 v0, s16, v0
	v_ashrrev_i32_e32 v1, 31, v0
	s_waitcnt lgkmcnt(0)
	v_lshl_add_u64 v[0:1], v[0:1], 2, s[14:15]
	s_waitcnt vmcnt(0)
	v_mul_f32_e32 v2, v8, v2
	global_store_dword v[0:1], v2, off
	s_endpgm
	.section	.rodata,"a",@progbits
	.p2align	6, 0x0
	.amdhsa_kernel _ZN4vllm3moe22topkGatingSoftplusSqrtILi8ELi128ELi4ELi16ELi32ELb1El14__hip_bfloat16EEvPKT6_PKbPfiPT5_PiiiibdPKfPKS9_SF_
		.amdhsa_group_segment_fixed_size 0
		.amdhsa_private_segment_fixed_size 48
		.amdhsa_kernarg_size 96
		.amdhsa_user_sgpr_count 2
		.amdhsa_user_sgpr_dispatch_ptr 0
		.amdhsa_user_sgpr_queue_ptr 0
		.amdhsa_user_sgpr_kernarg_segment_ptr 1
		.amdhsa_user_sgpr_dispatch_id 0
		.amdhsa_user_sgpr_kernarg_preload_length 0
		.amdhsa_user_sgpr_kernarg_preload_offset 0
		.amdhsa_user_sgpr_private_segment_size 0
		.amdhsa_uses_dynamic_stack 0
		.amdhsa_enable_private_segment 1
		.amdhsa_system_sgpr_workgroup_id_x 1
		.amdhsa_system_sgpr_workgroup_id_y 0
		.amdhsa_system_sgpr_workgroup_id_z 0
		.amdhsa_system_sgpr_workgroup_info 0
		.amdhsa_system_vgpr_workitem_id 1
		.amdhsa_next_free_vgpr 28
		.amdhsa_next_free_sgpr 36
		.amdhsa_accum_offset 28
		.amdhsa_reserve_vcc 1
		.amdhsa_float_round_mode_32 0
		.amdhsa_float_round_mode_16_64 0
		.amdhsa_float_denorm_mode_32 3
		.amdhsa_float_denorm_mode_16_64 3
		.amdhsa_dx10_clamp 1
		.amdhsa_ieee_mode 1
		.amdhsa_fp16_overflow 0
		.amdhsa_tg_split 0
		.amdhsa_exception_fp_ieee_invalid_op 0
		.amdhsa_exception_fp_denorm_src 0
		.amdhsa_exception_fp_ieee_div_zero 0
		.amdhsa_exception_fp_ieee_overflow 0
		.amdhsa_exception_fp_ieee_underflow 0
		.amdhsa_exception_fp_ieee_inexact 0
		.amdhsa_exception_int_div_zero 0
	.end_amdhsa_kernel
	.section	.text._ZN4vllm3moe22topkGatingSoftplusSqrtILi8ELi128ELi4ELi16ELi32ELb1El14__hip_bfloat16EEvPKT6_PKbPfiPT5_PiiiibdPKfPKS9_SF_,"axG",@progbits,_ZN4vllm3moe22topkGatingSoftplusSqrtILi8ELi128ELi4ELi16ELi32ELb1El14__hip_bfloat16EEvPKT6_PKbPfiPT5_PiiiibdPKfPKS9_SF_,comdat
.Lfunc_end510:
	.size	_ZN4vllm3moe22topkGatingSoftplusSqrtILi8ELi128ELi4ELi16ELi32ELb1El14__hip_bfloat16EEvPKT6_PKbPfiPT5_PiiiibdPKfPKS9_SF_, .Lfunc_end510-_ZN4vllm3moe22topkGatingSoftplusSqrtILi8ELi128ELi4ELi16ELi32ELb1El14__hip_bfloat16EEvPKT6_PKbPfiPT5_PiiiibdPKfPKS9_SF_
                                        ; -- End function
	.section	.AMDGPU.csdata,"",@progbits
; Kernel info:
; codeLenInByte = 4604
; NumSgprs: 42
; NumVgprs: 28
; NumAgprs: 0
; TotalNumVgprs: 28
; ScratchSize: 48
; MemoryBound: 0
; FloatMode: 240
; IeeeMode: 1
; LDSByteSize: 0 bytes/workgroup (compile time only)
; SGPRBlocks: 5
; VGPRBlocks: 3
; NumSGPRsForWavesPerEU: 42
; NumVGPRsForWavesPerEU: 28
; AccumOffset: 28
; Occupancy: 8
; WaveLimiterHint : 1
; COMPUTE_PGM_RSRC2:SCRATCH_EN: 1
; COMPUTE_PGM_RSRC2:USER_SGPR: 2
; COMPUTE_PGM_RSRC2:TRAP_HANDLER: 0
; COMPUTE_PGM_RSRC2:TGID_X_EN: 1
; COMPUTE_PGM_RSRC2:TGID_Y_EN: 0
; COMPUTE_PGM_RSRC2:TGID_Z_EN: 0
; COMPUTE_PGM_RSRC2:TIDIG_COMP_CNT: 1
; COMPUTE_PGM_RSRC3_GFX90A:ACCUM_OFFSET: 6
; COMPUTE_PGM_RSRC3_GFX90A:TG_SPLIT: 0
	.section	.text._ZN4vllm3moe22topkGatingSoftplusSqrtILi8ELi128ELi4ELi16ELi32ELb0El14__hip_bfloat16EEvPKT6_PKbPfiPT5_PiiiibdPKfPKS9_SF_,"axG",@progbits,_ZN4vllm3moe22topkGatingSoftplusSqrtILi8ELi128ELi4ELi16ELi32ELb0El14__hip_bfloat16EEvPKT6_PKbPfiPT5_PiiiibdPKfPKS9_SF_,comdat
	.protected	_ZN4vllm3moe22topkGatingSoftplusSqrtILi8ELi128ELi4ELi16ELi32ELb0El14__hip_bfloat16EEvPKT6_PKbPfiPT5_PiiiibdPKfPKS9_SF_ ; -- Begin function _ZN4vllm3moe22topkGatingSoftplusSqrtILi8ELi128ELi4ELi16ELi32ELb0El14__hip_bfloat16EEvPKT6_PKbPfiPT5_PiiiibdPKfPKS9_SF_
	.globl	_ZN4vllm3moe22topkGatingSoftplusSqrtILi8ELi128ELi4ELi16ELi32ELb0El14__hip_bfloat16EEvPKT6_PKbPfiPT5_PiiiibdPKfPKS9_SF_
	.p2align	8
	.type	_ZN4vllm3moe22topkGatingSoftplusSqrtILi8ELi128ELi4ELi16ELi32ELb0El14__hip_bfloat16EEvPKT6_PKbPfiPT5_PiiiibdPKfPKS9_SF_,@function
_ZN4vllm3moe22topkGatingSoftplusSqrtILi8ELi128ELi4ELi16ELi32ELb0El14__hip_bfloat16EEvPKT6_PKbPfiPT5_PiiiibdPKfPKS9_SF_: ; @_ZN4vllm3moe22topkGatingSoftplusSqrtILi8ELi128ELi4ELi16ELi32ELb0El14__hip_bfloat16EEvPKT6_PKbPfiPT5_PiiiibdPKfPKS9_SF_
; %bb.0:
	s_load_dword s33, s[0:1], 0x18
	v_bfe_u32 v1, v0, 10, 10
	v_and_b32_e32 v0, 0x3ff, v0
	s_lshl_b32 s2, s2, 3
	v_lshlrev_b32_e32 v1, 1, v1
	v_lshrrev_b32_e32 v2, 4, v0
	v_add3_u32 v8, s2, v1, v2
	s_waitcnt lgkmcnt(0)
	v_cmp_gt_i32_e32 vcc, s33, v8
	s_and_saveexec_b64 s[2:3], vcc
	s_cbranch_execz .LBB511_61
; %bb.1:
	s_load_dwordx4 s[4:7], s[0:1], 0x0
	s_load_dwordx2 s[34:35], s[0:1], 0x10
	s_waitcnt lgkmcnt(0)
	s_cmp_eq_u64 s[6:7], 0
	s_cbranch_scc1 .LBB511_3
; %bb.2:
	v_ashrrev_i32_e32 v9, 31, v8
	v_lshl_add_u64 v[2:3], s[6:7], 0, v[8:9]
	global_load_ubyte v1, v[2:3], off
	s_waitcnt vmcnt(0)
	v_and_b32_e32 v1, 1, v1
	v_cmp_eq_u32_e32 vcc, 1, v1
	s_xor_b64 s[2:3], vcc, -1
	s_orn2_b64 s[36:37], s[2:3], exec
	s_branch .LBB511_4
.LBB511_3:
	s_mov_b64 s[36:37], -1
.LBB511_4:
	v_lshlrev_b32_e32 v4, 7, v8
	v_mov_b32_e32 v2, s4
	v_mov_b32_e32 v3, s5
	v_ashrrev_i32_e32 v5, 31, v4
	v_and_b32_e32 v9, 15, v0
	v_lshl_add_u64 v[2:3], v[4:5], 1, v[2:3]
	v_mov_b32_e32 v1, 0
	v_lshlrev_b32_e32 v0, 4, v9
	v_lshl_add_u64 v[0:1], v[2:3], 0, v[0:1]
	global_load_dwordx4 v[4:7], v[0:1], off
	s_mov_b32 s12, 0x800000
	v_mov_b32_e32 v2, 0x4f800000
	s_mov_b32 s9, 0x3f317217
	s_mov_b32 s10, 0x7f800000
	v_mov_b32_e32 v3, 0x41b17218
	s_mov_b32 s8, 0x41a00000
	s_mov_b32 s11, 0xf800000
	s_load_dwordx4 s[20:23], s[0:1], 0x40
	v_lshlrev_b32_e32 v12, 3, v9
	s_waitcnt lgkmcnt(0)
	s_cmp_lg_u64 s[22:23], 0
	s_cselect_b64 s[6:7], -1, 0
	s_and_b64 s[2:3], exec, s[6:7]
	s_waitcnt vmcnt(0)
	v_lshlrev_b32_e32 v0, 16, v4
	v_mul_f32_e32 v1, 0x3fb8aa3b, v0
	v_exp_f32_e32 v10, v1
	v_mov_b32_e32 v1, 0x260
	v_add_f32_e32 v10, 1.0, v10
	v_cmp_gt_f32_e32 vcc, s12, v10
	s_nop 1
	v_cndmask_b32_e32 v11, 1.0, v2, vcc
	v_mul_f32_e32 v10, v10, v11
	v_log_f32_e32 v11, v10
	v_cndmask_b32_e32 v13, 0, v3, vcc
	v_lshlrev_b32_e32 v10, 2, v12
	v_mul_f32_e32 v14, 0x3f317217, v11
	v_fma_f32 v14, v11, s9, -v14
	v_fmac_f32_e32 v14, 0x3377d1cf, v11
	v_fmac_f32_e32 v14, 0x3f317217, v11
	v_cmp_lt_f32_e64 vcc, |v11|, s10
	s_nop 1
	v_cndmask_b32_e32 v11, v11, v14, vcc
	v_sub_f32_e32 v11, v11, v13
	v_cmp_lt_f32_e32 vcc, s8, v0
	s_nop 1
	v_cndmask_b32_e32 v0, v11, v0, vcc
	v_mul_f32_e32 v11, 0x4f800000, v0
	v_cmp_gt_f32_e32 vcc, s11, v0
	s_nop 1
	v_cndmask_b32_e32 v0, v0, v11, vcc
	v_sqrt_f32_e32 v11, v0
	s_nop 0
	v_add_u32_e32 v13, -1, v11
	v_add_u32_e32 v14, 1, v11
	v_fma_f32 v15, -v13, v11, v0
	v_fma_f32 v16, -v14, v11, v0
	v_cmp_ge_f32_e64 s[4:5], 0, v15
	s_nop 1
	v_cndmask_b32_e64 v11, v11, v13, s[4:5]
	v_cmp_lt_f32_e64 s[4:5], 0, v16
	s_nop 1
	v_cndmask_b32_e64 v11, v11, v14, s[4:5]
	v_mul_f32_e32 v13, 0x37800000, v11
	v_cndmask_b32_e32 v11, v11, v13, vcc
	v_cmp_class_f32_e32 vcc, v0, v1
	s_nop 1
	v_cndmask_b32_e32 v0, v11, v0, vcc
	s_mov_b64 vcc, s[2:3]
	s_cbranch_vccz .LBB511_6
; %bb.5:
	global_load_dword v11, v10, s[22:23]
	s_waitcnt vmcnt(0)
	v_add_f32_e32 v0, v0, v11
.LBB511_6:
	v_and_b32_e32 v4, 0xffff0000, v4
	v_mul_f32_e32 v11, 0x3fb8aa3b, v4
	v_exp_f32_e32 v11, v11
	s_nop 0
	v_add_f32_e32 v11, 1.0, v11
	v_cmp_gt_f32_e32 vcc, s12, v11
	s_nop 1
	v_cndmask_b32_e32 v2, 1.0, v2, vcc
	v_mul_f32_e32 v2, v11, v2
	v_log_f32_e32 v2, v2
	v_cndmask_b32_e32 v3, 0, v3, vcc
	v_mul_f32_e32 v11, 0x3f317217, v2
	v_fma_f32 v11, v2, s9, -v11
	v_fmac_f32_e32 v11, 0x3377d1cf, v2
	v_fmac_f32_e32 v11, 0x3f317217, v2
	v_cmp_lt_f32_e64 vcc, |v2|, s10
	s_nop 1
	v_cndmask_b32_e32 v2, v2, v11, vcc
	v_sub_f32_e32 v2, v2, v3
	v_cmp_lt_f32_e32 vcc, s8, v4
	s_nop 1
	v_cndmask_b32_e32 v2, v2, v4, vcc
	v_mul_f32_e32 v3, 0x4f800000, v2
	v_cmp_gt_f32_e32 vcc, s11, v2
	s_nop 1
	v_cndmask_b32_e32 v2, v2, v3, vcc
	v_sqrt_f32_e32 v3, v2
	v_cmp_class_f32_e64 s[4:5], v2, v1
	v_add_u32_e32 v4, -1, v3
	v_add_u32_e32 v11, 1, v3
	v_fma_f32 v13, -v4, v3, v2
	v_fma_f32 v14, -v11, v3, v2
	v_cmp_ge_f32_e64 s[2:3], 0, v13
	s_nop 1
	v_cndmask_b32_e64 v3, v3, v4, s[2:3]
	v_cmp_lt_f32_e64 s[2:3], 0, v14
	s_nop 1
	v_cndmask_b32_e64 v3, v3, v11, s[2:3]
	v_mul_f32_e32 v4, 0x37800000, v3
	v_cndmask_b32_e32 v3, v3, v4, vcc
	v_cndmask_b32_e64 v4, 0, 1, s[6:7]
	v_cmp_ne_u32_e64 s[2:3], 1, v4
	s_andn2_b64 vcc, exec, s[6:7]
	v_cndmask_b32_e64 v1, v3, v2, s[4:5]
	s_cbranch_vccnz .LBB511_8
; %bb.7:
	global_load_dword v2, v10, s[22:23] offset:4
	s_waitcnt vmcnt(0)
	v_add_f32_e32 v1, v1, v2
.LBB511_8:
	v_lshlrev_b32_e32 v2, 16, v5
	v_mul_f32_e32 v3, 0x3fb8aa3b, v2
	v_exp_f32_e32 v3, v3
	s_mov_b32 s10, 0x800000
	v_mov_b32_e32 v4, 0x4f800000
	s_mov_b32 s7, 0x3f317217
	v_add_f32_e32 v3, 1.0, v3
	v_cmp_gt_f32_e32 vcc, s10, v3
	s_mov_b32 s8, 0x7f800000
	s_mov_b32 s6, 0x41a00000
	v_cndmask_b32_e32 v11, 1.0, v4, vcc
	v_mul_f32_e32 v3, v3, v11
	v_log_f32_e32 v3, v3
	s_mov_b32 s9, 0xf800000
	v_mul_f32_e32 v11, 0x3f317217, v3
	v_fma_f32 v11, v3, s7, -v11
	v_fmac_f32_e32 v11, 0x3377d1cf, v3
	v_fmac_f32_e32 v11, 0x3f317217, v3
	v_cmp_lt_f32_e64 s[4:5], |v3|, s8
	s_nop 1
	v_cndmask_b32_e64 v3, v3, v11, s[4:5]
	v_mov_b32_e32 v11, 0x41b17218
	v_cndmask_b32_e32 v13, 0, v11, vcc
	v_sub_f32_e32 v3, v3, v13
	v_cmp_lt_f32_e32 vcc, s6, v2
	s_nop 1
	v_cndmask_b32_e32 v2, v3, v2, vcc
	v_mul_f32_e32 v3, 0x4f800000, v2
	v_cmp_gt_f32_e32 vcc, s9, v2
	s_nop 1
	v_cndmask_b32_e32 v2, v2, v3, vcc
	v_sqrt_f32_e32 v3, v2
	s_nop 0
	v_add_u32_e32 v13, -1, v3
	v_fma_f32 v14, -v13, v3, v2
	v_cmp_ge_f32_e64 s[4:5], 0, v14
	v_add_u32_e32 v14, 1, v3
	s_nop 0
	v_cndmask_b32_e64 v13, v3, v13, s[4:5]
	v_fma_f32 v3, -v14, v3, v2
	v_cmp_lt_f32_e64 s[4:5], 0, v3
	s_nop 1
	v_cndmask_b32_e64 v3, v13, v14, s[4:5]
	v_mul_f32_e32 v13, 0x37800000, v3
	v_cndmask_b32_e32 v13, v3, v13, vcc
	v_mov_b32_e32 v3, 0x260
	v_cmp_class_f32_e64 s[4:5], v2, v3
	s_and_b64 vcc, exec, s[2:3]
	s_nop 0
	v_cndmask_b32_e64 v2, v13, v2, s[4:5]
	s_cbranch_vccnz .LBB511_10
; %bb.9:
	global_load_dword v13, v10, s[22:23] offset:8
	s_waitcnt vmcnt(0)
	v_add_f32_e32 v2, v2, v13
.LBB511_10:
	v_and_b32_e32 v5, 0xffff0000, v5
	v_mul_f32_e32 v13, 0x3fb8aa3b, v5
	v_exp_f32_e32 v13, v13
	s_nop 0
	v_add_f32_e32 v13, 1.0, v13
	v_cmp_gt_f32_e32 vcc, s10, v13
	s_nop 1
	v_cndmask_b32_e32 v4, 1.0, v4, vcc
	v_mul_f32_e32 v4, v13, v4
	v_log_f32_e32 v4, v4
	v_cndmask_b32_e32 v11, 0, v11, vcc
	v_mul_f32_e32 v13, 0x3f317217, v4
	v_fma_f32 v13, v4, s7, -v13
	v_fmac_f32_e32 v13, 0x3377d1cf, v4
	v_fmac_f32_e32 v13, 0x3f317217, v4
	v_cmp_lt_f32_e64 vcc, |v4|, s8
	s_nop 1
	v_cndmask_b32_e32 v4, v4, v13, vcc
	v_sub_f32_e32 v4, v4, v11
	v_cmp_lt_f32_e32 vcc, s6, v5
	s_nop 1
	v_cndmask_b32_e32 v4, v4, v5, vcc
	v_mul_f32_e32 v5, 0x4f800000, v4
	v_cmp_gt_f32_e32 vcc, s9, v4
	s_nop 1
	v_cndmask_b32_e32 v4, v4, v5, vcc
	v_sqrt_f32_e32 v5, v4
	s_nop 0
	v_add_u32_e32 v11, -1, v5
	v_add_u32_e32 v13, 1, v5
	v_fma_f32 v14, -v11, v5, v4
	v_fma_f32 v15, -v13, v5, v4
	v_cmp_ge_f32_e64 s[4:5], 0, v14
	s_nop 1
	v_cndmask_b32_e64 v5, v5, v11, s[4:5]
	v_cmp_lt_f32_e64 s[4:5], 0, v15
	s_nop 1
	v_cndmask_b32_e64 v5, v5, v13, s[4:5]
	v_mul_f32_e32 v11, 0x37800000, v5
	v_cndmask_b32_e32 v5, v5, v11, vcc
	v_cmp_class_f32_e64 s[4:5], v4, v3
	s_and_b64 vcc, exec, s[2:3]
	s_nop 0
	v_cndmask_b32_e64 v3, v5, v4, s[4:5]
	s_cbranch_vccnz .LBB511_12
; %bb.11:
	global_load_dword v4, v10, s[22:23] offset:12
	s_waitcnt vmcnt(0)
	v_add_f32_e32 v3, v3, v4
.LBB511_12:
	v_lshlrev_b32_e32 v4, 16, v6
	v_mul_f32_e32 v5, 0x3fb8aa3b, v4
	v_exp_f32_e32 v5, v5
	v_mov_b32_e32 v11, 0x4f800000
	v_add_f32_e32 v5, 1.0, v5
	v_cmp_gt_f32_e32 vcc, s10, v5
	s_nop 1
	v_cndmask_b32_e32 v13, 1.0, v11, vcc
	v_mul_f32_e32 v5, v5, v13
	v_log_f32_e32 v5, v5
	s_nop 0
	v_mul_f32_e32 v13, 0x3f317217, v5
	v_fma_f32 v13, v5, s7, -v13
	v_fmac_f32_e32 v13, 0x3377d1cf, v5
	v_fmac_f32_e32 v13, 0x3f317217, v5
	v_cmp_lt_f32_e64 s[4:5], |v5|, s8
	s_nop 1
	v_cndmask_b32_e64 v5, v5, v13, s[4:5]
	v_mov_b32_e32 v13, 0x41b17218
	v_cndmask_b32_e32 v14, 0, v13, vcc
	v_sub_f32_e32 v5, v5, v14
	v_cmp_lt_f32_e32 vcc, s6, v4
	s_nop 1
	v_cndmask_b32_e32 v4, v5, v4, vcc
	v_mul_f32_e32 v5, 0x4f800000, v4
	v_cmp_gt_f32_e32 vcc, s9, v4
	s_nop 1
	v_cndmask_b32_e32 v4, v4, v5, vcc
	v_sqrt_f32_e32 v5, v4
	s_nop 0
	v_add_u32_e32 v14, -1, v5
	v_fma_f32 v15, -v14, v5, v4
	v_cmp_ge_f32_e64 s[4:5], 0, v15
	v_add_u32_e32 v15, 1, v5
	s_nop 0
	v_cndmask_b32_e64 v14, v5, v14, s[4:5]
	v_fma_f32 v5, -v15, v5, v4
	v_cmp_lt_f32_e64 s[4:5], 0, v5
	s_nop 1
	v_cndmask_b32_e64 v5, v14, v15, s[4:5]
	v_mul_f32_e32 v14, 0x37800000, v5
	v_cndmask_b32_e32 v14, v5, v14, vcc
	v_mov_b32_e32 v5, 0x260
	v_cmp_class_f32_e64 s[4:5], v4, v5
	s_and_b64 vcc, exec, s[2:3]
	s_nop 0
	v_cndmask_b32_e64 v4, v14, v4, s[4:5]
	s_cbranch_vccnz .LBB511_14
; %bb.13:
	global_load_dword v14, v10, s[22:23] offset:16
	s_waitcnt vmcnt(0)
	v_add_f32_e32 v4, v4, v14
.LBB511_14:
	v_and_b32_e32 v6, 0xffff0000, v6
	v_mul_f32_e32 v14, 0x3fb8aa3b, v6
	v_exp_f32_e32 v14, v14
	s_nop 0
	v_add_f32_e32 v14, 1.0, v14
	v_cmp_gt_f32_e32 vcc, s10, v14
	s_nop 1
	v_cndmask_b32_e32 v11, 1.0, v11, vcc
	v_mul_f32_e32 v11, v14, v11
	v_log_f32_e32 v11, v11
	v_cndmask_b32_e32 v13, 0, v13, vcc
	v_mul_f32_e32 v14, 0x3f317217, v11
	v_fma_f32 v14, v11, s7, -v14
	v_fmac_f32_e32 v14, 0x3377d1cf, v11
	v_fmac_f32_e32 v14, 0x3f317217, v11
	v_cmp_lt_f32_e64 vcc, |v11|, s8
	s_nop 1
	v_cndmask_b32_e32 v11, v11, v14, vcc
	v_sub_f32_e32 v11, v11, v13
	v_cmp_lt_f32_e32 vcc, s6, v6
	s_nop 1
	v_cndmask_b32_e32 v6, v11, v6, vcc
	v_mul_f32_e32 v11, 0x4f800000, v6
	v_cmp_gt_f32_e32 vcc, s9, v6
	s_nop 1
	v_cndmask_b32_e32 v6, v6, v11, vcc
	v_sqrt_f32_e32 v11, v6
	s_nop 0
	v_add_u32_e32 v13, -1, v11
	v_add_u32_e32 v14, 1, v11
	v_fma_f32 v15, -v13, v11, v6
	v_fma_f32 v16, -v14, v11, v6
	v_cmp_ge_f32_e64 s[4:5], 0, v15
	s_nop 1
	v_cndmask_b32_e64 v11, v11, v13, s[4:5]
	v_cmp_lt_f32_e64 s[4:5], 0, v16
	s_nop 1
	v_cndmask_b32_e64 v11, v11, v14, s[4:5]
	v_mul_f32_e32 v13, 0x37800000, v11
	v_cndmask_b32_e32 v11, v11, v13, vcc
	v_cmp_class_f32_e64 s[4:5], v6, v5
	s_and_b64 vcc, exec, s[2:3]
	s_nop 0
	v_cndmask_b32_e64 v5, v11, v6, s[4:5]
	s_cbranch_vccnz .LBB511_16
; %bb.15:
	global_load_dword v6, v10, s[22:23] offset:20
	s_waitcnt vmcnt(0)
	v_add_f32_e32 v5, v5, v6
.LBB511_16:
	v_lshlrev_b32_e32 v6, 16, v7
	v_mul_f32_e32 v11, 0x3fb8aa3b, v6
	v_exp_f32_e32 v11, v11
	v_mov_b32_e32 v13, 0x4f800000
	v_add_f32_e32 v11, 1.0, v11
	v_cmp_gt_f32_e32 vcc, s10, v11
	s_nop 1
	v_cndmask_b32_e32 v14, 1.0, v13, vcc
	v_mul_f32_e32 v11, v11, v14
	v_log_f32_e32 v11, v11
	s_nop 0
	v_mul_f32_e32 v14, 0x3f317217, v11
	v_fma_f32 v14, v11, s7, -v14
	v_fmac_f32_e32 v14, 0x3377d1cf, v11
	v_fmac_f32_e32 v14, 0x3f317217, v11
	v_cmp_lt_f32_e64 s[4:5], |v11|, s8
	s_nop 1
	v_cndmask_b32_e64 v11, v11, v14, s[4:5]
	v_mov_b32_e32 v14, 0x41b17218
	v_cndmask_b32_e32 v15, 0, v14, vcc
	v_sub_f32_e32 v11, v11, v15
	v_cmp_lt_f32_e32 vcc, s6, v6
	s_nop 1
	v_cndmask_b32_e32 v6, v11, v6, vcc
	v_mul_f32_e32 v11, 0x4f800000, v6
	v_cmp_gt_f32_e32 vcc, s9, v6
	s_nop 1
	v_cndmask_b32_e32 v6, v6, v11, vcc
	v_sqrt_f32_e32 v11, v6
	s_nop 0
	v_add_u32_e32 v15, -1, v11
	v_fma_f32 v16, -v15, v11, v6
	v_cmp_ge_f32_e64 s[4:5], 0, v16
	v_add_u32_e32 v16, 1, v11
	s_nop 0
	v_cndmask_b32_e64 v15, v11, v15, s[4:5]
	v_fma_f32 v11, -v16, v11, v6
	v_cmp_lt_f32_e64 s[4:5], 0, v11
	s_nop 1
	v_cndmask_b32_e64 v11, v15, v16, s[4:5]
	v_mul_f32_e32 v15, 0x37800000, v11
	v_cndmask_b32_e32 v15, v11, v15, vcc
	v_mov_b32_e32 v11, 0x260
	v_cmp_class_f32_e64 s[4:5], v6, v11
	s_and_b64 vcc, exec, s[2:3]
	s_nop 0
	v_cndmask_b32_e64 v6, v15, v6, s[4:5]
	s_cbranch_vccnz .LBB511_18
; %bb.17:
	global_load_dword v15, v10, s[22:23] offset:24
	s_waitcnt vmcnt(0)
	v_add_f32_e32 v6, v6, v15
.LBB511_18:
	v_and_b32_e32 v7, 0xffff0000, v7
	v_mul_f32_e32 v15, 0x3fb8aa3b, v7
	v_exp_f32_e32 v15, v15
	s_nop 0
	v_add_f32_e32 v15, 1.0, v15
	v_cmp_gt_f32_e32 vcc, s10, v15
	s_nop 1
	v_cndmask_b32_e32 v13, 1.0, v13, vcc
	v_mul_f32_e32 v13, v15, v13
	v_log_f32_e32 v13, v13
	v_cndmask_b32_e32 v14, 0, v14, vcc
	v_mul_f32_e32 v15, 0x3f317217, v13
	v_fma_f32 v15, v13, s7, -v15
	v_fmac_f32_e32 v15, 0x3377d1cf, v13
	v_fmac_f32_e32 v15, 0x3f317217, v13
	v_cmp_lt_f32_e64 vcc, |v13|, s8
	s_nop 1
	v_cndmask_b32_e32 v13, v13, v15, vcc
	v_sub_f32_e32 v13, v13, v14
	v_cmp_lt_f32_e32 vcc, s6, v7
	s_nop 1
	v_cndmask_b32_e32 v7, v13, v7, vcc
	v_mul_f32_e32 v13, 0x4f800000, v7
	v_cmp_gt_f32_e32 vcc, s9, v7
	s_nop 1
	v_cndmask_b32_e32 v7, v7, v13, vcc
	v_sqrt_f32_e32 v13, v7
	s_nop 0
	v_add_u32_e32 v14, -1, v13
	v_add_u32_e32 v15, 1, v13
	v_fma_f32 v16, -v14, v13, v7
	v_fma_f32 v17, -v15, v13, v7
	v_cmp_ge_f32_e64 s[4:5], 0, v16
	s_nop 1
	v_cndmask_b32_e64 v13, v13, v14, s[4:5]
	v_cmp_lt_f32_e64 s[4:5], 0, v17
	s_nop 1
	v_cndmask_b32_e64 v13, v13, v15, s[4:5]
	v_mul_f32_e32 v14, 0x37800000, v13
	v_cndmask_b32_e32 v13, v13, v14, vcc
	v_cmp_class_f32_e64 s[4:5], v7, v11
	s_and_b64 vcc, exec, s[2:3]
	s_nop 0
	v_cndmask_b32_e64 v7, v13, v7, s[4:5]
	s_cbranch_vccnz .LBB511_20
; %bb.19:
	global_load_dword v10, v10, s[22:23] offset:28
	s_waitcnt vmcnt(0)
	v_add_f32_e32 v7, v7, v10
.LBB511_20:
	s_load_dwordx4 s[24:27], s[0:1], 0x30
	s_mov_b32 s42, 0
	v_cmp_eq_u32_e64 s[6:7], 0, v9
	s_waitcnt lgkmcnt(0)
	s_bitcmp1_b32 s27, 0
	s_cselect_b64 s[4:5], -1, 0
	s_cmp_gt_i32 s24, 0
	s_cselect_b64 s[38:39], -1, 0
	s_and_b64 vcc, exec, s[38:39]
	s_cbranch_vccz .LBB511_47
; %bb.21:
	v_mbcnt_lo_u32_b32 v10, -1, 0
	v_mbcnt_hi_u32_b32 v10, -1, v10
	v_and_b32_e32 v11, 0x70, v10
	v_add_u32_e32 v11, 16, v11
	v_xor_b32_e32 v13, 8, v10
	v_cmp_lt_i32_e32 vcc, v13, v11
	s_load_dwordx4 s[28:31], s[0:1], 0x20
	v_mul_lo_u32 v14, v8, s24
	v_cndmask_b32_e32 v13, v10, v13, vcc
	v_lshlrev_b32_e32 v15, 2, v13
	v_xor_b32_e32 v13, 4, v10
	v_cmp_lt_i32_e32 vcc, v13, v11
	v_mov_b32_e32 v19, 0x80
	v_mov_b32_e32 v20, 0xc61c4000
	v_cndmask_b32_e32 v13, v10, v13, vcc
	v_lshlrev_b32_e32 v16, 2, v13
	v_xor_b32_e32 v13, 2, v10
	v_cmp_lt_i32_e32 vcc, v13, v11
	v_mov_b32_e32 v21, v8
	s_nop 0
	v_cndmask_b32_e32 v13, v10, v13, vcc
	v_lshlrev_b32_e32 v17, 2, v13
	v_xor_b32_e32 v13, 1, v10
	v_cmp_lt_i32_e32 vcc, v13, v11
	s_nop 1
	v_cndmask_b32_e32 v10, v10, v13, vcc
	v_lshlrev_b32_e32 v18, 2, v10
	v_mov_b32_e32 v13, 0
	s_branch .LBB511_24
.LBB511_22:                             ;   in Loop: Header=BB511_24 Depth=1
	s_or_b64 exec, exec, s[40:41]
.LBB511_23:                             ;   in Loop: Header=BB511_24 Depth=1
	s_cmp_eq_u32 s24, s42
	v_add_u32_e32 v21, s33, v21
	s_cbranch_scc1 .LBB511_48
.LBB511_24:                             ; =>This Inner Loop Header: Depth=1
	v_cmp_gt_f32_e32 vcc, v1, v0
	s_nop 1
	v_cndmask_b32_e32 v11, v0, v1, vcc
	v_cndmask_b32_e64 v10, 0, 1, vcc
	v_cmp_gt_f32_e32 vcc, v2, v11
	s_nop 1
	v_cndmask_b32_e32 v11, v11, v2, vcc
	v_cndmask_b32_e64 v10, v10, 2, vcc
	;; [unrolled: 4-line block ×6, first 2 shown]
	v_cmp_gt_f32_e32 vcc, v7, v11
	s_nop 1
	v_cndmask_b32_e64 v10, v10, 7, vcc
	v_cndmask_b32_e32 v22, v11, v7, vcc
	ds_bpermute_b32 v11, v15, v22
	v_or_b32_e32 v10, v12, v10
	s_waitcnt lgkmcnt(0)
	ds_bpermute_b32 v23, v15, v10
	s_waitcnt lgkmcnt(0)
	v_cmp_lt_f32_e64 s[8:9], v22, v11
	v_cmp_nlt_f32_e32 vcc, v22, v11
	s_and_saveexec_b64 s[10:11], vcc
; %bb.25:                               ;   in Loop: Header=BB511_24 Depth=1
	v_cmp_eq_f32_e32 vcc, v22, v11
	v_cmp_lt_i32_e64 s[0:1], v23, v10
	s_and_b64 s[0:1], vcc, s[0:1]
	s_andn2_b64 s[8:9], s[8:9], exec
	s_and_b64 s[0:1], s[0:1], exec
	s_or_b64 s[8:9], s[8:9], s[0:1]
; %bb.26:                               ;   in Loop: Header=BB511_24 Depth=1
	s_or_b64 exec, exec, s[10:11]
	s_and_saveexec_b64 s[0:1], s[8:9]
; %bb.27:                               ;   in Loop: Header=BB511_24 Depth=1
	v_mov_b32_e32 v22, v11
	v_mov_b32_e32 v10, v23
; %bb.28:                               ;   in Loop: Header=BB511_24 Depth=1
	s_or_b64 exec, exec, s[0:1]
	ds_bpermute_b32 v11, v16, v22
	ds_bpermute_b32 v23, v16, v10
	s_waitcnt lgkmcnt(1)
	v_cmp_lt_f32_e64 s[8:9], v22, v11
	v_cmp_nlt_f32_e32 vcc, v22, v11
	s_and_saveexec_b64 s[10:11], vcc
	s_cbranch_execz .LBB511_30
; %bb.29:                               ;   in Loop: Header=BB511_24 Depth=1
	v_cmp_eq_f32_e32 vcc, v22, v11
	s_waitcnt lgkmcnt(0)
	v_cmp_lt_i32_e64 s[0:1], v23, v10
	s_and_b64 s[0:1], vcc, s[0:1]
	s_andn2_b64 s[8:9], s[8:9], exec
	s_and_b64 s[0:1], s[0:1], exec
	s_or_b64 s[8:9], s[8:9], s[0:1]
.LBB511_30:                             ;   in Loop: Header=BB511_24 Depth=1
	s_or_b64 exec, exec, s[10:11]
	s_and_saveexec_b64 s[0:1], s[8:9]
	s_cbranch_execz .LBB511_32
; %bb.31:                               ;   in Loop: Header=BB511_24 Depth=1
	v_mov_b32_e32 v22, v11
	s_waitcnt lgkmcnt(0)
	v_mov_b32_e32 v10, v23
.LBB511_32:                             ;   in Loop: Header=BB511_24 Depth=1
	s_or_b64 exec, exec, s[0:1]
	ds_bpermute_b32 v11, v17, v22
	s_waitcnt lgkmcnt(1)
	ds_bpermute_b32 v23, v17, v10
	s_waitcnt lgkmcnt(1)
	v_cmp_lt_f32_e64 s[8:9], v22, v11
	v_cmp_nlt_f32_e32 vcc, v22, v11
	s_and_saveexec_b64 s[10:11], vcc
	s_cbranch_execz .LBB511_34
; %bb.33:                               ;   in Loop: Header=BB511_24 Depth=1
	v_cmp_eq_f32_e32 vcc, v22, v11
	s_waitcnt lgkmcnt(0)
	v_cmp_lt_i32_e64 s[0:1], v23, v10
	s_and_b64 s[0:1], vcc, s[0:1]
	s_andn2_b64 s[8:9], s[8:9], exec
	s_and_b64 s[0:1], s[0:1], exec
	s_or_b64 s[8:9], s[8:9], s[0:1]
.LBB511_34:                             ;   in Loop: Header=BB511_24 Depth=1
	s_or_b64 exec, exec, s[10:11]
	s_and_saveexec_b64 s[0:1], s[8:9]
	s_cbranch_execz .LBB511_36
; %bb.35:                               ;   in Loop: Header=BB511_24 Depth=1
	v_mov_b32_e32 v22, v11
	s_waitcnt lgkmcnt(0)
	v_mov_b32_e32 v10, v23
.LBB511_36:                             ;   in Loop: Header=BB511_24 Depth=1
	s_or_b64 exec, exec, s[0:1]
	ds_bpermute_b32 v11, v18, v22
	s_waitcnt lgkmcnt(1)
	ds_bpermute_b32 v23, v18, v10
	s_waitcnt lgkmcnt(1)
	v_cmp_lt_f32_e64 s[8:9], v22, v11
	v_cmp_nlt_f32_e32 vcc, v22, v11
	s_and_saveexec_b64 s[10:11], vcc
	s_cbranch_execnz .LBB511_40
; %bb.37:                               ;   in Loop: Header=BB511_24 Depth=1
	s_or_b64 exec, exec, s[10:11]
	s_and_saveexec_b64 s[0:1], s[8:9]
	s_cbranch_execnz .LBB511_41
.LBB511_38:                             ;   in Loop: Header=BB511_24 Depth=1
	s_or_b64 exec, exec, s[0:1]
	s_and_saveexec_b64 s[8:9], s[6:7]
	s_cbranch_execnz .LBB511_42
.LBB511_39:                             ;   in Loop: Header=BB511_24 Depth=1
	s_or_b64 exec, exec, s[8:9]
	s_add_i32 s42, s42, 1
	s_cmp_ge_i32 s42, s24
	s_cbranch_scc1 .LBB511_23
	s_branch .LBB511_45
.LBB511_40:                             ;   in Loop: Header=BB511_24 Depth=1
	v_cmp_eq_f32_e32 vcc, v22, v11
	s_waitcnt lgkmcnt(0)
	v_cmp_lt_i32_e64 s[0:1], v23, v10
	s_and_b64 s[0:1], vcc, s[0:1]
	s_andn2_b64 s[8:9], s[8:9], exec
	s_and_b64 s[0:1], s[0:1], exec
	s_or_b64 s[8:9], s[8:9], s[0:1]
	s_or_b64 exec, exec, s[10:11]
	s_and_saveexec_b64 s[0:1], s[8:9]
	s_cbranch_execz .LBB511_38
.LBB511_41:                             ;   in Loop: Header=BB511_24 Depth=1
	s_waitcnt lgkmcnt(0)
	v_mov_b32_e32 v10, v23
	v_mov_b32_e32 v22, v11
	s_or_b64 exec, exec, s[0:1]
	s_and_saveexec_b64 s[8:9], s[6:7]
	s_cbranch_execz .LBB511_39
.LBB511_42:                             ;   in Loop: Header=BB511_24 Depth=1
	s_and_b64 vcc, exec, s[2:3]
	s_cbranch_vccnz .LBB511_44
; %bb.43:                               ;   in Loop: Header=BB511_24 Depth=1
	v_ashrrev_i32_e32 v11, 31, v10
	v_lshl_add_u64 v[24:25], v[10:11], 2, s[22:23]
	global_load_dword v11, v[24:25], off
	s_waitcnt vmcnt(0)
	v_sub_f32_e32 v22, v22, v11
.LBB511_44:                             ;   in Loop: Header=BB511_24 Depth=1
	v_add_u32_e32 v24, s42, v14
	v_cmp_le_i32_e32 vcc, s25, v10
	v_cmp_gt_i32_e64 s[0:1], s26, v10
	v_ashrrev_i32_e32 v25, 31, v24
	s_and_b64 s[0:1], vcc, s[0:1]
	v_lshlrev_b64 v[26:27], 2, v[24:25]
	v_subrev_u32_e32 v11, s25, v10
	v_lshl_add_u64 v[28:29], s[34:35], 0, v[26:27]
	s_waitcnt lgkmcnt(0)
	v_ashrrev_i32_e32 v23, 31, v11
	s_and_b64 vcc, s[36:37], s[0:1]
	global_store_dword v[28:29], v22, off
	v_cndmask_b32_e32 v29, 0, v23, vcc
	v_cndmask_b32_e32 v28, v19, v11, vcc
	v_lshl_add_u64 v[24:25], v[24:25], 3, s[28:29]
	v_add_f32_e32 v11, v13, v22
	global_store_dwordx2 v[24:25], v[28:29], off
	v_lshl_add_u64 v[24:25], s[30:31], 0, v[26:27]
	v_cndmask_b32_e64 v13, v13, v11, s[4:5]
	global_store_dword v[24:25], v21, off
	s_or_b64 exec, exec, s[8:9]
	s_add_i32 s42, s42, 1
	s_cmp_ge_i32 s42, s24
	s_cbranch_scc1 .LBB511_23
.LBB511_45:                             ;   in Loop: Header=BB511_24 Depth=1
	v_ashrrev_i32_e32 v22, 31, v10
	v_lshrrev_b32_e32 v11, 29, v22
	v_add_u32_e32 v11, v10, v11
	v_ashrrev_i32_e32 v11, 3, v11
	s_waitcnt lgkmcnt(0)
	v_lshrrev_b32_e32 v23, 28, v11
	v_add_u32_e32 v23, v11, v23
	v_and_b32_e32 v23, -16, v23
	v_sub_u32_e32 v23, v11, v23
	v_cmp_eq_u32_e32 vcc, v9, v23
	s_and_saveexec_b64 s[40:41], vcc
	s_cbranch_execz .LBB511_22
; %bb.46:                               ;   in Loop: Header=BB511_24 Depth=1
	v_lshrrev_b32_e32 v22, 25, v22
	v_add_u32_e32 v22, v10, v22
	v_lshlrev_b32_e32 v11, 3, v11
	v_sub_u32_e32 v10, v10, v11
	v_ashrrev_i32_e32 v11, 7, v22
	v_lshl_add_u32 v10, v11, 3, v10
	v_cmp_ne_u32_e32 vcc, 6, v10
	v_cmp_ne_u32_e64 s[0:1], 5, v10
	v_cmp_ne_u32_e64 s[8:9], 4, v10
	;; [unrolled: 1-line block ×7, first 2 shown]
	v_cndmask_b32_e32 v6, v20, v6, vcc
	v_cndmask_b32_e64 v5, v20, v5, s[0:1]
	v_cndmask_b32_e64 v7, v20, v7, s[18:19]
	;; [unrolled: 1-line block ×7, first 2 shown]
	s_branch .LBB511_22
.LBB511_47:
	v_mov_b32_e32 v13, 0
.LBB511_48:
	v_cmp_eq_u32_e32 vcc, 0, v9
	s_and_b64 exec, exec, vcc
	s_cbranch_execz .LBB511_61
; %bb.49:
	s_andn2_b64 vcc, exec, s[4:5]
	v_cvt_f32_f64_e32 v0, s[20:21]
	s_cbranch_vccnz .LBB511_51
; %bb.50:
	v_cmp_lt_f32_e32 vcc, 0, v13
	s_nop 1
	v_cndmask_b32_e32 v1, 1.0, v13, vcc
	v_div_scale_f32 v2, s[0:1], v1, v1, v0
	v_rcp_f32_e32 v3, v2
	s_nop 0
	v_fma_f32 v4, -v2, v3, 1.0
	v_fmac_f32_e32 v3, v4, v3
	v_div_scale_f32 v4, vcc, v0, v1, v0
	v_mul_f32_e32 v5, v4, v3
	v_fma_f32 v6, -v2, v5, v4
	v_fmac_f32_e32 v5, v6, v3
	v_fma_f32 v2, -v2, v5, v4
	v_div_fmas_f32 v2, v2, v3, v5
	v_div_fixup_f32 v0, v2, v1, v0
.LBB511_51:
	s_andn2_b64 vcc, exec, s[38:39]
	s_cbranch_vccnz .LBB511_61
; %bb.52:
	v_mul_lo_u32 v2, v8, s24
	s_cmp_gt_u32 s24, 3
	v_ashrrev_i32_e32 v3, 31, v2
	s_cbranch_scc0 .LBB511_56
; %bb.53:
	s_and_b32 s0, s24, 0x7ffffffc
	v_lshl_add_u64 v[4:5], v[2:3], 2, s[34:35]
	v_mov_b32_e32 v1, v0
	v_lshl_add_u64 v[4:5], v[4:5], 0, 8
	s_mov_b32 s1, s0
.LBB511_54:                             ; =>This Inner Loop Header: Depth=1
	global_load_dwordx4 v[6:9], v[4:5], off offset:-8
	s_add_i32 s1, s1, -4
	s_cmp_lg_u32 s1, 0
	s_waitcnt vmcnt(0)
	v_pk_mul_f32 v[6:7], v[0:1], v[6:7]
	v_pk_mul_f32 v[8:9], v[0:1], v[8:9]
	global_store_dwordx4 v[4:5], v[6:9], off offset:-8
	v_lshl_add_u64 v[4:5], v[4:5], 0, 16
	s_cbranch_scc1 .LBB511_54
; %bb.55:
	s_cmp_lg_u32 s0, s24
	s_cselect_b64 s[2:3], -1, 0
	s_branch .LBB511_58
.LBB511_56:
	s_mov_b64 s[2:3], 0
                                        ; implicit-def: $sgpr0
	s_cbranch_execz .LBB511_58
; %bb.57:
	s_mov_b64 s[2:3], -1
	s_mov_b32 s0, 0
.LBB511_58:
	s_andn2_b64 vcc, exec, s[2:3]
	s_cbranch_vccnz .LBB511_61
; %bb.59:
	s_mov_b32 s1, 0
	v_lshl_add_u64 v[2:3], v[2:3], 0, s[0:1]
	s_sub_i32 s2, s24, s0
	v_lshl_add_u64 v[2:3], v[2:3], 2, s[34:35]
.LBB511_60:                             ; =>This Inner Loop Header: Depth=1
	global_load_dword v1, v[2:3], off
	s_add_i32 s2, s2, -1
	s_cmp_lg_u32 s2, 0
	s_waitcnt vmcnt(0)
	v_mul_f32_e32 v1, v0, v1
	global_store_dword v[2:3], v1, off
	v_lshl_add_u64 v[2:3], v[2:3], 0, 4
	s_cbranch_scc1 .LBB511_60
.LBB511_61:
	s_endpgm
	.section	.rodata,"a",@progbits
	.p2align	6, 0x0
	.amdhsa_kernel _ZN4vllm3moe22topkGatingSoftplusSqrtILi8ELi128ELi4ELi16ELi32ELb0El14__hip_bfloat16EEvPKT6_PKbPfiPT5_PiiiibdPKfPKS9_SF_
		.amdhsa_group_segment_fixed_size 0
		.amdhsa_private_segment_fixed_size 0
		.amdhsa_kernarg_size 96
		.amdhsa_user_sgpr_count 2
		.amdhsa_user_sgpr_dispatch_ptr 0
		.amdhsa_user_sgpr_queue_ptr 0
		.amdhsa_user_sgpr_kernarg_segment_ptr 1
		.amdhsa_user_sgpr_dispatch_id 0
		.amdhsa_user_sgpr_kernarg_preload_length 0
		.amdhsa_user_sgpr_kernarg_preload_offset 0
		.amdhsa_user_sgpr_private_segment_size 0
		.amdhsa_uses_dynamic_stack 0
		.amdhsa_enable_private_segment 0
		.amdhsa_system_sgpr_workgroup_id_x 1
		.amdhsa_system_sgpr_workgroup_id_y 0
		.amdhsa_system_sgpr_workgroup_id_z 0
		.amdhsa_system_sgpr_workgroup_info 0
		.amdhsa_system_vgpr_workitem_id 1
		.amdhsa_next_free_vgpr 30
		.amdhsa_next_free_sgpr 43
		.amdhsa_accum_offset 32
		.amdhsa_reserve_vcc 1
		.amdhsa_float_round_mode_32 0
		.amdhsa_float_round_mode_16_64 0
		.amdhsa_float_denorm_mode_32 3
		.amdhsa_float_denorm_mode_16_64 3
		.amdhsa_dx10_clamp 1
		.amdhsa_ieee_mode 1
		.amdhsa_fp16_overflow 0
		.amdhsa_tg_split 0
		.amdhsa_exception_fp_ieee_invalid_op 0
		.amdhsa_exception_fp_denorm_src 0
		.amdhsa_exception_fp_ieee_div_zero 0
		.amdhsa_exception_fp_ieee_overflow 0
		.amdhsa_exception_fp_ieee_underflow 0
		.amdhsa_exception_fp_ieee_inexact 0
		.amdhsa_exception_int_div_zero 0
	.end_amdhsa_kernel
	.section	.text._ZN4vllm3moe22topkGatingSoftplusSqrtILi8ELi128ELi4ELi16ELi32ELb0El14__hip_bfloat16EEvPKT6_PKbPfiPT5_PiiiibdPKfPKS9_SF_,"axG",@progbits,_ZN4vllm3moe22topkGatingSoftplusSqrtILi8ELi128ELi4ELi16ELi32ELb0El14__hip_bfloat16EEvPKT6_PKbPfiPT5_PiiiibdPKfPKS9_SF_,comdat
.Lfunc_end511:
	.size	_ZN4vllm3moe22topkGatingSoftplusSqrtILi8ELi128ELi4ELi16ELi32ELb0El14__hip_bfloat16EEvPKT6_PKbPfiPT5_PiiiibdPKfPKS9_SF_, .Lfunc_end511-_ZN4vllm3moe22topkGatingSoftplusSqrtILi8ELi128ELi4ELi16ELi32ELb0El14__hip_bfloat16EEvPKT6_PKbPfiPT5_PiiiibdPKfPKS9_SF_
                                        ; -- End function
	.section	.AMDGPU.csdata,"",@progbits
; Kernel info:
; codeLenInByte = 4004
; NumSgprs: 49
; NumVgprs: 30
; NumAgprs: 0
; TotalNumVgprs: 30
; ScratchSize: 0
; MemoryBound: 0
; FloatMode: 240
; IeeeMode: 1
; LDSByteSize: 0 bytes/workgroup (compile time only)
; SGPRBlocks: 6
; VGPRBlocks: 3
; NumSGPRsForWavesPerEU: 49
; NumVGPRsForWavesPerEU: 30
; AccumOffset: 32
; Occupancy: 8
; WaveLimiterHint : 0
; COMPUTE_PGM_RSRC2:SCRATCH_EN: 0
; COMPUTE_PGM_RSRC2:USER_SGPR: 2
; COMPUTE_PGM_RSRC2:TRAP_HANDLER: 0
; COMPUTE_PGM_RSRC2:TGID_X_EN: 1
; COMPUTE_PGM_RSRC2:TGID_Y_EN: 0
; COMPUTE_PGM_RSRC2:TGID_Z_EN: 0
; COMPUTE_PGM_RSRC2:TIDIG_COMP_CNT: 1
; COMPUTE_PGM_RSRC3_GFX90A:ACCUM_OFFSET: 7
; COMPUTE_PGM_RSRC3_GFX90A:TG_SPLIT: 0
	.section	.text._ZN4vllm3moe22topkGatingSoftplusSqrtILi8ELi256ELi4ELi16ELi64ELb1El14__hip_bfloat16EEvPKT6_PKbPfiPT5_PiiiibdPKfPKS9_SF_,"axG",@progbits,_ZN4vllm3moe22topkGatingSoftplusSqrtILi8ELi256ELi4ELi16ELi64ELb1El14__hip_bfloat16EEvPKT6_PKbPfiPT5_PiiiibdPKfPKS9_SF_,comdat
	.protected	_ZN4vllm3moe22topkGatingSoftplusSqrtILi8ELi256ELi4ELi16ELi64ELb1El14__hip_bfloat16EEvPKT6_PKbPfiPT5_PiiiibdPKfPKS9_SF_ ; -- Begin function _ZN4vllm3moe22topkGatingSoftplusSqrtILi8ELi256ELi4ELi16ELi64ELb1El14__hip_bfloat16EEvPKT6_PKbPfiPT5_PiiiibdPKfPKS9_SF_
	.globl	_ZN4vllm3moe22topkGatingSoftplusSqrtILi8ELi256ELi4ELi16ELi64ELb1El14__hip_bfloat16EEvPKT6_PKbPfiPT5_PiiiibdPKfPKS9_SF_
	.p2align	8
	.type	_ZN4vllm3moe22topkGatingSoftplusSqrtILi8ELi256ELi4ELi16ELi64ELb1El14__hip_bfloat16EEvPKT6_PKbPfiPT5_PiiiibdPKfPKS9_SF_,@function
_ZN4vllm3moe22topkGatingSoftplusSqrtILi8ELi256ELi4ELi16ELi64ELb1El14__hip_bfloat16EEvPKT6_PKbPfiPT5_PiiiibdPKfPKS9_SF_: ; @_ZN4vllm3moe22topkGatingSoftplusSqrtILi8ELi256ELi4ELi16ELi64ELb1El14__hip_bfloat16EEvPKT6_PKbPfiPT5_PiiiibdPKfPKS9_SF_
; %bb.0:
	s_load_dword s3, s[0:1], 0x18
	v_bfe_u32 v1, v0, 10, 10
	v_and_b32_e32 v8, 0x3ff, v0
	s_lshl_b32 s2, s2, 3
	v_lshlrev_b32_e32 v1, 1, v1
	v_lshrrev_b32_e32 v0, 5, v8
	v_add3_u32 v6, s2, v1, v0
	s_waitcnt lgkmcnt(0)
	v_cmp_gt_i32_e32 vcc, s3, v6
	s_and_saveexec_b64 s[2:3], vcc
	s_cbranch_execz .LBB512_31
; %bb.1:
	s_load_dwordx4 s[8:11], s[0:1], 0x50
	s_load_dwordx2 s[2:3], s[0:1], 0x0
	s_load_dword s12, s[0:1], 0x30
	v_lshlrev_b32_e32 v0, 8, v6
	v_lshlrev_b32_e32 v4, 3, v8
	v_ashrrev_i32_e32 v1, 31, v0
	v_and_b32_e32 v12, 0xf8, v4
	s_waitcnt lgkmcnt(0)
	v_mov_b32_e32 v2, s8
	v_mov_b32_e32 v3, s9
	v_lshl_add_u64 v[0:1], v[0:1], 1, s[2:3]
	v_lshlrev_b32_e32 v4, 1, v12
	v_mov_b32_e32 v5, 0
	v_ashrrev_i32_e32 v7, 31, v6
	v_lshl_add_u64 v[2:3], v[6:7], 3, v[2:3]
	v_lshl_add_u64 v[0:1], v[0:1], 0, v[4:5]
	global_load_dwordx2 v[10:11], v[2:3], off
	s_ashr_i32 s13, s12, 31
	global_load_dwordx4 v[0:3], v[0:1], off
	s_mov_b32 s23, 0x800000
	v_mov_b32_e32 v4, 0x4f800000
	s_mov_b32 s21, 0x3f317217
	s_mov_b32 s22, 0x7f800000
	v_mov_b32_e32 v7, 0x41b17218
	s_mov_b32 s17, 0x41a00000
	s_mov_b32 s20, 0xf800000
	v_mov_b32_e32 v9, 0x260
	v_cmp_lt_i64_e64 s[18:19], s[12:13], 1
	s_mov_b32 s16, 0
	v_cmp_gt_i64_e64 s[14:15], s[12:13], 0
	s_waitcnt vmcnt(1)
	v_mul_lo_u32 v11, v11, s12
	v_mul_lo_u32 v13, v10, s13
	s_waitcnt vmcnt(0)
	v_and_b32_e32 v18, 0xffff0000, v0
	v_lshlrev_b32_e32 v19, 16, v0
	v_and_b32_e32 v20, 0xffff0000, v1
	v_lshlrev_b32_e32 v21, 16, v1
	v_mul_f32_e32 v0, 0x3fb8aa3b, v19
	v_mul_f32_e32 v1, 0x3fb8aa3b, v18
	v_exp_f32_e32 v14, v0
	v_exp_f32_e32 v15, v1
	v_mul_f32_e32 v16, 0x3fb8aa3b, v21
	v_mul_f32_e32 v17, 0x3fb8aa3b, v20
	v_exp_f32_e32 v16, v16
	v_exp_f32_e32 v17, v17
	v_mad_u64_u32 v[0:1], s[2:3], v10, s12, 0
	v_add3_u32 v1, v1, v13, v11
	v_pk_add_f32 v[10:11], v[14:15], 1.0 op_sel_hi:[1,0]
	v_pk_add_f32 v[14:15], v[16:17], 1.0 op_sel_hi:[1,0]
	v_cmp_gt_f32_e32 vcc, s23, v11
	v_cmp_gt_f32_e64 s[2:3], s23, v10
	v_cmp_gt_f32_e64 s[6:7], s23, v14
	v_cndmask_b32_e32 v13, 1.0, v4, vcc
	v_cndmask_b32_e64 v16, 1.0, v4, s[2:3]
	v_mul_f32_e32 v11, v11, v13
	v_mul_f32_e32 v10, v10, v16
	v_log_f32_e32 v11, v11
	v_log_f32_e32 v10, v10
	v_cmp_gt_f32_e64 s[4:5], s23, v15
	v_cndmask_b32_e64 v22, 1.0, v4, s[6:7]
	v_mul_f32_e32 v14, v14, v22
	v_cndmask_b32_e64 v17, 1.0, v4, s[4:5]
	v_mul_f32_e32 v15, v15, v17
	v_log_f32_e32 v22, v14
	v_mul_f32_e32 v14, 0x3f317217, v11
	v_log_f32_e32 v17, v15
	v_mul_f32_e32 v15, 0x3f317217, v10
	v_fma_f32 v14, v11, s21, -v14
	v_fma_f32 v15, v10, s21, -v15
	v_fmac_f32_e32 v14, 0x3377d1cf, v11
	v_cndmask_b32_e32 v13, 0, v7, vcc
	v_fmac_f32_e32 v15, 0x3377d1cf, v10
	v_fmac_f32_e32 v14, 0x3f317217, v11
	v_cmp_lt_f32_e64 vcc, |v11|, s22
	v_fmac_f32_e32 v15, 0x3f317217, v10
	v_cndmask_b32_e64 v16, 0, v7, s[2:3]
	v_cndmask_b32_e32 v11, v11, v14, vcc
	v_cmp_lt_f32_e64 vcc, |v10|, s22
	v_sub_f32_e32 v11, v11, v13
	v_mul_f32_e32 v23, 0x3f317217, v17
	v_cndmask_b32_e32 v10, v10, v15, vcc
	v_sub_f32_e32 v10, v10, v16
	v_cmp_lt_f32_e32 vcc, s17, v19
	v_fma_f32 v23, v17, s21, -v23
	v_fmac_f32_e32 v23, 0x3377d1cf, v17
	v_cndmask_b32_e32 v10, v10, v19, vcc
	v_cmp_lt_f32_e32 vcc, s17, v18
	v_mul_f32_e32 v14, 0x4f800000, v10
	v_cmp_gt_f32_e64 s[2:3], s20, v10
	v_cndmask_b32_e32 v11, v11, v18, vcc
	v_mul_f32_e32 v13, 0x4f800000, v11
	v_cmp_gt_f32_e32 vcc, s20, v11
	v_cndmask_b32_e64 v10, v10, v14, s[2:3]
	v_sqrt_f32_e32 v14, v10
	v_cndmask_b32_e32 v11, v11, v13, vcc
	v_sqrt_f32_e32 v13, v11
	v_fmac_f32_e32 v23, 0x3f317217, v17
	v_add_u32_e32 v18, -1, v14
	v_fma_f32 v26, -v18, v14, v10
	v_add_u32_e32 v15, -1, v13
	v_fma_f32 v24, -v15, v13, v11
	v_add_u32_e32 v16, 1, v13
	v_cmp_ge_f32_e64 s[8:9], 0, v24
	v_add_u32_e32 v19, 1, v14
	v_fma_f32 v25, -v16, v13, v11
	v_cndmask_b32_e64 v13, v13, v15, s[8:9]
	v_cmp_ge_f32_e64 s[8:9], 0, v26
	v_fma_f32 v27, -v19, v14, v10
	s_nop 0
	v_cndmask_b32_e64 v14, v14, v18, s[8:9]
	v_cmp_lt_f32_e64 s[8:9], 0, v25
	s_nop 1
	v_cndmask_b32_e64 v13, v13, v16, s[8:9]
	v_cmp_lt_f32_e64 s[8:9], 0, v27
	v_mul_f32_e32 v15, 0x37800000, v13
	v_cndmask_b32_e32 v13, v13, v15, vcc
	v_cndmask_b32_e64 v14, v14, v19, s[8:9]
	v_mul_f32_e32 v16, 0x37800000, v14
	v_cmp_class_f32_e32 vcc, v11, v9
	v_cndmask_b32_e64 v14, v14, v16, s[2:3]
	v_cmp_lt_f32_e64 s[2:3], s17, v21
	v_cndmask_b32_e32 v15, v13, v11, vcc
	v_cmp_class_f32_e32 vcc, v10, v9
	v_cndmask_b32_e64 v11, 0, v7, s[4:5]
	v_cndmask_b32_e64 v13, 0, v7, s[6:7]
	v_cndmask_b32_e32 v14, v14, v10, vcc
	v_cmp_lt_f32_e64 vcc, |v17|, s22
	s_nop 1
	v_cndmask_b32_e32 v10, v17, v23, vcc
	v_sub_f32_e32 v10, v10, v11
	v_mul_f32_e32 v11, 0x3f317217, v22
	v_fma_f32 v11, v22, s21, -v11
	v_fmac_f32_e32 v11, 0x3377d1cf, v22
	v_fmac_f32_e32 v11, 0x3f317217, v22
	v_cmp_lt_f32_e64 vcc, |v22|, s22
	s_nop 1
	v_cndmask_b32_e32 v11, v22, v11, vcc
	v_cmp_lt_f32_e32 vcc, s17, v20
	v_sub_f32_e32 v11, v11, v13
	v_cndmask_b32_e64 v11, v11, v21, s[2:3]
	v_cndmask_b32_e32 v10, v10, v20, vcc
	v_mul_f32_e32 v16, 0x4f800000, v10
	v_cmp_gt_f32_e32 vcc, s20, v10
	v_and_b32_e32 v20, 0xffff0000, v2
	v_lshlrev_b32_e32 v2, 16, v2
	v_cndmask_b32_e32 v10, v10, v16, vcc
	v_sqrt_f32_e32 v16, v10
	s_nop 0
	v_add_u32_e32 v13, -1, v16
	v_fma_f32 v17, -v13, v16, v10
	v_cmp_ge_f32_e64 s[2:3], 0, v17
	v_add_u32_e32 v17, 1, v16
	s_nop 0
	v_cndmask_b32_e64 v13, v16, v13, s[2:3]
	v_fma_f32 v16, -v17, v16, v10
	v_cmp_lt_f32_e64 s[2:3], 0, v16
	s_nop 1
	v_cndmask_b32_e64 v13, v13, v17, s[2:3]
	v_mul_f32_e32 v17, 0x4f800000, v11
	v_cmp_gt_f32_e64 s[2:3], s20, v11
	v_mul_f32_e32 v16, 0x37800000, v13
	v_cndmask_b32_e32 v13, v13, v16, vcc
	v_cndmask_b32_e64 v18, v11, v17, s[2:3]
	v_sqrt_f32_e32 v11, v18
	v_cmp_class_f32_e32 vcc, v10, v9
	v_add_u32_e32 v16, 1, v11
	s_nop 0
	v_cndmask_b32_e32 v17, v13, v10, vcc
	v_add_u32_e32 v10, -1, v11
	v_fma_f32 v13, -v10, v11, v18
	v_cmp_ge_f32_e32 vcc, 0, v13
	v_fma_f32 v19, -v16, v11, v18
	s_nop 0
	v_cndmask_b32_e32 v13, v11, v10, vcc
	v_mul_f32_e32 v10, 0x3fb8aa3b, v2
	v_mul_f32_e32 v11, 0x3fb8aa3b, v20
	v_exp_f32_e32 v10, v10
	v_exp_f32_e32 v11, v11
	v_cmp_lt_f32_e32 vcc, 0, v19
	v_pk_add_f32 v[10:11], v[10:11], 1.0 op_sel_hi:[1,0]
	s_nop 0
	v_cndmask_b32_e32 v13, v13, v16, vcc
	v_mul_f32_e32 v16, 0x37800000, v13
	v_cmp_gt_f32_e32 vcc, s23, v11
	v_cndmask_b32_e64 v13, v13, v16, s[2:3]
	v_cmp_class_f32_e64 s[2:3], v18, v9
	v_cndmask_b32_e32 v16, 1.0, v4, vcc
	v_mul_f32_e32 v11, v11, v16
	v_log_f32_e32 v11, v11
	v_cndmask_b32_e64 v16, v13, v18, s[2:3]
	v_cmp_gt_f32_e64 s[2:3], s23, v10
	scratch_store_dwordx4 off, v[14:17], off
	v_mul_f32_e32 v13, 0x3f317217, v11
	v_fma_f32 v13, v11, s21, -v13
	v_cndmask_b32_e64 v14, 1.0, v4, s[2:3]
	v_mul_f32_e32 v10, v10, v14
	v_log_f32_e32 v10, v10
	v_fmac_f32_e32 v13, 0x3377d1cf, v11
	v_fmac_f32_e32 v13, 0x3f317217, v11
	v_cmp_lt_f32_e64 s[4:5], |v11|, s22
	v_and_b32_e32 v16, 0xffff0000, v3
	v_lshlrev_b32_e32 v17, 16, v3
	v_cndmask_b32_e64 v11, v11, v13, s[4:5]
	v_cndmask_b32_e32 v13, 0, v7, vcc
	v_sub_f32_e32 v11, v11, v13
	v_mul_f32_e32 v13, 0x3f317217, v10
	v_fma_f32 v13, v10, s21, -v13
	v_fmac_f32_e32 v13, 0x3377d1cf, v10
	v_fmac_f32_e32 v13, 0x3f317217, v10
	v_cmp_lt_f32_e64 vcc, |v10|, s22
	v_mul_f32_e32 v3, 0x3fb8aa3b, v16
	v_exp_f32_e32 v3, v3
	v_cndmask_b32_e32 v10, v10, v13, vcc
	v_cmp_lt_f32_e32 vcc, s17, v20
	v_cndmask_b32_e64 v13, 0, v7, s[2:3]
	v_sub_f32_e32 v10, v10, v13
	v_cndmask_b32_e32 v11, v11, v20, vcc
	v_mul_f32_e32 v14, 0x4f800000, v11
	v_cmp_gt_f32_e32 vcc, s20, v11
	v_cmp_lt_f32_e64 s[2:3], s17, v2
	s_nop 0
	v_cndmask_b32_e32 v11, v11, v14, vcc
	v_sqrt_f32_e32 v14, v11
	v_cndmask_b32_e64 v2, v10, v2, s[2:3]
	v_add_u32_e32 v10, -1, v14
	v_fma_f32 v13, -v10, v14, v11
	v_cmp_ge_f32_e64 s[2:3], 0, v13
	v_add_u32_e32 v13, 1, v14
	s_nop 0
	v_cndmask_b32_e64 v10, v14, v10, s[2:3]
	v_fma_f32 v14, -v13, v14, v11
	v_cmp_lt_f32_e64 s[2:3], 0, v14
	v_mul_f32_e32 v14, 0x4f800000, v2
	s_nop 0
	v_cndmask_b32_e64 v10, v10, v13, s[2:3]
	v_cmp_gt_f32_e64 s[2:3], s20, v2
	v_mul_f32_e32 v13, 0x37800000, v10
	v_cndmask_b32_e32 v10, v10, v13, vcc
	v_cndmask_b32_e64 v14, v2, v14, s[2:3]
	v_sqrt_f32_e32 v2, v14
	v_cmp_class_f32_e32 vcc, v11, v9
	s_nop 1
	v_cndmask_b32_e32 v15, v10, v11, vcc
	v_add_u32_e32 v10, -1, v2
	v_fma_f32 v11, -v10, v2, v14
	v_cmp_ge_f32_e32 vcc, 0, v11
	v_add_u32_e32 v11, 1, v2
	v_fma_f32 v13, -v11, v2, v14
	v_cndmask_b32_e32 v10, v2, v10, vcc
	v_mul_f32_e32 v2, 0x3fb8aa3b, v17
	v_exp_f32_e32 v2, v2
	v_cmp_lt_f32_e32 vcc, 0, v13
	v_pk_add_f32 v[2:3], v[2:3], 1.0 op_sel_hi:[1,0]
	s_nop 0
	v_cndmask_b32_e32 v10, v10, v11, vcc
	v_cmp_gt_f32_e32 vcc, s23, v3
	v_mul_f32_e32 v11, 0x37800000, v10
	v_cndmask_b32_e64 v10, v10, v11, s[2:3]
	v_cndmask_b32_e32 v13, 1.0, v4, vcc
	v_mul_f32_e32 v3, v3, v13
	v_log_f32_e32 v3, v3
	v_cmp_class_f32_e64 s[2:3], v14, v9
	v_cmp_lt_f32_e64 s[4:5], |v3|, s22
	s_nop 0
	v_cndmask_b32_e64 v14, v10, v14, s[2:3]
	v_cmp_gt_f32_e64 s[2:3], s23, v2
	v_mul_f32_e32 v10, 0x3f317217, v3
	v_fma_f32 v10, v3, s21, -v10
	v_cndmask_b32_e64 v4, 1.0, v4, s[2:3]
	v_mul_f32_e32 v2, v2, v4
	v_log_f32_e32 v2, v2
	v_fmac_f32_e32 v10, 0x3377d1cf, v3
	v_fmac_f32_e32 v10, 0x3f317217, v3
	v_cndmask_b32_e64 v3, v3, v10, s[4:5]
	v_cndmask_b32_e32 v4, 0, v7, vcc
	v_sub_f32_e32 v3, v3, v4
	v_mul_f32_e32 v4, 0x3f317217, v2
	v_fma_f32 v4, v2, s21, -v4
	v_fmac_f32_e32 v4, 0x3377d1cf, v2
	v_fmac_f32_e32 v4, 0x3f317217, v2
	v_cmp_lt_f32_e64 vcc, |v2|, s22
	s_nop 1
	v_cndmask_b32_e32 v2, v2, v4, vcc
	v_cmp_lt_f32_e32 vcc, s17, v16
	v_cndmask_b32_e64 v4, 0, v7, s[2:3]
	v_sub_f32_e32 v2, v2, v4
	v_cndmask_b32_e32 v3, v3, v16, vcc
	v_mul_f32_e32 v7, 0x4f800000, v3
	v_cmp_gt_f32_e32 vcc, s20, v3
	v_cmp_lt_f32_e64 s[2:3], s17, v17
	s_nop 0
	v_cndmask_b32_e32 v3, v3, v7, vcc
	v_sqrt_f32_e32 v7, v3
	v_cndmask_b32_e64 v2, v2, v17, s[2:3]
	v_add_u32_e32 v4, -1, v7
	v_fma_f32 v10, -v4, v7, v3
	v_cmp_ge_f32_e64 s[2:3], 0, v10
	v_add_u32_e32 v10, 1, v7
	s_nop 0
	v_cndmask_b32_e64 v4, v7, v4, s[2:3]
	v_fma_f32 v7, -v10, v7, v3
	v_cmp_lt_f32_e64 s[2:3], 0, v7
	s_nop 1
	v_cndmask_b32_e64 v4, v4, v10, s[2:3]
	v_mul_f32_e32 v10, 0x4f800000, v2
	v_cmp_gt_f32_e64 s[2:3], s20, v2
	v_mul_f32_e32 v7, 0x37800000, v4
	v_cndmask_b32_e32 v4, v4, v7, vcc
	v_cndmask_b32_e64 v2, v2, v10, s[2:3]
	v_sqrt_f32_e32 v10, v2
	v_cmp_class_f32_e32 vcc, v3, v9
	s_nop 1
	v_cndmask_b32_e32 v17, v4, v3, vcc
	v_add_u32_e32 v3, -1, v10
	v_fma_f32 v4, -v3, v10, v2
	v_cmp_ge_f32_e32 vcc, 0, v4
	v_add_u32_e32 v4, 1, v10
	v_fma_f32 v7, -v4, v10, v2
	v_cndmask_b32_e32 v3, v10, v3, vcc
	v_cmp_lt_f32_e32 vcc, 0, v7
	s_nop 1
	v_cndmask_b32_e32 v3, v3, v4, vcc
	v_mul_f32_e32 v4, 0x37800000, v3
	v_cndmask_b32_e64 v3, v3, v4, s[2:3]
	v_cmp_class_f32_e32 vcc, v2, v9
	s_nop 1
	v_cndmask_b32_e32 v16, v3, v2, vcc
	v_lshl_add_u64 v[2:3], v[0:1], 3, s[10:11]
	s_and_b64 vcc, exec, s[18:19]
	v_mul_lo_u32 v0, v6, s12
	scratch_store_dwordx4 off, v[14:17], off offset:16
	s_cbranch_vccnz .LBB512_28
; %bb.2:
	s_load_dwordx2 s[4:5], s[0:1], 0x20
	s_cmp_lt_u32 s12, 4
	v_and_b32_e32 v4, 31, v8
	s_cbranch_scc1 .LBB512_21
; %bb.3:
	v_lshlrev_b32_e32 v5, 3, v4
	s_mov_b32 s7, 0
	s_and_b32 s16, s12, 0x7ffffffc
	v_ashrrev_i32_e32 v1, 31, v0
	v_sub_u32_e32 v13, 0, v5
	v_mov_b32_e32 v5, 0
	s_mov_b32 s6, s7
	s_branch .LBB512_5
.LBB512_4:                              ;   in Loop: Header=BB512_5 Depth=1
	s_or_b64 exec, exec, s[8:9]
	s_add_i32 s6, s6, 4
	s_cmp_eq_u32 s6, s16
	s_cbranch_scc1 .LBB512_21
.LBB512_5:                              ; =>This Loop Header: Depth=1
                                        ;     Child Loop BB512_7 Depth 2
                                        ;     Child Loop BB512_11 Depth 2
                                        ;     Child Loop BB512_15 Depth 2
                                        ;     Child Loop BB512_19 Depth 2
	v_lshl_add_u64 v[6:7], s[6:7], 3, v[2:3]
	global_load_dwordx2 v[8:9], v[6:7], off
	v_add_u32_e32 v10, s6, v0
	v_ashrrev_i32_e32 v11, 31, v10
	v_mov_b32_e32 v14, 0
	s_mov_b64 s[8:9], 0
	s_waitcnt lgkmcnt(0)
	v_lshl_add_u64 v[10:11], v[10:11], 3, s[4:5]
	s_mov_b32 s13, 0
	s_waitcnt vmcnt(0)
	v_ashrrev_i32_e32 v9, 31, v8
	v_add_u32_e32 v15, v13, v8
	s_branch .LBB512_7
.LBB512_6:                              ;   in Loop: Header=BB512_7 Depth=2
	s_or_b64 exec, exec, s[10:11]
	s_add_i32 s17, s13, 1
	s_cmp_gt_u32 s13, 6
	s_cselect_b64 s[2:3], -1, 0
	s_xor_b64 s[10:11], vcc, -1
	s_or_b64 s[2:3], s[10:11], s[2:3]
	s_and_b64 s[2:3], exec, s[2:3]
	v_add_u32_e32 v14, 4, v14
	s_or_b64 s[8:9], s[2:3], s[8:9]
	s_mov_b32 s13, s17
	s_andn2_b64 exec, exec, s[8:9]
	s_cbranch_execz .LBB512_9
.LBB512_7:                              ;   Parent Loop BB512_5 Depth=1
                                        ; =>  This Inner Loop Header: Depth=2
	v_cmp_ne_u32_e32 vcc, s13, v15
	v_cmp_eq_u32_e64 s[2:3], s13, v15
	s_and_saveexec_b64 s[10:11], s[2:3]
	s_cbranch_execz .LBB512_6
; %bb.8:                                ;   in Loop: Header=BB512_7 Depth=2
	scratch_load_dword v16, v14, off
	s_waitcnt vmcnt(0)
	v_add_f32_e32 v5, v5, v16
	global_store_dwordx2 v[10:11], v[8:9], off
	s_branch .LBB512_6
.LBB512_9:                              ;   in Loop: Header=BB512_5 Depth=1
	s_or_b64 exec, exec, s[8:9]
	global_load_dwordx2 v[10:11], v[6:7], off offset:8
	s_ashr_i32 s3, s6, 31
	s_mov_b32 s2, s6
	v_lshl_add_u64 v[8:9], s[2:3], 0, v[0:1]
	v_mov_b32_e32 v14, 0
	s_mov_b32 s13, 0
	v_lshl_add_u64 v[8:9], v[8:9], 3, s[4:5]
	s_mov_b64 s[8:9], 0
	s_waitcnt vmcnt(0)
	v_ashrrev_i32_e32 v11, 31, v10
	v_add_u32_e32 v15, v13, v10
	s_branch .LBB512_11
.LBB512_10:                             ;   in Loop: Header=BB512_11 Depth=2
	s_or_b64 exec, exec, s[10:11]
	s_add_i32 s17, s13, 1
	s_cmp_gt_u32 s13, 6
	s_cselect_b64 s[2:3], -1, 0
	s_xor_b64 s[10:11], vcc, -1
	s_or_b64 s[2:3], s[10:11], s[2:3]
	s_and_b64 s[2:3], exec, s[2:3]
	v_add_u32_e32 v14, 4, v14
	s_or_b64 s[8:9], s[2:3], s[8:9]
	s_mov_b32 s13, s17
	s_andn2_b64 exec, exec, s[8:9]
	s_cbranch_execz .LBB512_13
.LBB512_11:                             ;   Parent Loop BB512_5 Depth=1
                                        ; =>  This Inner Loop Header: Depth=2
	v_cmp_ne_u32_e32 vcc, s13, v15
	v_cmp_eq_u32_e64 s[2:3], s13, v15
	s_and_saveexec_b64 s[10:11], s[2:3]
	s_cbranch_execz .LBB512_10
; %bb.12:                               ;   in Loop: Header=BB512_11 Depth=2
	scratch_load_dword v16, v14, off
	s_waitcnt vmcnt(0)
	v_add_f32_e32 v5, v5, v16
	global_store_dwordx2 v[8:9], v[10:11], off offset:8
	s_branch .LBB512_10
.LBB512_13:                             ;   in Loop: Header=BB512_5 Depth=1
	s_or_b64 exec, exec, s[8:9]
	global_load_dwordx2 v[10:11], v[6:7], off offset:16
	v_mov_b32_e32 v14, 0
	s_mov_b32 s13, 0
	s_mov_b64 s[8:9], 0
	s_waitcnt vmcnt(0)
	v_ashrrev_i32_e32 v11, 31, v10
	v_add_u32_e32 v15, v13, v10
	s_branch .LBB512_15
.LBB512_14:                             ;   in Loop: Header=BB512_15 Depth=2
	s_or_b64 exec, exec, s[10:11]
	s_add_i32 s17, s13, 1
	s_cmp_gt_u32 s13, 6
	s_cselect_b64 s[2:3], -1, 0
	s_xor_b64 s[10:11], vcc, -1
	s_or_b64 s[2:3], s[10:11], s[2:3]
	s_and_b64 s[2:3], exec, s[2:3]
	v_add_u32_e32 v14, 4, v14
	s_or_b64 s[8:9], s[2:3], s[8:9]
	s_mov_b32 s13, s17
	s_andn2_b64 exec, exec, s[8:9]
	s_cbranch_execz .LBB512_17
.LBB512_15:                             ;   Parent Loop BB512_5 Depth=1
                                        ; =>  This Inner Loop Header: Depth=2
	v_cmp_ne_u32_e32 vcc, s13, v15
	v_cmp_eq_u32_e64 s[2:3], s13, v15
	s_and_saveexec_b64 s[10:11], s[2:3]
	s_cbranch_execz .LBB512_14
; %bb.16:                               ;   in Loop: Header=BB512_15 Depth=2
	scratch_load_dword v16, v14, off
	s_waitcnt vmcnt(0)
	v_add_f32_e32 v5, v5, v16
	global_store_dwordx2 v[8:9], v[10:11], off offset:16
	s_branch .LBB512_14
.LBB512_17:                             ;   in Loop: Header=BB512_5 Depth=1
	s_or_b64 exec, exec, s[8:9]
	global_load_dwordx2 v[6:7], v[6:7], off offset:24
	v_mov_b32_e32 v10, 0
	s_mov_b32 s13, 0
	s_mov_b64 s[8:9], 0
	s_waitcnt vmcnt(0)
	v_ashrrev_i32_e32 v7, 31, v6
	v_add_u32_e32 v11, v13, v6
	s_branch .LBB512_19
.LBB512_18:                             ;   in Loop: Header=BB512_19 Depth=2
	s_or_b64 exec, exec, s[10:11]
	s_add_i32 s17, s13, 1
	s_cmp_gt_u32 s13, 6
	s_cselect_b64 s[2:3], -1, 0
	s_xor_b64 s[10:11], vcc, -1
	s_or_b64 s[2:3], s[10:11], s[2:3]
	s_and_b64 s[2:3], exec, s[2:3]
	v_add_u32_e32 v10, 4, v10
	s_or_b64 s[8:9], s[2:3], s[8:9]
	s_mov_b32 s13, s17
	s_andn2_b64 exec, exec, s[8:9]
	s_cbranch_execz .LBB512_4
.LBB512_19:                             ;   Parent Loop BB512_5 Depth=1
                                        ; =>  This Inner Loop Header: Depth=2
	v_cmp_ne_u32_e32 vcc, s13, v11
	v_cmp_eq_u32_e64 s[2:3], s13, v11
	s_and_saveexec_b64 s[10:11], s[2:3]
	s_cbranch_execz .LBB512_18
; %bb.20:                               ;   in Loop: Header=BB512_19 Depth=2
	scratch_load_dword v14, v10, off
	s_waitcnt vmcnt(0)
	v_add_f32_e32 v5, v5, v14
	global_store_dwordx2 v[8:9], v[6:7], off offset:24
	s_branch .LBB512_18
.LBB512_21:
	s_and_b32 s10, s12, 3
	s_cmp_eq_u32 s10, 0
	s_mov_b32 s17, 0
	s_cbranch_scc1 .LBB512_28
; %bb.22:
	v_lshlrev_b32_e32 v1, 3, v4
	v_sub_u32_e32 v1, 0, v1
	s_mov_b32 s11, s17
	s_branch .LBB512_24
.LBB512_23:                             ;   in Loop: Header=BB512_24 Depth=1
	s_or_b64 exec, exec, s[6:7]
	s_add_i32 s16, s16, 1
	s_add_i32 s11, s11, 1
	s_cmp_lg_u32 s11, s10
	s_cbranch_scc0 .LBB512_28
.LBB512_24:                             ; =>This Loop Header: Depth=1
                                        ;     Child Loop BB512_26 Depth 2
	v_lshl_add_u64 v[6:7], s[16:17], 3, v[2:3]
	global_load_dwordx2 v[6:7], v[6:7], off
	v_add_u32_e32 v8, s16, v0
	v_ashrrev_i32_e32 v9, 31, v8
	v_mov_b32_e32 v4, 0
	s_mov_b32 s13, 0
	s_waitcnt lgkmcnt(0)
	v_lshl_add_u64 v[8:9], v[8:9], 3, s[4:5]
	s_mov_b64 s[6:7], 0
	s_waitcnt vmcnt(0)
	v_ashrrev_i32_e32 v7, 31, v6
	v_add_u32_e32 v10, v1, v6
	s_branch .LBB512_26
.LBB512_25:                             ;   in Loop: Header=BB512_26 Depth=2
	s_or_b64 exec, exec, s[8:9]
	s_add_i32 s18, s13, 1
	s_cmp_gt_u32 s13, 6
	s_cselect_b64 s[2:3], -1, 0
	s_xor_b64 s[8:9], vcc, -1
	s_or_b64 s[2:3], s[8:9], s[2:3]
	s_and_b64 s[2:3], exec, s[2:3]
	v_add_u32_e32 v4, 4, v4
	s_or_b64 s[6:7], s[2:3], s[6:7]
	s_mov_b32 s13, s18
	s_andn2_b64 exec, exec, s[6:7]
	s_cbranch_execz .LBB512_23
.LBB512_26:                             ;   Parent Loop BB512_24 Depth=1
                                        ; =>  This Inner Loop Header: Depth=2
	v_cmp_ne_u32_e32 vcc, s13, v10
	v_cmp_eq_u32_e64 s[2:3], s13, v10
	s_and_saveexec_b64 s[8:9], s[2:3]
	s_cbranch_execz .LBB512_25
; %bb.27:                               ;   in Loop: Header=BB512_26 Depth=2
	scratch_load_dword v11, v4, off
	s_waitcnt vmcnt(0)
	v_add_f32_e32 v5, v5, v11
	global_store_dwordx2 v[8:9], v[6:7], off
	s_branch .LBB512_25
.LBB512_28:
	s_waitcnt lgkmcnt(0)
	s_load_dword s4, s[0:1], 0x3c
	s_waitcnt lgkmcnt(0)
	s_bitcmp1_b32 s4, 0
	s_cselect_b64 s[2:3], -1, 0
	s_bitcmp0_b32 s4, 0
	s_cbranch_scc0 .LBB512_32
; %bb.29:
	s_load_dwordx2 s[4:5], s[0:1], 0x40
	s_andn2_b64 vcc, exec, s[2:3]
	s_waitcnt lgkmcnt(0)
	v_cvt_f32_f64_e32 v8, s[4:5]
	s_cbranch_vccz .LBB512_33
.LBB512_30:
	s_andn2_b64 vcc, exec, s[14:15]
	s_cbranch_vccz .LBB512_34
.LBB512_31:
	s_endpgm
.LBB512_32:
	v_mbcnt_lo_u32_b32 v1, -1, 0
	v_mbcnt_hi_u32_b32 v1, -1, v1
	v_and_b32_e32 v4, 0x60, v1
	v_add_u32_e32 v4, 32, v4
	v_xor_b32_e32 v6, 16, v1
	v_cmp_lt_i32_e32 vcc, v6, v4
	v_xor_b32_e32 v7, 8, v1
	s_nop 0
	v_cndmask_b32_e32 v6, v1, v6, vcc
	v_lshlrev_b32_e32 v6, 2, v6
	ds_bpermute_b32 v6, v6, v5
	v_cmp_lt_i32_e32 vcc, v7, v4
	s_waitcnt lgkmcnt(0)
	v_add_f32_e32 v5, v5, v6
	v_cndmask_b32_e32 v6, v1, v7, vcc
	v_lshlrev_b32_e32 v6, 2, v6
	ds_bpermute_b32 v6, v6, v5
	v_xor_b32_e32 v7, 4, v1
	v_cmp_lt_i32_e32 vcc, v7, v4
	s_waitcnt lgkmcnt(0)
	v_add_f32_e32 v5, v5, v6
	v_cndmask_b32_e32 v6, v1, v7, vcc
	v_lshlrev_b32_e32 v6, 2, v6
	ds_bpermute_b32 v6, v6, v5
	v_xor_b32_e32 v7, 2, v1
	;; [unrolled: 7-line block ×3, first 2 shown]
	v_cmp_lt_i32_e32 vcc, v7, v4
	s_waitcnt lgkmcnt(0)
	v_add_f32_e32 v5, v5, v6
	v_cndmask_b32_e32 v1, v1, v7, vcc
	v_lshlrev_b32_e32 v1, 2, v1
	ds_bpermute_b32 v1, v1, v5
	s_waitcnt lgkmcnt(0)
	v_add_f32_e32 v5, v5, v1
	s_load_dwordx2 s[4:5], s[0:1], 0x40
	s_andn2_b64 vcc, exec, s[2:3]
	s_waitcnt lgkmcnt(0)
	v_cvt_f32_f64_e32 v8, s[4:5]
	s_cbranch_vccnz .LBB512_30
.LBB512_33:
	v_cmp_lt_f32_e32 vcc, 0, v5
	s_nop 1
	v_cndmask_b32_e32 v1, 1.0, v5, vcc
	v_div_scale_f32 v4, s[2:3], v1, v1, v8
	v_rcp_f32_e32 v5, v4
	s_nop 0
	v_fma_f32 v6, -v4, v5, 1.0
	v_fmac_f32_e32 v5, v6, v5
	v_div_scale_f32 v6, vcc, v8, v1, v8
	v_mul_f32_e32 v7, v6, v5
	v_fma_f32 v9, -v4, v7, v6
	v_fmac_f32_e32 v7, v9, v5
	v_fma_f32 v4, -v4, v7, v6
	v_div_fmas_f32 v4, v4, v5, v7
	v_div_fixup_f32 v8, v4, v1, v8
	s_andn2_b64 vcc, exec, s[14:15]
	s_cbranch_vccnz .LBB512_31
.LBB512_34:
	s_load_dwordx2 s[14:15], s[0:1], 0x10
	v_mov_b32_e32 v1, 0
	v_or_b32_e32 v20, 4, v1
	v_or_b32_e32 v18, 8, v1
	v_or_b32_e32 v16, 12, v1
	v_add_u32_e32 v14, 16, v1
	v_add_u32_e32 v11, 20, v1
	;; [unrolled: 1-line block ×4, first 2 shown]
	v_or_b32_e32 v23, 1, v12
	v_or_b32_e32 v22, 2, v12
	;; [unrolled: 1-line block ×7, first 2 shown]
	s_cmp_eq_u32 s12, 1
	s_mov_b32 s16, 0
	s_cbranch_scc1 .LBB512_69
; %bb.35:
	v_ashrrev_i32_e32 v1, 31, v0
	s_waitcnt lgkmcnt(0)
	v_lshl_add_u64 v[4:5], v[0:1], 2, s[14:15]
	s_and_b32 s16, s12, 0x7ffffffe
	v_lshl_add_u64 v[4:5], v[4:5], 0, 4
	v_lshl_add_u64 v[6:7], v[2:3], 0, 8
	s_mov_b32 s13, 0
	s_branch .LBB512_37
.LBB512_36:                             ;   in Loop: Header=BB512_37 Depth=1
	s_or_b64 exec, exec, s[0:1]
	s_add_i32 s13, s13, 2
	v_lshl_add_u64 v[4:5], v[4:5], 0, 8
	s_cmp_eq_u32 s16, s13
	v_lshl_add_u64 v[6:7], v[6:7], 0, 16
	s_cbranch_scc1 .LBB512_69
.LBB512_37:                             ; =>This Inner Loop Header: Depth=1
	global_load_dword v24, v[6:7], off offset:-8
	v_mov_b32_e32 v1, 0
	s_waitcnt vmcnt(0)
	v_cmp_eq_u32_e32 vcc, v12, v24
	v_cmp_ne_u32_e64 s[0:1], v12, v24
	s_and_saveexec_b64 s[18:19], s[0:1]
	s_cbranch_execz .LBB512_51
; %bb.38:                               ;   in Loop: Header=BB512_37 Depth=1
	v_cmp_eq_u32_e64 s[0:1], v23, v24
	v_cmp_ne_u32_e64 s[2:3], v23, v24
	v_mov_b32_e32 v1, v20
	s_and_saveexec_b64 s[20:21], s[2:3]
	s_cbranch_execz .LBB512_50
; %bb.39:                               ;   in Loop: Header=BB512_37 Depth=1
	v_cmp_eq_u32_e64 s[2:3], v22, v24
	v_cmp_ne_u32_e64 s[4:5], v22, v24
	v_mov_b32_e32 v1, v18
	;; [unrolled: 6-line block ×6, first 2 shown]
	s_and_saveexec_b64 s[34:35], s[10:11]
	s_xor_b64 s[34:35], exec, s[34:35]
; %bb.44:                               ;   in Loop: Header=BB512_37 Depth=1
	v_cmp_eq_u32_e64 s[10:11], v13, v24
	s_andn2_b64 s[30:31], s[30:31], exec
	s_and_b64 s[10:11], s[10:11], exec
	s_or_b64 s[30:31], s[30:31], s[10:11]
	v_mov_b32_e32 v1, v10
; %bb.45:                               ;   in Loop: Header=BB512_37 Depth=1
	s_or_b64 exec, exec, s[34:35]
	s_andn2_b64 s[8:9], s[8:9], exec
	s_and_b64 s[10:11], s[30:31], exec
	s_or_b64 s[8:9], s[8:9], s[10:11]
.LBB512_46:                             ;   in Loop: Header=BB512_37 Depth=1
	s_or_b64 exec, exec, s[28:29]
	s_andn2_b64 s[6:7], s[6:7], exec
	s_and_b64 s[8:9], s[8:9], exec
	s_or_b64 s[6:7], s[6:7], s[8:9]
.LBB512_47:                             ;   in Loop: Header=BB512_37 Depth=1
	s_or_b64 exec, exec, s[26:27]
	s_andn2_b64 s[4:5], s[4:5], exec
	s_and_b64 s[6:7], s[6:7], exec
	s_or_b64 s[4:5], s[4:5], s[6:7]
.LBB512_48:                             ;   in Loop: Header=BB512_37 Depth=1
	s_or_b64 exec, exec, s[24:25]
	s_andn2_b64 s[2:3], s[2:3], exec
	s_and_b64 s[4:5], s[4:5], exec
	s_or_b64 s[2:3], s[2:3], s[4:5]
.LBB512_49:                             ;   in Loop: Header=BB512_37 Depth=1
	s_or_b64 exec, exec, s[22:23]
	s_andn2_b64 s[0:1], s[0:1], exec
	s_and_b64 s[2:3], s[2:3], exec
	s_or_b64 s[0:1], s[0:1], s[2:3]
.LBB512_50:                             ;   in Loop: Header=BB512_37 Depth=1
	s_or_b64 exec, exec, s[20:21]
	s_andn2_b64 s[2:3], vcc, exec
	s_and_b64 s[0:1], s[0:1], exec
	s_or_b64 vcc, s[2:3], s[0:1]
.LBB512_51:                             ;   in Loop: Header=BB512_37 Depth=1
	s_or_b64 exec, exec, s[18:19]
	s_and_saveexec_b64 s[0:1], vcc
	s_cbranch_execz .LBB512_53
; %bb.52:                               ;   in Loop: Header=BB512_37 Depth=1
	scratch_load_dword v1, v1, off
	v_add_u32_e32 v24, s13, v0
	v_ashrrev_i32_e32 v25, 31, v24
	v_lshl_add_u64 v[24:25], v[24:25], 2, s[14:15]
	s_waitcnt vmcnt(0)
	v_mul_f32_e32 v1, v8, v1
	global_store_dword v[24:25], v1, off
.LBB512_53:                             ;   in Loop: Header=BB512_37 Depth=1
	s_or_b64 exec, exec, s[0:1]
	global_load_dword v24, v[6:7], off
	v_mov_b32_e32 v1, 0
	s_waitcnt vmcnt(0)
	v_cmp_eq_u32_e64 s[8:9], v12, v24
	v_cmp_ne_u32_e32 vcc, v12, v24
	s_and_saveexec_b64 s[10:11], vcc
	s_cbranch_execz .LBB512_67
; %bb.54:                               ;   in Loop: Header=BB512_37 Depth=1
	v_cmp_eq_u32_e32 vcc, v23, v24
	v_cmp_ne_u32_e64 s[0:1], v23, v24
	v_mov_b32_e32 v1, v20
	s_and_saveexec_b64 s[18:19], s[0:1]
	s_cbranch_execz .LBB512_66
; %bb.55:                               ;   in Loop: Header=BB512_37 Depth=1
	v_cmp_eq_u32_e64 s[0:1], v22, v24
	v_cmp_ne_u32_e64 s[2:3], v22, v24
	v_mov_b32_e32 v1, v18
	s_and_saveexec_b64 s[20:21], s[2:3]
	s_cbranch_execz .LBB512_65
; %bb.56:                               ;   in Loop: Header=BB512_37 Depth=1
	v_cmp_eq_u32_e64 s[2:3], v21, v24
	;; [unrolled: 6-line block ×5, first 2 shown]
	v_cmp_ne_u32_e64 s[6:7], v15, v24
	v_mov_b32_e32 v1, v9
	s_and_saveexec_b64 s[34:35], s[6:7]
; %bb.60:                               ;   in Loop: Header=BB512_37 Depth=1
	v_cmp_eq_u32_e64 s[6:7], v13, v24
	s_andn2_b64 s[30:31], s[30:31], exec
	s_and_b64 s[6:7], s[6:7], exec
	s_or_b64 s[30:31], s[30:31], s[6:7]
	v_mov_b32_e32 v1, v10
; %bb.61:                               ;   in Loop: Header=BB512_37 Depth=1
	s_or_b64 exec, exec, s[34:35]
	s_andn2_b64 s[6:7], s[26:27], exec
	s_and_b64 s[26:27], s[30:31], exec
	s_or_b64 s[26:27], s[6:7], s[26:27]
.LBB512_62:                             ;   in Loop: Header=BB512_37 Depth=1
	s_or_b64 exec, exec, s[28:29]
	s_andn2_b64 s[4:5], s[4:5], exec
	s_and_b64 s[6:7], s[26:27], exec
	s_or_b64 s[4:5], s[4:5], s[6:7]
.LBB512_63:                             ;   in Loop: Header=BB512_37 Depth=1
	s_or_b64 exec, exec, s[24:25]
	s_andn2_b64 s[2:3], s[2:3], exec
	s_and_b64 s[4:5], s[4:5], exec
	s_or_b64 s[2:3], s[2:3], s[4:5]
.LBB512_64:                             ;   in Loop: Header=BB512_37 Depth=1
	s_or_b64 exec, exec, s[22:23]
	s_andn2_b64 s[0:1], s[0:1], exec
	s_and_b64 s[2:3], s[2:3], exec
	s_or_b64 s[0:1], s[0:1], s[2:3]
.LBB512_65:                             ;   in Loop: Header=BB512_37 Depth=1
	s_or_b64 exec, exec, s[20:21]
	s_andn2_b64 s[2:3], vcc, exec
	s_and_b64 s[0:1], s[0:1], exec
	s_or_b64 vcc, s[2:3], s[0:1]
.LBB512_66:                             ;   in Loop: Header=BB512_37 Depth=1
	s_or_b64 exec, exec, s[18:19]
	s_andn2_b64 s[0:1], s[8:9], exec
	s_and_b64 s[2:3], vcc, exec
	s_or_b64 s[8:9], s[0:1], s[2:3]
.LBB512_67:                             ;   in Loop: Header=BB512_37 Depth=1
	s_or_b64 exec, exec, s[10:11]
	s_and_saveexec_b64 s[0:1], s[8:9]
	s_cbranch_execz .LBB512_36
; %bb.68:                               ;   in Loop: Header=BB512_37 Depth=1
	scratch_load_dword v1, v1, off
	s_waitcnt vmcnt(0)
	v_mul_f32_e32 v1, v8, v1
	global_store_dword v[4:5], v1, off
	s_branch .LBB512_36
.LBB512_69:
	s_bitcmp0_b32 s12, 0
	s_mov_b32 s17, 0
	s_cbranch_scc1 .LBB512_31
; %bb.70:
	v_lshl_add_u64 v[2:3], s[16:17], 3, v[2:3]
	global_load_dword v1, v[2:3], off
	v_mov_b32_e32 v2, 0
	s_waitcnt vmcnt(0)
	v_cmp_eq_u32_e64 s[8:9], v12, v1
	v_cmp_ne_u32_e32 vcc, v12, v1
	s_and_saveexec_b64 s[10:11], vcc
	s_cbranch_execz .LBB512_84
; %bb.71:
	v_cmp_eq_u32_e32 vcc, v23, v1
	v_cmp_ne_u32_e64 s[0:1], v23, v1
	s_and_saveexec_b64 s[12:13], s[0:1]
	s_cbranch_execz .LBB512_83
; %bb.72:
	v_cmp_eq_u32_e64 s[0:1], v22, v1
	v_cmp_ne_u32_e64 s[2:3], v22, v1
	s_and_saveexec_b64 s[18:19], s[2:3]
	s_cbranch_execz .LBB512_82
; %bb.73:
	v_cmp_eq_u32_e64 s[2:3], v21, v1
	;; [unrolled: 5-line block ×5, first 2 shown]
	v_cmp_ne_u32_e64 s[6:7], v15, v1
	s_and_saveexec_b64 s[30:31], s[6:7]
; %bb.77:
	v_cmp_eq_u32_e64 s[6:7], v13, v1
	s_andn2_b64 s[28:29], s[28:29], exec
	s_and_b64 s[6:7], s[6:7], exec
	s_or_b64 s[28:29], s[28:29], s[6:7]
	v_mov_b32_e32 v9, v10
; %bb.78:
	s_or_b64 exec, exec, s[30:31]
	s_andn2_b64 s[6:7], s[24:25], exec
	s_and_b64 s[24:25], s[28:29], exec
	s_or_b64 s[24:25], s[6:7], s[24:25]
	v_mov_b32_e32 v11, v9
.LBB512_79:
	s_or_b64 exec, exec, s[26:27]
	s_andn2_b64 s[4:5], s[4:5], exec
	s_and_b64 s[6:7], s[24:25], exec
	s_or_b64 s[4:5], s[4:5], s[6:7]
	v_mov_b32_e32 v14, v11
.LBB512_80:
	s_or_b64 exec, exec, s[22:23]
	s_andn2_b64 s[2:3], s[2:3], exec
	s_and_b64 s[4:5], s[4:5], exec
	s_or_b64 s[2:3], s[2:3], s[4:5]
	v_mov_b32_e32 v16, v14
.LBB512_81:
	s_or_b64 exec, exec, s[20:21]
	s_andn2_b64 s[0:1], s[0:1], exec
	s_and_b64 s[2:3], s[2:3], exec
	s_or_b64 s[0:1], s[0:1], s[2:3]
	v_mov_b32_e32 v18, v16
.LBB512_82:
	s_or_b64 exec, exec, s[18:19]
	s_andn2_b64 s[2:3], vcc, exec
	s_and_b64 s[0:1], s[0:1], exec
	s_or_b64 vcc, s[2:3], s[0:1]
	v_mov_b32_e32 v20, v18
.LBB512_83:
	s_or_b64 exec, exec, s[12:13]
	s_andn2_b64 s[0:1], s[8:9], exec
	s_and_b64 s[2:3], vcc, exec
	s_or_b64 s[8:9], s[0:1], s[2:3]
	v_mov_b32_e32 v2, v20
.LBB512_84:
	s_or_b64 exec, exec, s[10:11]
	s_and_b64 exec, exec, s[8:9]
	s_cbranch_execz .LBB512_31
; %bb.85:
	scratch_load_dword v2, v2, off
	v_add_u32_e32 v0, s16, v0
	v_ashrrev_i32_e32 v1, 31, v0
	s_waitcnt lgkmcnt(0)
	v_lshl_add_u64 v[0:1], v[0:1], 2, s[14:15]
	s_waitcnt vmcnt(0)
	v_mul_f32_e32 v2, v8, v2
	global_store_dword v[0:1], v2, off
	s_endpgm
	.section	.rodata,"a",@progbits
	.p2align	6, 0x0
	.amdhsa_kernel _ZN4vllm3moe22topkGatingSoftplusSqrtILi8ELi256ELi4ELi16ELi64ELb1El14__hip_bfloat16EEvPKT6_PKbPfiPT5_PiiiibdPKfPKS9_SF_
		.amdhsa_group_segment_fixed_size 0
		.amdhsa_private_segment_fixed_size 48
		.amdhsa_kernarg_size 96
		.amdhsa_user_sgpr_count 2
		.amdhsa_user_sgpr_dispatch_ptr 0
		.amdhsa_user_sgpr_queue_ptr 0
		.amdhsa_user_sgpr_kernarg_segment_ptr 1
		.amdhsa_user_sgpr_dispatch_id 0
		.amdhsa_user_sgpr_kernarg_preload_length 0
		.amdhsa_user_sgpr_kernarg_preload_offset 0
		.amdhsa_user_sgpr_private_segment_size 0
		.amdhsa_uses_dynamic_stack 0
		.amdhsa_enable_private_segment 1
		.amdhsa_system_sgpr_workgroup_id_x 1
		.amdhsa_system_sgpr_workgroup_id_y 0
		.amdhsa_system_sgpr_workgroup_id_z 0
		.amdhsa_system_sgpr_workgroup_info 0
		.amdhsa_system_vgpr_workitem_id 1
		.amdhsa_next_free_vgpr 28
		.amdhsa_next_free_sgpr 36
		.amdhsa_accum_offset 28
		.amdhsa_reserve_vcc 1
		.amdhsa_float_round_mode_32 0
		.amdhsa_float_round_mode_16_64 0
		.amdhsa_float_denorm_mode_32 3
		.amdhsa_float_denorm_mode_16_64 3
		.amdhsa_dx10_clamp 1
		.amdhsa_ieee_mode 1
		.amdhsa_fp16_overflow 0
		.amdhsa_tg_split 0
		.amdhsa_exception_fp_ieee_invalid_op 0
		.amdhsa_exception_fp_denorm_src 0
		.amdhsa_exception_fp_ieee_div_zero 0
		.amdhsa_exception_fp_ieee_overflow 0
		.amdhsa_exception_fp_ieee_underflow 0
		.amdhsa_exception_fp_ieee_inexact 0
		.amdhsa_exception_int_div_zero 0
	.end_amdhsa_kernel
	.section	.text._ZN4vllm3moe22topkGatingSoftplusSqrtILi8ELi256ELi4ELi16ELi64ELb1El14__hip_bfloat16EEvPKT6_PKbPfiPT5_PiiiibdPKfPKS9_SF_,"axG",@progbits,_ZN4vllm3moe22topkGatingSoftplusSqrtILi8ELi256ELi4ELi16ELi64ELb1El14__hip_bfloat16EEvPKT6_PKbPfiPT5_PiiiibdPKfPKS9_SF_,comdat
.Lfunc_end512:
	.size	_ZN4vllm3moe22topkGatingSoftplusSqrtILi8ELi256ELi4ELi16ELi64ELb1El14__hip_bfloat16EEvPKT6_PKbPfiPT5_PiiiibdPKfPKS9_SF_, .Lfunc_end512-_ZN4vllm3moe22topkGatingSoftplusSqrtILi8ELi256ELi4ELi16ELi64ELb1El14__hip_bfloat16EEvPKT6_PKbPfiPT5_PiiiibdPKfPKS9_SF_
                                        ; -- End function
	.section	.AMDGPU.csdata,"",@progbits
; Kernel info:
; codeLenInByte = 4636
; NumSgprs: 42
; NumVgprs: 28
; NumAgprs: 0
; TotalNumVgprs: 28
; ScratchSize: 48
; MemoryBound: 0
; FloatMode: 240
; IeeeMode: 1
; LDSByteSize: 0 bytes/workgroup (compile time only)
; SGPRBlocks: 5
; VGPRBlocks: 3
; NumSGPRsForWavesPerEU: 42
; NumVGPRsForWavesPerEU: 28
; AccumOffset: 28
; Occupancy: 8
; WaveLimiterHint : 1
; COMPUTE_PGM_RSRC2:SCRATCH_EN: 1
; COMPUTE_PGM_RSRC2:USER_SGPR: 2
; COMPUTE_PGM_RSRC2:TRAP_HANDLER: 0
; COMPUTE_PGM_RSRC2:TGID_X_EN: 1
; COMPUTE_PGM_RSRC2:TGID_Y_EN: 0
; COMPUTE_PGM_RSRC2:TGID_Z_EN: 0
; COMPUTE_PGM_RSRC2:TIDIG_COMP_CNT: 1
; COMPUTE_PGM_RSRC3_GFX90A:ACCUM_OFFSET: 6
; COMPUTE_PGM_RSRC3_GFX90A:TG_SPLIT: 0
	.section	.text._ZN4vllm3moe22topkGatingSoftplusSqrtILi8ELi256ELi4ELi16ELi64ELb0El14__hip_bfloat16EEvPKT6_PKbPfiPT5_PiiiibdPKfPKS9_SF_,"axG",@progbits,_ZN4vllm3moe22topkGatingSoftplusSqrtILi8ELi256ELi4ELi16ELi64ELb0El14__hip_bfloat16EEvPKT6_PKbPfiPT5_PiiiibdPKfPKS9_SF_,comdat
	.protected	_ZN4vllm3moe22topkGatingSoftplusSqrtILi8ELi256ELi4ELi16ELi64ELb0El14__hip_bfloat16EEvPKT6_PKbPfiPT5_PiiiibdPKfPKS9_SF_ ; -- Begin function _ZN4vllm3moe22topkGatingSoftplusSqrtILi8ELi256ELi4ELi16ELi64ELb0El14__hip_bfloat16EEvPKT6_PKbPfiPT5_PiiiibdPKfPKS9_SF_
	.globl	_ZN4vllm3moe22topkGatingSoftplusSqrtILi8ELi256ELi4ELi16ELi64ELb0El14__hip_bfloat16EEvPKT6_PKbPfiPT5_PiiiibdPKfPKS9_SF_
	.p2align	8
	.type	_ZN4vllm3moe22topkGatingSoftplusSqrtILi8ELi256ELi4ELi16ELi64ELb0El14__hip_bfloat16EEvPKT6_PKbPfiPT5_PiiiibdPKfPKS9_SF_,@function
_ZN4vllm3moe22topkGatingSoftplusSqrtILi8ELi256ELi4ELi16ELi64ELb0El14__hip_bfloat16EEvPKT6_PKbPfiPT5_PiiiibdPKfPKS9_SF_: ; @_ZN4vllm3moe22topkGatingSoftplusSqrtILi8ELi256ELi4ELi16ELi64ELb0El14__hip_bfloat16EEvPKT6_PKbPfiPT5_PiiiibdPKfPKS9_SF_
; %bb.0:
	s_load_dword s33, s[0:1], 0x18
	v_bfe_u32 v1, v0, 10, 10
	v_and_b32_e32 v0, 0x3ff, v0
	s_lshl_b32 s2, s2, 3
	v_lshlrev_b32_e32 v1, 1, v1
	v_lshrrev_b32_e32 v2, 5, v0
	v_add3_u32 v8, s2, v1, v2
	s_waitcnt lgkmcnt(0)
	v_cmp_gt_i32_e32 vcc, s33, v8
	s_and_saveexec_b64 s[2:3], vcc
	s_cbranch_execz .LBB513_65
; %bb.1:
	s_load_dwordx4 s[4:7], s[0:1], 0x0
	s_load_dwordx2 s[34:35], s[0:1], 0x10
	s_waitcnt lgkmcnt(0)
	s_cmp_eq_u64 s[6:7], 0
	s_cbranch_scc1 .LBB513_3
; %bb.2:
	v_ashrrev_i32_e32 v9, 31, v8
	v_lshl_add_u64 v[2:3], s[6:7], 0, v[8:9]
	global_load_ubyte v1, v[2:3], off
	s_waitcnt vmcnt(0)
	v_and_b32_e32 v1, 1, v1
	v_cmp_eq_u32_e32 vcc, 1, v1
	s_xor_b64 s[2:3], vcc, -1
	s_orn2_b64 s[36:37], s[2:3], exec
	s_branch .LBB513_4
.LBB513_3:
	s_mov_b64 s[36:37], -1
.LBB513_4:
	v_lshlrev_b32_e32 v4, 8, v8
	v_mov_b32_e32 v2, s4
	v_mov_b32_e32 v3, s5
	v_ashrrev_i32_e32 v5, 31, v4
	v_and_b32_e32 v9, 31, v0
	v_lshl_add_u64 v[2:3], v[4:5], 1, v[2:3]
	v_mov_b32_e32 v1, 0
	v_lshlrev_b32_e32 v0, 4, v9
	v_lshl_add_u64 v[0:1], v[2:3], 0, v[0:1]
	global_load_dwordx4 v[4:7], v[0:1], off
	s_mov_b32 s12, 0x800000
	v_mov_b32_e32 v2, 0x4f800000
	s_mov_b32 s9, 0x3f317217
	s_mov_b32 s10, 0x7f800000
	v_mov_b32_e32 v3, 0x41b17218
	s_mov_b32 s8, 0x41a00000
	s_mov_b32 s11, 0xf800000
	s_load_dwordx4 s[20:23], s[0:1], 0x40
	v_lshlrev_b32_e32 v12, 3, v9
	s_waitcnt lgkmcnt(0)
	s_cmp_lg_u64 s[22:23], 0
	s_cselect_b64 s[6:7], -1, 0
	s_and_b64 s[2:3], exec, s[6:7]
	s_waitcnt vmcnt(0)
	v_lshlrev_b32_e32 v0, 16, v4
	v_mul_f32_e32 v1, 0x3fb8aa3b, v0
	v_exp_f32_e32 v10, v1
	v_mov_b32_e32 v1, 0x260
	v_add_f32_e32 v10, 1.0, v10
	v_cmp_gt_f32_e32 vcc, s12, v10
	s_nop 1
	v_cndmask_b32_e32 v11, 1.0, v2, vcc
	v_mul_f32_e32 v10, v10, v11
	v_log_f32_e32 v11, v10
	v_cndmask_b32_e32 v13, 0, v3, vcc
	v_lshlrev_b32_e32 v10, 2, v12
	v_mul_f32_e32 v14, 0x3f317217, v11
	v_fma_f32 v14, v11, s9, -v14
	v_fmac_f32_e32 v14, 0x3377d1cf, v11
	v_fmac_f32_e32 v14, 0x3f317217, v11
	v_cmp_lt_f32_e64 vcc, |v11|, s10
	s_nop 1
	v_cndmask_b32_e32 v11, v11, v14, vcc
	v_sub_f32_e32 v11, v11, v13
	v_cmp_lt_f32_e32 vcc, s8, v0
	s_nop 1
	v_cndmask_b32_e32 v0, v11, v0, vcc
	v_mul_f32_e32 v11, 0x4f800000, v0
	v_cmp_gt_f32_e32 vcc, s11, v0
	s_nop 1
	v_cndmask_b32_e32 v0, v0, v11, vcc
	v_sqrt_f32_e32 v11, v0
	s_nop 0
	v_add_u32_e32 v13, -1, v11
	v_add_u32_e32 v14, 1, v11
	v_fma_f32 v15, -v13, v11, v0
	v_fma_f32 v16, -v14, v11, v0
	v_cmp_ge_f32_e64 s[4:5], 0, v15
	s_nop 1
	v_cndmask_b32_e64 v11, v11, v13, s[4:5]
	v_cmp_lt_f32_e64 s[4:5], 0, v16
	s_nop 1
	v_cndmask_b32_e64 v11, v11, v14, s[4:5]
	v_mul_f32_e32 v13, 0x37800000, v11
	v_cndmask_b32_e32 v11, v11, v13, vcc
	v_cmp_class_f32_e32 vcc, v0, v1
	s_nop 1
	v_cndmask_b32_e32 v0, v11, v0, vcc
	s_mov_b64 vcc, s[2:3]
	s_cbranch_vccz .LBB513_6
; %bb.5:
	global_load_dword v11, v10, s[22:23]
	s_waitcnt vmcnt(0)
	v_add_f32_e32 v0, v0, v11
.LBB513_6:
	v_and_b32_e32 v4, 0xffff0000, v4
	v_mul_f32_e32 v11, 0x3fb8aa3b, v4
	v_exp_f32_e32 v11, v11
	s_nop 0
	v_add_f32_e32 v11, 1.0, v11
	v_cmp_gt_f32_e32 vcc, s12, v11
	s_nop 1
	v_cndmask_b32_e32 v2, 1.0, v2, vcc
	v_mul_f32_e32 v2, v11, v2
	v_log_f32_e32 v2, v2
	v_cndmask_b32_e32 v3, 0, v3, vcc
	v_mul_f32_e32 v11, 0x3f317217, v2
	v_fma_f32 v11, v2, s9, -v11
	v_fmac_f32_e32 v11, 0x3377d1cf, v2
	v_fmac_f32_e32 v11, 0x3f317217, v2
	v_cmp_lt_f32_e64 vcc, |v2|, s10
	s_nop 1
	v_cndmask_b32_e32 v2, v2, v11, vcc
	v_sub_f32_e32 v2, v2, v3
	v_cmp_lt_f32_e32 vcc, s8, v4
	s_nop 1
	v_cndmask_b32_e32 v2, v2, v4, vcc
	v_mul_f32_e32 v3, 0x4f800000, v2
	v_cmp_gt_f32_e32 vcc, s11, v2
	s_nop 1
	v_cndmask_b32_e32 v2, v2, v3, vcc
	v_sqrt_f32_e32 v3, v2
	v_cmp_class_f32_e64 s[4:5], v2, v1
	v_add_u32_e32 v4, -1, v3
	v_add_u32_e32 v11, 1, v3
	v_fma_f32 v13, -v4, v3, v2
	v_fma_f32 v14, -v11, v3, v2
	v_cmp_ge_f32_e64 s[2:3], 0, v13
	s_nop 1
	v_cndmask_b32_e64 v3, v3, v4, s[2:3]
	v_cmp_lt_f32_e64 s[2:3], 0, v14
	s_nop 1
	v_cndmask_b32_e64 v3, v3, v11, s[2:3]
	v_mul_f32_e32 v4, 0x37800000, v3
	v_cndmask_b32_e32 v3, v3, v4, vcc
	v_cndmask_b32_e64 v4, 0, 1, s[6:7]
	v_cmp_ne_u32_e64 s[2:3], 1, v4
	s_andn2_b64 vcc, exec, s[6:7]
	v_cndmask_b32_e64 v1, v3, v2, s[4:5]
	s_cbranch_vccnz .LBB513_8
; %bb.7:
	global_load_dword v2, v10, s[22:23] offset:4
	s_waitcnt vmcnt(0)
	v_add_f32_e32 v1, v1, v2
.LBB513_8:
	v_lshlrev_b32_e32 v2, 16, v5
	v_mul_f32_e32 v3, 0x3fb8aa3b, v2
	v_exp_f32_e32 v3, v3
	s_mov_b32 s10, 0x800000
	v_mov_b32_e32 v4, 0x4f800000
	s_mov_b32 s7, 0x3f317217
	v_add_f32_e32 v3, 1.0, v3
	v_cmp_gt_f32_e32 vcc, s10, v3
	s_mov_b32 s8, 0x7f800000
	s_mov_b32 s6, 0x41a00000
	v_cndmask_b32_e32 v11, 1.0, v4, vcc
	v_mul_f32_e32 v3, v3, v11
	v_log_f32_e32 v3, v3
	s_mov_b32 s9, 0xf800000
	v_mul_f32_e32 v11, 0x3f317217, v3
	v_fma_f32 v11, v3, s7, -v11
	v_fmac_f32_e32 v11, 0x3377d1cf, v3
	v_fmac_f32_e32 v11, 0x3f317217, v3
	v_cmp_lt_f32_e64 s[4:5], |v3|, s8
	s_nop 1
	v_cndmask_b32_e64 v3, v3, v11, s[4:5]
	v_mov_b32_e32 v11, 0x41b17218
	v_cndmask_b32_e32 v13, 0, v11, vcc
	v_sub_f32_e32 v3, v3, v13
	v_cmp_lt_f32_e32 vcc, s6, v2
	s_nop 1
	v_cndmask_b32_e32 v2, v3, v2, vcc
	v_mul_f32_e32 v3, 0x4f800000, v2
	v_cmp_gt_f32_e32 vcc, s9, v2
	s_nop 1
	v_cndmask_b32_e32 v2, v2, v3, vcc
	v_sqrt_f32_e32 v3, v2
	s_nop 0
	v_add_u32_e32 v13, -1, v3
	v_fma_f32 v14, -v13, v3, v2
	v_cmp_ge_f32_e64 s[4:5], 0, v14
	v_add_u32_e32 v14, 1, v3
	s_nop 0
	v_cndmask_b32_e64 v13, v3, v13, s[4:5]
	v_fma_f32 v3, -v14, v3, v2
	v_cmp_lt_f32_e64 s[4:5], 0, v3
	s_nop 1
	v_cndmask_b32_e64 v3, v13, v14, s[4:5]
	v_mul_f32_e32 v13, 0x37800000, v3
	v_cndmask_b32_e32 v13, v3, v13, vcc
	v_mov_b32_e32 v3, 0x260
	v_cmp_class_f32_e64 s[4:5], v2, v3
	s_and_b64 vcc, exec, s[2:3]
	s_nop 0
	v_cndmask_b32_e64 v2, v13, v2, s[4:5]
	s_cbranch_vccnz .LBB513_10
; %bb.9:
	global_load_dword v13, v10, s[22:23] offset:8
	s_waitcnt vmcnt(0)
	v_add_f32_e32 v2, v2, v13
.LBB513_10:
	v_and_b32_e32 v5, 0xffff0000, v5
	v_mul_f32_e32 v13, 0x3fb8aa3b, v5
	v_exp_f32_e32 v13, v13
	s_nop 0
	v_add_f32_e32 v13, 1.0, v13
	v_cmp_gt_f32_e32 vcc, s10, v13
	s_nop 1
	v_cndmask_b32_e32 v4, 1.0, v4, vcc
	v_mul_f32_e32 v4, v13, v4
	v_log_f32_e32 v4, v4
	v_cndmask_b32_e32 v11, 0, v11, vcc
	v_mul_f32_e32 v13, 0x3f317217, v4
	v_fma_f32 v13, v4, s7, -v13
	v_fmac_f32_e32 v13, 0x3377d1cf, v4
	v_fmac_f32_e32 v13, 0x3f317217, v4
	v_cmp_lt_f32_e64 vcc, |v4|, s8
	s_nop 1
	v_cndmask_b32_e32 v4, v4, v13, vcc
	v_sub_f32_e32 v4, v4, v11
	v_cmp_lt_f32_e32 vcc, s6, v5
	s_nop 1
	v_cndmask_b32_e32 v4, v4, v5, vcc
	v_mul_f32_e32 v5, 0x4f800000, v4
	v_cmp_gt_f32_e32 vcc, s9, v4
	s_nop 1
	v_cndmask_b32_e32 v4, v4, v5, vcc
	v_sqrt_f32_e32 v5, v4
	s_nop 0
	v_add_u32_e32 v11, -1, v5
	v_add_u32_e32 v13, 1, v5
	v_fma_f32 v14, -v11, v5, v4
	v_fma_f32 v15, -v13, v5, v4
	v_cmp_ge_f32_e64 s[4:5], 0, v14
	s_nop 1
	v_cndmask_b32_e64 v5, v5, v11, s[4:5]
	v_cmp_lt_f32_e64 s[4:5], 0, v15
	s_nop 1
	v_cndmask_b32_e64 v5, v5, v13, s[4:5]
	v_mul_f32_e32 v11, 0x37800000, v5
	v_cndmask_b32_e32 v5, v5, v11, vcc
	v_cmp_class_f32_e64 s[4:5], v4, v3
	s_and_b64 vcc, exec, s[2:3]
	s_nop 0
	v_cndmask_b32_e64 v3, v5, v4, s[4:5]
	s_cbranch_vccnz .LBB513_12
; %bb.11:
	global_load_dword v4, v10, s[22:23] offset:12
	s_waitcnt vmcnt(0)
	v_add_f32_e32 v3, v3, v4
.LBB513_12:
	v_lshlrev_b32_e32 v4, 16, v6
	v_mul_f32_e32 v5, 0x3fb8aa3b, v4
	v_exp_f32_e32 v5, v5
	v_mov_b32_e32 v11, 0x4f800000
	v_add_f32_e32 v5, 1.0, v5
	v_cmp_gt_f32_e32 vcc, s10, v5
	s_nop 1
	v_cndmask_b32_e32 v13, 1.0, v11, vcc
	v_mul_f32_e32 v5, v5, v13
	v_log_f32_e32 v5, v5
	s_nop 0
	v_mul_f32_e32 v13, 0x3f317217, v5
	v_fma_f32 v13, v5, s7, -v13
	v_fmac_f32_e32 v13, 0x3377d1cf, v5
	v_fmac_f32_e32 v13, 0x3f317217, v5
	v_cmp_lt_f32_e64 s[4:5], |v5|, s8
	s_nop 1
	v_cndmask_b32_e64 v5, v5, v13, s[4:5]
	v_mov_b32_e32 v13, 0x41b17218
	v_cndmask_b32_e32 v14, 0, v13, vcc
	v_sub_f32_e32 v5, v5, v14
	v_cmp_lt_f32_e32 vcc, s6, v4
	s_nop 1
	v_cndmask_b32_e32 v4, v5, v4, vcc
	v_mul_f32_e32 v5, 0x4f800000, v4
	v_cmp_gt_f32_e32 vcc, s9, v4
	s_nop 1
	v_cndmask_b32_e32 v4, v4, v5, vcc
	v_sqrt_f32_e32 v5, v4
	s_nop 0
	v_add_u32_e32 v14, -1, v5
	v_fma_f32 v15, -v14, v5, v4
	v_cmp_ge_f32_e64 s[4:5], 0, v15
	v_add_u32_e32 v15, 1, v5
	s_nop 0
	v_cndmask_b32_e64 v14, v5, v14, s[4:5]
	v_fma_f32 v5, -v15, v5, v4
	v_cmp_lt_f32_e64 s[4:5], 0, v5
	s_nop 1
	v_cndmask_b32_e64 v5, v14, v15, s[4:5]
	v_mul_f32_e32 v14, 0x37800000, v5
	v_cndmask_b32_e32 v14, v5, v14, vcc
	v_mov_b32_e32 v5, 0x260
	v_cmp_class_f32_e64 s[4:5], v4, v5
	s_and_b64 vcc, exec, s[2:3]
	s_nop 0
	v_cndmask_b32_e64 v4, v14, v4, s[4:5]
	s_cbranch_vccnz .LBB513_14
; %bb.13:
	global_load_dword v14, v10, s[22:23] offset:16
	s_waitcnt vmcnt(0)
	v_add_f32_e32 v4, v4, v14
.LBB513_14:
	v_and_b32_e32 v6, 0xffff0000, v6
	v_mul_f32_e32 v14, 0x3fb8aa3b, v6
	v_exp_f32_e32 v14, v14
	s_nop 0
	v_add_f32_e32 v14, 1.0, v14
	v_cmp_gt_f32_e32 vcc, s10, v14
	s_nop 1
	v_cndmask_b32_e32 v11, 1.0, v11, vcc
	v_mul_f32_e32 v11, v14, v11
	v_log_f32_e32 v11, v11
	v_cndmask_b32_e32 v13, 0, v13, vcc
	v_mul_f32_e32 v14, 0x3f317217, v11
	v_fma_f32 v14, v11, s7, -v14
	v_fmac_f32_e32 v14, 0x3377d1cf, v11
	v_fmac_f32_e32 v14, 0x3f317217, v11
	v_cmp_lt_f32_e64 vcc, |v11|, s8
	s_nop 1
	v_cndmask_b32_e32 v11, v11, v14, vcc
	v_sub_f32_e32 v11, v11, v13
	v_cmp_lt_f32_e32 vcc, s6, v6
	s_nop 1
	v_cndmask_b32_e32 v6, v11, v6, vcc
	v_mul_f32_e32 v11, 0x4f800000, v6
	v_cmp_gt_f32_e32 vcc, s9, v6
	s_nop 1
	v_cndmask_b32_e32 v6, v6, v11, vcc
	v_sqrt_f32_e32 v11, v6
	s_nop 0
	v_add_u32_e32 v13, -1, v11
	v_add_u32_e32 v14, 1, v11
	v_fma_f32 v15, -v13, v11, v6
	v_fma_f32 v16, -v14, v11, v6
	v_cmp_ge_f32_e64 s[4:5], 0, v15
	s_nop 1
	v_cndmask_b32_e64 v11, v11, v13, s[4:5]
	v_cmp_lt_f32_e64 s[4:5], 0, v16
	s_nop 1
	v_cndmask_b32_e64 v11, v11, v14, s[4:5]
	v_mul_f32_e32 v13, 0x37800000, v11
	v_cndmask_b32_e32 v11, v11, v13, vcc
	v_cmp_class_f32_e64 s[4:5], v6, v5
	s_and_b64 vcc, exec, s[2:3]
	s_nop 0
	v_cndmask_b32_e64 v5, v11, v6, s[4:5]
	s_cbranch_vccnz .LBB513_16
; %bb.15:
	global_load_dword v6, v10, s[22:23] offset:20
	s_waitcnt vmcnt(0)
	v_add_f32_e32 v5, v5, v6
.LBB513_16:
	v_lshlrev_b32_e32 v6, 16, v7
	v_mul_f32_e32 v11, 0x3fb8aa3b, v6
	v_exp_f32_e32 v11, v11
	v_mov_b32_e32 v13, 0x4f800000
	v_add_f32_e32 v11, 1.0, v11
	v_cmp_gt_f32_e32 vcc, s10, v11
	s_nop 1
	v_cndmask_b32_e32 v14, 1.0, v13, vcc
	v_mul_f32_e32 v11, v11, v14
	v_log_f32_e32 v11, v11
	s_nop 0
	v_mul_f32_e32 v14, 0x3f317217, v11
	v_fma_f32 v14, v11, s7, -v14
	v_fmac_f32_e32 v14, 0x3377d1cf, v11
	v_fmac_f32_e32 v14, 0x3f317217, v11
	v_cmp_lt_f32_e64 s[4:5], |v11|, s8
	s_nop 1
	v_cndmask_b32_e64 v11, v11, v14, s[4:5]
	v_mov_b32_e32 v14, 0x41b17218
	v_cndmask_b32_e32 v15, 0, v14, vcc
	v_sub_f32_e32 v11, v11, v15
	v_cmp_lt_f32_e32 vcc, s6, v6
	s_nop 1
	v_cndmask_b32_e32 v6, v11, v6, vcc
	v_mul_f32_e32 v11, 0x4f800000, v6
	v_cmp_gt_f32_e32 vcc, s9, v6
	s_nop 1
	v_cndmask_b32_e32 v6, v6, v11, vcc
	v_sqrt_f32_e32 v11, v6
	s_nop 0
	v_add_u32_e32 v15, -1, v11
	v_fma_f32 v16, -v15, v11, v6
	v_cmp_ge_f32_e64 s[4:5], 0, v16
	v_add_u32_e32 v16, 1, v11
	s_nop 0
	v_cndmask_b32_e64 v15, v11, v15, s[4:5]
	v_fma_f32 v11, -v16, v11, v6
	v_cmp_lt_f32_e64 s[4:5], 0, v11
	s_nop 1
	v_cndmask_b32_e64 v11, v15, v16, s[4:5]
	v_mul_f32_e32 v15, 0x37800000, v11
	v_cndmask_b32_e32 v15, v11, v15, vcc
	v_mov_b32_e32 v11, 0x260
	v_cmp_class_f32_e64 s[4:5], v6, v11
	s_and_b64 vcc, exec, s[2:3]
	s_nop 0
	v_cndmask_b32_e64 v6, v15, v6, s[4:5]
	s_cbranch_vccnz .LBB513_18
; %bb.17:
	global_load_dword v15, v10, s[22:23] offset:24
	s_waitcnt vmcnt(0)
	v_add_f32_e32 v6, v6, v15
.LBB513_18:
	v_and_b32_e32 v7, 0xffff0000, v7
	v_mul_f32_e32 v15, 0x3fb8aa3b, v7
	v_exp_f32_e32 v15, v15
	s_nop 0
	v_add_f32_e32 v15, 1.0, v15
	v_cmp_gt_f32_e32 vcc, s10, v15
	s_nop 1
	v_cndmask_b32_e32 v13, 1.0, v13, vcc
	v_mul_f32_e32 v13, v15, v13
	v_log_f32_e32 v13, v13
	v_cndmask_b32_e32 v14, 0, v14, vcc
	v_mul_f32_e32 v15, 0x3f317217, v13
	v_fma_f32 v15, v13, s7, -v15
	v_fmac_f32_e32 v15, 0x3377d1cf, v13
	v_fmac_f32_e32 v15, 0x3f317217, v13
	v_cmp_lt_f32_e64 vcc, |v13|, s8
	s_nop 1
	v_cndmask_b32_e32 v13, v13, v15, vcc
	v_sub_f32_e32 v13, v13, v14
	v_cmp_lt_f32_e32 vcc, s6, v7
	s_nop 1
	v_cndmask_b32_e32 v7, v13, v7, vcc
	v_mul_f32_e32 v13, 0x4f800000, v7
	v_cmp_gt_f32_e32 vcc, s9, v7
	s_nop 1
	v_cndmask_b32_e32 v7, v7, v13, vcc
	v_sqrt_f32_e32 v13, v7
	s_nop 0
	v_add_u32_e32 v14, -1, v13
	v_add_u32_e32 v15, 1, v13
	v_fma_f32 v16, -v14, v13, v7
	v_fma_f32 v17, -v15, v13, v7
	v_cmp_ge_f32_e64 s[4:5], 0, v16
	s_nop 1
	v_cndmask_b32_e64 v13, v13, v14, s[4:5]
	v_cmp_lt_f32_e64 s[4:5], 0, v17
	s_nop 1
	v_cndmask_b32_e64 v13, v13, v15, s[4:5]
	v_mul_f32_e32 v14, 0x37800000, v13
	v_cndmask_b32_e32 v13, v13, v14, vcc
	v_cmp_class_f32_e64 s[4:5], v7, v11
	s_and_b64 vcc, exec, s[2:3]
	s_nop 0
	v_cndmask_b32_e64 v7, v13, v7, s[4:5]
	s_cbranch_vccnz .LBB513_20
; %bb.19:
	global_load_dword v10, v10, s[22:23] offset:28
	s_waitcnt vmcnt(0)
	v_add_f32_e32 v7, v7, v10
.LBB513_20:
	s_load_dwordx4 s[24:27], s[0:1], 0x30
	s_mov_b32 s42, 0
	v_cmp_eq_u32_e64 s[6:7], 0, v9
	s_waitcnt lgkmcnt(0)
	s_bitcmp1_b32 s27, 0
	s_cselect_b64 s[4:5], -1, 0
	s_cmp_gt_i32 s24, 0
	s_cselect_b64 s[38:39], -1, 0
	s_and_b64 vcc, exec, s[38:39]
	s_cbranch_vccz .LBB513_51
; %bb.21:
	v_mbcnt_lo_u32_b32 v10, -1, 0
	v_mbcnt_hi_u32_b32 v10, -1, v10
	v_and_b32_e32 v11, 0x60, v10
	v_add_u32_e32 v11, 32, v11
	v_xor_b32_e32 v13, 16, v10
	v_cmp_lt_i32_e32 vcc, v13, v11
	s_load_dwordx4 s[28:31], s[0:1], 0x20
	v_mul_lo_u32 v14, v8, s24
	v_cndmask_b32_e32 v13, v10, v13, vcc
	v_lshlrev_b32_e32 v15, 2, v13
	v_xor_b32_e32 v13, 8, v10
	v_cmp_lt_i32_e32 vcc, v13, v11
	v_mov_b32_e32 v20, 0x100
	v_mov_b32_e32 v21, 0xc61c4000
	v_cndmask_b32_e32 v13, v10, v13, vcc
	v_lshlrev_b32_e32 v16, 2, v13
	v_xor_b32_e32 v13, 4, v10
	v_cmp_lt_i32_e32 vcc, v13, v11
	v_mov_b32_e32 v22, v8
	s_nop 0
	v_cndmask_b32_e32 v13, v10, v13, vcc
	v_lshlrev_b32_e32 v17, 2, v13
	v_xor_b32_e32 v13, 2, v10
	v_cmp_lt_i32_e32 vcc, v13, v11
	s_nop 1
	v_cndmask_b32_e32 v13, v10, v13, vcc
	v_lshlrev_b32_e32 v18, 2, v13
	v_xor_b32_e32 v13, 1, v10
	v_cmp_lt_i32_e32 vcc, v13, v11
	s_nop 1
	v_cndmask_b32_e32 v10, v10, v13, vcc
	v_lshlrev_b32_e32 v19, 2, v10
	v_mov_b32_e32 v13, 0
	s_branch .LBB513_24
.LBB513_22:                             ;   in Loop: Header=BB513_24 Depth=1
	s_or_b64 exec, exec, s[40:41]
.LBB513_23:                             ;   in Loop: Header=BB513_24 Depth=1
	s_cmp_eq_u32 s24, s42
	v_add_u32_e32 v22, s33, v22
	s_cbranch_scc1 .LBB513_52
.LBB513_24:                             ; =>This Inner Loop Header: Depth=1
	v_cmp_gt_f32_e32 vcc, v1, v0
	s_nop 1
	v_cndmask_b32_e32 v11, v0, v1, vcc
	v_cndmask_b32_e64 v10, 0, 1, vcc
	v_cmp_gt_f32_e32 vcc, v2, v11
	s_nop 1
	v_cndmask_b32_e32 v11, v11, v2, vcc
	v_cndmask_b32_e64 v10, v10, 2, vcc
	v_cmp_gt_f32_e32 vcc, v3, v11
	s_nop 1
	v_cndmask_b32_e32 v11, v11, v3, vcc
	v_cndmask_b32_e64 v10, v10, 3, vcc
	v_cmp_gt_f32_e32 vcc, v4, v11
	s_nop 1
	v_cndmask_b32_e32 v11, v11, v4, vcc
	v_cndmask_b32_e64 v10, v10, 4, vcc
	v_cmp_gt_f32_e32 vcc, v5, v11
	s_nop 1
	v_cndmask_b32_e32 v11, v11, v5, vcc
	v_cndmask_b32_e64 v10, v10, 5, vcc
	v_cmp_gt_f32_e32 vcc, v6, v11
	s_nop 1
	v_cndmask_b32_e32 v11, v11, v6, vcc
	v_cndmask_b32_e64 v10, v10, 6, vcc
	v_cmp_gt_f32_e32 vcc, v7, v11
	s_nop 1
	v_cndmask_b32_e64 v10, v10, 7, vcc
	v_cndmask_b32_e32 v23, v11, v7, vcc
	ds_bpermute_b32 v11, v15, v23
	v_or_b32_e32 v10, v12, v10
	s_waitcnt lgkmcnt(0)
	ds_bpermute_b32 v24, v15, v10
	s_waitcnt lgkmcnt(0)
	v_cmp_lt_f32_e64 s[8:9], v23, v11
	v_cmp_nlt_f32_e32 vcc, v23, v11
	s_and_saveexec_b64 s[10:11], vcc
; %bb.25:                               ;   in Loop: Header=BB513_24 Depth=1
	v_cmp_eq_f32_e32 vcc, v23, v11
	v_cmp_lt_i32_e64 s[0:1], v24, v10
	s_and_b64 s[0:1], vcc, s[0:1]
	s_andn2_b64 s[8:9], s[8:9], exec
	s_and_b64 s[0:1], s[0:1], exec
	s_or_b64 s[8:9], s[8:9], s[0:1]
; %bb.26:                               ;   in Loop: Header=BB513_24 Depth=1
	s_or_b64 exec, exec, s[10:11]
	s_and_saveexec_b64 s[0:1], s[8:9]
; %bb.27:                               ;   in Loop: Header=BB513_24 Depth=1
	v_mov_b32_e32 v23, v11
	v_mov_b32_e32 v10, v24
; %bb.28:                               ;   in Loop: Header=BB513_24 Depth=1
	s_or_b64 exec, exec, s[0:1]
	ds_bpermute_b32 v11, v16, v23
	ds_bpermute_b32 v24, v16, v10
	s_waitcnt lgkmcnt(1)
	v_cmp_lt_f32_e64 s[8:9], v23, v11
	v_cmp_nlt_f32_e32 vcc, v23, v11
	s_and_saveexec_b64 s[10:11], vcc
	s_cbranch_execz .LBB513_30
; %bb.29:                               ;   in Loop: Header=BB513_24 Depth=1
	v_cmp_eq_f32_e32 vcc, v23, v11
	s_waitcnt lgkmcnt(0)
	v_cmp_lt_i32_e64 s[0:1], v24, v10
	s_and_b64 s[0:1], vcc, s[0:1]
	s_andn2_b64 s[8:9], s[8:9], exec
	s_and_b64 s[0:1], s[0:1], exec
	s_or_b64 s[8:9], s[8:9], s[0:1]
.LBB513_30:                             ;   in Loop: Header=BB513_24 Depth=1
	s_or_b64 exec, exec, s[10:11]
	s_and_saveexec_b64 s[0:1], s[8:9]
	s_cbranch_execz .LBB513_32
; %bb.31:                               ;   in Loop: Header=BB513_24 Depth=1
	v_mov_b32_e32 v23, v11
	s_waitcnt lgkmcnt(0)
	v_mov_b32_e32 v10, v24
.LBB513_32:                             ;   in Loop: Header=BB513_24 Depth=1
	s_or_b64 exec, exec, s[0:1]
	ds_bpermute_b32 v11, v17, v23
	s_waitcnt lgkmcnt(1)
	ds_bpermute_b32 v24, v17, v10
	s_waitcnt lgkmcnt(1)
	v_cmp_lt_f32_e64 s[8:9], v23, v11
	v_cmp_nlt_f32_e32 vcc, v23, v11
	s_and_saveexec_b64 s[10:11], vcc
	s_cbranch_execz .LBB513_34
; %bb.33:                               ;   in Loop: Header=BB513_24 Depth=1
	v_cmp_eq_f32_e32 vcc, v23, v11
	s_waitcnt lgkmcnt(0)
	v_cmp_lt_i32_e64 s[0:1], v24, v10
	s_and_b64 s[0:1], vcc, s[0:1]
	s_andn2_b64 s[8:9], s[8:9], exec
	s_and_b64 s[0:1], s[0:1], exec
	s_or_b64 s[8:9], s[8:9], s[0:1]
.LBB513_34:                             ;   in Loop: Header=BB513_24 Depth=1
	s_or_b64 exec, exec, s[10:11]
	s_and_saveexec_b64 s[0:1], s[8:9]
	s_cbranch_execz .LBB513_36
; %bb.35:                               ;   in Loop: Header=BB513_24 Depth=1
	v_mov_b32_e32 v23, v11
	s_waitcnt lgkmcnt(0)
	v_mov_b32_e32 v10, v24
.LBB513_36:                             ;   in Loop: Header=BB513_24 Depth=1
	s_or_b64 exec, exec, s[0:1]
	ds_bpermute_b32 v11, v18, v23
	s_waitcnt lgkmcnt(1)
	;; [unrolled: 26-line block ×3, first 2 shown]
	ds_bpermute_b32 v24, v19, v10
	s_waitcnt lgkmcnt(1)
	v_cmp_lt_f32_e64 s[8:9], v23, v11
	v_cmp_nlt_f32_e32 vcc, v23, v11
	s_and_saveexec_b64 s[10:11], vcc
	s_cbranch_execnz .LBB513_44
; %bb.41:                               ;   in Loop: Header=BB513_24 Depth=1
	s_or_b64 exec, exec, s[10:11]
	s_and_saveexec_b64 s[0:1], s[8:9]
	s_cbranch_execnz .LBB513_45
.LBB513_42:                             ;   in Loop: Header=BB513_24 Depth=1
	s_or_b64 exec, exec, s[0:1]
	s_and_saveexec_b64 s[8:9], s[6:7]
	s_cbranch_execnz .LBB513_46
.LBB513_43:                             ;   in Loop: Header=BB513_24 Depth=1
	s_or_b64 exec, exec, s[8:9]
	s_add_i32 s42, s42, 1
	s_cmp_ge_i32 s42, s24
	s_cbranch_scc1 .LBB513_23
	s_branch .LBB513_49
.LBB513_44:                             ;   in Loop: Header=BB513_24 Depth=1
	v_cmp_eq_f32_e32 vcc, v23, v11
	s_waitcnt lgkmcnt(0)
	v_cmp_lt_i32_e64 s[0:1], v24, v10
	s_and_b64 s[0:1], vcc, s[0:1]
	s_andn2_b64 s[8:9], s[8:9], exec
	s_and_b64 s[0:1], s[0:1], exec
	s_or_b64 s[8:9], s[8:9], s[0:1]
	s_or_b64 exec, exec, s[10:11]
	s_and_saveexec_b64 s[0:1], s[8:9]
	s_cbranch_execz .LBB513_42
.LBB513_45:                             ;   in Loop: Header=BB513_24 Depth=1
	s_waitcnt lgkmcnt(0)
	v_mov_b32_e32 v10, v24
	v_mov_b32_e32 v23, v11
	s_or_b64 exec, exec, s[0:1]
	s_and_saveexec_b64 s[8:9], s[6:7]
	s_cbranch_execz .LBB513_43
.LBB513_46:                             ;   in Loop: Header=BB513_24 Depth=1
	s_and_b64 vcc, exec, s[2:3]
	s_cbranch_vccnz .LBB513_48
; %bb.47:                               ;   in Loop: Header=BB513_24 Depth=1
	v_ashrrev_i32_e32 v11, 31, v10
	s_waitcnt lgkmcnt(0)
	v_lshl_add_u64 v[24:25], v[10:11], 2, s[22:23]
	global_load_dword v11, v[24:25], off
	s_waitcnt vmcnt(0)
	v_sub_f32_e32 v23, v23, v11
.LBB513_48:                             ;   in Loop: Header=BB513_24 Depth=1
	s_waitcnt lgkmcnt(0)
	v_add_u32_e32 v24, s42, v14
	v_ashrrev_i32_e32 v25, 31, v24
	v_cmp_le_i32_e32 vcc, s25, v10
	v_cmp_gt_i32_e64 s[0:1], s26, v10
	v_lshlrev_b64 v[26:27], 2, v[24:25]
	s_and_b64 s[0:1], vcc, s[0:1]
	v_lshl_add_u64 v[28:29], s[34:35], 0, v[26:27]
	v_subrev_u32_e32 v11, s25, v10
	global_store_dword v[28:29], v23, off
	v_ashrrev_i32_e32 v28, 31, v11
	s_and_b64 vcc, s[36:37], s[0:1]
	v_cndmask_b32_e32 v29, 0, v28, vcc
	v_cndmask_b32_e32 v28, v20, v11, vcc
	v_lshl_add_u64 v[24:25], v[24:25], 3, s[28:29]
	v_add_f32_e32 v11, v13, v23
	global_store_dwordx2 v[24:25], v[28:29], off
	v_lshl_add_u64 v[24:25], s[30:31], 0, v[26:27]
	v_cndmask_b32_e64 v13, v13, v11, s[4:5]
	global_store_dword v[24:25], v22, off
	s_or_b64 exec, exec, s[8:9]
	s_add_i32 s42, s42, 1
	s_cmp_ge_i32 s42, s24
	s_cbranch_scc1 .LBB513_23
.LBB513_49:                             ;   in Loop: Header=BB513_24 Depth=1
	v_ashrrev_i32_e32 v11, 31, v10
	v_lshrrev_b32_e32 v23, 29, v11
	s_waitcnt lgkmcnt(0)
	v_add_u32_e32 v24, v10, v23
	v_ashrrev_i32_e32 v23, 3, v24
	v_ashrrev_i32_e32 v24, 31, v24
	v_lshrrev_b32_e32 v24, 27, v24
	v_add_u32_e32 v24, v23, v24
	v_and_b32_e32 v24, 0xffffffe0, v24
	v_sub_u32_e32 v24, v23, v24
	v_cmp_eq_u32_e32 vcc, v9, v24
	s_and_saveexec_b64 s[40:41], vcc
	s_cbranch_execz .LBB513_22
; %bb.50:                               ;   in Loop: Header=BB513_24 Depth=1
	v_add_u32_sdwa v11, v10, v11 dst_sel:DWORD dst_unused:UNUSED_PAD src0_sel:DWORD src1_sel:BYTE_3
	v_lshlrev_b32_e32 v23, 3, v23
	v_sub_u32_e32 v10, v10, v23
	v_ashrrev_i32_e32 v11, 8, v11
	v_lshl_add_u32 v10, v11, 3, v10
	v_cmp_ne_u32_e32 vcc, 6, v10
	v_cmp_ne_u32_e64 s[0:1], 5, v10
	v_cmp_ne_u32_e64 s[8:9], 4, v10
	;; [unrolled: 1-line block ×7, first 2 shown]
	v_cndmask_b32_e32 v6, v21, v6, vcc
	v_cndmask_b32_e64 v5, v21, v5, s[0:1]
	v_cndmask_b32_e64 v7, v21, v7, s[18:19]
	;; [unrolled: 1-line block ×7, first 2 shown]
	s_branch .LBB513_22
.LBB513_51:
	v_mov_b32_e32 v13, 0
.LBB513_52:
	v_cmp_eq_u32_e32 vcc, 0, v9
	s_and_b64 exec, exec, vcc
	s_cbranch_execz .LBB513_65
; %bb.53:
	s_andn2_b64 vcc, exec, s[4:5]
	v_cvt_f32_f64_e32 v0, s[20:21]
	s_cbranch_vccnz .LBB513_55
; %bb.54:
	v_cmp_lt_f32_e32 vcc, 0, v13
	s_nop 1
	v_cndmask_b32_e32 v1, 1.0, v13, vcc
	v_div_scale_f32 v2, s[0:1], v1, v1, v0
	v_rcp_f32_e32 v3, v2
	s_nop 0
	v_fma_f32 v4, -v2, v3, 1.0
	v_fmac_f32_e32 v3, v4, v3
	v_div_scale_f32 v4, vcc, v0, v1, v0
	v_mul_f32_e32 v5, v4, v3
	v_fma_f32 v6, -v2, v5, v4
	v_fmac_f32_e32 v5, v6, v3
	v_fma_f32 v2, -v2, v5, v4
	v_div_fmas_f32 v2, v2, v3, v5
	v_div_fixup_f32 v0, v2, v1, v0
.LBB513_55:
	s_andn2_b64 vcc, exec, s[38:39]
	s_cbranch_vccnz .LBB513_65
; %bb.56:
	v_mul_lo_u32 v2, v8, s24
	s_cmp_gt_u32 s24, 3
	v_ashrrev_i32_e32 v3, 31, v2
	s_cbranch_scc0 .LBB513_60
; %bb.57:
	s_and_b32 s0, s24, 0x7ffffffc
	v_lshl_add_u64 v[4:5], v[2:3], 2, s[34:35]
	v_mov_b32_e32 v1, v0
	v_lshl_add_u64 v[4:5], v[4:5], 0, 8
	s_mov_b32 s1, s0
.LBB513_58:                             ; =>This Inner Loop Header: Depth=1
	global_load_dwordx4 v[6:9], v[4:5], off offset:-8
	s_add_i32 s1, s1, -4
	s_cmp_lg_u32 s1, 0
	s_waitcnt vmcnt(0)
	v_pk_mul_f32 v[6:7], v[0:1], v[6:7]
	v_pk_mul_f32 v[8:9], v[0:1], v[8:9]
	global_store_dwordx4 v[4:5], v[6:9], off offset:-8
	v_lshl_add_u64 v[4:5], v[4:5], 0, 16
	s_cbranch_scc1 .LBB513_58
; %bb.59:
	s_cmp_lg_u32 s0, s24
	s_cselect_b64 s[2:3], -1, 0
	s_branch .LBB513_62
.LBB513_60:
	s_mov_b64 s[2:3], 0
                                        ; implicit-def: $sgpr0
	s_cbranch_execz .LBB513_62
; %bb.61:
	s_mov_b64 s[2:3], -1
	s_mov_b32 s0, 0
.LBB513_62:
	s_andn2_b64 vcc, exec, s[2:3]
	s_cbranch_vccnz .LBB513_65
; %bb.63:
	s_mov_b32 s1, 0
	v_lshl_add_u64 v[2:3], v[2:3], 0, s[0:1]
	s_sub_i32 s2, s24, s0
	v_lshl_add_u64 v[2:3], v[2:3], 2, s[34:35]
.LBB513_64:                             ; =>This Inner Loop Header: Depth=1
	global_load_dword v1, v[2:3], off
	s_add_i32 s2, s2, -1
	s_cmp_lg_u32 s2, 0
	s_waitcnt vmcnt(0)
	v_mul_f32_e32 v1, v0, v1
	global_store_dword v[2:3], v1, off
	v_lshl_add_u64 v[2:3], v[2:3], 0, 4
	s_cbranch_scc1 .LBB513_64
.LBB513_65:
	s_endpgm
	.section	.rodata,"a",@progbits
	.p2align	6, 0x0
	.amdhsa_kernel _ZN4vllm3moe22topkGatingSoftplusSqrtILi8ELi256ELi4ELi16ELi64ELb0El14__hip_bfloat16EEvPKT6_PKbPfiPT5_PiiiibdPKfPKS9_SF_
		.amdhsa_group_segment_fixed_size 0
		.amdhsa_private_segment_fixed_size 0
		.amdhsa_kernarg_size 96
		.amdhsa_user_sgpr_count 2
		.amdhsa_user_sgpr_dispatch_ptr 0
		.amdhsa_user_sgpr_queue_ptr 0
		.amdhsa_user_sgpr_kernarg_segment_ptr 1
		.amdhsa_user_sgpr_dispatch_id 0
		.amdhsa_user_sgpr_kernarg_preload_length 0
		.amdhsa_user_sgpr_kernarg_preload_offset 0
		.amdhsa_user_sgpr_private_segment_size 0
		.amdhsa_uses_dynamic_stack 0
		.amdhsa_enable_private_segment 0
		.amdhsa_system_sgpr_workgroup_id_x 1
		.amdhsa_system_sgpr_workgroup_id_y 0
		.amdhsa_system_sgpr_workgroup_id_z 0
		.amdhsa_system_sgpr_workgroup_info 0
		.amdhsa_system_vgpr_workitem_id 1
		.amdhsa_next_free_vgpr 30
		.amdhsa_next_free_sgpr 43
		.amdhsa_accum_offset 32
		.amdhsa_reserve_vcc 1
		.amdhsa_float_round_mode_32 0
		.amdhsa_float_round_mode_16_64 0
		.amdhsa_float_denorm_mode_32 3
		.amdhsa_float_denorm_mode_16_64 3
		.amdhsa_dx10_clamp 1
		.amdhsa_ieee_mode 1
		.amdhsa_fp16_overflow 0
		.amdhsa_tg_split 0
		.amdhsa_exception_fp_ieee_invalid_op 0
		.amdhsa_exception_fp_denorm_src 0
		.amdhsa_exception_fp_ieee_div_zero 0
		.amdhsa_exception_fp_ieee_overflow 0
		.amdhsa_exception_fp_ieee_underflow 0
		.amdhsa_exception_fp_ieee_inexact 0
		.amdhsa_exception_int_div_zero 0
	.end_amdhsa_kernel
	.section	.text._ZN4vllm3moe22topkGatingSoftplusSqrtILi8ELi256ELi4ELi16ELi64ELb0El14__hip_bfloat16EEvPKT6_PKbPfiPT5_PiiiibdPKfPKS9_SF_,"axG",@progbits,_ZN4vllm3moe22topkGatingSoftplusSqrtILi8ELi256ELi4ELi16ELi64ELb0El14__hip_bfloat16EEvPKT6_PKbPfiPT5_PiiiibdPKfPKS9_SF_,comdat
.Lfunc_end513:
	.size	_ZN4vllm3moe22topkGatingSoftplusSqrtILi8ELi256ELi4ELi16ELi64ELb0El14__hip_bfloat16EEvPKT6_PKbPfiPT5_PiiiibdPKfPKS9_SF_, .Lfunc_end513-_ZN4vllm3moe22topkGatingSoftplusSqrtILi8ELi256ELi4ELi16ELi64ELb0El14__hip_bfloat16EEvPKT6_PKbPfiPT5_PiiiibdPKfPKS9_SF_
                                        ; -- End function
	.section	.AMDGPU.csdata,"",@progbits
; Kernel info:
; codeLenInByte = 4140
; NumSgprs: 49
; NumVgprs: 30
; NumAgprs: 0
; TotalNumVgprs: 30
; ScratchSize: 0
; MemoryBound: 0
; FloatMode: 240
; IeeeMode: 1
; LDSByteSize: 0 bytes/workgroup (compile time only)
; SGPRBlocks: 6
; VGPRBlocks: 3
; NumSGPRsForWavesPerEU: 49
; NumVGPRsForWavesPerEU: 30
; AccumOffset: 32
; Occupancy: 8
; WaveLimiterHint : 0
; COMPUTE_PGM_RSRC2:SCRATCH_EN: 0
; COMPUTE_PGM_RSRC2:USER_SGPR: 2
; COMPUTE_PGM_RSRC2:TRAP_HANDLER: 0
; COMPUTE_PGM_RSRC2:TGID_X_EN: 1
; COMPUTE_PGM_RSRC2:TGID_Y_EN: 0
; COMPUTE_PGM_RSRC2:TGID_Z_EN: 0
; COMPUTE_PGM_RSRC2:TIDIG_COMP_CNT: 1
; COMPUTE_PGM_RSRC3_GFX90A:ACCUM_OFFSET: 7
; COMPUTE_PGM_RSRC3_GFX90A:TG_SPLIT: 0
	.section	.text._ZN4vllm3moe22topkGatingSoftplusSqrtILi8ELi256ELi4ELi16ELi32ELb1El14__hip_bfloat16EEvPKT6_PKbPfiPT5_PiiiibdPKfPKS9_SF_,"axG",@progbits,_ZN4vllm3moe22topkGatingSoftplusSqrtILi8ELi256ELi4ELi16ELi32ELb1El14__hip_bfloat16EEvPKT6_PKbPfiPT5_PiiiibdPKfPKS9_SF_,comdat
	.protected	_ZN4vllm3moe22topkGatingSoftplusSqrtILi8ELi256ELi4ELi16ELi32ELb1El14__hip_bfloat16EEvPKT6_PKbPfiPT5_PiiiibdPKfPKS9_SF_ ; -- Begin function _ZN4vllm3moe22topkGatingSoftplusSqrtILi8ELi256ELi4ELi16ELi32ELb1El14__hip_bfloat16EEvPKT6_PKbPfiPT5_PiiiibdPKfPKS9_SF_
	.globl	_ZN4vllm3moe22topkGatingSoftplusSqrtILi8ELi256ELi4ELi16ELi32ELb1El14__hip_bfloat16EEvPKT6_PKbPfiPT5_PiiiibdPKfPKS9_SF_
	.p2align	8
	.type	_ZN4vllm3moe22topkGatingSoftplusSqrtILi8ELi256ELi4ELi16ELi32ELb1El14__hip_bfloat16EEvPKT6_PKbPfiPT5_PiiiibdPKfPKS9_SF_,@function
_ZN4vllm3moe22topkGatingSoftplusSqrtILi8ELi256ELi4ELi16ELi32ELb1El14__hip_bfloat16EEvPKT6_PKbPfiPT5_PiiiibdPKfPKS9_SF_: ; @_ZN4vllm3moe22topkGatingSoftplusSqrtILi8ELi256ELi4ELi16ELi32ELb1El14__hip_bfloat16EEvPKT6_PKbPfiPT5_PiiiibdPKfPKS9_SF_
; %bb.0:
	s_load_dword s3, s[0:1], 0x18
	v_and_b32_e32 v8, 0x3ff, v0
	s_lshl_b32 s2, s2, 2
	v_lshrrev_b32_e32 v1, 5, v8
	v_bfe_u32 v0, v0, 10, 10
	v_add3_u32 v6, s2, v0, v1
	s_waitcnt lgkmcnt(0)
	v_cmp_gt_i32_e32 vcc, s3, v6
	s_and_saveexec_b64 s[2:3], vcc
	s_cbranch_execz .LBB514_31
; %bb.1:
	s_load_dwordx4 s[8:11], s[0:1], 0x50
	s_load_dwordx2 s[2:3], s[0:1], 0x0
	s_load_dword s12, s[0:1], 0x30
	v_lshlrev_b32_e32 v0, 8, v6
	v_lshlrev_b32_e32 v4, 3, v8
	v_ashrrev_i32_e32 v1, 31, v0
	v_and_b32_e32 v12, 0xf8, v4
	s_waitcnt lgkmcnt(0)
	v_mov_b32_e32 v2, s8
	v_mov_b32_e32 v3, s9
	v_lshl_add_u64 v[0:1], v[0:1], 1, s[2:3]
	v_lshlrev_b32_e32 v4, 1, v12
	v_mov_b32_e32 v5, 0
	v_ashrrev_i32_e32 v7, 31, v6
	v_lshl_add_u64 v[2:3], v[6:7], 3, v[2:3]
	v_lshl_add_u64 v[0:1], v[0:1], 0, v[4:5]
	global_load_dwordx2 v[10:11], v[2:3], off
	s_ashr_i32 s13, s12, 31
	global_load_dwordx4 v[0:3], v[0:1], off
	s_mov_b32 s23, 0x800000
	v_mov_b32_e32 v4, 0x4f800000
	s_mov_b32 s21, 0x3f317217
	s_mov_b32 s22, 0x7f800000
	v_mov_b32_e32 v7, 0x41b17218
	s_mov_b32 s17, 0x41a00000
	s_mov_b32 s20, 0xf800000
	v_mov_b32_e32 v9, 0x260
	v_cmp_lt_i64_e64 s[18:19], s[12:13], 1
	s_mov_b32 s16, 0
	v_cmp_gt_i64_e64 s[14:15], s[12:13], 0
	s_waitcnt vmcnt(1)
	v_mul_lo_u32 v11, v11, s12
	v_mul_lo_u32 v13, v10, s13
	s_waitcnt vmcnt(0)
	v_and_b32_e32 v18, 0xffff0000, v0
	v_lshlrev_b32_e32 v19, 16, v0
	v_and_b32_e32 v20, 0xffff0000, v1
	v_lshlrev_b32_e32 v21, 16, v1
	v_mul_f32_e32 v0, 0x3fb8aa3b, v19
	v_mul_f32_e32 v1, 0x3fb8aa3b, v18
	v_exp_f32_e32 v14, v0
	v_exp_f32_e32 v15, v1
	v_mul_f32_e32 v16, 0x3fb8aa3b, v21
	v_mul_f32_e32 v17, 0x3fb8aa3b, v20
	v_exp_f32_e32 v16, v16
	v_exp_f32_e32 v17, v17
	v_mad_u64_u32 v[0:1], s[2:3], v10, s12, 0
	v_add3_u32 v1, v1, v13, v11
	v_pk_add_f32 v[10:11], v[14:15], 1.0 op_sel_hi:[1,0]
	v_pk_add_f32 v[14:15], v[16:17], 1.0 op_sel_hi:[1,0]
	v_cmp_gt_f32_e32 vcc, s23, v11
	v_cmp_gt_f32_e64 s[2:3], s23, v10
	v_cmp_gt_f32_e64 s[6:7], s23, v14
	v_cndmask_b32_e32 v13, 1.0, v4, vcc
	v_cndmask_b32_e64 v16, 1.0, v4, s[2:3]
	v_mul_f32_e32 v11, v11, v13
	v_mul_f32_e32 v10, v10, v16
	v_log_f32_e32 v11, v11
	v_log_f32_e32 v10, v10
	v_cmp_gt_f32_e64 s[4:5], s23, v15
	v_cndmask_b32_e64 v22, 1.0, v4, s[6:7]
	v_mul_f32_e32 v14, v14, v22
	v_cndmask_b32_e64 v17, 1.0, v4, s[4:5]
	v_mul_f32_e32 v15, v15, v17
	v_log_f32_e32 v22, v14
	v_mul_f32_e32 v14, 0x3f317217, v11
	v_log_f32_e32 v17, v15
	v_mul_f32_e32 v15, 0x3f317217, v10
	v_fma_f32 v14, v11, s21, -v14
	v_fma_f32 v15, v10, s21, -v15
	v_fmac_f32_e32 v14, 0x3377d1cf, v11
	v_cndmask_b32_e32 v13, 0, v7, vcc
	v_fmac_f32_e32 v15, 0x3377d1cf, v10
	v_fmac_f32_e32 v14, 0x3f317217, v11
	v_cmp_lt_f32_e64 vcc, |v11|, s22
	v_fmac_f32_e32 v15, 0x3f317217, v10
	v_cndmask_b32_e64 v16, 0, v7, s[2:3]
	v_cndmask_b32_e32 v11, v11, v14, vcc
	v_cmp_lt_f32_e64 vcc, |v10|, s22
	v_sub_f32_e32 v11, v11, v13
	v_mul_f32_e32 v23, 0x3f317217, v17
	v_cndmask_b32_e32 v10, v10, v15, vcc
	v_sub_f32_e32 v10, v10, v16
	v_cmp_lt_f32_e32 vcc, s17, v19
	v_fma_f32 v23, v17, s21, -v23
	v_fmac_f32_e32 v23, 0x3377d1cf, v17
	v_cndmask_b32_e32 v10, v10, v19, vcc
	v_cmp_lt_f32_e32 vcc, s17, v18
	v_mul_f32_e32 v14, 0x4f800000, v10
	v_cmp_gt_f32_e64 s[2:3], s20, v10
	v_cndmask_b32_e32 v11, v11, v18, vcc
	v_mul_f32_e32 v13, 0x4f800000, v11
	v_cmp_gt_f32_e32 vcc, s20, v11
	v_cndmask_b32_e64 v10, v10, v14, s[2:3]
	v_sqrt_f32_e32 v14, v10
	v_cndmask_b32_e32 v11, v11, v13, vcc
	v_sqrt_f32_e32 v13, v11
	v_fmac_f32_e32 v23, 0x3f317217, v17
	v_add_u32_e32 v18, -1, v14
	v_fma_f32 v26, -v18, v14, v10
	v_add_u32_e32 v15, -1, v13
	v_fma_f32 v24, -v15, v13, v11
	v_add_u32_e32 v16, 1, v13
	v_cmp_ge_f32_e64 s[8:9], 0, v24
	v_add_u32_e32 v19, 1, v14
	v_fma_f32 v25, -v16, v13, v11
	v_cndmask_b32_e64 v13, v13, v15, s[8:9]
	v_cmp_ge_f32_e64 s[8:9], 0, v26
	v_fma_f32 v27, -v19, v14, v10
	s_nop 0
	v_cndmask_b32_e64 v14, v14, v18, s[8:9]
	v_cmp_lt_f32_e64 s[8:9], 0, v25
	s_nop 1
	v_cndmask_b32_e64 v13, v13, v16, s[8:9]
	v_cmp_lt_f32_e64 s[8:9], 0, v27
	v_mul_f32_e32 v15, 0x37800000, v13
	v_cndmask_b32_e32 v13, v13, v15, vcc
	v_cndmask_b32_e64 v14, v14, v19, s[8:9]
	v_mul_f32_e32 v16, 0x37800000, v14
	v_cmp_class_f32_e32 vcc, v11, v9
	v_cndmask_b32_e64 v14, v14, v16, s[2:3]
	v_cmp_lt_f32_e64 s[2:3], s17, v21
	v_cndmask_b32_e32 v15, v13, v11, vcc
	v_cmp_class_f32_e32 vcc, v10, v9
	v_cndmask_b32_e64 v11, 0, v7, s[4:5]
	v_cndmask_b32_e64 v13, 0, v7, s[6:7]
	v_cndmask_b32_e32 v14, v14, v10, vcc
	v_cmp_lt_f32_e64 vcc, |v17|, s22
	s_nop 1
	v_cndmask_b32_e32 v10, v17, v23, vcc
	v_sub_f32_e32 v10, v10, v11
	v_mul_f32_e32 v11, 0x3f317217, v22
	v_fma_f32 v11, v22, s21, -v11
	v_fmac_f32_e32 v11, 0x3377d1cf, v22
	v_fmac_f32_e32 v11, 0x3f317217, v22
	v_cmp_lt_f32_e64 vcc, |v22|, s22
	s_nop 1
	v_cndmask_b32_e32 v11, v22, v11, vcc
	v_cmp_lt_f32_e32 vcc, s17, v20
	v_sub_f32_e32 v11, v11, v13
	v_cndmask_b32_e64 v11, v11, v21, s[2:3]
	v_cndmask_b32_e32 v10, v10, v20, vcc
	v_mul_f32_e32 v16, 0x4f800000, v10
	v_cmp_gt_f32_e32 vcc, s20, v10
	v_and_b32_e32 v20, 0xffff0000, v2
	v_lshlrev_b32_e32 v2, 16, v2
	v_cndmask_b32_e32 v10, v10, v16, vcc
	v_sqrt_f32_e32 v16, v10
	s_nop 0
	v_add_u32_e32 v13, -1, v16
	v_fma_f32 v17, -v13, v16, v10
	v_cmp_ge_f32_e64 s[2:3], 0, v17
	v_add_u32_e32 v17, 1, v16
	s_nop 0
	v_cndmask_b32_e64 v13, v16, v13, s[2:3]
	v_fma_f32 v16, -v17, v16, v10
	v_cmp_lt_f32_e64 s[2:3], 0, v16
	s_nop 1
	v_cndmask_b32_e64 v13, v13, v17, s[2:3]
	v_mul_f32_e32 v17, 0x4f800000, v11
	v_cmp_gt_f32_e64 s[2:3], s20, v11
	v_mul_f32_e32 v16, 0x37800000, v13
	v_cndmask_b32_e32 v13, v13, v16, vcc
	v_cndmask_b32_e64 v18, v11, v17, s[2:3]
	v_sqrt_f32_e32 v11, v18
	v_cmp_class_f32_e32 vcc, v10, v9
	v_add_u32_e32 v16, 1, v11
	s_nop 0
	v_cndmask_b32_e32 v17, v13, v10, vcc
	v_add_u32_e32 v10, -1, v11
	v_fma_f32 v13, -v10, v11, v18
	v_cmp_ge_f32_e32 vcc, 0, v13
	v_fma_f32 v19, -v16, v11, v18
	s_nop 0
	v_cndmask_b32_e32 v13, v11, v10, vcc
	v_mul_f32_e32 v10, 0x3fb8aa3b, v2
	v_mul_f32_e32 v11, 0x3fb8aa3b, v20
	v_exp_f32_e32 v10, v10
	v_exp_f32_e32 v11, v11
	v_cmp_lt_f32_e32 vcc, 0, v19
	v_pk_add_f32 v[10:11], v[10:11], 1.0 op_sel_hi:[1,0]
	s_nop 0
	v_cndmask_b32_e32 v13, v13, v16, vcc
	v_mul_f32_e32 v16, 0x37800000, v13
	v_cmp_gt_f32_e32 vcc, s23, v11
	v_cndmask_b32_e64 v13, v13, v16, s[2:3]
	v_cmp_class_f32_e64 s[2:3], v18, v9
	v_cndmask_b32_e32 v16, 1.0, v4, vcc
	v_mul_f32_e32 v11, v11, v16
	v_log_f32_e32 v11, v11
	v_cndmask_b32_e64 v16, v13, v18, s[2:3]
	v_cmp_gt_f32_e64 s[2:3], s23, v10
	scratch_store_dwordx4 off, v[14:17], off
	v_mul_f32_e32 v13, 0x3f317217, v11
	v_fma_f32 v13, v11, s21, -v13
	v_cndmask_b32_e64 v14, 1.0, v4, s[2:3]
	v_mul_f32_e32 v10, v10, v14
	v_log_f32_e32 v10, v10
	v_fmac_f32_e32 v13, 0x3377d1cf, v11
	v_fmac_f32_e32 v13, 0x3f317217, v11
	v_cmp_lt_f32_e64 s[4:5], |v11|, s22
	v_and_b32_e32 v16, 0xffff0000, v3
	v_lshlrev_b32_e32 v17, 16, v3
	v_cndmask_b32_e64 v11, v11, v13, s[4:5]
	v_cndmask_b32_e32 v13, 0, v7, vcc
	v_sub_f32_e32 v11, v11, v13
	v_mul_f32_e32 v13, 0x3f317217, v10
	v_fma_f32 v13, v10, s21, -v13
	v_fmac_f32_e32 v13, 0x3377d1cf, v10
	v_fmac_f32_e32 v13, 0x3f317217, v10
	v_cmp_lt_f32_e64 vcc, |v10|, s22
	v_mul_f32_e32 v3, 0x3fb8aa3b, v16
	v_exp_f32_e32 v3, v3
	v_cndmask_b32_e32 v10, v10, v13, vcc
	v_cmp_lt_f32_e32 vcc, s17, v20
	v_cndmask_b32_e64 v13, 0, v7, s[2:3]
	v_sub_f32_e32 v10, v10, v13
	v_cndmask_b32_e32 v11, v11, v20, vcc
	v_mul_f32_e32 v14, 0x4f800000, v11
	v_cmp_gt_f32_e32 vcc, s20, v11
	v_cmp_lt_f32_e64 s[2:3], s17, v2
	s_nop 0
	v_cndmask_b32_e32 v11, v11, v14, vcc
	v_sqrt_f32_e32 v14, v11
	v_cndmask_b32_e64 v2, v10, v2, s[2:3]
	v_add_u32_e32 v10, -1, v14
	v_fma_f32 v13, -v10, v14, v11
	v_cmp_ge_f32_e64 s[2:3], 0, v13
	v_add_u32_e32 v13, 1, v14
	s_nop 0
	v_cndmask_b32_e64 v10, v14, v10, s[2:3]
	v_fma_f32 v14, -v13, v14, v11
	v_cmp_lt_f32_e64 s[2:3], 0, v14
	v_mul_f32_e32 v14, 0x4f800000, v2
	s_nop 0
	v_cndmask_b32_e64 v10, v10, v13, s[2:3]
	v_cmp_gt_f32_e64 s[2:3], s20, v2
	v_mul_f32_e32 v13, 0x37800000, v10
	v_cndmask_b32_e32 v10, v10, v13, vcc
	v_cndmask_b32_e64 v14, v2, v14, s[2:3]
	v_sqrt_f32_e32 v2, v14
	v_cmp_class_f32_e32 vcc, v11, v9
	s_nop 1
	v_cndmask_b32_e32 v15, v10, v11, vcc
	v_add_u32_e32 v10, -1, v2
	v_fma_f32 v11, -v10, v2, v14
	v_cmp_ge_f32_e32 vcc, 0, v11
	v_add_u32_e32 v11, 1, v2
	v_fma_f32 v13, -v11, v2, v14
	v_cndmask_b32_e32 v10, v2, v10, vcc
	v_mul_f32_e32 v2, 0x3fb8aa3b, v17
	v_exp_f32_e32 v2, v2
	v_cmp_lt_f32_e32 vcc, 0, v13
	v_pk_add_f32 v[2:3], v[2:3], 1.0 op_sel_hi:[1,0]
	s_nop 0
	v_cndmask_b32_e32 v10, v10, v11, vcc
	v_cmp_gt_f32_e32 vcc, s23, v3
	v_mul_f32_e32 v11, 0x37800000, v10
	v_cndmask_b32_e64 v10, v10, v11, s[2:3]
	v_cndmask_b32_e32 v13, 1.0, v4, vcc
	v_mul_f32_e32 v3, v3, v13
	v_log_f32_e32 v3, v3
	v_cmp_class_f32_e64 s[2:3], v14, v9
	v_cmp_lt_f32_e64 s[4:5], |v3|, s22
	s_nop 0
	v_cndmask_b32_e64 v14, v10, v14, s[2:3]
	v_cmp_gt_f32_e64 s[2:3], s23, v2
	v_mul_f32_e32 v10, 0x3f317217, v3
	v_fma_f32 v10, v3, s21, -v10
	v_cndmask_b32_e64 v4, 1.0, v4, s[2:3]
	v_mul_f32_e32 v2, v2, v4
	v_log_f32_e32 v2, v2
	v_fmac_f32_e32 v10, 0x3377d1cf, v3
	v_fmac_f32_e32 v10, 0x3f317217, v3
	v_cndmask_b32_e64 v3, v3, v10, s[4:5]
	v_cndmask_b32_e32 v4, 0, v7, vcc
	v_sub_f32_e32 v3, v3, v4
	v_mul_f32_e32 v4, 0x3f317217, v2
	v_fma_f32 v4, v2, s21, -v4
	v_fmac_f32_e32 v4, 0x3377d1cf, v2
	v_fmac_f32_e32 v4, 0x3f317217, v2
	v_cmp_lt_f32_e64 vcc, |v2|, s22
	s_nop 1
	v_cndmask_b32_e32 v2, v2, v4, vcc
	v_cmp_lt_f32_e32 vcc, s17, v16
	v_cndmask_b32_e64 v4, 0, v7, s[2:3]
	v_sub_f32_e32 v2, v2, v4
	v_cndmask_b32_e32 v3, v3, v16, vcc
	v_mul_f32_e32 v7, 0x4f800000, v3
	v_cmp_gt_f32_e32 vcc, s20, v3
	v_cmp_lt_f32_e64 s[2:3], s17, v17
	s_nop 0
	v_cndmask_b32_e32 v3, v3, v7, vcc
	v_sqrt_f32_e32 v7, v3
	v_cndmask_b32_e64 v2, v2, v17, s[2:3]
	v_add_u32_e32 v4, -1, v7
	v_fma_f32 v10, -v4, v7, v3
	v_cmp_ge_f32_e64 s[2:3], 0, v10
	v_add_u32_e32 v10, 1, v7
	s_nop 0
	v_cndmask_b32_e64 v4, v7, v4, s[2:3]
	v_fma_f32 v7, -v10, v7, v3
	v_cmp_lt_f32_e64 s[2:3], 0, v7
	s_nop 1
	v_cndmask_b32_e64 v4, v4, v10, s[2:3]
	v_mul_f32_e32 v10, 0x4f800000, v2
	v_cmp_gt_f32_e64 s[2:3], s20, v2
	v_mul_f32_e32 v7, 0x37800000, v4
	v_cndmask_b32_e32 v4, v4, v7, vcc
	v_cndmask_b32_e64 v2, v2, v10, s[2:3]
	v_sqrt_f32_e32 v10, v2
	v_cmp_class_f32_e32 vcc, v3, v9
	s_nop 1
	v_cndmask_b32_e32 v17, v4, v3, vcc
	v_add_u32_e32 v3, -1, v10
	v_fma_f32 v4, -v3, v10, v2
	v_cmp_ge_f32_e32 vcc, 0, v4
	v_add_u32_e32 v4, 1, v10
	v_fma_f32 v7, -v4, v10, v2
	v_cndmask_b32_e32 v3, v10, v3, vcc
	v_cmp_lt_f32_e32 vcc, 0, v7
	s_nop 1
	v_cndmask_b32_e32 v3, v3, v4, vcc
	v_mul_f32_e32 v4, 0x37800000, v3
	v_cndmask_b32_e64 v3, v3, v4, s[2:3]
	v_cmp_class_f32_e32 vcc, v2, v9
	s_nop 1
	v_cndmask_b32_e32 v16, v3, v2, vcc
	v_lshl_add_u64 v[2:3], v[0:1], 3, s[10:11]
	s_and_b64 vcc, exec, s[18:19]
	v_mul_lo_u32 v0, v6, s12
	scratch_store_dwordx4 off, v[14:17], off offset:16
	s_cbranch_vccnz .LBB514_28
; %bb.2:
	s_load_dwordx2 s[4:5], s[0:1], 0x20
	s_cmp_lt_u32 s12, 4
	v_and_b32_e32 v4, 31, v8
	s_cbranch_scc1 .LBB514_21
; %bb.3:
	v_lshlrev_b32_e32 v5, 3, v4
	s_mov_b32 s7, 0
	s_and_b32 s16, s12, 0x7ffffffc
	v_ashrrev_i32_e32 v1, 31, v0
	v_sub_u32_e32 v13, 0, v5
	v_mov_b32_e32 v5, 0
	s_mov_b32 s6, s7
	s_branch .LBB514_5
.LBB514_4:                              ;   in Loop: Header=BB514_5 Depth=1
	s_or_b64 exec, exec, s[8:9]
	s_add_i32 s6, s6, 4
	s_cmp_eq_u32 s6, s16
	s_cbranch_scc1 .LBB514_21
.LBB514_5:                              ; =>This Loop Header: Depth=1
                                        ;     Child Loop BB514_7 Depth 2
                                        ;     Child Loop BB514_11 Depth 2
	;; [unrolled: 1-line block ×4, first 2 shown]
	v_lshl_add_u64 v[6:7], s[6:7], 3, v[2:3]
	global_load_dwordx2 v[8:9], v[6:7], off
	v_add_u32_e32 v10, s6, v0
	v_ashrrev_i32_e32 v11, 31, v10
	v_mov_b32_e32 v14, 0
	s_mov_b64 s[8:9], 0
	s_waitcnt lgkmcnt(0)
	v_lshl_add_u64 v[10:11], v[10:11], 3, s[4:5]
	s_mov_b32 s13, 0
	s_waitcnt vmcnt(0)
	v_ashrrev_i32_e32 v9, 31, v8
	v_add_u32_e32 v15, v13, v8
	s_branch .LBB514_7
.LBB514_6:                              ;   in Loop: Header=BB514_7 Depth=2
	s_or_b64 exec, exec, s[10:11]
	s_add_i32 s17, s13, 1
	s_cmp_gt_u32 s13, 6
	s_cselect_b64 s[2:3], -1, 0
	s_xor_b64 s[10:11], vcc, -1
	s_or_b64 s[2:3], s[10:11], s[2:3]
	s_and_b64 s[2:3], exec, s[2:3]
	v_add_u32_e32 v14, 4, v14
	s_or_b64 s[8:9], s[2:3], s[8:9]
	s_mov_b32 s13, s17
	s_andn2_b64 exec, exec, s[8:9]
	s_cbranch_execz .LBB514_9
.LBB514_7:                              ;   Parent Loop BB514_5 Depth=1
                                        ; =>  This Inner Loop Header: Depth=2
	v_cmp_ne_u32_e32 vcc, s13, v15
	v_cmp_eq_u32_e64 s[2:3], s13, v15
	s_and_saveexec_b64 s[10:11], s[2:3]
	s_cbranch_execz .LBB514_6
; %bb.8:                                ;   in Loop: Header=BB514_7 Depth=2
	scratch_load_dword v16, v14, off
	s_waitcnt vmcnt(0)
	v_add_f32_e32 v5, v5, v16
	global_store_dwordx2 v[10:11], v[8:9], off
	s_branch .LBB514_6
.LBB514_9:                              ;   in Loop: Header=BB514_5 Depth=1
	s_or_b64 exec, exec, s[8:9]
	global_load_dwordx2 v[10:11], v[6:7], off offset:8
	s_ashr_i32 s3, s6, 31
	s_mov_b32 s2, s6
	v_lshl_add_u64 v[8:9], s[2:3], 0, v[0:1]
	v_mov_b32_e32 v14, 0
	s_mov_b32 s13, 0
	v_lshl_add_u64 v[8:9], v[8:9], 3, s[4:5]
	s_mov_b64 s[8:9], 0
	s_waitcnt vmcnt(0)
	v_ashrrev_i32_e32 v11, 31, v10
	v_add_u32_e32 v15, v13, v10
	s_branch .LBB514_11
.LBB514_10:                             ;   in Loop: Header=BB514_11 Depth=2
	s_or_b64 exec, exec, s[10:11]
	s_add_i32 s17, s13, 1
	s_cmp_gt_u32 s13, 6
	s_cselect_b64 s[2:3], -1, 0
	s_xor_b64 s[10:11], vcc, -1
	s_or_b64 s[2:3], s[10:11], s[2:3]
	s_and_b64 s[2:3], exec, s[2:3]
	v_add_u32_e32 v14, 4, v14
	s_or_b64 s[8:9], s[2:3], s[8:9]
	s_mov_b32 s13, s17
	s_andn2_b64 exec, exec, s[8:9]
	s_cbranch_execz .LBB514_13
.LBB514_11:                             ;   Parent Loop BB514_5 Depth=1
                                        ; =>  This Inner Loop Header: Depth=2
	v_cmp_ne_u32_e32 vcc, s13, v15
	v_cmp_eq_u32_e64 s[2:3], s13, v15
	s_and_saveexec_b64 s[10:11], s[2:3]
	s_cbranch_execz .LBB514_10
; %bb.12:                               ;   in Loop: Header=BB514_11 Depth=2
	scratch_load_dword v16, v14, off
	s_waitcnt vmcnt(0)
	v_add_f32_e32 v5, v5, v16
	global_store_dwordx2 v[8:9], v[10:11], off offset:8
	s_branch .LBB514_10
.LBB514_13:                             ;   in Loop: Header=BB514_5 Depth=1
	s_or_b64 exec, exec, s[8:9]
	global_load_dwordx2 v[10:11], v[6:7], off offset:16
	v_mov_b32_e32 v14, 0
	s_mov_b32 s13, 0
	s_mov_b64 s[8:9], 0
	s_waitcnt vmcnt(0)
	v_ashrrev_i32_e32 v11, 31, v10
	v_add_u32_e32 v15, v13, v10
	s_branch .LBB514_15
.LBB514_14:                             ;   in Loop: Header=BB514_15 Depth=2
	s_or_b64 exec, exec, s[10:11]
	s_add_i32 s17, s13, 1
	s_cmp_gt_u32 s13, 6
	s_cselect_b64 s[2:3], -1, 0
	s_xor_b64 s[10:11], vcc, -1
	s_or_b64 s[2:3], s[10:11], s[2:3]
	s_and_b64 s[2:3], exec, s[2:3]
	v_add_u32_e32 v14, 4, v14
	s_or_b64 s[8:9], s[2:3], s[8:9]
	s_mov_b32 s13, s17
	s_andn2_b64 exec, exec, s[8:9]
	s_cbranch_execz .LBB514_17
.LBB514_15:                             ;   Parent Loop BB514_5 Depth=1
                                        ; =>  This Inner Loop Header: Depth=2
	v_cmp_ne_u32_e32 vcc, s13, v15
	v_cmp_eq_u32_e64 s[2:3], s13, v15
	s_and_saveexec_b64 s[10:11], s[2:3]
	s_cbranch_execz .LBB514_14
; %bb.16:                               ;   in Loop: Header=BB514_15 Depth=2
	scratch_load_dword v16, v14, off
	s_waitcnt vmcnt(0)
	v_add_f32_e32 v5, v5, v16
	global_store_dwordx2 v[8:9], v[10:11], off offset:16
	s_branch .LBB514_14
.LBB514_17:                             ;   in Loop: Header=BB514_5 Depth=1
	s_or_b64 exec, exec, s[8:9]
	global_load_dwordx2 v[6:7], v[6:7], off offset:24
	v_mov_b32_e32 v10, 0
	s_mov_b32 s13, 0
	s_mov_b64 s[8:9], 0
	s_waitcnt vmcnt(0)
	v_ashrrev_i32_e32 v7, 31, v6
	v_add_u32_e32 v11, v13, v6
	s_branch .LBB514_19
.LBB514_18:                             ;   in Loop: Header=BB514_19 Depth=2
	s_or_b64 exec, exec, s[10:11]
	s_add_i32 s17, s13, 1
	s_cmp_gt_u32 s13, 6
	s_cselect_b64 s[2:3], -1, 0
	s_xor_b64 s[10:11], vcc, -1
	s_or_b64 s[2:3], s[10:11], s[2:3]
	s_and_b64 s[2:3], exec, s[2:3]
	v_add_u32_e32 v10, 4, v10
	s_or_b64 s[8:9], s[2:3], s[8:9]
	s_mov_b32 s13, s17
	s_andn2_b64 exec, exec, s[8:9]
	s_cbranch_execz .LBB514_4
.LBB514_19:                             ;   Parent Loop BB514_5 Depth=1
                                        ; =>  This Inner Loop Header: Depth=2
	v_cmp_ne_u32_e32 vcc, s13, v11
	v_cmp_eq_u32_e64 s[2:3], s13, v11
	s_and_saveexec_b64 s[10:11], s[2:3]
	s_cbranch_execz .LBB514_18
; %bb.20:                               ;   in Loop: Header=BB514_19 Depth=2
	scratch_load_dword v14, v10, off
	s_waitcnt vmcnt(0)
	v_add_f32_e32 v5, v5, v14
	global_store_dwordx2 v[8:9], v[6:7], off offset:24
	s_branch .LBB514_18
.LBB514_21:
	s_and_b32 s10, s12, 3
	s_cmp_eq_u32 s10, 0
	s_mov_b32 s17, 0
	s_cbranch_scc1 .LBB514_28
; %bb.22:
	v_lshlrev_b32_e32 v1, 3, v4
	v_sub_u32_e32 v1, 0, v1
	s_mov_b32 s11, s17
	s_branch .LBB514_24
.LBB514_23:                             ;   in Loop: Header=BB514_24 Depth=1
	s_or_b64 exec, exec, s[6:7]
	s_add_i32 s16, s16, 1
	s_add_i32 s11, s11, 1
	s_cmp_lg_u32 s11, s10
	s_cbranch_scc0 .LBB514_28
.LBB514_24:                             ; =>This Loop Header: Depth=1
                                        ;     Child Loop BB514_26 Depth 2
	v_lshl_add_u64 v[6:7], s[16:17], 3, v[2:3]
	global_load_dwordx2 v[6:7], v[6:7], off
	v_add_u32_e32 v8, s16, v0
	v_ashrrev_i32_e32 v9, 31, v8
	v_mov_b32_e32 v4, 0
	s_mov_b32 s13, 0
	s_waitcnt lgkmcnt(0)
	v_lshl_add_u64 v[8:9], v[8:9], 3, s[4:5]
	s_mov_b64 s[6:7], 0
	s_waitcnt vmcnt(0)
	v_ashrrev_i32_e32 v7, 31, v6
	v_add_u32_e32 v10, v1, v6
	s_branch .LBB514_26
.LBB514_25:                             ;   in Loop: Header=BB514_26 Depth=2
	s_or_b64 exec, exec, s[8:9]
	s_add_i32 s18, s13, 1
	s_cmp_gt_u32 s13, 6
	s_cselect_b64 s[2:3], -1, 0
	s_xor_b64 s[8:9], vcc, -1
	s_or_b64 s[2:3], s[8:9], s[2:3]
	s_and_b64 s[2:3], exec, s[2:3]
	v_add_u32_e32 v4, 4, v4
	s_or_b64 s[6:7], s[2:3], s[6:7]
	s_mov_b32 s13, s18
	s_andn2_b64 exec, exec, s[6:7]
	s_cbranch_execz .LBB514_23
.LBB514_26:                             ;   Parent Loop BB514_24 Depth=1
                                        ; =>  This Inner Loop Header: Depth=2
	v_cmp_ne_u32_e32 vcc, s13, v10
	v_cmp_eq_u32_e64 s[2:3], s13, v10
	s_and_saveexec_b64 s[8:9], s[2:3]
	s_cbranch_execz .LBB514_25
; %bb.27:                               ;   in Loop: Header=BB514_26 Depth=2
	scratch_load_dword v11, v4, off
	s_waitcnt vmcnt(0)
	v_add_f32_e32 v5, v5, v11
	global_store_dwordx2 v[8:9], v[6:7], off
	s_branch .LBB514_25
.LBB514_28:
	s_waitcnt lgkmcnt(0)
	s_load_dword s4, s[0:1], 0x3c
	s_waitcnt lgkmcnt(0)
	s_bitcmp1_b32 s4, 0
	s_cselect_b64 s[2:3], -1, 0
	s_bitcmp0_b32 s4, 0
	s_cbranch_scc0 .LBB514_32
; %bb.29:
	s_load_dwordx2 s[4:5], s[0:1], 0x40
	s_andn2_b64 vcc, exec, s[2:3]
	s_waitcnt lgkmcnt(0)
	v_cvt_f32_f64_e32 v8, s[4:5]
	s_cbranch_vccz .LBB514_33
.LBB514_30:
	s_andn2_b64 vcc, exec, s[14:15]
	s_cbranch_vccz .LBB514_34
.LBB514_31:
	s_endpgm
.LBB514_32:
	v_mbcnt_lo_u32_b32 v1, -1, 0
	v_mbcnt_hi_u32_b32 v1, -1, v1
	v_and_b32_e32 v4, 0x60, v1
	v_add_u32_e32 v4, 32, v4
	v_xor_b32_e32 v6, 16, v1
	v_cmp_lt_i32_e32 vcc, v6, v4
	v_xor_b32_e32 v7, 8, v1
	s_nop 0
	v_cndmask_b32_e32 v6, v1, v6, vcc
	v_lshlrev_b32_e32 v6, 2, v6
	ds_bpermute_b32 v6, v6, v5
	v_cmp_lt_i32_e32 vcc, v7, v4
	s_waitcnt lgkmcnt(0)
	v_add_f32_e32 v5, v5, v6
	v_cndmask_b32_e32 v6, v1, v7, vcc
	v_lshlrev_b32_e32 v6, 2, v6
	ds_bpermute_b32 v6, v6, v5
	v_xor_b32_e32 v7, 4, v1
	v_cmp_lt_i32_e32 vcc, v7, v4
	s_waitcnt lgkmcnt(0)
	v_add_f32_e32 v5, v5, v6
	v_cndmask_b32_e32 v6, v1, v7, vcc
	v_lshlrev_b32_e32 v6, 2, v6
	ds_bpermute_b32 v6, v6, v5
	v_xor_b32_e32 v7, 2, v1
	;; [unrolled: 7-line block ×3, first 2 shown]
	v_cmp_lt_i32_e32 vcc, v7, v4
	s_waitcnt lgkmcnt(0)
	v_add_f32_e32 v5, v5, v6
	v_cndmask_b32_e32 v1, v1, v7, vcc
	v_lshlrev_b32_e32 v1, 2, v1
	ds_bpermute_b32 v1, v1, v5
	s_waitcnt lgkmcnt(0)
	v_add_f32_e32 v5, v5, v1
	s_load_dwordx2 s[4:5], s[0:1], 0x40
	s_andn2_b64 vcc, exec, s[2:3]
	s_waitcnt lgkmcnt(0)
	v_cvt_f32_f64_e32 v8, s[4:5]
	s_cbranch_vccnz .LBB514_30
.LBB514_33:
	v_cmp_lt_f32_e32 vcc, 0, v5
	s_nop 1
	v_cndmask_b32_e32 v1, 1.0, v5, vcc
	v_div_scale_f32 v4, s[2:3], v1, v1, v8
	v_rcp_f32_e32 v5, v4
	s_nop 0
	v_fma_f32 v6, -v4, v5, 1.0
	v_fmac_f32_e32 v5, v6, v5
	v_div_scale_f32 v6, vcc, v8, v1, v8
	v_mul_f32_e32 v7, v6, v5
	v_fma_f32 v9, -v4, v7, v6
	v_fmac_f32_e32 v7, v9, v5
	v_fma_f32 v4, -v4, v7, v6
	v_div_fmas_f32 v4, v4, v5, v7
	v_div_fixup_f32 v8, v4, v1, v8
	s_andn2_b64 vcc, exec, s[14:15]
	s_cbranch_vccnz .LBB514_31
.LBB514_34:
	s_load_dwordx2 s[14:15], s[0:1], 0x10
	v_mov_b32_e32 v1, 0
	v_or_b32_e32 v20, 4, v1
	v_or_b32_e32 v18, 8, v1
	v_or_b32_e32 v16, 12, v1
	v_add_u32_e32 v14, 16, v1
	v_add_u32_e32 v11, 20, v1
	;; [unrolled: 1-line block ×4, first 2 shown]
	v_or_b32_e32 v23, 1, v12
	v_or_b32_e32 v22, 2, v12
	v_or_b32_e32 v21, 3, v12
	v_or_b32_e32 v19, 4, v12
	v_or_b32_e32 v17, 5, v12
	v_or_b32_e32 v15, 6, v12
	v_or_b32_e32 v13, 7, v12
	s_cmp_eq_u32 s12, 1
	s_mov_b32 s16, 0
	s_cbranch_scc1 .LBB514_69
; %bb.35:
	v_ashrrev_i32_e32 v1, 31, v0
	s_waitcnt lgkmcnt(0)
	v_lshl_add_u64 v[4:5], v[0:1], 2, s[14:15]
	s_and_b32 s16, s12, 0x7ffffffe
	v_lshl_add_u64 v[4:5], v[4:5], 0, 4
	v_lshl_add_u64 v[6:7], v[2:3], 0, 8
	s_mov_b32 s13, 0
	s_branch .LBB514_37
.LBB514_36:                             ;   in Loop: Header=BB514_37 Depth=1
	s_or_b64 exec, exec, s[0:1]
	s_add_i32 s13, s13, 2
	v_lshl_add_u64 v[4:5], v[4:5], 0, 8
	s_cmp_eq_u32 s16, s13
	v_lshl_add_u64 v[6:7], v[6:7], 0, 16
	s_cbranch_scc1 .LBB514_69
.LBB514_37:                             ; =>This Inner Loop Header: Depth=1
	global_load_dword v24, v[6:7], off offset:-8
	v_mov_b32_e32 v1, 0
	s_waitcnt vmcnt(0)
	v_cmp_eq_u32_e32 vcc, v12, v24
	v_cmp_ne_u32_e64 s[0:1], v12, v24
	s_and_saveexec_b64 s[18:19], s[0:1]
	s_cbranch_execz .LBB514_51
; %bb.38:                               ;   in Loop: Header=BB514_37 Depth=1
	v_cmp_eq_u32_e64 s[0:1], v23, v24
	v_cmp_ne_u32_e64 s[2:3], v23, v24
	v_mov_b32_e32 v1, v20
	s_and_saveexec_b64 s[20:21], s[2:3]
	s_cbranch_execz .LBB514_50
; %bb.39:                               ;   in Loop: Header=BB514_37 Depth=1
	v_cmp_eq_u32_e64 s[2:3], v22, v24
	v_cmp_ne_u32_e64 s[4:5], v22, v24
	v_mov_b32_e32 v1, v18
	;; [unrolled: 6-line block ×6, first 2 shown]
	s_and_saveexec_b64 s[34:35], s[10:11]
	s_xor_b64 s[34:35], exec, s[34:35]
; %bb.44:                               ;   in Loop: Header=BB514_37 Depth=1
	v_cmp_eq_u32_e64 s[10:11], v13, v24
	s_andn2_b64 s[30:31], s[30:31], exec
	s_and_b64 s[10:11], s[10:11], exec
	s_or_b64 s[30:31], s[30:31], s[10:11]
	v_mov_b32_e32 v1, v10
; %bb.45:                               ;   in Loop: Header=BB514_37 Depth=1
	s_or_b64 exec, exec, s[34:35]
	s_andn2_b64 s[8:9], s[8:9], exec
	s_and_b64 s[10:11], s[30:31], exec
	s_or_b64 s[8:9], s[8:9], s[10:11]
.LBB514_46:                             ;   in Loop: Header=BB514_37 Depth=1
	s_or_b64 exec, exec, s[28:29]
	s_andn2_b64 s[6:7], s[6:7], exec
	s_and_b64 s[8:9], s[8:9], exec
	s_or_b64 s[6:7], s[6:7], s[8:9]
.LBB514_47:                             ;   in Loop: Header=BB514_37 Depth=1
	s_or_b64 exec, exec, s[26:27]
	s_andn2_b64 s[4:5], s[4:5], exec
	s_and_b64 s[6:7], s[6:7], exec
	s_or_b64 s[4:5], s[4:5], s[6:7]
.LBB514_48:                             ;   in Loop: Header=BB514_37 Depth=1
	s_or_b64 exec, exec, s[24:25]
	s_andn2_b64 s[2:3], s[2:3], exec
	s_and_b64 s[4:5], s[4:5], exec
	s_or_b64 s[2:3], s[2:3], s[4:5]
.LBB514_49:                             ;   in Loop: Header=BB514_37 Depth=1
	s_or_b64 exec, exec, s[22:23]
	s_andn2_b64 s[0:1], s[0:1], exec
	s_and_b64 s[2:3], s[2:3], exec
	s_or_b64 s[0:1], s[0:1], s[2:3]
.LBB514_50:                             ;   in Loop: Header=BB514_37 Depth=1
	s_or_b64 exec, exec, s[20:21]
	s_andn2_b64 s[2:3], vcc, exec
	s_and_b64 s[0:1], s[0:1], exec
	s_or_b64 vcc, s[2:3], s[0:1]
.LBB514_51:                             ;   in Loop: Header=BB514_37 Depth=1
	s_or_b64 exec, exec, s[18:19]
	s_and_saveexec_b64 s[0:1], vcc
	s_cbranch_execz .LBB514_53
; %bb.52:                               ;   in Loop: Header=BB514_37 Depth=1
	scratch_load_dword v1, v1, off
	v_add_u32_e32 v24, s13, v0
	v_ashrrev_i32_e32 v25, 31, v24
	v_lshl_add_u64 v[24:25], v[24:25], 2, s[14:15]
	s_waitcnt vmcnt(0)
	v_mul_f32_e32 v1, v8, v1
	global_store_dword v[24:25], v1, off
.LBB514_53:                             ;   in Loop: Header=BB514_37 Depth=1
	s_or_b64 exec, exec, s[0:1]
	global_load_dword v24, v[6:7], off
	v_mov_b32_e32 v1, 0
	s_waitcnt vmcnt(0)
	v_cmp_eq_u32_e64 s[8:9], v12, v24
	v_cmp_ne_u32_e32 vcc, v12, v24
	s_and_saveexec_b64 s[10:11], vcc
	s_cbranch_execz .LBB514_67
; %bb.54:                               ;   in Loop: Header=BB514_37 Depth=1
	v_cmp_eq_u32_e32 vcc, v23, v24
	v_cmp_ne_u32_e64 s[0:1], v23, v24
	v_mov_b32_e32 v1, v20
	s_and_saveexec_b64 s[18:19], s[0:1]
	s_cbranch_execz .LBB514_66
; %bb.55:                               ;   in Loop: Header=BB514_37 Depth=1
	v_cmp_eq_u32_e64 s[0:1], v22, v24
	v_cmp_ne_u32_e64 s[2:3], v22, v24
	v_mov_b32_e32 v1, v18
	s_and_saveexec_b64 s[20:21], s[2:3]
	s_cbranch_execz .LBB514_65
; %bb.56:                               ;   in Loop: Header=BB514_37 Depth=1
	v_cmp_eq_u32_e64 s[2:3], v21, v24
	;; [unrolled: 6-line block ×5, first 2 shown]
	v_cmp_ne_u32_e64 s[6:7], v15, v24
	v_mov_b32_e32 v1, v9
	s_and_saveexec_b64 s[34:35], s[6:7]
; %bb.60:                               ;   in Loop: Header=BB514_37 Depth=1
	v_cmp_eq_u32_e64 s[6:7], v13, v24
	s_andn2_b64 s[30:31], s[30:31], exec
	s_and_b64 s[6:7], s[6:7], exec
	s_or_b64 s[30:31], s[30:31], s[6:7]
	v_mov_b32_e32 v1, v10
; %bb.61:                               ;   in Loop: Header=BB514_37 Depth=1
	s_or_b64 exec, exec, s[34:35]
	s_andn2_b64 s[6:7], s[26:27], exec
	s_and_b64 s[26:27], s[30:31], exec
	s_or_b64 s[26:27], s[6:7], s[26:27]
.LBB514_62:                             ;   in Loop: Header=BB514_37 Depth=1
	s_or_b64 exec, exec, s[28:29]
	s_andn2_b64 s[4:5], s[4:5], exec
	s_and_b64 s[6:7], s[26:27], exec
	s_or_b64 s[4:5], s[4:5], s[6:7]
.LBB514_63:                             ;   in Loop: Header=BB514_37 Depth=1
	s_or_b64 exec, exec, s[24:25]
	s_andn2_b64 s[2:3], s[2:3], exec
	s_and_b64 s[4:5], s[4:5], exec
	s_or_b64 s[2:3], s[2:3], s[4:5]
.LBB514_64:                             ;   in Loop: Header=BB514_37 Depth=1
	s_or_b64 exec, exec, s[22:23]
	s_andn2_b64 s[0:1], s[0:1], exec
	s_and_b64 s[2:3], s[2:3], exec
	s_or_b64 s[0:1], s[0:1], s[2:3]
.LBB514_65:                             ;   in Loop: Header=BB514_37 Depth=1
	s_or_b64 exec, exec, s[20:21]
	s_andn2_b64 s[2:3], vcc, exec
	s_and_b64 s[0:1], s[0:1], exec
	s_or_b64 vcc, s[2:3], s[0:1]
.LBB514_66:                             ;   in Loop: Header=BB514_37 Depth=1
	s_or_b64 exec, exec, s[18:19]
	s_andn2_b64 s[0:1], s[8:9], exec
	s_and_b64 s[2:3], vcc, exec
	s_or_b64 s[8:9], s[0:1], s[2:3]
.LBB514_67:                             ;   in Loop: Header=BB514_37 Depth=1
	s_or_b64 exec, exec, s[10:11]
	s_and_saveexec_b64 s[0:1], s[8:9]
	s_cbranch_execz .LBB514_36
; %bb.68:                               ;   in Loop: Header=BB514_37 Depth=1
	scratch_load_dword v1, v1, off
	s_waitcnt vmcnt(0)
	v_mul_f32_e32 v1, v8, v1
	global_store_dword v[4:5], v1, off
	s_branch .LBB514_36
.LBB514_69:
	s_bitcmp0_b32 s12, 0
	s_mov_b32 s17, 0
	s_cbranch_scc1 .LBB514_31
; %bb.70:
	v_lshl_add_u64 v[2:3], s[16:17], 3, v[2:3]
	global_load_dword v1, v[2:3], off
	v_mov_b32_e32 v2, 0
	s_waitcnt vmcnt(0)
	v_cmp_eq_u32_e64 s[8:9], v12, v1
	v_cmp_ne_u32_e32 vcc, v12, v1
	s_and_saveexec_b64 s[10:11], vcc
	s_cbranch_execz .LBB514_84
; %bb.71:
	v_cmp_eq_u32_e32 vcc, v23, v1
	v_cmp_ne_u32_e64 s[0:1], v23, v1
	s_and_saveexec_b64 s[12:13], s[0:1]
	s_cbranch_execz .LBB514_83
; %bb.72:
	v_cmp_eq_u32_e64 s[0:1], v22, v1
	v_cmp_ne_u32_e64 s[2:3], v22, v1
	s_and_saveexec_b64 s[18:19], s[2:3]
	s_cbranch_execz .LBB514_82
; %bb.73:
	v_cmp_eq_u32_e64 s[2:3], v21, v1
	;; [unrolled: 5-line block ×5, first 2 shown]
	v_cmp_ne_u32_e64 s[6:7], v15, v1
	s_and_saveexec_b64 s[30:31], s[6:7]
; %bb.77:
	v_cmp_eq_u32_e64 s[6:7], v13, v1
	s_andn2_b64 s[28:29], s[28:29], exec
	s_and_b64 s[6:7], s[6:7], exec
	s_or_b64 s[28:29], s[28:29], s[6:7]
	v_mov_b32_e32 v9, v10
; %bb.78:
	s_or_b64 exec, exec, s[30:31]
	s_andn2_b64 s[6:7], s[24:25], exec
	s_and_b64 s[24:25], s[28:29], exec
	s_or_b64 s[24:25], s[6:7], s[24:25]
	v_mov_b32_e32 v11, v9
.LBB514_79:
	s_or_b64 exec, exec, s[26:27]
	s_andn2_b64 s[4:5], s[4:5], exec
	s_and_b64 s[6:7], s[24:25], exec
	s_or_b64 s[4:5], s[4:5], s[6:7]
	v_mov_b32_e32 v14, v11
.LBB514_80:
	s_or_b64 exec, exec, s[22:23]
	s_andn2_b64 s[2:3], s[2:3], exec
	s_and_b64 s[4:5], s[4:5], exec
	s_or_b64 s[2:3], s[2:3], s[4:5]
	v_mov_b32_e32 v16, v14
.LBB514_81:
	s_or_b64 exec, exec, s[20:21]
	s_andn2_b64 s[0:1], s[0:1], exec
	s_and_b64 s[2:3], s[2:3], exec
	s_or_b64 s[0:1], s[0:1], s[2:3]
	v_mov_b32_e32 v18, v16
.LBB514_82:
	s_or_b64 exec, exec, s[18:19]
	s_andn2_b64 s[2:3], vcc, exec
	s_and_b64 s[0:1], s[0:1], exec
	s_or_b64 vcc, s[2:3], s[0:1]
	v_mov_b32_e32 v20, v18
.LBB514_83:
	s_or_b64 exec, exec, s[12:13]
	s_andn2_b64 s[0:1], s[8:9], exec
	s_and_b64 s[2:3], vcc, exec
	s_or_b64 s[8:9], s[0:1], s[2:3]
	v_mov_b32_e32 v2, v20
.LBB514_84:
	s_or_b64 exec, exec, s[10:11]
	s_and_b64 exec, exec, s[8:9]
	s_cbranch_execz .LBB514_31
; %bb.85:
	scratch_load_dword v2, v2, off
	v_add_u32_e32 v0, s16, v0
	v_ashrrev_i32_e32 v1, 31, v0
	s_waitcnt lgkmcnt(0)
	v_lshl_add_u64 v[0:1], v[0:1], 2, s[14:15]
	s_waitcnt vmcnt(0)
	v_mul_f32_e32 v2, v8, v2
	global_store_dword v[0:1], v2, off
	s_endpgm
	.section	.rodata,"a",@progbits
	.p2align	6, 0x0
	.amdhsa_kernel _ZN4vllm3moe22topkGatingSoftplusSqrtILi8ELi256ELi4ELi16ELi32ELb1El14__hip_bfloat16EEvPKT6_PKbPfiPT5_PiiiibdPKfPKS9_SF_
		.amdhsa_group_segment_fixed_size 0
		.amdhsa_private_segment_fixed_size 48
		.amdhsa_kernarg_size 96
		.amdhsa_user_sgpr_count 2
		.amdhsa_user_sgpr_dispatch_ptr 0
		.amdhsa_user_sgpr_queue_ptr 0
		.amdhsa_user_sgpr_kernarg_segment_ptr 1
		.amdhsa_user_sgpr_dispatch_id 0
		.amdhsa_user_sgpr_kernarg_preload_length 0
		.amdhsa_user_sgpr_kernarg_preload_offset 0
		.amdhsa_user_sgpr_private_segment_size 0
		.amdhsa_uses_dynamic_stack 0
		.amdhsa_enable_private_segment 1
		.amdhsa_system_sgpr_workgroup_id_x 1
		.amdhsa_system_sgpr_workgroup_id_y 0
		.amdhsa_system_sgpr_workgroup_id_z 0
		.amdhsa_system_sgpr_workgroup_info 0
		.amdhsa_system_vgpr_workitem_id 1
		.amdhsa_next_free_vgpr 28
		.amdhsa_next_free_sgpr 36
		.amdhsa_accum_offset 28
		.amdhsa_reserve_vcc 1
		.amdhsa_float_round_mode_32 0
		.amdhsa_float_round_mode_16_64 0
		.amdhsa_float_denorm_mode_32 3
		.amdhsa_float_denorm_mode_16_64 3
		.amdhsa_dx10_clamp 1
		.amdhsa_ieee_mode 1
		.amdhsa_fp16_overflow 0
		.amdhsa_tg_split 0
		.amdhsa_exception_fp_ieee_invalid_op 0
		.amdhsa_exception_fp_denorm_src 0
		.amdhsa_exception_fp_ieee_div_zero 0
		.amdhsa_exception_fp_ieee_overflow 0
		.amdhsa_exception_fp_ieee_underflow 0
		.amdhsa_exception_fp_ieee_inexact 0
		.amdhsa_exception_int_div_zero 0
	.end_amdhsa_kernel
	.section	.text._ZN4vllm3moe22topkGatingSoftplusSqrtILi8ELi256ELi4ELi16ELi32ELb1El14__hip_bfloat16EEvPKT6_PKbPfiPT5_PiiiibdPKfPKS9_SF_,"axG",@progbits,_ZN4vllm3moe22topkGatingSoftplusSqrtILi8ELi256ELi4ELi16ELi32ELb1El14__hip_bfloat16EEvPKT6_PKbPfiPT5_PiiiibdPKfPKS9_SF_,comdat
.Lfunc_end514:
	.size	_ZN4vllm3moe22topkGatingSoftplusSqrtILi8ELi256ELi4ELi16ELi32ELb1El14__hip_bfloat16EEvPKT6_PKbPfiPT5_PiiiibdPKfPKS9_SF_, .Lfunc_end514-_ZN4vllm3moe22topkGatingSoftplusSqrtILi8ELi256ELi4ELi16ELi32ELb1El14__hip_bfloat16EEvPKT6_PKbPfiPT5_PiiiibdPKfPKS9_SF_
                                        ; -- End function
	.section	.AMDGPU.csdata,"",@progbits
; Kernel info:
; codeLenInByte = 4632
; NumSgprs: 42
; NumVgprs: 28
; NumAgprs: 0
; TotalNumVgprs: 28
; ScratchSize: 48
; MemoryBound: 0
; FloatMode: 240
; IeeeMode: 1
; LDSByteSize: 0 bytes/workgroup (compile time only)
; SGPRBlocks: 5
; VGPRBlocks: 3
; NumSGPRsForWavesPerEU: 42
; NumVGPRsForWavesPerEU: 28
; AccumOffset: 28
; Occupancy: 8
; WaveLimiterHint : 1
; COMPUTE_PGM_RSRC2:SCRATCH_EN: 1
; COMPUTE_PGM_RSRC2:USER_SGPR: 2
; COMPUTE_PGM_RSRC2:TRAP_HANDLER: 0
; COMPUTE_PGM_RSRC2:TGID_X_EN: 1
; COMPUTE_PGM_RSRC2:TGID_Y_EN: 0
; COMPUTE_PGM_RSRC2:TGID_Z_EN: 0
; COMPUTE_PGM_RSRC2:TIDIG_COMP_CNT: 1
; COMPUTE_PGM_RSRC3_GFX90A:ACCUM_OFFSET: 6
; COMPUTE_PGM_RSRC3_GFX90A:TG_SPLIT: 0
	.section	.text._ZN4vllm3moe22topkGatingSoftplusSqrtILi8ELi256ELi4ELi16ELi32ELb0El14__hip_bfloat16EEvPKT6_PKbPfiPT5_PiiiibdPKfPKS9_SF_,"axG",@progbits,_ZN4vllm3moe22topkGatingSoftplusSqrtILi8ELi256ELi4ELi16ELi32ELb0El14__hip_bfloat16EEvPKT6_PKbPfiPT5_PiiiibdPKfPKS9_SF_,comdat
	.protected	_ZN4vllm3moe22topkGatingSoftplusSqrtILi8ELi256ELi4ELi16ELi32ELb0El14__hip_bfloat16EEvPKT6_PKbPfiPT5_PiiiibdPKfPKS9_SF_ ; -- Begin function _ZN4vllm3moe22topkGatingSoftplusSqrtILi8ELi256ELi4ELi16ELi32ELb0El14__hip_bfloat16EEvPKT6_PKbPfiPT5_PiiiibdPKfPKS9_SF_
	.globl	_ZN4vllm3moe22topkGatingSoftplusSqrtILi8ELi256ELi4ELi16ELi32ELb0El14__hip_bfloat16EEvPKT6_PKbPfiPT5_PiiiibdPKfPKS9_SF_
	.p2align	8
	.type	_ZN4vllm3moe22topkGatingSoftplusSqrtILi8ELi256ELi4ELi16ELi32ELb0El14__hip_bfloat16EEvPKT6_PKbPfiPT5_PiiiibdPKfPKS9_SF_,@function
_ZN4vllm3moe22topkGatingSoftplusSqrtILi8ELi256ELi4ELi16ELi32ELb0El14__hip_bfloat16EEvPKT6_PKbPfiPT5_PiiiibdPKfPKS9_SF_: ; @_ZN4vllm3moe22topkGatingSoftplusSqrtILi8ELi256ELi4ELi16ELi32ELb0El14__hip_bfloat16EEvPKT6_PKbPfiPT5_PiiiibdPKfPKS9_SF_
; %bb.0:
	s_load_dword s33, s[0:1], 0x18
	v_and_b32_e32 v1, 0x3ff, v0
	s_lshl_b32 s2, s2, 2
	v_lshrrev_b32_e32 v2, 5, v1
	v_bfe_u32 v0, v0, 10, 10
	v_add3_u32 v8, s2, v0, v2
	s_waitcnt lgkmcnt(0)
	v_cmp_gt_i32_e32 vcc, s33, v8
	s_and_saveexec_b64 s[2:3], vcc
	s_cbranch_execz .LBB515_65
; %bb.1:
	s_load_dwordx4 s[4:7], s[0:1], 0x0
	s_load_dwordx2 s[34:35], s[0:1], 0x10
	s_waitcnt lgkmcnt(0)
	s_cmp_eq_u64 s[6:7], 0
	s_cbranch_scc1 .LBB515_3
; %bb.2:
	v_ashrrev_i32_e32 v9, 31, v8
	v_lshl_add_u64 v[2:3], s[6:7], 0, v[8:9]
	global_load_ubyte v0, v[2:3], off
	s_waitcnt vmcnt(0)
	v_and_b32_e32 v0, 1, v0
	v_cmp_eq_u32_e32 vcc, 1, v0
	s_xor_b64 s[2:3], vcc, -1
	s_orn2_b64 s[36:37], s[2:3], exec
	s_branch .LBB515_4
.LBB515_3:
	s_mov_b64 s[36:37], -1
.LBB515_4:
	v_lshlrev_b32_e32 v4, 8, v8
	v_mov_b32_e32 v2, s4
	v_mov_b32_e32 v3, s5
	v_ashrrev_i32_e32 v5, 31, v4
	v_and_b32_e32 v9, 31, v1
	v_lshl_add_u64 v[2:3], v[4:5], 1, v[2:3]
	v_mov_b32_e32 v1, 0
	v_lshlrev_b32_e32 v0, 4, v9
	v_lshl_add_u64 v[0:1], v[2:3], 0, v[0:1]
	global_load_dwordx4 v[4:7], v[0:1], off
	s_mov_b32 s12, 0x800000
	v_mov_b32_e32 v2, 0x4f800000
	s_mov_b32 s9, 0x3f317217
	s_mov_b32 s10, 0x7f800000
	v_mov_b32_e32 v3, 0x41b17218
	s_mov_b32 s8, 0x41a00000
	s_mov_b32 s11, 0xf800000
	s_load_dwordx4 s[20:23], s[0:1], 0x40
	v_lshlrev_b32_e32 v12, 3, v9
	s_waitcnt lgkmcnt(0)
	s_cmp_lg_u64 s[22:23], 0
	s_cselect_b64 s[6:7], -1, 0
	s_and_b64 s[2:3], exec, s[6:7]
	s_waitcnt vmcnt(0)
	v_lshlrev_b32_e32 v0, 16, v4
	v_mul_f32_e32 v1, 0x3fb8aa3b, v0
	v_exp_f32_e32 v10, v1
	v_mov_b32_e32 v1, 0x260
	v_add_f32_e32 v10, 1.0, v10
	v_cmp_gt_f32_e32 vcc, s12, v10
	s_nop 1
	v_cndmask_b32_e32 v11, 1.0, v2, vcc
	v_mul_f32_e32 v10, v10, v11
	v_log_f32_e32 v11, v10
	v_cndmask_b32_e32 v13, 0, v3, vcc
	v_lshlrev_b32_e32 v10, 2, v12
	v_mul_f32_e32 v14, 0x3f317217, v11
	v_fma_f32 v14, v11, s9, -v14
	v_fmac_f32_e32 v14, 0x3377d1cf, v11
	v_fmac_f32_e32 v14, 0x3f317217, v11
	v_cmp_lt_f32_e64 vcc, |v11|, s10
	s_nop 1
	v_cndmask_b32_e32 v11, v11, v14, vcc
	v_sub_f32_e32 v11, v11, v13
	v_cmp_lt_f32_e32 vcc, s8, v0
	s_nop 1
	v_cndmask_b32_e32 v0, v11, v0, vcc
	v_mul_f32_e32 v11, 0x4f800000, v0
	v_cmp_gt_f32_e32 vcc, s11, v0
	s_nop 1
	v_cndmask_b32_e32 v0, v0, v11, vcc
	v_sqrt_f32_e32 v11, v0
	s_nop 0
	v_add_u32_e32 v13, -1, v11
	v_add_u32_e32 v14, 1, v11
	v_fma_f32 v15, -v13, v11, v0
	v_fma_f32 v16, -v14, v11, v0
	v_cmp_ge_f32_e64 s[4:5], 0, v15
	s_nop 1
	v_cndmask_b32_e64 v11, v11, v13, s[4:5]
	v_cmp_lt_f32_e64 s[4:5], 0, v16
	s_nop 1
	v_cndmask_b32_e64 v11, v11, v14, s[4:5]
	v_mul_f32_e32 v13, 0x37800000, v11
	v_cndmask_b32_e32 v11, v11, v13, vcc
	v_cmp_class_f32_e32 vcc, v0, v1
	s_nop 1
	v_cndmask_b32_e32 v0, v11, v0, vcc
	s_mov_b64 vcc, s[2:3]
	s_cbranch_vccz .LBB515_6
; %bb.5:
	global_load_dword v11, v10, s[22:23]
	s_waitcnt vmcnt(0)
	v_add_f32_e32 v0, v0, v11
.LBB515_6:
	v_and_b32_e32 v4, 0xffff0000, v4
	v_mul_f32_e32 v11, 0x3fb8aa3b, v4
	v_exp_f32_e32 v11, v11
	s_nop 0
	v_add_f32_e32 v11, 1.0, v11
	v_cmp_gt_f32_e32 vcc, s12, v11
	s_nop 1
	v_cndmask_b32_e32 v2, 1.0, v2, vcc
	v_mul_f32_e32 v2, v11, v2
	v_log_f32_e32 v2, v2
	v_cndmask_b32_e32 v3, 0, v3, vcc
	v_mul_f32_e32 v11, 0x3f317217, v2
	v_fma_f32 v11, v2, s9, -v11
	v_fmac_f32_e32 v11, 0x3377d1cf, v2
	v_fmac_f32_e32 v11, 0x3f317217, v2
	v_cmp_lt_f32_e64 vcc, |v2|, s10
	s_nop 1
	v_cndmask_b32_e32 v2, v2, v11, vcc
	v_sub_f32_e32 v2, v2, v3
	v_cmp_lt_f32_e32 vcc, s8, v4
	s_nop 1
	v_cndmask_b32_e32 v2, v2, v4, vcc
	v_mul_f32_e32 v3, 0x4f800000, v2
	v_cmp_gt_f32_e32 vcc, s11, v2
	s_nop 1
	v_cndmask_b32_e32 v2, v2, v3, vcc
	v_sqrt_f32_e32 v3, v2
	v_cmp_class_f32_e64 s[4:5], v2, v1
	v_add_u32_e32 v4, -1, v3
	v_add_u32_e32 v11, 1, v3
	v_fma_f32 v13, -v4, v3, v2
	v_fma_f32 v14, -v11, v3, v2
	v_cmp_ge_f32_e64 s[2:3], 0, v13
	s_nop 1
	v_cndmask_b32_e64 v3, v3, v4, s[2:3]
	v_cmp_lt_f32_e64 s[2:3], 0, v14
	s_nop 1
	v_cndmask_b32_e64 v3, v3, v11, s[2:3]
	v_mul_f32_e32 v4, 0x37800000, v3
	v_cndmask_b32_e32 v3, v3, v4, vcc
	v_cndmask_b32_e64 v4, 0, 1, s[6:7]
	v_cmp_ne_u32_e64 s[2:3], 1, v4
	s_andn2_b64 vcc, exec, s[6:7]
	v_cndmask_b32_e64 v1, v3, v2, s[4:5]
	s_cbranch_vccnz .LBB515_8
; %bb.7:
	global_load_dword v2, v10, s[22:23] offset:4
	s_waitcnt vmcnt(0)
	v_add_f32_e32 v1, v1, v2
.LBB515_8:
	v_lshlrev_b32_e32 v2, 16, v5
	v_mul_f32_e32 v3, 0x3fb8aa3b, v2
	v_exp_f32_e32 v3, v3
	s_mov_b32 s10, 0x800000
	v_mov_b32_e32 v4, 0x4f800000
	s_mov_b32 s7, 0x3f317217
	v_add_f32_e32 v3, 1.0, v3
	v_cmp_gt_f32_e32 vcc, s10, v3
	s_mov_b32 s8, 0x7f800000
	s_mov_b32 s6, 0x41a00000
	v_cndmask_b32_e32 v11, 1.0, v4, vcc
	v_mul_f32_e32 v3, v3, v11
	v_log_f32_e32 v3, v3
	s_mov_b32 s9, 0xf800000
	v_mul_f32_e32 v11, 0x3f317217, v3
	v_fma_f32 v11, v3, s7, -v11
	v_fmac_f32_e32 v11, 0x3377d1cf, v3
	v_fmac_f32_e32 v11, 0x3f317217, v3
	v_cmp_lt_f32_e64 s[4:5], |v3|, s8
	s_nop 1
	v_cndmask_b32_e64 v3, v3, v11, s[4:5]
	v_mov_b32_e32 v11, 0x41b17218
	v_cndmask_b32_e32 v13, 0, v11, vcc
	v_sub_f32_e32 v3, v3, v13
	v_cmp_lt_f32_e32 vcc, s6, v2
	s_nop 1
	v_cndmask_b32_e32 v2, v3, v2, vcc
	v_mul_f32_e32 v3, 0x4f800000, v2
	v_cmp_gt_f32_e32 vcc, s9, v2
	s_nop 1
	v_cndmask_b32_e32 v2, v2, v3, vcc
	v_sqrt_f32_e32 v3, v2
	s_nop 0
	v_add_u32_e32 v13, -1, v3
	v_fma_f32 v14, -v13, v3, v2
	v_cmp_ge_f32_e64 s[4:5], 0, v14
	v_add_u32_e32 v14, 1, v3
	s_nop 0
	v_cndmask_b32_e64 v13, v3, v13, s[4:5]
	v_fma_f32 v3, -v14, v3, v2
	v_cmp_lt_f32_e64 s[4:5], 0, v3
	s_nop 1
	v_cndmask_b32_e64 v3, v13, v14, s[4:5]
	v_mul_f32_e32 v13, 0x37800000, v3
	v_cndmask_b32_e32 v13, v3, v13, vcc
	v_mov_b32_e32 v3, 0x260
	v_cmp_class_f32_e64 s[4:5], v2, v3
	s_and_b64 vcc, exec, s[2:3]
	s_nop 0
	v_cndmask_b32_e64 v2, v13, v2, s[4:5]
	s_cbranch_vccnz .LBB515_10
; %bb.9:
	global_load_dword v13, v10, s[22:23] offset:8
	s_waitcnt vmcnt(0)
	v_add_f32_e32 v2, v2, v13
.LBB515_10:
	v_and_b32_e32 v5, 0xffff0000, v5
	v_mul_f32_e32 v13, 0x3fb8aa3b, v5
	v_exp_f32_e32 v13, v13
	s_nop 0
	v_add_f32_e32 v13, 1.0, v13
	v_cmp_gt_f32_e32 vcc, s10, v13
	s_nop 1
	v_cndmask_b32_e32 v4, 1.0, v4, vcc
	v_mul_f32_e32 v4, v13, v4
	v_log_f32_e32 v4, v4
	v_cndmask_b32_e32 v11, 0, v11, vcc
	v_mul_f32_e32 v13, 0x3f317217, v4
	v_fma_f32 v13, v4, s7, -v13
	v_fmac_f32_e32 v13, 0x3377d1cf, v4
	v_fmac_f32_e32 v13, 0x3f317217, v4
	v_cmp_lt_f32_e64 vcc, |v4|, s8
	s_nop 1
	v_cndmask_b32_e32 v4, v4, v13, vcc
	v_sub_f32_e32 v4, v4, v11
	v_cmp_lt_f32_e32 vcc, s6, v5
	s_nop 1
	v_cndmask_b32_e32 v4, v4, v5, vcc
	v_mul_f32_e32 v5, 0x4f800000, v4
	v_cmp_gt_f32_e32 vcc, s9, v4
	s_nop 1
	v_cndmask_b32_e32 v4, v4, v5, vcc
	v_sqrt_f32_e32 v5, v4
	s_nop 0
	v_add_u32_e32 v11, -1, v5
	v_add_u32_e32 v13, 1, v5
	v_fma_f32 v14, -v11, v5, v4
	v_fma_f32 v15, -v13, v5, v4
	v_cmp_ge_f32_e64 s[4:5], 0, v14
	s_nop 1
	v_cndmask_b32_e64 v5, v5, v11, s[4:5]
	v_cmp_lt_f32_e64 s[4:5], 0, v15
	s_nop 1
	v_cndmask_b32_e64 v5, v5, v13, s[4:5]
	v_mul_f32_e32 v11, 0x37800000, v5
	v_cndmask_b32_e32 v5, v5, v11, vcc
	v_cmp_class_f32_e64 s[4:5], v4, v3
	s_and_b64 vcc, exec, s[2:3]
	s_nop 0
	v_cndmask_b32_e64 v3, v5, v4, s[4:5]
	s_cbranch_vccnz .LBB515_12
; %bb.11:
	global_load_dword v4, v10, s[22:23] offset:12
	s_waitcnt vmcnt(0)
	v_add_f32_e32 v3, v3, v4
.LBB515_12:
	v_lshlrev_b32_e32 v4, 16, v6
	v_mul_f32_e32 v5, 0x3fb8aa3b, v4
	v_exp_f32_e32 v5, v5
	v_mov_b32_e32 v11, 0x4f800000
	v_add_f32_e32 v5, 1.0, v5
	v_cmp_gt_f32_e32 vcc, s10, v5
	s_nop 1
	v_cndmask_b32_e32 v13, 1.0, v11, vcc
	v_mul_f32_e32 v5, v5, v13
	v_log_f32_e32 v5, v5
	s_nop 0
	v_mul_f32_e32 v13, 0x3f317217, v5
	v_fma_f32 v13, v5, s7, -v13
	v_fmac_f32_e32 v13, 0x3377d1cf, v5
	v_fmac_f32_e32 v13, 0x3f317217, v5
	v_cmp_lt_f32_e64 s[4:5], |v5|, s8
	s_nop 1
	v_cndmask_b32_e64 v5, v5, v13, s[4:5]
	v_mov_b32_e32 v13, 0x41b17218
	v_cndmask_b32_e32 v14, 0, v13, vcc
	v_sub_f32_e32 v5, v5, v14
	v_cmp_lt_f32_e32 vcc, s6, v4
	s_nop 1
	v_cndmask_b32_e32 v4, v5, v4, vcc
	v_mul_f32_e32 v5, 0x4f800000, v4
	v_cmp_gt_f32_e32 vcc, s9, v4
	s_nop 1
	v_cndmask_b32_e32 v4, v4, v5, vcc
	v_sqrt_f32_e32 v5, v4
	s_nop 0
	v_add_u32_e32 v14, -1, v5
	v_fma_f32 v15, -v14, v5, v4
	v_cmp_ge_f32_e64 s[4:5], 0, v15
	v_add_u32_e32 v15, 1, v5
	s_nop 0
	v_cndmask_b32_e64 v14, v5, v14, s[4:5]
	v_fma_f32 v5, -v15, v5, v4
	v_cmp_lt_f32_e64 s[4:5], 0, v5
	s_nop 1
	v_cndmask_b32_e64 v5, v14, v15, s[4:5]
	v_mul_f32_e32 v14, 0x37800000, v5
	v_cndmask_b32_e32 v14, v5, v14, vcc
	v_mov_b32_e32 v5, 0x260
	v_cmp_class_f32_e64 s[4:5], v4, v5
	s_and_b64 vcc, exec, s[2:3]
	s_nop 0
	v_cndmask_b32_e64 v4, v14, v4, s[4:5]
	s_cbranch_vccnz .LBB515_14
; %bb.13:
	global_load_dword v14, v10, s[22:23] offset:16
	s_waitcnt vmcnt(0)
	v_add_f32_e32 v4, v4, v14
.LBB515_14:
	v_and_b32_e32 v6, 0xffff0000, v6
	v_mul_f32_e32 v14, 0x3fb8aa3b, v6
	v_exp_f32_e32 v14, v14
	s_nop 0
	v_add_f32_e32 v14, 1.0, v14
	v_cmp_gt_f32_e32 vcc, s10, v14
	s_nop 1
	v_cndmask_b32_e32 v11, 1.0, v11, vcc
	v_mul_f32_e32 v11, v14, v11
	v_log_f32_e32 v11, v11
	v_cndmask_b32_e32 v13, 0, v13, vcc
	v_mul_f32_e32 v14, 0x3f317217, v11
	v_fma_f32 v14, v11, s7, -v14
	v_fmac_f32_e32 v14, 0x3377d1cf, v11
	v_fmac_f32_e32 v14, 0x3f317217, v11
	v_cmp_lt_f32_e64 vcc, |v11|, s8
	s_nop 1
	v_cndmask_b32_e32 v11, v11, v14, vcc
	v_sub_f32_e32 v11, v11, v13
	v_cmp_lt_f32_e32 vcc, s6, v6
	s_nop 1
	v_cndmask_b32_e32 v6, v11, v6, vcc
	v_mul_f32_e32 v11, 0x4f800000, v6
	v_cmp_gt_f32_e32 vcc, s9, v6
	s_nop 1
	v_cndmask_b32_e32 v6, v6, v11, vcc
	v_sqrt_f32_e32 v11, v6
	s_nop 0
	v_add_u32_e32 v13, -1, v11
	v_add_u32_e32 v14, 1, v11
	v_fma_f32 v15, -v13, v11, v6
	v_fma_f32 v16, -v14, v11, v6
	v_cmp_ge_f32_e64 s[4:5], 0, v15
	s_nop 1
	v_cndmask_b32_e64 v11, v11, v13, s[4:5]
	v_cmp_lt_f32_e64 s[4:5], 0, v16
	s_nop 1
	v_cndmask_b32_e64 v11, v11, v14, s[4:5]
	v_mul_f32_e32 v13, 0x37800000, v11
	v_cndmask_b32_e32 v11, v11, v13, vcc
	v_cmp_class_f32_e64 s[4:5], v6, v5
	s_and_b64 vcc, exec, s[2:3]
	s_nop 0
	v_cndmask_b32_e64 v5, v11, v6, s[4:5]
	s_cbranch_vccnz .LBB515_16
; %bb.15:
	global_load_dword v6, v10, s[22:23] offset:20
	s_waitcnt vmcnt(0)
	v_add_f32_e32 v5, v5, v6
.LBB515_16:
	v_lshlrev_b32_e32 v6, 16, v7
	v_mul_f32_e32 v11, 0x3fb8aa3b, v6
	v_exp_f32_e32 v11, v11
	v_mov_b32_e32 v13, 0x4f800000
	v_add_f32_e32 v11, 1.0, v11
	v_cmp_gt_f32_e32 vcc, s10, v11
	s_nop 1
	v_cndmask_b32_e32 v14, 1.0, v13, vcc
	v_mul_f32_e32 v11, v11, v14
	v_log_f32_e32 v11, v11
	s_nop 0
	v_mul_f32_e32 v14, 0x3f317217, v11
	v_fma_f32 v14, v11, s7, -v14
	v_fmac_f32_e32 v14, 0x3377d1cf, v11
	v_fmac_f32_e32 v14, 0x3f317217, v11
	v_cmp_lt_f32_e64 s[4:5], |v11|, s8
	s_nop 1
	v_cndmask_b32_e64 v11, v11, v14, s[4:5]
	v_mov_b32_e32 v14, 0x41b17218
	v_cndmask_b32_e32 v15, 0, v14, vcc
	v_sub_f32_e32 v11, v11, v15
	v_cmp_lt_f32_e32 vcc, s6, v6
	s_nop 1
	v_cndmask_b32_e32 v6, v11, v6, vcc
	v_mul_f32_e32 v11, 0x4f800000, v6
	v_cmp_gt_f32_e32 vcc, s9, v6
	s_nop 1
	v_cndmask_b32_e32 v6, v6, v11, vcc
	v_sqrt_f32_e32 v11, v6
	s_nop 0
	v_add_u32_e32 v15, -1, v11
	v_fma_f32 v16, -v15, v11, v6
	v_cmp_ge_f32_e64 s[4:5], 0, v16
	v_add_u32_e32 v16, 1, v11
	s_nop 0
	v_cndmask_b32_e64 v15, v11, v15, s[4:5]
	v_fma_f32 v11, -v16, v11, v6
	v_cmp_lt_f32_e64 s[4:5], 0, v11
	s_nop 1
	v_cndmask_b32_e64 v11, v15, v16, s[4:5]
	v_mul_f32_e32 v15, 0x37800000, v11
	v_cndmask_b32_e32 v15, v11, v15, vcc
	v_mov_b32_e32 v11, 0x260
	v_cmp_class_f32_e64 s[4:5], v6, v11
	s_and_b64 vcc, exec, s[2:3]
	s_nop 0
	v_cndmask_b32_e64 v6, v15, v6, s[4:5]
	s_cbranch_vccnz .LBB515_18
; %bb.17:
	global_load_dword v15, v10, s[22:23] offset:24
	s_waitcnt vmcnt(0)
	v_add_f32_e32 v6, v6, v15
.LBB515_18:
	v_and_b32_e32 v7, 0xffff0000, v7
	v_mul_f32_e32 v15, 0x3fb8aa3b, v7
	v_exp_f32_e32 v15, v15
	s_nop 0
	v_add_f32_e32 v15, 1.0, v15
	v_cmp_gt_f32_e32 vcc, s10, v15
	s_nop 1
	v_cndmask_b32_e32 v13, 1.0, v13, vcc
	v_mul_f32_e32 v13, v15, v13
	v_log_f32_e32 v13, v13
	v_cndmask_b32_e32 v14, 0, v14, vcc
	v_mul_f32_e32 v15, 0x3f317217, v13
	v_fma_f32 v15, v13, s7, -v15
	v_fmac_f32_e32 v15, 0x3377d1cf, v13
	v_fmac_f32_e32 v15, 0x3f317217, v13
	v_cmp_lt_f32_e64 vcc, |v13|, s8
	s_nop 1
	v_cndmask_b32_e32 v13, v13, v15, vcc
	v_sub_f32_e32 v13, v13, v14
	v_cmp_lt_f32_e32 vcc, s6, v7
	s_nop 1
	v_cndmask_b32_e32 v7, v13, v7, vcc
	v_mul_f32_e32 v13, 0x4f800000, v7
	v_cmp_gt_f32_e32 vcc, s9, v7
	s_nop 1
	v_cndmask_b32_e32 v7, v7, v13, vcc
	v_sqrt_f32_e32 v13, v7
	s_nop 0
	v_add_u32_e32 v14, -1, v13
	v_add_u32_e32 v15, 1, v13
	v_fma_f32 v16, -v14, v13, v7
	v_fma_f32 v17, -v15, v13, v7
	v_cmp_ge_f32_e64 s[4:5], 0, v16
	s_nop 1
	v_cndmask_b32_e64 v13, v13, v14, s[4:5]
	v_cmp_lt_f32_e64 s[4:5], 0, v17
	s_nop 1
	v_cndmask_b32_e64 v13, v13, v15, s[4:5]
	v_mul_f32_e32 v14, 0x37800000, v13
	v_cndmask_b32_e32 v13, v13, v14, vcc
	v_cmp_class_f32_e64 s[4:5], v7, v11
	s_and_b64 vcc, exec, s[2:3]
	s_nop 0
	v_cndmask_b32_e64 v7, v13, v7, s[4:5]
	s_cbranch_vccnz .LBB515_20
; %bb.19:
	global_load_dword v10, v10, s[22:23] offset:28
	s_waitcnt vmcnt(0)
	v_add_f32_e32 v7, v7, v10
.LBB515_20:
	s_load_dwordx4 s[24:27], s[0:1], 0x30
	s_mov_b32 s42, 0
	v_cmp_eq_u32_e64 s[6:7], 0, v9
	s_waitcnt lgkmcnt(0)
	s_bitcmp1_b32 s27, 0
	s_cselect_b64 s[4:5], -1, 0
	s_cmp_gt_i32 s24, 0
	s_cselect_b64 s[38:39], -1, 0
	s_and_b64 vcc, exec, s[38:39]
	s_cbranch_vccz .LBB515_51
; %bb.21:
	v_mbcnt_lo_u32_b32 v10, -1, 0
	v_mbcnt_hi_u32_b32 v10, -1, v10
	v_and_b32_e32 v11, 0x60, v10
	v_add_u32_e32 v11, 32, v11
	v_xor_b32_e32 v13, 16, v10
	v_cmp_lt_i32_e32 vcc, v13, v11
	s_load_dwordx4 s[28:31], s[0:1], 0x20
	v_mul_lo_u32 v14, v8, s24
	v_cndmask_b32_e32 v13, v10, v13, vcc
	v_lshlrev_b32_e32 v15, 2, v13
	v_xor_b32_e32 v13, 8, v10
	v_cmp_lt_i32_e32 vcc, v13, v11
	v_mov_b32_e32 v20, 0x100
	v_mov_b32_e32 v21, 0xc61c4000
	v_cndmask_b32_e32 v13, v10, v13, vcc
	v_lshlrev_b32_e32 v16, 2, v13
	v_xor_b32_e32 v13, 4, v10
	v_cmp_lt_i32_e32 vcc, v13, v11
	v_mov_b32_e32 v22, v8
	s_nop 0
	v_cndmask_b32_e32 v13, v10, v13, vcc
	v_lshlrev_b32_e32 v17, 2, v13
	v_xor_b32_e32 v13, 2, v10
	v_cmp_lt_i32_e32 vcc, v13, v11
	s_nop 1
	v_cndmask_b32_e32 v13, v10, v13, vcc
	v_lshlrev_b32_e32 v18, 2, v13
	v_xor_b32_e32 v13, 1, v10
	v_cmp_lt_i32_e32 vcc, v13, v11
	s_nop 1
	v_cndmask_b32_e32 v10, v10, v13, vcc
	v_lshlrev_b32_e32 v19, 2, v10
	v_mov_b32_e32 v13, 0
	s_branch .LBB515_24
.LBB515_22:                             ;   in Loop: Header=BB515_24 Depth=1
	s_or_b64 exec, exec, s[40:41]
.LBB515_23:                             ;   in Loop: Header=BB515_24 Depth=1
	s_cmp_eq_u32 s24, s42
	v_add_u32_e32 v22, s33, v22
	s_cbranch_scc1 .LBB515_52
.LBB515_24:                             ; =>This Inner Loop Header: Depth=1
	v_cmp_gt_f32_e32 vcc, v1, v0
	s_nop 1
	v_cndmask_b32_e32 v11, v0, v1, vcc
	v_cndmask_b32_e64 v10, 0, 1, vcc
	v_cmp_gt_f32_e32 vcc, v2, v11
	s_nop 1
	v_cndmask_b32_e32 v11, v11, v2, vcc
	v_cndmask_b32_e64 v10, v10, 2, vcc
	;; [unrolled: 4-line block ×6, first 2 shown]
	v_cmp_gt_f32_e32 vcc, v7, v11
	s_nop 1
	v_cndmask_b32_e64 v10, v10, 7, vcc
	v_cndmask_b32_e32 v23, v11, v7, vcc
	ds_bpermute_b32 v11, v15, v23
	v_or_b32_e32 v10, v12, v10
	s_waitcnt lgkmcnt(0)
	ds_bpermute_b32 v24, v15, v10
	s_waitcnt lgkmcnt(0)
	v_cmp_lt_f32_e64 s[8:9], v23, v11
	v_cmp_nlt_f32_e32 vcc, v23, v11
	s_and_saveexec_b64 s[10:11], vcc
; %bb.25:                               ;   in Loop: Header=BB515_24 Depth=1
	v_cmp_eq_f32_e32 vcc, v23, v11
	v_cmp_lt_i32_e64 s[0:1], v24, v10
	s_and_b64 s[0:1], vcc, s[0:1]
	s_andn2_b64 s[8:9], s[8:9], exec
	s_and_b64 s[0:1], s[0:1], exec
	s_or_b64 s[8:9], s[8:9], s[0:1]
; %bb.26:                               ;   in Loop: Header=BB515_24 Depth=1
	s_or_b64 exec, exec, s[10:11]
	s_and_saveexec_b64 s[0:1], s[8:9]
; %bb.27:                               ;   in Loop: Header=BB515_24 Depth=1
	v_mov_b32_e32 v23, v11
	v_mov_b32_e32 v10, v24
; %bb.28:                               ;   in Loop: Header=BB515_24 Depth=1
	s_or_b64 exec, exec, s[0:1]
	ds_bpermute_b32 v11, v16, v23
	ds_bpermute_b32 v24, v16, v10
	s_waitcnt lgkmcnt(1)
	v_cmp_lt_f32_e64 s[8:9], v23, v11
	v_cmp_nlt_f32_e32 vcc, v23, v11
	s_and_saveexec_b64 s[10:11], vcc
	s_cbranch_execz .LBB515_30
; %bb.29:                               ;   in Loop: Header=BB515_24 Depth=1
	v_cmp_eq_f32_e32 vcc, v23, v11
	s_waitcnt lgkmcnt(0)
	v_cmp_lt_i32_e64 s[0:1], v24, v10
	s_and_b64 s[0:1], vcc, s[0:1]
	s_andn2_b64 s[8:9], s[8:9], exec
	s_and_b64 s[0:1], s[0:1], exec
	s_or_b64 s[8:9], s[8:9], s[0:1]
.LBB515_30:                             ;   in Loop: Header=BB515_24 Depth=1
	s_or_b64 exec, exec, s[10:11]
	s_and_saveexec_b64 s[0:1], s[8:9]
	s_cbranch_execz .LBB515_32
; %bb.31:                               ;   in Loop: Header=BB515_24 Depth=1
	v_mov_b32_e32 v23, v11
	s_waitcnt lgkmcnt(0)
	v_mov_b32_e32 v10, v24
.LBB515_32:                             ;   in Loop: Header=BB515_24 Depth=1
	s_or_b64 exec, exec, s[0:1]
	ds_bpermute_b32 v11, v17, v23
	s_waitcnt lgkmcnt(1)
	ds_bpermute_b32 v24, v17, v10
	s_waitcnt lgkmcnt(1)
	v_cmp_lt_f32_e64 s[8:9], v23, v11
	v_cmp_nlt_f32_e32 vcc, v23, v11
	s_and_saveexec_b64 s[10:11], vcc
	s_cbranch_execz .LBB515_34
; %bb.33:                               ;   in Loop: Header=BB515_24 Depth=1
	v_cmp_eq_f32_e32 vcc, v23, v11
	s_waitcnt lgkmcnt(0)
	v_cmp_lt_i32_e64 s[0:1], v24, v10
	s_and_b64 s[0:1], vcc, s[0:1]
	s_andn2_b64 s[8:9], s[8:9], exec
	s_and_b64 s[0:1], s[0:1], exec
	s_or_b64 s[8:9], s[8:9], s[0:1]
.LBB515_34:                             ;   in Loop: Header=BB515_24 Depth=1
	s_or_b64 exec, exec, s[10:11]
	s_and_saveexec_b64 s[0:1], s[8:9]
	s_cbranch_execz .LBB515_36
; %bb.35:                               ;   in Loop: Header=BB515_24 Depth=1
	v_mov_b32_e32 v23, v11
	s_waitcnt lgkmcnt(0)
	v_mov_b32_e32 v10, v24
.LBB515_36:                             ;   in Loop: Header=BB515_24 Depth=1
	s_or_b64 exec, exec, s[0:1]
	ds_bpermute_b32 v11, v18, v23
	s_waitcnt lgkmcnt(1)
	;; [unrolled: 26-line block ×3, first 2 shown]
	ds_bpermute_b32 v24, v19, v10
	s_waitcnt lgkmcnt(1)
	v_cmp_lt_f32_e64 s[8:9], v23, v11
	v_cmp_nlt_f32_e32 vcc, v23, v11
	s_and_saveexec_b64 s[10:11], vcc
	s_cbranch_execnz .LBB515_44
; %bb.41:                               ;   in Loop: Header=BB515_24 Depth=1
	s_or_b64 exec, exec, s[10:11]
	s_and_saveexec_b64 s[0:1], s[8:9]
	s_cbranch_execnz .LBB515_45
.LBB515_42:                             ;   in Loop: Header=BB515_24 Depth=1
	s_or_b64 exec, exec, s[0:1]
	s_and_saveexec_b64 s[8:9], s[6:7]
	s_cbranch_execnz .LBB515_46
.LBB515_43:                             ;   in Loop: Header=BB515_24 Depth=1
	s_or_b64 exec, exec, s[8:9]
	s_add_i32 s42, s42, 1
	s_cmp_ge_i32 s42, s24
	s_cbranch_scc1 .LBB515_23
	s_branch .LBB515_49
.LBB515_44:                             ;   in Loop: Header=BB515_24 Depth=1
	v_cmp_eq_f32_e32 vcc, v23, v11
	s_waitcnt lgkmcnt(0)
	v_cmp_lt_i32_e64 s[0:1], v24, v10
	s_and_b64 s[0:1], vcc, s[0:1]
	s_andn2_b64 s[8:9], s[8:9], exec
	s_and_b64 s[0:1], s[0:1], exec
	s_or_b64 s[8:9], s[8:9], s[0:1]
	s_or_b64 exec, exec, s[10:11]
	s_and_saveexec_b64 s[0:1], s[8:9]
	s_cbranch_execz .LBB515_42
.LBB515_45:                             ;   in Loop: Header=BB515_24 Depth=1
	s_waitcnt lgkmcnt(0)
	v_mov_b32_e32 v10, v24
	v_mov_b32_e32 v23, v11
	s_or_b64 exec, exec, s[0:1]
	s_and_saveexec_b64 s[8:9], s[6:7]
	s_cbranch_execz .LBB515_43
.LBB515_46:                             ;   in Loop: Header=BB515_24 Depth=1
	s_and_b64 vcc, exec, s[2:3]
	s_cbranch_vccnz .LBB515_48
; %bb.47:                               ;   in Loop: Header=BB515_24 Depth=1
	v_ashrrev_i32_e32 v11, 31, v10
	s_waitcnt lgkmcnt(0)
	v_lshl_add_u64 v[24:25], v[10:11], 2, s[22:23]
	global_load_dword v11, v[24:25], off
	s_waitcnt vmcnt(0)
	v_sub_f32_e32 v23, v23, v11
.LBB515_48:                             ;   in Loop: Header=BB515_24 Depth=1
	s_waitcnt lgkmcnt(0)
	v_add_u32_e32 v24, s42, v14
	v_ashrrev_i32_e32 v25, 31, v24
	v_cmp_le_i32_e32 vcc, s25, v10
	v_cmp_gt_i32_e64 s[0:1], s26, v10
	v_lshlrev_b64 v[26:27], 2, v[24:25]
	s_and_b64 s[0:1], vcc, s[0:1]
	v_lshl_add_u64 v[28:29], s[34:35], 0, v[26:27]
	v_subrev_u32_e32 v11, s25, v10
	global_store_dword v[28:29], v23, off
	v_ashrrev_i32_e32 v28, 31, v11
	s_and_b64 vcc, s[36:37], s[0:1]
	v_cndmask_b32_e32 v29, 0, v28, vcc
	v_cndmask_b32_e32 v28, v20, v11, vcc
	v_lshl_add_u64 v[24:25], v[24:25], 3, s[28:29]
	v_add_f32_e32 v11, v13, v23
	global_store_dwordx2 v[24:25], v[28:29], off
	v_lshl_add_u64 v[24:25], s[30:31], 0, v[26:27]
	v_cndmask_b32_e64 v13, v13, v11, s[4:5]
	global_store_dword v[24:25], v22, off
	s_or_b64 exec, exec, s[8:9]
	s_add_i32 s42, s42, 1
	s_cmp_ge_i32 s42, s24
	s_cbranch_scc1 .LBB515_23
.LBB515_49:                             ;   in Loop: Header=BB515_24 Depth=1
	v_ashrrev_i32_e32 v11, 31, v10
	v_lshrrev_b32_e32 v23, 29, v11
	s_waitcnt lgkmcnt(0)
	v_add_u32_e32 v24, v10, v23
	v_ashrrev_i32_e32 v23, 3, v24
	v_ashrrev_i32_e32 v24, 31, v24
	v_lshrrev_b32_e32 v24, 27, v24
	v_add_u32_e32 v24, v23, v24
	v_and_b32_e32 v24, 0xffffffe0, v24
	v_sub_u32_e32 v24, v23, v24
	v_cmp_eq_u32_e32 vcc, v9, v24
	s_and_saveexec_b64 s[40:41], vcc
	s_cbranch_execz .LBB515_22
; %bb.50:                               ;   in Loop: Header=BB515_24 Depth=1
	v_add_u32_sdwa v11, v10, v11 dst_sel:DWORD dst_unused:UNUSED_PAD src0_sel:DWORD src1_sel:BYTE_3
	v_lshlrev_b32_e32 v23, 3, v23
	v_sub_u32_e32 v10, v10, v23
	v_ashrrev_i32_e32 v11, 8, v11
	v_lshl_add_u32 v10, v11, 3, v10
	v_cmp_ne_u32_e32 vcc, 6, v10
	v_cmp_ne_u32_e64 s[0:1], 5, v10
	v_cmp_ne_u32_e64 s[8:9], 4, v10
	;; [unrolled: 1-line block ×7, first 2 shown]
	v_cndmask_b32_e32 v6, v21, v6, vcc
	v_cndmask_b32_e64 v5, v21, v5, s[0:1]
	v_cndmask_b32_e64 v7, v21, v7, s[18:19]
	;; [unrolled: 1-line block ×7, first 2 shown]
	s_branch .LBB515_22
.LBB515_51:
	v_mov_b32_e32 v13, 0
.LBB515_52:
	v_cmp_eq_u32_e32 vcc, 0, v9
	s_and_b64 exec, exec, vcc
	s_cbranch_execz .LBB515_65
; %bb.53:
	s_andn2_b64 vcc, exec, s[4:5]
	v_cvt_f32_f64_e32 v0, s[20:21]
	s_cbranch_vccnz .LBB515_55
; %bb.54:
	v_cmp_lt_f32_e32 vcc, 0, v13
	s_nop 1
	v_cndmask_b32_e32 v1, 1.0, v13, vcc
	v_div_scale_f32 v2, s[0:1], v1, v1, v0
	v_rcp_f32_e32 v3, v2
	s_nop 0
	v_fma_f32 v4, -v2, v3, 1.0
	v_fmac_f32_e32 v3, v4, v3
	v_div_scale_f32 v4, vcc, v0, v1, v0
	v_mul_f32_e32 v5, v4, v3
	v_fma_f32 v6, -v2, v5, v4
	v_fmac_f32_e32 v5, v6, v3
	v_fma_f32 v2, -v2, v5, v4
	v_div_fmas_f32 v2, v2, v3, v5
	v_div_fixup_f32 v0, v2, v1, v0
.LBB515_55:
	s_andn2_b64 vcc, exec, s[38:39]
	s_cbranch_vccnz .LBB515_65
; %bb.56:
	v_mul_lo_u32 v2, v8, s24
	s_cmp_gt_u32 s24, 3
	v_ashrrev_i32_e32 v3, 31, v2
	s_cbranch_scc0 .LBB515_60
; %bb.57:
	s_and_b32 s0, s24, 0x7ffffffc
	v_lshl_add_u64 v[4:5], v[2:3], 2, s[34:35]
	v_mov_b32_e32 v1, v0
	v_lshl_add_u64 v[4:5], v[4:5], 0, 8
	s_mov_b32 s1, s0
.LBB515_58:                             ; =>This Inner Loop Header: Depth=1
	global_load_dwordx4 v[6:9], v[4:5], off offset:-8
	s_add_i32 s1, s1, -4
	s_cmp_lg_u32 s1, 0
	s_waitcnt vmcnt(0)
	v_pk_mul_f32 v[6:7], v[0:1], v[6:7]
	v_pk_mul_f32 v[8:9], v[0:1], v[8:9]
	global_store_dwordx4 v[4:5], v[6:9], off offset:-8
	v_lshl_add_u64 v[4:5], v[4:5], 0, 16
	s_cbranch_scc1 .LBB515_58
; %bb.59:
	s_cmp_lg_u32 s0, s24
	s_cselect_b64 s[2:3], -1, 0
	s_branch .LBB515_62
.LBB515_60:
	s_mov_b64 s[2:3], 0
                                        ; implicit-def: $sgpr0
	s_cbranch_execz .LBB515_62
; %bb.61:
	s_mov_b64 s[2:3], -1
	s_mov_b32 s0, 0
.LBB515_62:
	s_andn2_b64 vcc, exec, s[2:3]
	s_cbranch_vccnz .LBB515_65
; %bb.63:
	s_mov_b32 s1, 0
	v_lshl_add_u64 v[2:3], v[2:3], 0, s[0:1]
	s_sub_i32 s2, s24, s0
	v_lshl_add_u64 v[2:3], v[2:3], 2, s[34:35]
.LBB515_64:                             ; =>This Inner Loop Header: Depth=1
	global_load_dword v1, v[2:3], off
	s_add_i32 s2, s2, -1
	s_cmp_lg_u32 s2, 0
	s_waitcnt vmcnt(0)
	v_mul_f32_e32 v1, v0, v1
	global_store_dword v[2:3], v1, off
	v_lshl_add_u64 v[2:3], v[2:3], 0, 4
	s_cbranch_scc1 .LBB515_64
.LBB515_65:
	s_endpgm
	.section	.rodata,"a",@progbits
	.p2align	6, 0x0
	.amdhsa_kernel _ZN4vllm3moe22topkGatingSoftplusSqrtILi8ELi256ELi4ELi16ELi32ELb0El14__hip_bfloat16EEvPKT6_PKbPfiPT5_PiiiibdPKfPKS9_SF_
		.amdhsa_group_segment_fixed_size 0
		.amdhsa_private_segment_fixed_size 0
		.amdhsa_kernarg_size 96
		.amdhsa_user_sgpr_count 2
		.amdhsa_user_sgpr_dispatch_ptr 0
		.amdhsa_user_sgpr_queue_ptr 0
		.amdhsa_user_sgpr_kernarg_segment_ptr 1
		.amdhsa_user_sgpr_dispatch_id 0
		.amdhsa_user_sgpr_kernarg_preload_length 0
		.amdhsa_user_sgpr_kernarg_preload_offset 0
		.amdhsa_user_sgpr_private_segment_size 0
		.amdhsa_uses_dynamic_stack 0
		.amdhsa_enable_private_segment 0
		.amdhsa_system_sgpr_workgroup_id_x 1
		.amdhsa_system_sgpr_workgroup_id_y 0
		.amdhsa_system_sgpr_workgroup_id_z 0
		.amdhsa_system_sgpr_workgroup_info 0
		.amdhsa_system_vgpr_workitem_id 1
		.amdhsa_next_free_vgpr 30
		.amdhsa_next_free_sgpr 43
		.amdhsa_accum_offset 32
		.amdhsa_reserve_vcc 1
		.amdhsa_float_round_mode_32 0
		.amdhsa_float_round_mode_16_64 0
		.amdhsa_float_denorm_mode_32 3
		.amdhsa_float_denorm_mode_16_64 3
		.amdhsa_dx10_clamp 1
		.amdhsa_ieee_mode 1
		.amdhsa_fp16_overflow 0
		.amdhsa_tg_split 0
		.amdhsa_exception_fp_ieee_invalid_op 0
		.amdhsa_exception_fp_denorm_src 0
		.amdhsa_exception_fp_ieee_div_zero 0
		.amdhsa_exception_fp_ieee_overflow 0
		.amdhsa_exception_fp_ieee_underflow 0
		.amdhsa_exception_fp_ieee_inexact 0
		.amdhsa_exception_int_div_zero 0
	.end_amdhsa_kernel
	.section	.text._ZN4vllm3moe22topkGatingSoftplusSqrtILi8ELi256ELi4ELi16ELi32ELb0El14__hip_bfloat16EEvPKT6_PKbPfiPT5_PiiiibdPKfPKS9_SF_,"axG",@progbits,_ZN4vllm3moe22topkGatingSoftplusSqrtILi8ELi256ELi4ELi16ELi32ELb0El14__hip_bfloat16EEvPKT6_PKbPfiPT5_PiiiibdPKfPKS9_SF_,comdat
.Lfunc_end515:
	.size	_ZN4vllm3moe22topkGatingSoftplusSqrtILi8ELi256ELi4ELi16ELi32ELb0El14__hip_bfloat16EEvPKT6_PKbPfiPT5_PiiiibdPKfPKS9_SF_, .Lfunc_end515-_ZN4vllm3moe22topkGatingSoftplusSqrtILi8ELi256ELi4ELi16ELi32ELb0El14__hip_bfloat16EEvPKT6_PKbPfiPT5_PiiiibdPKfPKS9_SF_
                                        ; -- End function
	.section	.AMDGPU.csdata,"",@progbits
; Kernel info:
; codeLenInByte = 4136
; NumSgprs: 49
; NumVgprs: 30
; NumAgprs: 0
; TotalNumVgprs: 30
; ScratchSize: 0
; MemoryBound: 0
; FloatMode: 240
; IeeeMode: 1
; LDSByteSize: 0 bytes/workgroup (compile time only)
; SGPRBlocks: 6
; VGPRBlocks: 3
; NumSGPRsForWavesPerEU: 49
; NumVGPRsForWavesPerEU: 30
; AccumOffset: 32
; Occupancy: 8
; WaveLimiterHint : 0
; COMPUTE_PGM_RSRC2:SCRATCH_EN: 0
; COMPUTE_PGM_RSRC2:USER_SGPR: 2
; COMPUTE_PGM_RSRC2:TRAP_HANDLER: 0
; COMPUTE_PGM_RSRC2:TGID_X_EN: 1
; COMPUTE_PGM_RSRC2:TGID_Y_EN: 0
; COMPUTE_PGM_RSRC2:TGID_Z_EN: 0
; COMPUTE_PGM_RSRC2:TIDIG_COMP_CNT: 1
; COMPUTE_PGM_RSRC3_GFX90A:ACCUM_OFFSET: 7
; COMPUTE_PGM_RSRC3_GFX90A:TG_SPLIT: 0
	.section	.text._ZN4vllm3moe22topkGatingSoftplusSqrtILi8ELi512ELi4ELi16ELi64ELb1El14__hip_bfloat16EEvPKT6_PKbPfiPT5_PiiiibdPKfPKS9_SF_,"axG",@progbits,_ZN4vllm3moe22topkGatingSoftplusSqrtILi8ELi512ELi4ELi16ELi64ELb1El14__hip_bfloat16EEvPKT6_PKbPfiPT5_PiiiibdPKfPKS9_SF_,comdat
	.protected	_ZN4vllm3moe22topkGatingSoftplusSqrtILi8ELi512ELi4ELi16ELi64ELb1El14__hip_bfloat16EEvPKT6_PKbPfiPT5_PiiiibdPKfPKS9_SF_ ; -- Begin function _ZN4vllm3moe22topkGatingSoftplusSqrtILi8ELi512ELi4ELi16ELi64ELb1El14__hip_bfloat16EEvPKT6_PKbPfiPT5_PiiiibdPKfPKS9_SF_
	.globl	_ZN4vllm3moe22topkGatingSoftplusSqrtILi8ELi512ELi4ELi16ELi64ELb1El14__hip_bfloat16EEvPKT6_PKbPfiPT5_PiiiibdPKfPKS9_SF_
	.p2align	8
	.type	_ZN4vllm3moe22topkGatingSoftplusSqrtILi8ELi512ELi4ELi16ELi64ELb1El14__hip_bfloat16EEvPKT6_PKbPfiPT5_PiiiibdPKfPKS9_SF_,@function
_ZN4vllm3moe22topkGatingSoftplusSqrtILi8ELi512ELi4ELi16ELi64ELb1El14__hip_bfloat16EEvPKT6_PKbPfiPT5_PiiiibdPKfPKS9_SF_: ; @_ZN4vllm3moe22topkGatingSoftplusSqrtILi8ELi512ELi4ELi16ELi64ELb1El14__hip_bfloat16EEvPKT6_PKbPfiPT5_PiiiibdPKfPKS9_SF_
; %bb.0:
	s_load_dword s3, s[0:1], 0x18
	v_and_b32_e32 v8, 0x3ff, v0
	s_lshl_b32 s2, s2, 2
	v_lshrrev_b32_e32 v1, 6, v8
	v_bfe_u32 v0, v0, 10, 10
	v_add3_u32 v6, s2, v0, v1
	s_waitcnt lgkmcnt(0)
	v_cmp_gt_i32_e32 vcc, s3, v6
	s_and_saveexec_b64 s[2:3], vcc
	s_cbranch_execz .LBB516_31
; %bb.1:
	s_load_dwordx4 s[8:11], s[0:1], 0x50
	s_load_dwordx2 s[2:3], s[0:1], 0x0
	s_load_dword s12, s[0:1], 0x30
	v_lshlrev_b32_e32 v0, 9, v6
	v_lshlrev_b32_e32 v4, 3, v8
	v_ashrrev_i32_e32 v1, 31, v0
	v_and_b32_e32 v12, 0x1f8, v4
	s_waitcnt lgkmcnt(0)
	v_mov_b32_e32 v2, s8
	v_mov_b32_e32 v3, s9
	v_lshl_add_u64 v[0:1], v[0:1], 1, s[2:3]
	v_lshlrev_b32_e32 v4, 1, v12
	v_mov_b32_e32 v5, 0
	v_ashrrev_i32_e32 v7, 31, v6
	v_lshl_add_u64 v[2:3], v[6:7], 3, v[2:3]
	v_lshl_add_u64 v[0:1], v[0:1], 0, v[4:5]
	global_load_dwordx2 v[10:11], v[2:3], off
	s_ashr_i32 s13, s12, 31
	global_load_dwordx4 v[0:3], v[0:1], off
	s_mov_b32 s23, 0x800000
	v_mov_b32_e32 v4, 0x4f800000
	s_mov_b32 s21, 0x3f317217
	s_mov_b32 s22, 0x7f800000
	v_mov_b32_e32 v7, 0x41b17218
	s_mov_b32 s17, 0x41a00000
	s_mov_b32 s20, 0xf800000
	v_mov_b32_e32 v9, 0x260
	v_cmp_lt_i64_e64 s[18:19], s[12:13], 1
	s_mov_b32 s16, 0
	v_cmp_gt_i64_e64 s[14:15], s[12:13], 0
	s_waitcnt vmcnt(1)
	v_mul_lo_u32 v11, v11, s12
	v_mul_lo_u32 v13, v10, s13
	s_waitcnt vmcnt(0)
	v_and_b32_e32 v18, 0xffff0000, v0
	v_lshlrev_b32_e32 v19, 16, v0
	v_and_b32_e32 v20, 0xffff0000, v1
	v_lshlrev_b32_e32 v21, 16, v1
	v_mul_f32_e32 v0, 0x3fb8aa3b, v19
	v_mul_f32_e32 v1, 0x3fb8aa3b, v18
	v_exp_f32_e32 v14, v0
	v_exp_f32_e32 v15, v1
	v_mul_f32_e32 v16, 0x3fb8aa3b, v21
	v_mul_f32_e32 v17, 0x3fb8aa3b, v20
	v_exp_f32_e32 v16, v16
	v_exp_f32_e32 v17, v17
	v_mad_u64_u32 v[0:1], s[2:3], v10, s12, 0
	v_add3_u32 v1, v1, v13, v11
	v_pk_add_f32 v[10:11], v[14:15], 1.0 op_sel_hi:[1,0]
	v_pk_add_f32 v[14:15], v[16:17], 1.0 op_sel_hi:[1,0]
	v_cmp_gt_f32_e32 vcc, s23, v11
	v_cmp_gt_f32_e64 s[2:3], s23, v10
	v_cmp_gt_f32_e64 s[6:7], s23, v14
	v_cndmask_b32_e32 v13, 1.0, v4, vcc
	v_cndmask_b32_e64 v16, 1.0, v4, s[2:3]
	v_mul_f32_e32 v11, v11, v13
	v_mul_f32_e32 v10, v10, v16
	v_log_f32_e32 v11, v11
	v_log_f32_e32 v10, v10
	v_cmp_gt_f32_e64 s[4:5], s23, v15
	v_cndmask_b32_e64 v22, 1.0, v4, s[6:7]
	v_mul_f32_e32 v14, v14, v22
	v_cndmask_b32_e64 v17, 1.0, v4, s[4:5]
	v_mul_f32_e32 v15, v15, v17
	v_log_f32_e32 v22, v14
	v_mul_f32_e32 v14, 0x3f317217, v11
	v_log_f32_e32 v17, v15
	v_mul_f32_e32 v15, 0x3f317217, v10
	v_fma_f32 v14, v11, s21, -v14
	v_fma_f32 v15, v10, s21, -v15
	v_fmac_f32_e32 v14, 0x3377d1cf, v11
	v_cndmask_b32_e32 v13, 0, v7, vcc
	v_fmac_f32_e32 v15, 0x3377d1cf, v10
	v_fmac_f32_e32 v14, 0x3f317217, v11
	v_cmp_lt_f32_e64 vcc, |v11|, s22
	v_fmac_f32_e32 v15, 0x3f317217, v10
	v_cndmask_b32_e64 v16, 0, v7, s[2:3]
	v_cndmask_b32_e32 v11, v11, v14, vcc
	v_cmp_lt_f32_e64 vcc, |v10|, s22
	v_sub_f32_e32 v11, v11, v13
	v_mul_f32_e32 v23, 0x3f317217, v17
	v_cndmask_b32_e32 v10, v10, v15, vcc
	v_sub_f32_e32 v10, v10, v16
	v_cmp_lt_f32_e32 vcc, s17, v19
	v_fma_f32 v23, v17, s21, -v23
	v_fmac_f32_e32 v23, 0x3377d1cf, v17
	v_cndmask_b32_e32 v10, v10, v19, vcc
	v_cmp_lt_f32_e32 vcc, s17, v18
	v_mul_f32_e32 v14, 0x4f800000, v10
	v_cmp_gt_f32_e64 s[2:3], s20, v10
	v_cndmask_b32_e32 v11, v11, v18, vcc
	v_mul_f32_e32 v13, 0x4f800000, v11
	v_cmp_gt_f32_e32 vcc, s20, v11
	v_cndmask_b32_e64 v10, v10, v14, s[2:3]
	v_sqrt_f32_e32 v14, v10
	v_cndmask_b32_e32 v11, v11, v13, vcc
	v_sqrt_f32_e32 v13, v11
	v_fmac_f32_e32 v23, 0x3f317217, v17
	v_add_u32_e32 v18, -1, v14
	v_fma_f32 v26, -v18, v14, v10
	v_add_u32_e32 v15, -1, v13
	v_fma_f32 v24, -v15, v13, v11
	v_add_u32_e32 v16, 1, v13
	v_cmp_ge_f32_e64 s[8:9], 0, v24
	v_add_u32_e32 v19, 1, v14
	v_fma_f32 v25, -v16, v13, v11
	v_cndmask_b32_e64 v13, v13, v15, s[8:9]
	v_cmp_ge_f32_e64 s[8:9], 0, v26
	v_fma_f32 v27, -v19, v14, v10
	s_nop 0
	v_cndmask_b32_e64 v14, v14, v18, s[8:9]
	v_cmp_lt_f32_e64 s[8:9], 0, v25
	s_nop 1
	v_cndmask_b32_e64 v13, v13, v16, s[8:9]
	v_cmp_lt_f32_e64 s[8:9], 0, v27
	v_mul_f32_e32 v15, 0x37800000, v13
	v_cndmask_b32_e32 v13, v13, v15, vcc
	v_cndmask_b32_e64 v14, v14, v19, s[8:9]
	v_mul_f32_e32 v16, 0x37800000, v14
	v_cmp_class_f32_e32 vcc, v11, v9
	v_cndmask_b32_e64 v14, v14, v16, s[2:3]
	v_cmp_lt_f32_e64 s[2:3], s17, v21
	v_cndmask_b32_e32 v15, v13, v11, vcc
	v_cmp_class_f32_e32 vcc, v10, v9
	v_cndmask_b32_e64 v11, 0, v7, s[4:5]
	v_cndmask_b32_e64 v13, 0, v7, s[6:7]
	v_cndmask_b32_e32 v14, v14, v10, vcc
	v_cmp_lt_f32_e64 vcc, |v17|, s22
	s_nop 1
	v_cndmask_b32_e32 v10, v17, v23, vcc
	v_sub_f32_e32 v10, v10, v11
	v_mul_f32_e32 v11, 0x3f317217, v22
	v_fma_f32 v11, v22, s21, -v11
	v_fmac_f32_e32 v11, 0x3377d1cf, v22
	v_fmac_f32_e32 v11, 0x3f317217, v22
	v_cmp_lt_f32_e64 vcc, |v22|, s22
	s_nop 1
	v_cndmask_b32_e32 v11, v22, v11, vcc
	v_cmp_lt_f32_e32 vcc, s17, v20
	v_sub_f32_e32 v11, v11, v13
	v_cndmask_b32_e64 v11, v11, v21, s[2:3]
	v_cndmask_b32_e32 v10, v10, v20, vcc
	v_mul_f32_e32 v16, 0x4f800000, v10
	v_cmp_gt_f32_e32 vcc, s20, v10
	v_and_b32_e32 v20, 0xffff0000, v2
	v_lshlrev_b32_e32 v2, 16, v2
	v_cndmask_b32_e32 v10, v10, v16, vcc
	v_sqrt_f32_e32 v16, v10
	s_nop 0
	v_add_u32_e32 v13, -1, v16
	v_fma_f32 v17, -v13, v16, v10
	v_cmp_ge_f32_e64 s[2:3], 0, v17
	v_add_u32_e32 v17, 1, v16
	s_nop 0
	v_cndmask_b32_e64 v13, v16, v13, s[2:3]
	v_fma_f32 v16, -v17, v16, v10
	v_cmp_lt_f32_e64 s[2:3], 0, v16
	s_nop 1
	v_cndmask_b32_e64 v13, v13, v17, s[2:3]
	v_mul_f32_e32 v17, 0x4f800000, v11
	v_cmp_gt_f32_e64 s[2:3], s20, v11
	v_mul_f32_e32 v16, 0x37800000, v13
	v_cndmask_b32_e32 v13, v13, v16, vcc
	v_cndmask_b32_e64 v18, v11, v17, s[2:3]
	v_sqrt_f32_e32 v11, v18
	v_cmp_class_f32_e32 vcc, v10, v9
	v_add_u32_e32 v16, 1, v11
	s_nop 0
	v_cndmask_b32_e32 v17, v13, v10, vcc
	v_add_u32_e32 v10, -1, v11
	v_fma_f32 v13, -v10, v11, v18
	v_cmp_ge_f32_e32 vcc, 0, v13
	v_fma_f32 v19, -v16, v11, v18
	s_nop 0
	v_cndmask_b32_e32 v13, v11, v10, vcc
	v_mul_f32_e32 v10, 0x3fb8aa3b, v2
	v_mul_f32_e32 v11, 0x3fb8aa3b, v20
	v_exp_f32_e32 v10, v10
	v_exp_f32_e32 v11, v11
	v_cmp_lt_f32_e32 vcc, 0, v19
	v_pk_add_f32 v[10:11], v[10:11], 1.0 op_sel_hi:[1,0]
	s_nop 0
	v_cndmask_b32_e32 v13, v13, v16, vcc
	v_mul_f32_e32 v16, 0x37800000, v13
	v_cmp_gt_f32_e32 vcc, s23, v11
	v_cndmask_b32_e64 v13, v13, v16, s[2:3]
	v_cmp_class_f32_e64 s[2:3], v18, v9
	v_cndmask_b32_e32 v16, 1.0, v4, vcc
	v_mul_f32_e32 v11, v11, v16
	v_log_f32_e32 v11, v11
	v_cndmask_b32_e64 v16, v13, v18, s[2:3]
	v_cmp_gt_f32_e64 s[2:3], s23, v10
	scratch_store_dwordx4 off, v[14:17], off
	v_mul_f32_e32 v13, 0x3f317217, v11
	v_fma_f32 v13, v11, s21, -v13
	v_cndmask_b32_e64 v14, 1.0, v4, s[2:3]
	v_mul_f32_e32 v10, v10, v14
	v_log_f32_e32 v10, v10
	v_fmac_f32_e32 v13, 0x3377d1cf, v11
	v_fmac_f32_e32 v13, 0x3f317217, v11
	v_cmp_lt_f32_e64 s[4:5], |v11|, s22
	v_and_b32_e32 v16, 0xffff0000, v3
	v_lshlrev_b32_e32 v17, 16, v3
	v_cndmask_b32_e64 v11, v11, v13, s[4:5]
	v_cndmask_b32_e32 v13, 0, v7, vcc
	v_sub_f32_e32 v11, v11, v13
	v_mul_f32_e32 v13, 0x3f317217, v10
	v_fma_f32 v13, v10, s21, -v13
	v_fmac_f32_e32 v13, 0x3377d1cf, v10
	v_fmac_f32_e32 v13, 0x3f317217, v10
	v_cmp_lt_f32_e64 vcc, |v10|, s22
	v_mul_f32_e32 v3, 0x3fb8aa3b, v16
	v_exp_f32_e32 v3, v3
	v_cndmask_b32_e32 v10, v10, v13, vcc
	v_cmp_lt_f32_e32 vcc, s17, v20
	v_cndmask_b32_e64 v13, 0, v7, s[2:3]
	v_sub_f32_e32 v10, v10, v13
	v_cndmask_b32_e32 v11, v11, v20, vcc
	v_mul_f32_e32 v14, 0x4f800000, v11
	v_cmp_gt_f32_e32 vcc, s20, v11
	v_cmp_lt_f32_e64 s[2:3], s17, v2
	s_nop 0
	v_cndmask_b32_e32 v11, v11, v14, vcc
	v_sqrt_f32_e32 v14, v11
	v_cndmask_b32_e64 v2, v10, v2, s[2:3]
	v_add_u32_e32 v10, -1, v14
	v_fma_f32 v13, -v10, v14, v11
	v_cmp_ge_f32_e64 s[2:3], 0, v13
	v_add_u32_e32 v13, 1, v14
	s_nop 0
	v_cndmask_b32_e64 v10, v14, v10, s[2:3]
	v_fma_f32 v14, -v13, v14, v11
	v_cmp_lt_f32_e64 s[2:3], 0, v14
	v_mul_f32_e32 v14, 0x4f800000, v2
	s_nop 0
	v_cndmask_b32_e64 v10, v10, v13, s[2:3]
	v_cmp_gt_f32_e64 s[2:3], s20, v2
	v_mul_f32_e32 v13, 0x37800000, v10
	v_cndmask_b32_e32 v10, v10, v13, vcc
	v_cndmask_b32_e64 v14, v2, v14, s[2:3]
	v_sqrt_f32_e32 v2, v14
	v_cmp_class_f32_e32 vcc, v11, v9
	s_nop 1
	v_cndmask_b32_e32 v15, v10, v11, vcc
	v_add_u32_e32 v10, -1, v2
	v_fma_f32 v11, -v10, v2, v14
	v_cmp_ge_f32_e32 vcc, 0, v11
	v_add_u32_e32 v11, 1, v2
	v_fma_f32 v13, -v11, v2, v14
	v_cndmask_b32_e32 v10, v2, v10, vcc
	v_mul_f32_e32 v2, 0x3fb8aa3b, v17
	v_exp_f32_e32 v2, v2
	v_cmp_lt_f32_e32 vcc, 0, v13
	v_pk_add_f32 v[2:3], v[2:3], 1.0 op_sel_hi:[1,0]
	s_nop 0
	v_cndmask_b32_e32 v10, v10, v11, vcc
	v_cmp_gt_f32_e32 vcc, s23, v3
	v_mul_f32_e32 v11, 0x37800000, v10
	v_cndmask_b32_e64 v10, v10, v11, s[2:3]
	v_cndmask_b32_e32 v13, 1.0, v4, vcc
	v_mul_f32_e32 v3, v3, v13
	v_log_f32_e32 v3, v3
	v_cmp_class_f32_e64 s[2:3], v14, v9
	v_cmp_lt_f32_e64 s[4:5], |v3|, s22
	s_nop 0
	v_cndmask_b32_e64 v14, v10, v14, s[2:3]
	v_cmp_gt_f32_e64 s[2:3], s23, v2
	v_mul_f32_e32 v10, 0x3f317217, v3
	v_fma_f32 v10, v3, s21, -v10
	v_cndmask_b32_e64 v4, 1.0, v4, s[2:3]
	v_mul_f32_e32 v2, v2, v4
	v_log_f32_e32 v2, v2
	v_fmac_f32_e32 v10, 0x3377d1cf, v3
	v_fmac_f32_e32 v10, 0x3f317217, v3
	v_cndmask_b32_e64 v3, v3, v10, s[4:5]
	v_cndmask_b32_e32 v4, 0, v7, vcc
	v_sub_f32_e32 v3, v3, v4
	v_mul_f32_e32 v4, 0x3f317217, v2
	v_fma_f32 v4, v2, s21, -v4
	v_fmac_f32_e32 v4, 0x3377d1cf, v2
	v_fmac_f32_e32 v4, 0x3f317217, v2
	v_cmp_lt_f32_e64 vcc, |v2|, s22
	s_nop 1
	v_cndmask_b32_e32 v2, v2, v4, vcc
	v_cmp_lt_f32_e32 vcc, s17, v16
	v_cndmask_b32_e64 v4, 0, v7, s[2:3]
	v_sub_f32_e32 v2, v2, v4
	v_cndmask_b32_e32 v3, v3, v16, vcc
	v_mul_f32_e32 v7, 0x4f800000, v3
	v_cmp_gt_f32_e32 vcc, s20, v3
	v_cmp_lt_f32_e64 s[2:3], s17, v17
	s_nop 0
	v_cndmask_b32_e32 v3, v3, v7, vcc
	v_sqrt_f32_e32 v7, v3
	v_cndmask_b32_e64 v2, v2, v17, s[2:3]
	v_add_u32_e32 v4, -1, v7
	v_fma_f32 v10, -v4, v7, v3
	v_cmp_ge_f32_e64 s[2:3], 0, v10
	v_add_u32_e32 v10, 1, v7
	s_nop 0
	v_cndmask_b32_e64 v4, v7, v4, s[2:3]
	v_fma_f32 v7, -v10, v7, v3
	v_cmp_lt_f32_e64 s[2:3], 0, v7
	s_nop 1
	v_cndmask_b32_e64 v4, v4, v10, s[2:3]
	v_mul_f32_e32 v10, 0x4f800000, v2
	v_cmp_gt_f32_e64 s[2:3], s20, v2
	v_mul_f32_e32 v7, 0x37800000, v4
	v_cndmask_b32_e32 v4, v4, v7, vcc
	v_cndmask_b32_e64 v2, v2, v10, s[2:3]
	v_sqrt_f32_e32 v10, v2
	v_cmp_class_f32_e32 vcc, v3, v9
	s_nop 1
	v_cndmask_b32_e32 v17, v4, v3, vcc
	v_add_u32_e32 v3, -1, v10
	v_fma_f32 v4, -v3, v10, v2
	v_cmp_ge_f32_e32 vcc, 0, v4
	v_add_u32_e32 v4, 1, v10
	v_fma_f32 v7, -v4, v10, v2
	v_cndmask_b32_e32 v3, v10, v3, vcc
	v_cmp_lt_f32_e32 vcc, 0, v7
	s_nop 1
	v_cndmask_b32_e32 v3, v3, v4, vcc
	v_mul_f32_e32 v4, 0x37800000, v3
	v_cndmask_b32_e64 v3, v3, v4, s[2:3]
	v_cmp_class_f32_e32 vcc, v2, v9
	s_nop 1
	v_cndmask_b32_e32 v16, v3, v2, vcc
	v_lshl_add_u64 v[2:3], v[0:1], 3, s[10:11]
	s_and_b64 vcc, exec, s[18:19]
	v_mul_lo_u32 v0, v6, s12
	scratch_store_dwordx4 off, v[14:17], off offset:16
	s_cbranch_vccnz .LBB516_28
; %bb.2:
	s_load_dwordx2 s[4:5], s[0:1], 0x20
	s_cmp_lt_u32 s12, 4
	v_and_b32_e32 v4, 63, v8
	s_cbranch_scc1 .LBB516_21
; %bb.3:
	v_lshlrev_b32_e32 v5, 3, v4
	s_mov_b32 s7, 0
	s_and_b32 s16, s12, 0x7ffffffc
	v_ashrrev_i32_e32 v1, 31, v0
	v_sub_u32_e32 v13, 0, v5
	v_mov_b32_e32 v5, 0
	s_mov_b32 s6, s7
	s_branch .LBB516_5
.LBB516_4:                              ;   in Loop: Header=BB516_5 Depth=1
	s_or_b64 exec, exec, s[8:9]
	s_add_i32 s6, s6, 4
	s_cmp_eq_u32 s6, s16
	s_cbranch_scc1 .LBB516_21
.LBB516_5:                              ; =>This Loop Header: Depth=1
                                        ;     Child Loop BB516_7 Depth 2
                                        ;     Child Loop BB516_11 Depth 2
	;; [unrolled: 1-line block ×4, first 2 shown]
	v_lshl_add_u64 v[6:7], s[6:7], 3, v[2:3]
	global_load_dwordx2 v[8:9], v[6:7], off
	v_add_u32_e32 v10, s6, v0
	v_ashrrev_i32_e32 v11, 31, v10
	v_mov_b32_e32 v14, 0
	s_mov_b64 s[8:9], 0
	s_waitcnt lgkmcnt(0)
	v_lshl_add_u64 v[10:11], v[10:11], 3, s[4:5]
	s_mov_b32 s13, 0
	s_waitcnt vmcnt(0)
	v_ashrrev_i32_e32 v9, 31, v8
	v_add_u32_e32 v15, v13, v8
	s_branch .LBB516_7
.LBB516_6:                              ;   in Loop: Header=BB516_7 Depth=2
	s_or_b64 exec, exec, s[10:11]
	s_add_i32 s17, s13, 1
	s_cmp_gt_u32 s13, 6
	s_cselect_b64 s[2:3], -1, 0
	s_xor_b64 s[10:11], vcc, -1
	s_or_b64 s[2:3], s[10:11], s[2:3]
	s_and_b64 s[2:3], exec, s[2:3]
	v_add_u32_e32 v14, 4, v14
	s_or_b64 s[8:9], s[2:3], s[8:9]
	s_mov_b32 s13, s17
	s_andn2_b64 exec, exec, s[8:9]
	s_cbranch_execz .LBB516_9
.LBB516_7:                              ;   Parent Loop BB516_5 Depth=1
                                        ; =>  This Inner Loop Header: Depth=2
	v_cmp_ne_u32_e32 vcc, s13, v15
	v_cmp_eq_u32_e64 s[2:3], s13, v15
	s_and_saveexec_b64 s[10:11], s[2:3]
	s_cbranch_execz .LBB516_6
; %bb.8:                                ;   in Loop: Header=BB516_7 Depth=2
	scratch_load_dword v16, v14, off
	s_waitcnt vmcnt(0)
	v_add_f32_e32 v5, v5, v16
	global_store_dwordx2 v[10:11], v[8:9], off
	s_branch .LBB516_6
.LBB516_9:                              ;   in Loop: Header=BB516_5 Depth=1
	s_or_b64 exec, exec, s[8:9]
	global_load_dwordx2 v[10:11], v[6:7], off offset:8
	s_ashr_i32 s3, s6, 31
	s_mov_b32 s2, s6
	v_lshl_add_u64 v[8:9], s[2:3], 0, v[0:1]
	v_mov_b32_e32 v14, 0
	s_mov_b32 s13, 0
	v_lshl_add_u64 v[8:9], v[8:9], 3, s[4:5]
	s_mov_b64 s[8:9], 0
	s_waitcnt vmcnt(0)
	v_ashrrev_i32_e32 v11, 31, v10
	v_add_u32_e32 v15, v13, v10
	s_branch .LBB516_11
.LBB516_10:                             ;   in Loop: Header=BB516_11 Depth=2
	s_or_b64 exec, exec, s[10:11]
	s_add_i32 s17, s13, 1
	s_cmp_gt_u32 s13, 6
	s_cselect_b64 s[2:3], -1, 0
	s_xor_b64 s[10:11], vcc, -1
	s_or_b64 s[2:3], s[10:11], s[2:3]
	s_and_b64 s[2:3], exec, s[2:3]
	v_add_u32_e32 v14, 4, v14
	s_or_b64 s[8:9], s[2:3], s[8:9]
	s_mov_b32 s13, s17
	s_andn2_b64 exec, exec, s[8:9]
	s_cbranch_execz .LBB516_13
.LBB516_11:                             ;   Parent Loop BB516_5 Depth=1
                                        ; =>  This Inner Loop Header: Depth=2
	v_cmp_ne_u32_e32 vcc, s13, v15
	v_cmp_eq_u32_e64 s[2:3], s13, v15
	s_and_saveexec_b64 s[10:11], s[2:3]
	s_cbranch_execz .LBB516_10
; %bb.12:                               ;   in Loop: Header=BB516_11 Depth=2
	scratch_load_dword v16, v14, off
	s_waitcnt vmcnt(0)
	v_add_f32_e32 v5, v5, v16
	global_store_dwordx2 v[8:9], v[10:11], off offset:8
	s_branch .LBB516_10
.LBB516_13:                             ;   in Loop: Header=BB516_5 Depth=1
	s_or_b64 exec, exec, s[8:9]
	global_load_dwordx2 v[10:11], v[6:7], off offset:16
	v_mov_b32_e32 v14, 0
	s_mov_b32 s13, 0
	s_mov_b64 s[8:9], 0
	s_waitcnt vmcnt(0)
	v_ashrrev_i32_e32 v11, 31, v10
	v_add_u32_e32 v15, v13, v10
	s_branch .LBB516_15
.LBB516_14:                             ;   in Loop: Header=BB516_15 Depth=2
	s_or_b64 exec, exec, s[10:11]
	s_add_i32 s17, s13, 1
	s_cmp_gt_u32 s13, 6
	s_cselect_b64 s[2:3], -1, 0
	s_xor_b64 s[10:11], vcc, -1
	s_or_b64 s[2:3], s[10:11], s[2:3]
	s_and_b64 s[2:3], exec, s[2:3]
	v_add_u32_e32 v14, 4, v14
	s_or_b64 s[8:9], s[2:3], s[8:9]
	s_mov_b32 s13, s17
	s_andn2_b64 exec, exec, s[8:9]
	s_cbranch_execz .LBB516_17
.LBB516_15:                             ;   Parent Loop BB516_5 Depth=1
                                        ; =>  This Inner Loop Header: Depth=2
	v_cmp_ne_u32_e32 vcc, s13, v15
	v_cmp_eq_u32_e64 s[2:3], s13, v15
	s_and_saveexec_b64 s[10:11], s[2:3]
	s_cbranch_execz .LBB516_14
; %bb.16:                               ;   in Loop: Header=BB516_15 Depth=2
	scratch_load_dword v16, v14, off
	s_waitcnt vmcnt(0)
	v_add_f32_e32 v5, v5, v16
	global_store_dwordx2 v[8:9], v[10:11], off offset:16
	s_branch .LBB516_14
.LBB516_17:                             ;   in Loop: Header=BB516_5 Depth=1
	s_or_b64 exec, exec, s[8:9]
	global_load_dwordx2 v[6:7], v[6:7], off offset:24
	v_mov_b32_e32 v10, 0
	s_mov_b32 s13, 0
	s_mov_b64 s[8:9], 0
	s_waitcnt vmcnt(0)
	v_ashrrev_i32_e32 v7, 31, v6
	v_add_u32_e32 v11, v13, v6
	s_branch .LBB516_19
.LBB516_18:                             ;   in Loop: Header=BB516_19 Depth=2
	s_or_b64 exec, exec, s[10:11]
	s_add_i32 s17, s13, 1
	s_cmp_gt_u32 s13, 6
	s_cselect_b64 s[2:3], -1, 0
	s_xor_b64 s[10:11], vcc, -1
	s_or_b64 s[2:3], s[10:11], s[2:3]
	s_and_b64 s[2:3], exec, s[2:3]
	v_add_u32_e32 v10, 4, v10
	s_or_b64 s[8:9], s[2:3], s[8:9]
	s_mov_b32 s13, s17
	s_andn2_b64 exec, exec, s[8:9]
	s_cbranch_execz .LBB516_4
.LBB516_19:                             ;   Parent Loop BB516_5 Depth=1
                                        ; =>  This Inner Loop Header: Depth=2
	v_cmp_ne_u32_e32 vcc, s13, v11
	v_cmp_eq_u32_e64 s[2:3], s13, v11
	s_and_saveexec_b64 s[10:11], s[2:3]
	s_cbranch_execz .LBB516_18
; %bb.20:                               ;   in Loop: Header=BB516_19 Depth=2
	scratch_load_dword v14, v10, off
	s_waitcnt vmcnt(0)
	v_add_f32_e32 v5, v5, v14
	global_store_dwordx2 v[8:9], v[6:7], off offset:24
	s_branch .LBB516_18
.LBB516_21:
	s_and_b32 s10, s12, 3
	s_cmp_eq_u32 s10, 0
	s_mov_b32 s17, 0
	s_cbranch_scc1 .LBB516_28
; %bb.22:
	v_lshlrev_b32_e32 v1, 3, v4
	v_sub_u32_e32 v1, 0, v1
	s_mov_b32 s11, s17
	s_branch .LBB516_24
.LBB516_23:                             ;   in Loop: Header=BB516_24 Depth=1
	s_or_b64 exec, exec, s[6:7]
	s_add_i32 s16, s16, 1
	s_add_i32 s11, s11, 1
	s_cmp_lg_u32 s11, s10
	s_cbranch_scc0 .LBB516_28
.LBB516_24:                             ; =>This Loop Header: Depth=1
                                        ;     Child Loop BB516_26 Depth 2
	v_lshl_add_u64 v[6:7], s[16:17], 3, v[2:3]
	global_load_dwordx2 v[6:7], v[6:7], off
	v_add_u32_e32 v8, s16, v0
	v_ashrrev_i32_e32 v9, 31, v8
	v_mov_b32_e32 v4, 0
	s_mov_b32 s13, 0
	s_waitcnt lgkmcnt(0)
	v_lshl_add_u64 v[8:9], v[8:9], 3, s[4:5]
	s_mov_b64 s[6:7], 0
	s_waitcnt vmcnt(0)
	v_ashrrev_i32_e32 v7, 31, v6
	v_add_u32_e32 v10, v1, v6
	s_branch .LBB516_26
.LBB516_25:                             ;   in Loop: Header=BB516_26 Depth=2
	s_or_b64 exec, exec, s[8:9]
	s_add_i32 s18, s13, 1
	s_cmp_gt_u32 s13, 6
	s_cselect_b64 s[2:3], -1, 0
	s_xor_b64 s[8:9], vcc, -1
	s_or_b64 s[2:3], s[8:9], s[2:3]
	s_and_b64 s[2:3], exec, s[2:3]
	v_add_u32_e32 v4, 4, v4
	s_or_b64 s[6:7], s[2:3], s[6:7]
	s_mov_b32 s13, s18
	s_andn2_b64 exec, exec, s[6:7]
	s_cbranch_execz .LBB516_23
.LBB516_26:                             ;   Parent Loop BB516_24 Depth=1
                                        ; =>  This Inner Loop Header: Depth=2
	v_cmp_ne_u32_e32 vcc, s13, v10
	v_cmp_eq_u32_e64 s[2:3], s13, v10
	s_and_saveexec_b64 s[8:9], s[2:3]
	s_cbranch_execz .LBB516_25
; %bb.27:                               ;   in Loop: Header=BB516_26 Depth=2
	scratch_load_dword v11, v4, off
	s_waitcnt vmcnt(0)
	v_add_f32_e32 v5, v5, v11
	global_store_dwordx2 v[8:9], v[6:7], off
	s_branch .LBB516_25
.LBB516_28:
	s_waitcnt lgkmcnt(0)
	s_load_dword s4, s[0:1], 0x3c
	s_waitcnt lgkmcnt(0)
	s_bitcmp1_b32 s4, 0
	s_cselect_b64 s[2:3], -1, 0
	s_bitcmp0_b32 s4, 0
	s_cbranch_scc0 .LBB516_32
; %bb.29:
	s_load_dwordx2 s[4:5], s[0:1], 0x40
	s_andn2_b64 vcc, exec, s[2:3]
	s_waitcnt lgkmcnt(0)
	v_cvt_f32_f64_e32 v8, s[4:5]
	s_cbranch_vccz .LBB516_33
.LBB516_30:
	s_andn2_b64 vcc, exec, s[14:15]
	s_cbranch_vccz .LBB516_34
.LBB516_31:
	s_endpgm
.LBB516_32:
	v_mbcnt_lo_u32_b32 v1, -1, 0
	v_mbcnt_hi_u32_b32 v1, -1, v1
	v_and_b32_e32 v4, 64, v1
	v_add_u32_e32 v4, 64, v4
	v_xor_b32_e32 v6, 32, v1
	v_cmp_lt_i32_e32 vcc, v6, v4
	v_xor_b32_e32 v7, 16, v1
	s_nop 0
	v_cndmask_b32_e32 v6, v1, v6, vcc
	v_lshlrev_b32_e32 v6, 2, v6
	ds_bpermute_b32 v6, v6, v5
	v_cmp_lt_i32_e32 vcc, v7, v4
	s_waitcnt lgkmcnt(0)
	v_add_f32_e32 v5, v5, v6
	v_cndmask_b32_e32 v6, v1, v7, vcc
	v_lshlrev_b32_e32 v6, 2, v6
	ds_bpermute_b32 v6, v6, v5
	v_xor_b32_e32 v7, 8, v1
	v_cmp_lt_i32_e32 vcc, v7, v4
	s_waitcnt lgkmcnt(0)
	v_add_f32_e32 v5, v5, v6
	v_cndmask_b32_e32 v6, v1, v7, vcc
	v_lshlrev_b32_e32 v6, 2, v6
	ds_bpermute_b32 v6, v6, v5
	v_xor_b32_e32 v7, 4, v1
	;; [unrolled: 7-line block ×4, first 2 shown]
	v_cmp_lt_i32_e32 vcc, v7, v4
	s_waitcnt lgkmcnt(0)
	v_add_f32_e32 v5, v5, v6
	v_cndmask_b32_e32 v1, v1, v7, vcc
	v_lshlrev_b32_e32 v1, 2, v1
	ds_bpermute_b32 v1, v1, v5
	s_waitcnt lgkmcnt(0)
	v_add_f32_e32 v5, v5, v1
	s_load_dwordx2 s[4:5], s[0:1], 0x40
	s_andn2_b64 vcc, exec, s[2:3]
	s_waitcnt lgkmcnt(0)
	v_cvt_f32_f64_e32 v8, s[4:5]
	s_cbranch_vccnz .LBB516_30
.LBB516_33:
	v_cmp_lt_f32_e32 vcc, 0, v5
	s_nop 1
	v_cndmask_b32_e32 v1, 1.0, v5, vcc
	v_div_scale_f32 v4, s[2:3], v1, v1, v8
	v_rcp_f32_e32 v5, v4
	s_nop 0
	v_fma_f32 v6, -v4, v5, 1.0
	v_fmac_f32_e32 v5, v6, v5
	v_div_scale_f32 v6, vcc, v8, v1, v8
	v_mul_f32_e32 v7, v6, v5
	v_fma_f32 v9, -v4, v7, v6
	v_fmac_f32_e32 v7, v9, v5
	v_fma_f32 v4, -v4, v7, v6
	v_div_fmas_f32 v4, v4, v5, v7
	v_div_fixup_f32 v8, v4, v1, v8
	s_andn2_b64 vcc, exec, s[14:15]
	s_cbranch_vccnz .LBB516_31
.LBB516_34:
	s_load_dwordx2 s[14:15], s[0:1], 0x10
	v_mov_b32_e32 v1, 0
	v_or_b32_e32 v20, 4, v1
	v_or_b32_e32 v18, 8, v1
	v_or_b32_e32 v16, 12, v1
	v_add_u32_e32 v14, 16, v1
	v_add_u32_e32 v11, 20, v1
	;; [unrolled: 1-line block ×4, first 2 shown]
	v_or_b32_e32 v23, 1, v12
	v_or_b32_e32 v22, 2, v12
	;; [unrolled: 1-line block ×7, first 2 shown]
	s_cmp_eq_u32 s12, 1
	s_mov_b32 s16, 0
	s_cbranch_scc1 .LBB516_69
; %bb.35:
	v_ashrrev_i32_e32 v1, 31, v0
	s_waitcnt lgkmcnt(0)
	v_lshl_add_u64 v[4:5], v[0:1], 2, s[14:15]
	s_and_b32 s16, s12, 0x7ffffffe
	v_lshl_add_u64 v[4:5], v[4:5], 0, 4
	v_lshl_add_u64 v[6:7], v[2:3], 0, 8
	s_mov_b32 s13, 0
	s_branch .LBB516_37
.LBB516_36:                             ;   in Loop: Header=BB516_37 Depth=1
	s_or_b64 exec, exec, s[0:1]
	s_add_i32 s13, s13, 2
	v_lshl_add_u64 v[4:5], v[4:5], 0, 8
	s_cmp_eq_u32 s16, s13
	v_lshl_add_u64 v[6:7], v[6:7], 0, 16
	s_cbranch_scc1 .LBB516_69
.LBB516_37:                             ; =>This Inner Loop Header: Depth=1
	global_load_dword v24, v[6:7], off offset:-8
	v_mov_b32_e32 v1, 0
	s_waitcnt vmcnt(0)
	v_cmp_eq_u32_e32 vcc, v12, v24
	v_cmp_ne_u32_e64 s[0:1], v12, v24
	s_and_saveexec_b64 s[18:19], s[0:1]
	s_cbranch_execz .LBB516_51
; %bb.38:                               ;   in Loop: Header=BB516_37 Depth=1
	v_cmp_eq_u32_e64 s[0:1], v23, v24
	v_cmp_ne_u32_e64 s[2:3], v23, v24
	v_mov_b32_e32 v1, v20
	s_and_saveexec_b64 s[20:21], s[2:3]
	s_cbranch_execz .LBB516_50
; %bb.39:                               ;   in Loop: Header=BB516_37 Depth=1
	v_cmp_eq_u32_e64 s[2:3], v22, v24
	v_cmp_ne_u32_e64 s[4:5], v22, v24
	v_mov_b32_e32 v1, v18
	;; [unrolled: 6-line block ×6, first 2 shown]
	s_and_saveexec_b64 s[34:35], s[10:11]
	s_xor_b64 s[34:35], exec, s[34:35]
; %bb.44:                               ;   in Loop: Header=BB516_37 Depth=1
	v_cmp_eq_u32_e64 s[10:11], v13, v24
	s_andn2_b64 s[30:31], s[30:31], exec
	s_and_b64 s[10:11], s[10:11], exec
	s_or_b64 s[30:31], s[30:31], s[10:11]
	v_mov_b32_e32 v1, v10
; %bb.45:                               ;   in Loop: Header=BB516_37 Depth=1
	s_or_b64 exec, exec, s[34:35]
	s_andn2_b64 s[8:9], s[8:9], exec
	s_and_b64 s[10:11], s[30:31], exec
	s_or_b64 s[8:9], s[8:9], s[10:11]
.LBB516_46:                             ;   in Loop: Header=BB516_37 Depth=1
	s_or_b64 exec, exec, s[28:29]
	s_andn2_b64 s[6:7], s[6:7], exec
	s_and_b64 s[8:9], s[8:9], exec
	s_or_b64 s[6:7], s[6:7], s[8:9]
.LBB516_47:                             ;   in Loop: Header=BB516_37 Depth=1
	s_or_b64 exec, exec, s[26:27]
	s_andn2_b64 s[4:5], s[4:5], exec
	s_and_b64 s[6:7], s[6:7], exec
	s_or_b64 s[4:5], s[4:5], s[6:7]
.LBB516_48:                             ;   in Loop: Header=BB516_37 Depth=1
	s_or_b64 exec, exec, s[24:25]
	s_andn2_b64 s[2:3], s[2:3], exec
	s_and_b64 s[4:5], s[4:5], exec
	s_or_b64 s[2:3], s[2:3], s[4:5]
.LBB516_49:                             ;   in Loop: Header=BB516_37 Depth=1
	s_or_b64 exec, exec, s[22:23]
	s_andn2_b64 s[0:1], s[0:1], exec
	s_and_b64 s[2:3], s[2:3], exec
	s_or_b64 s[0:1], s[0:1], s[2:3]
.LBB516_50:                             ;   in Loop: Header=BB516_37 Depth=1
	s_or_b64 exec, exec, s[20:21]
	s_andn2_b64 s[2:3], vcc, exec
	s_and_b64 s[0:1], s[0:1], exec
	s_or_b64 vcc, s[2:3], s[0:1]
.LBB516_51:                             ;   in Loop: Header=BB516_37 Depth=1
	s_or_b64 exec, exec, s[18:19]
	s_and_saveexec_b64 s[0:1], vcc
	s_cbranch_execz .LBB516_53
; %bb.52:                               ;   in Loop: Header=BB516_37 Depth=1
	scratch_load_dword v1, v1, off
	v_add_u32_e32 v24, s13, v0
	v_ashrrev_i32_e32 v25, 31, v24
	v_lshl_add_u64 v[24:25], v[24:25], 2, s[14:15]
	s_waitcnt vmcnt(0)
	v_mul_f32_e32 v1, v8, v1
	global_store_dword v[24:25], v1, off
.LBB516_53:                             ;   in Loop: Header=BB516_37 Depth=1
	s_or_b64 exec, exec, s[0:1]
	global_load_dword v24, v[6:7], off
	v_mov_b32_e32 v1, 0
	s_waitcnt vmcnt(0)
	v_cmp_eq_u32_e64 s[8:9], v12, v24
	v_cmp_ne_u32_e32 vcc, v12, v24
	s_and_saveexec_b64 s[10:11], vcc
	s_cbranch_execz .LBB516_67
; %bb.54:                               ;   in Loop: Header=BB516_37 Depth=1
	v_cmp_eq_u32_e32 vcc, v23, v24
	v_cmp_ne_u32_e64 s[0:1], v23, v24
	v_mov_b32_e32 v1, v20
	s_and_saveexec_b64 s[18:19], s[0:1]
	s_cbranch_execz .LBB516_66
; %bb.55:                               ;   in Loop: Header=BB516_37 Depth=1
	v_cmp_eq_u32_e64 s[0:1], v22, v24
	v_cmp_ne_u32_e64 s[2:3], v22, v24
	v_mov_b32_e32 v1, v18
	s_and_saveexec_b64 s[20:21], s[2:3]
	s_cbranch_execz .LBB516_65
; %bb.56:                               ;   in Loop: Header=BB516_37 Depth=1
	v_cmp_eq_u32_e64 s[2:3], v21, v24
	;; [unrolled: 6-line block ×5, first 2 shown]
	v_cmp_ne_u32_e64 s[6:7], v15, v24
	v_mov_b32_e32 v1, v9
	s_and_saveexec_b64 s[34:35], s[6:7]
; %bb.60:                               ;   in Loop: Header=BB516_37 Depth=1
	v_cmp_eq_u32_e64 s[6:7], v13, v24
	s_andn2_b64 s[30:31], s[30:31], exec
	s_and_b64 s[6:7], s[6:7], exec
	s_or_b64 s[30:31], s[30:31], s[6:7]
	v_mov_b32_e32 v1, v10
; %bb.61:                               ;   in Loop: Header=BB516_37 Depth=1
	s_or_b64 exec, exec, s[34:35]
	s_andn2_b64 s[6:7], s[26:27], exec
	s_and_b64 s[26:27], s[30:31], exec
	s_or_b64 s[26:27], s[6:7], s[26:27]
.LBB516_62:                             ;   in Loop: Header=BB516_37 Depth=1
	s_or_b64 exec, exec, s[28:29]
	s_andn2_b64 s[4:5], s[4:5], exec
	s_and_b64 s[6:7], s[26:27], exec
	s_or_b64 s[4:5], s[4:5], s[6:7]
.LBB516_63:                             ;   in Loop: Header=BB516_37 Depth=1
	s_or_b64 exec, exec, s[24:25]
	s_andn2_b64 s[2:3], s[2:3], exec
	s_and_b64 s[4:5], s[4:5], exec
	s_or_b64 s[2:3], s[2:3], s[4:5]
.LBB516_64:                             ;   in Loop: Header=BB516_37 Depth=1
	s_or_b64 exec, exec, s[22:23]
	s_andn2_b64 s[0:1], s[0:1], exec
	s_and_b64 s[2:3], s[2:3], exec
	s_or_b64 s[0:1], s[0:1], s[2:3]
.LBB516_65:                             ;   in Loop: Header=BB516_37 Depth=1
	s_or_b64 exec, exec, s[20:21]
	s_andn2_b64 s[2:3], vcc, exec
	s_and_b64 s[0:1], s[0:1], exec
	s_or_b64 vcc, s[2:3], s[0:1]
.LBB516_66:                             ;   in Loop: Header=BB516_37 Depth=1
	s_or_b64 exec, exec, s[18:19]
	s_andn2_b64 s[0:1], s[8:9], exec
	s_and_b64 s[2:3], vcc, exec
	s_or_b64 s[8:9], s[0:1], s[2:3]
.LBB516_67:                             ;   in Loop: Header=BB516_37 Depth=1
	s_or_b64 exec, exec, s[10:11]
	s_and_saveexec_b64 s[0:1], s[8:9]
	s_cbranch_execz .LBB516_36
; %bb.68:                               ;   in Loop: Header=BB516_37 Depth=1
	scratch_load_dword v1, v1, off
	s_waitcnt vmcnt(0)
	v_mul_f32_e32 v1, v8, v1
	global_store_dword v[4:5], v1, off
	s_branch .LBB516_36
.LBB516_69:
	s_bitcmp0_b32 s12, 0
	s_mov_b32 s17, 0
	s_cbranch_scc1 .LBB516_31
; %bb.70:
	v_lshl_add_u64 v[2:3], s[16:17], 3, v[2:3]
	global_load_dword v1, v[2:3], off
	v_mov_b32_e32 v2, 0
	s_waitcnt vmcnt(0)
	v_cmp_eq_u32_e64 s[8:9], v12, v1
	v_cmp_ne_u32_e32 vcc, v12, v1
	s_and_saveexec_b64 s[10:11], vcc
	s_cbranch_execz .LBB516_84
; %bb.71:
	v_cmp_eq_u32_e32 vcc, v23, v1
	v_cmp_ne_u32_e64 s[0:1], v23, v1
	s_and_saveexec_b64 s[12:13], s[0:1]
	s_cbranch_execz .LBB516_83
; %bb.72:
	v_cmp_eq_u32_e64 s[0:1], v22, v1
	v_cmp_ne_u32_e64 s[2:3], v22, v1
	s_and_saveexec_b64 s[18:19], s[2:3]
	s_cbranch_execz .LBB516_82
; %bb.73:
	v_cmp_eq_u32_e64 s[2:3], v21, v1
	;; [unrolled: 5-line block ×5, first 2 shown]
	v_cmp_ne_u32_e64 s[6:7], v15, v1
	s_and_saveexec_b64 s[30:31], s[6:7]
; %bb.77:
	v_cmp_eq_u32_e64 s[6:7], v13, v1
	s_andn2_b64 s[28:29], s[28:29], exec
	s_and_b64 s[6:7], s[6:7], exec
	s_or_b64 s[28:29], s[28:29], s[6:7]
	v_mov_b32_e32 v9, v10
; %bb.78:
	s_or_b64 exec, exec, s[30:31]
	s_andn2_b64 s[6:7], s[24:25], exec
	s_and_b64 s[24:25], s[28:29], exec
	s_or_b64 s[24:25], s[6:7], s[24:25]
	v_mov_b32_e32 v11, v9
.LBB516_79:
	s_or_b64 exec, exec, s[26:27]
	s_andn2_b64 s[4:5], s[4:5], exec
	s_and_b64 s[6:7], s[24:25], exec
	s_or_b64 s[4:5], s[4:5], s[6:7]
	v_mov_b32_e32 v14, v11
.LBB516_80:
	s_or_b64 exec, exec, s[22:23]
	s_andn2_b64 s[2:3], s[2:3], exec
	s_and_b64 s[4:5], s[4:5], exec
	s_or_b64 s[2:3], s[2:3], s[4:5]
	v_mov_b32_e32 v16, v14
.LBB516_81:
	s_or_b64 exec, exec, s[20:21]
	s_andn2_b64 s[0:1], s[0:1], exec
	s_and_b64 s[2:3], s[2:3], exec
	s_or_b64 s[0:1], s[0:1], s[2:3]
	v_mov_b32_e32 v18, v16
.LBB516_82:
	s_or_b64 exec, exec, s[18:19]
	s_andn2_b64 s[2:3], vcc, exec
	s_and_b64 s[0:1], s[0:1], exec
	s_or_b64 vcc, s[2:3], s[0:1]
	v_mov_b32_e32 v20, v18
.LBB516_83:
	s_or_b64 exec, exec, s[12:13]
	s_andn2_b64 s[0:1], s[8:9], exec
	s_and_b64 s[2:3], vcc, exec
	s_or_b64 s[8:9], s[0:1], s[2:3]
	v_mov_b32_e32 v2, v20
.LBB516_84:
	s_or_b64 exec, exec, s[10:11]
	s_and_b64 exec, exec, s[8:9]
	s_cbranch_execz .LBB516_31
; %bb.85:
	scratch_load_dword v2, v2, off
	v_add_u32_e32 v0, s16, v0
	v_ashrrev_i32_e32 v1, 31, v0
	s_waitcnt lgkmcnt(0)
	v_lshl_add_u64 v[0:1], v[0:1], 2, s[14:15]
	s_waitcnt vmcnt(0)
	v_mul_f32_e32 v2, v8, v2
	global_store_dword v[0:1], v2, off
	s_endpgm
	.section	.rodata,"a",@progbits
	.p2align	6, 0x0
	.amdhsa_kernel _ZN4vllm3moe22topkGatingSoftplusSqrtILi8ELi512ELi4ELi16ELi64ELb1El14__hip_bfloat16EEvPKT6_PKbPfiPT5_PiiiibdPKfPKS9_SF_
		.amdhsa_group_segment_fixed_size 0
		.amdhsa_private_segment_fixed_size 48
		.amdhsa_kernarg_size 96
		.amdhsa_user_sgpr_count 2
		.amdhsa_user_sgpr_dispatch_ptr 0
		.amdhsa_user_sgpr_queue_ptr 0
		.amdhsa_user_sgpr_kernarg_segment_ptr 1
		.amdhsa_user_sgpr_dispatch_id 0
		.amdhsa_user_sgpr_kernarg_preload_length 0
		.amdhsa_user_sgpr_kernarg_preload_offset 0
		.amdhsa_user_sgpr_private_segment_size 0
		.amdhsa_uses_dynamic_stack 0
		.amdhsa_enable_private_segment 1
		.amdhsa_system_sgpr_workgroup_id_x 1
		.amdhsa_system_sgpr_workgroup_id_y 0
		.amdhsa_system_sgpr_workgroup_id_z 0
		.amdhsa_system_sgpr_workgroup_info 0
		.amdhsa_system_vgpr_workitem_id 1
		.amdhsa_next_free_vgpr 28
		.amdhsa_next_free_sgpr 36
		.amdhsa_accum_offset 28
		.amdhsa_reserve_vcc 1
		.amdhsa_float_round_mode_32 0
		.amdhsa_float_round_mode_16_64 0
		.amdhsa_float_denorm_mode_32 3
		.amdhsa_float_denorm_mode_16_64 3
		.amdhsa_dx10_clamp 1
		.amdhsa_ieee_mode 1
		.amdhsa_fp16_overflow 0
		.amdhsa_tg_split 0
		.amdhsa_exception_fp_ieee_invalid_op 0
		.amdhsa_exception_fp_denorm_src 0
		.amdhsa_exception_fp_ieee_div_zero 0
		.amdhsa_exception_fp_ieee_overflow 0
		.amdhsa_exception_fp_ieee_underflow 0
		.amdhsa_exception_fp_ieee_inexact 0
		.amdhsa_exception_int_div_zero 0
	.end_amdhsa_kernel
	.section	.text._ZN4vllm3moe22topkGatingSoftplusSqrtILi8ELi512ELi4ELi16ELi64ELb1El14__hip_bfloat16EEvPKT6_PKbPfiPT5_PiiiibdPKfPKS9_SF_,"axG",@progbits,_ZN4vllm3moe22topkGatingSoftplusSqrtILi8ELi512ELi4ELi16ELi64ELb1El14__hip_bfloat16EEvPKT6_PKbPfiPT5_PiiiibdPKfPKS9_SF_,comdat
.Lfunc_end516:
	.size	_ZN4vllm3moe22topkGatingSoftplusSqrtILi8ELi512ELi4ELi16ELi64ELb1El14__hip_bfloat16EEvPKT6_PKbPfiPT5_PiiiibdPKfPKS9_SF_, .Lfunc_end516-_ZN4vllm3moe22topkGatingSoftplusSqrtILi8ELi512ELi4ELi16ELi64ELb1El14__hip_bfloat16EEvPKT6_PKbPfiPT5_PiiiibdPKfPKS9_SF_
                                        ; -- End function
	.section	.AMDGPU.csdata,"",@progbits
; Kernel info:
; codeLenInByte = 4660
; NumSgprs: 42
; NumVgprs: 28
; NumAgprs: 0
; TotalNumVgprs: 28
; ScratchSize: 48
; MemoryBound: 0
; FloatMode: 240
; IeeeMode: 1
; LDSByteSize: 0 bytes/workgroup (compile time only)
; SGPRBlocks: 5
; VGPRBlocks: 3
; NumSGPRsForWavesPerEU: 42
; NumVGPRsForWavesPerEU: 28
; AccumOffset: 28
; Occupancy: 8
; WaveLimiterHint : 1
; COMPUTE_PGM_RSRC2:SCRATCH_EN: 1
; COMPUTE_PGM_RSRC2:USER_SGPR: 2
; COMPUTE_PGM_RSRC2:TRAP_HANDLER: 0
; COMPUTE_PGM_RSRC2:TGID_X_EN: 1
; COMPUTE_PGM_RSRC2:TGID_Y_EN: 0
; COMPUTE_PGM_RSRC2:TGID_Z_EN: 0
; COMPUTE_PGM_RSRC2:TIDIG_COMP_CNT: 1
; COMPUTE_PGM_RSRC3_GFX90A:ACCUM_OFFSET: 6
; COMPUTE_PGM_RSRC3_GFX90A:TG_SPLIT: 0
	.section	.text._ZN4vllm3moe22topkGatingSoftplusSqrtILi8ELi512ELi4ELi16ELi64ELb0El14__hip_bfloat16EEvPKT6_PKbPfiPT5_PiiiibdPKfPKS9_SF_,"axG",@progbits,_ZN4vllm3moe22topkGatingSoftplusSqrtILi8ELi512ELi4ELi16ELi64ELb0El14__hip_bfloat16EEvPKT6_PKbPfiPT5_PiiiibdPKfPKS9_SF_,comdat
	.protected	_ZN4vllm3moe22topkGatingSoftplusSqrtILi8ELi512ELi4ELi16ELi64ELb0El14__hip_bfloat16EEvPKT6_PKbPfiPT5_PiiiibdPKfPKS9_SF_ ; -- Begin function _ZN4vllm3moe22topkGatingSoftplusSqrtILi8ELi512ELi4ELi16ELi64ELb0El14__hip_bfloat16EEvPKT6_PKbPfiPT5_PiiiibdPKfPKS9_SF_
	.globl	_ZN4vllm3moe22topkGatingSoftplusSqrtILi8ELi512ELi4ELi16ELi64ELb0El14__hip_bfloat16EEvPKT6_PKbPfiPT5_PiiiibdPKfPKS9_SF_
	.p2align	8
	.type	_ZN4vllm3moe22topkGatingSoftplusSqrtILi8ELi512ELi4ELi16ELi64ELb0El14__hip_bfloat16EEvPKT6_PKbPfiPT5_PiiiibdPKfPKS9_SF_,@function
_ZN4vllm3moe22topkGatingSoftplusSqrtILi8ELi512ELi4ELi16ELi64ELb0El14__hip_bfloat16EEvPKT6_PKbPfiPT5_PiiiibdPKfPKS9_SF_: ; @_ZN4vllm3moe22topkGatingSoftplusSqrtILi8ELi512ELi4ELi16ELi64ELb0El14__hip_bfloat16EEvPKT6_PKbPfiPT5_PiiiibdPKfPKS9_SF_
; %bb.0:
	s_load_dword s33, s[0:1], 0x18
	v_and_b32_e32 v1, 0x3ff, v0
	s_lshl_b32 s2, s2, 2
	v_lshrrev_b32_e32 v2, 6, v1
	v_bfe_u32 v0, v0, 10, 10
	v_add3_u32 v8, s2, v0, v2
	s_waitcnt lgkmcnt(0)
	v_cmp_gt_i32_e32 vcc, s33, v8
	s_and_saveexec_b64 s[2:3], vcc
	s_cbranch_execz .LBB517_69
; %bb.1:
	s_load_dwordx4 s[4:7], s[0:1], 0x0
	s_load_dwordx2 s[34:35], s[0:1], 0x10
	s_waitcnt lgkmcnt(0)
	s_cmp_eq_u64 s[6:7], 0
	s_cbranch_scc1 .LBB517_3
; %bb.2:
	v_ashrrev_i32_e32 v9, 31, v8
	v_lshl_add_u64 v[2:3], s[6:7], 0, v[8:9]
	global_load_ubyte v0, v[2:3], off
	s_waitcnt vmcnt(0)
	v_and_b32_e32 v0, 1, v0
	v_cmp_eq_u32_e32 vcc, 1, v0
	s_xor_b64 s[2:3], vcc, -1
	s_orn2_b64 s[36:37], s[2:3], exec
	s_branch .LBB517_4
.LBB517_3:
	s_mov_b64 s[36:37], -1
.LBB517_4:
	v_lshlrev_b32_e32 v4, 9, v8
	v_mov_b32_e32 v2, s4
	v_mov_b32_e32 v3, s5
	v_ashrrev_i32_e32 v5, 31, v4
	v_and_b32_e32 v9, 63, v1
	v_lshl_add_u64 v[2:3], v[4:5], 1, v[2:3]
	v_mov_b32_e32 v1, 0
	v_lshlrev_b32_e32 v0, 4, v9
	v_lshl_add_u64 v[0:1], v[2:3], 0, v[0:1]
	global_load_dwordx4 v[4:7], v[0:1], off
	s_mov_b32 s12, 0x800000
	v_mov_b32_e32 v2, 0x4f800000
	s_mov_b32 s9, 0x3f317217
	s_mov_b32 s10, 0x7f800000
	v_mov_b32_e32 v3, 0x41b17218
	s_mov_b32 s8, 0x41a00000
	s_mov_b32 s11, 0xf800000
	s_load_dwordx4 s[20:23], s[0:1], 0x40
	v_lshlrev_b32_e32 v12, 3, v9
	s_waitcnt lgkmcnt(0)
	s_cmp_lg_u64 s[22:23], 0
	s_cselect_b64 s[6:7], -1, 0
	s_and_b64 s[2:3], exec, s[6:7]
	s_waitcnt vmcnt(0)
	v_lshlrev_b32_e32 v0, 16, v4
	v_mul_f32_e32 v1, 0x3fb8aa3b, v0
	v_exp_f32_e32 v10, v1
	v_mov_b32_e32 v1, 0x260
	v_add_f32_e32 v10, 1.0, v10
	v_cmp_gt_f32_e32 vcc, s12, v10
	s_nop 1
	v_cndmask_b32_e32 v11, 1.0, v2, vcc
	v_mul_f32_e32 v10, v10, v11
	v_log_f32_e32 v11, v10
	v_cndmask_b32_e32 v13, 0, v3, vcc
	v_lshlrev_b32_e32 v10, 2, v12
	v_mul_f32_e32 v14, 0x3f317217, v11
	v_fma_f32 v14, v11, s9, -v14
	v_fmac_f32_e32 v14, 0x3377d1cf, v11
	v_fmac_f32_e32 v14, 0x3f317217, v11
	v_cmp_lt_f32_e64 vcc, |v11|, s10
	s_nop 1
	v_cndmask_b32_e32 v11, v11, v14, vcc
	v_sub_f32_e32 v11, v11, v13
	v_cmp_lt_f32_e32 vcc, s8, v0
	s_nop 1
	v_cndmask_b32_e32 v0, v11, v0, vcc
	v_mul_f32_e32 v11, 0x4f800000, v0
	v_cmp_gt_f32_e32 vcc, s11, v0
	s_nop 1
	v_cndmask_b32_e32 v0, v0, v11, vcc
	v_sqrt_f32_e32 v11, v0
	s_nop 0
	v_add_u32_e32 v13, -1, v11
	v_add_u32_e32 v14, 1, v11
	v_fma_f32 v15, -v13, v11, v0
	v_fma_f32 v16, -v14, v11, v0
	v_cmp_ge_f32_e64 s[4:5], 0, v15
	s_nop 1
	v_cndmask_b32_e64 v11, v11, v13, s[4:5]
	v_cmp_lt_f32_e64 s[4:5], 0, v16
	s_nop 1
	v_cndmask_b32_e64 v11, v11, v14, s[4:5]
	v_mul_f32_e32 v13, 0x37800000, v11
	v_cndmask_b32_e32 v11, v11, v13, vcc
	v_cmp_class_f32_e32 vcc, v0, v1
	s_nop 1
	v_cndmask_b32_e32 v0, v11, v0, vcc
	s_mov_b64 vcc, s[2:3]
	s_cbranch_vccz .LBB517_6
; %bb.5:
	global_load_dword v11, v10, s[22:23]
	s_waitcnt vmcnt(0)
	v_add_f32_e32 v0, v0, v11
.LBB517_6:
	v_and_b32_e32 v4, 0xffff0000, v4
	v_mul_f32_e32 v11, 0x3fb8aa3b, v4
	v_exp_f32_e32 v11, v11
	s_nop 0
	v_add_f32_e32 v11, 1.0, v11
	v_cmp_gt_f32_e32 vcc, s12, v11
	s_nop 1
	v_cndmask_b32_e32 v2, 1.0, v2, vcc
	v_mul_f32_e32 v2, v11, v2
	v_log_f32_e32 v2, v2
	v_cndmask_b32_e32 v3, 0, v3, vcc
	v_mul_f32_e32 v11, 0x3f317217, v2
	v_fma_f32 v11, v2, s9, -v11
	v_fmac_f32_e32 v11, 0x3377d1cf, v2
	v_fmac_f32_e32 v11, 0x3f317217, v2
	v_cmp_lt_f32_e64 vcc, |v2|, s10
	s_nop 1
	v_cndmask_b32_e32 v2, v2, v11, vcc
	v_sub_f32_e32 v2, v2, v3
	v_cmp_lt_f32_e32 vcc, s8, v4
	s_nop 1
	v_cndmask_b32_e32 v2, v2, v4, vcc
	v_mul_f32_e32 v3, 0x4f800000, v2
	v_cmp_gt_f32_e32 vcc, s11, v2
	s_nop 1
	v_cndmask_b32_e32 v2, v2, v3, vcc
	v_sqrt_f32_e32 v3, v2
	v_cmp_class_f32_e64 s[4:5], v2, v1
	v_add_u32_e32 v4, -1, v3
	v_add_u32_e32 v11, 1, v3
	v_fma_f32 v13, -v4, v3, v2
	v_fma_f32 v14, -v11, v3, v2
	v_cmp_ge_f32_e64 s[2:3], 0, v13
	s_nop 1
	v_cndmask_b32_e64 v3, v3, v4, s[2:3]
	v_cmp_lt_f32_e64 s[2:3], 0, v14
	s_nop 1
	v_cndmask_b32_e64 v3, v3, v11, s[2:3]
	v_mul_f32_e32 v4, 0x37800000, v3
	v_cndmask_b32_e32 v3, v3, v4, vcc
	v_cndmask_b32_e64 v4, 0, 1, s[6:7]
	v_cmp_ne_u32_e64 s[2:3], 1, v4
	s_andn2_b64 vcc, exec, s[6:7]
	v_cndmask_b32_e64 v1, v3, v2, s[4:5]
	s_cbranch_vccnz .LBB517_8
; %bb.7:
	global_load_dword v2, v10, s[22:23] offset:4
	s_waitcnt vmcnt(0)
	v_add_f32_e32 v1, v1, v2
.LBB517_8:
	v_lshlrev_b32_e32 v2, 16, v5
	v_mul_f32_e32 v3, 0x3fb8aa3b, v2
	v_exp_f32_e32 v3, v3
	s_mov_b32 s10, 0x800000
	v_mov_b32_e32 v4, 0x4f800000
	s_mov_b32 s7, 0x3f317217
	v_add_f32_e32 v3, 1.0, v3
	v_cmp_gt_f32_e32 vcc, s10, v3
	s_mov_b32 s8, 0x7f800000
	s_mov_b32 s6, 0x41a00000
	v_cndmask_b32_e32 v11, 1.0, v4, vcc
	v_mul_f32_e32 v3, v3, v11
	v_log_f32_e32 v3, v3
	s_mov_b32 s9, 0xf800000
	v_mul_f32_e32 v11, 0x3f317217, v3
	v_fma_f32 v11, v3, s7, -v11
	v_fmac_f32_e32 v11, 0x3377d1cf, v3
	v_fmac_f32_e32 v11, 0x3f317217, v3
	v_cmp_lt_f32_e64 s[4:5], |v3|, s8
	s_nop 1
	v_cndmask_b32_e64 v3, v3, v11, s[4:5]
	v_mov_b32_e32 v11, 0x41b17218
	v_cndmask_b32_e32 v13, 0, v11, vcc
	v_sub_f32_e32 v3, v3, v13
	v_cmp_lt_f32_e32 vcc, s6, v2
	s_nop 1
	v_cndmask_b32_e32 v2, v3, v2, vcc
	v_mul_f32_e32 v3, 0x4f800000, v2
	v_cmp_gt_f32_e32 vcc, s9, v2
	s_nop 1
	v_cndmask_b32_e32 v2, v2, v3, vcc
	v_sqrt_f32_e32 v3, v2
	s_nop 0
	v_add_u32_e32 v13, -1, v3
	v_fma_f32 v14, -v13, v3, v2
	v_cmp_ge_f32_e64 s[4:5], 0, v14
	v_add_u32_e32 v14, 1, v3
	s_nop 0
	v_cndmask_b32_e64 v13, v3, v13, s[4:5]
	v_fma_f32 v3, -v14, v3, v2
	v_cmp_lt_f32_e64 s[4:5], 0, v3
	s_nop 1
	v_cndmask_b32_e64 v3, v13, v14, s[4:5]
	v_mul_f32_e32 v13, 0x37800000, v3
	v_cndmask_b32_e32 v13, v3, v13, vcc
	v_mov_b32_e32 v3, 0x260
	v_cmp_class_f32_e64 s[4:5], v2, v3
	s_and_b64 vcc, exec, s[2:3]
	s_nop 0
	v_cndmask_b32_e64 v2, v13, v2, s[4:5]
	s_cbranch_vccnz .LBB517_10
; %bb.9:
	global_load_dword v13, v10, s[22:23] offset:8
	s_waitcnt vmcnt(0)
	v_add_f32_e32 v2, v2, v13
.LBB517_10:
	v_and_b32_e32 v5, 0xffff0000, v5
	v_mul_f32_e32 v13, 0x3fb8aa3b, v5
	v_exp_f32_e32 v13, v13
	s_nop 0
	v_add_f32_e32 v13, 1.0, v13
	v_cmp_gt_f32_e32 vcc, s10, v13
	s_nop 1
	v_cndmask_b32_e32 v4, 1.0, v4, vcc
	v_mul_f32_e32 v4, v13, v4
	v_log_f32_e32 v4, v4
	v_cndmask_b32_e32 v11, 0, v11, vcc
	v_mul_f32_e32 v13, 0x3f317217, v4
	v_fma_f32 v13, v4, s7, -v13
	v_fmac_f32_e32 v13, 0x3377d1cf, v4
	v_fmac_f32_e32 v13, 0x3f317217, v4
	v_cmp_lt_f32_e64 vcc, |v4|, s8
	s_nop 1
	v_cndmask_b32_e32 v4, v4, v13, vcc
	v_sub_f32_e32 v4, v4, v11
	v_cmp_lt_f32_e32 vcc, s6, v5
	s_nop 1
	v_cndmask_b32_e32 v4, v4, v5, vcc
	v_mul_f32_e32 v5, 0x4f800000, v4
	v_cmp_gt_f32_e32 vcc, s9, v4
	s_nop 1
	v_cndmask_b32_e32 v4, v4, v5, vcc
	v_sqrt_f32_e32 v5, v4
	s_nop 0
	v_add_u32_e32 v11, -1, v5
	v_add_u32_e32 v13, 1, v5
	v_fma_f32 v14, -v11, v5, v4
	v_fma_f32 v15, -v13, v5, v4
	v_cmp_ge_f32_e64 s[4:5], 0, v14
	s_nop 1
	v_cndmask_b32_e64 v5, v5, v11, s[4:5]
	v_cmp_lt_f32_e64 s[4:5], 0, v15
	s_nop 1
	v_cndmask_b32_e64 v5, v5, v13, s[4:5]
	v_mul_f32_e32 v11, 0x37800000, v5
	v_cndmask_b32_e32 v5, v5, v11, vcc
	v_cmp_class_f32_e64 s[4:5], v4, v3
	s_and_b64 vcc, exec, s[2:3]
	s_nop 0
	v_cndmask_b32_e64 v3, v5, v4, s[4:5]
	s_cbranch_vccnz .LBB517_12
; %bb.11:
	global_load_dword v4, v10, s[22:23] offset:12
	s_waitcnt vmcnt(0)
	v_add_f32_e32 v3, v3, v4
.LBB517_12:
	v_lshlrev_b32_e32 v4, 16, v6
	v_mul_f32_e32 v5, 0x3fb8aa3b, v4
	v_exp_f32_e32 v5, v5
	v_mov_b32_e32 v11, 0x4f800000
	v_add_f32_e32 v5, 1.0, v5
	v_cmp_gt_f32_e32 vcc, s10, v5
	s_nop 1
	v_cndmask_b32_e32 v13, 1.0, v11, vcc
	v_mul_f32_e32 v5, v5, v13
	v_log_f32_e32 v5, v5
	s_nop 0
	v_mul_f32_e32 v13, 0x3f317217, v5
	v_fma_f32 v13, v5, s7, -v13
	v_fmac_f32_e32 v13, 0x3377d1cf, v5
	v_fmac_f32_e32 v13, 0x3f317217, v5
	v_cmp_lt_f32_e64 s[4:5], |v5|, s8
	s_nop 1
	v_cndmask_b32_e64 v5, v5, v13, s[4:5]
	v_mov_b32_e32 v13, 0x41b17218
	v_cndmask_b32_e32 v14, 0, v13, vcc
	v_sub_f32_e32 v5, v5, v14
	v_cmp_lt_f32_e32 vcc, s6, v4
	s_nop 1
	v_cndmask_b32_e32 v4, v5, v4, vcc
	v_mul_f32_e32 v5, 0x4f800000, v4
	v_cmp_gt_f32_e32 vcc, s9, v4
	s_nop 1
	v_cndmask_b32_e32 v4, v4, v5, vcc
	v_sqrt_f32_e32 v5, v4
	s_nop 0
	v_add_u32_e32 v14, -1, v5
	v_fma_f32 v15, -v14, v5, v4
	v_cmp_ge_f32_e64 s[4:5], 0, v15
	v_add_u32_e32 v15, 1, v5
	s_nop 0
	v_cndmask_b32_e64 v14, v5, v14, s[4:5]
	v_fma_f32 v5, -v15, v5, v4
	v_cmp_lt_f32_e64 s[4:5], 0, v5
	s_nop 1
	v_cndmask_b32_e64 v5, v14, v15, s[4:5]
	v_mul_f32_e32 v14, 0x37800000, v5
	v_cndmask_b32_e32 v14, v5, v14, vcc
	v_mov_b32_e32 v5, 0x260
	v_cmp_class_f32_e64 s[4:5], v4, v5
	s_and_b64 vcc, exec, s[2:3]
	s_nop 0
	v_cndmask_b32_e64 v4, v14, v4, s[4:5]
	s_cbranch_vccnz .LBB517_14
; %bb.13:
	global_load_dword v14, v10, s[22:23] offset:16
	s_waitcnt vmcnt(0)
	v_add_f32_e32 v4, v4, v14
.LBB517_14:
	v_and_b32_e32 v6, 0xffff0000, v6
	v_mul_f32_e32 v14, 0x3fb8aa3b, v6
	v_exp_f32_e32 v14, v14
	s_nop 0
	v_add_f32_e32 v14, 1.0, v14
	v_cmp_gt_f32_e32 vcc, s10, v14
	s_nop 1
	v_cndmask_b32_e32 v11, 1.0, v11, vcc
	v_mul_f32_e32 v11, v14, v11
	v_log_f32_e32 v11, v11
	v_cndmask_b32_e32 v13, 0, v13, vcc
	v_mul_f32_e32 v14, 0x3f317217, v11
	v_fma_f32 v14, v11, s7, -v14
	v_fmac_f32_e32 v14, 0x3377d1cf, v11
	v_fmac_f32_e32 v14, 0x3f317217, v11
	v_cmp_lt_f32_e64 vcc, |v11|, s8
	s_nop 1
	v_cndmask_b32_e32 v11, v11, v14, vcc
	v_sub_f32_e32 v11, v11, v13
	v_cmp_lt_f32_e32 vcc, s6, v6
	s_nop 1
	v_cndmask_b32_e32 v6, v11, v6, vcc
	v_mul_f32_e32 v11, 0x4f800000, v6
	v_cmp_gt_f32_e32 vcc, s9, v6
	s_nop 1
	v_cndmask_b32_e32 v6, v6, v11, vcc
	v_sqrt_f32_e32 v11, v6
	s_nop 0
	v_add_u32_e32 v13, -1, v11
	v_add_u32_e32 v14, 1, v11
	v_fma_f32 v15, -v13, v11, v6
	v_fma_f32 v16, -v14, v11, v6
	v_cmp_ge_f32_e64 s[4:5], 0, v15
	s_nop 1
	v_cndmask_b32_e64 v11, v11, v13, s[4:5]
	v_cmp_lt_f32_e64 s[4:5], 0, v16
	s_nop 1
	v_cndmask_b32_e64 v11, v11, v14, s[4:5]
	v_mul_f32_e32 v13, 0x37800000, v11
	v_cndmask_b32_e32 v11, v11, v13, vcc
	v_cmp_class_f32_e64 s[4:5], v6, v5
	s_and_b64 vcc, exec, s[2:3]
	s_nop 0
	v_cndmask_b32_e64 v5, v11, v6, s[4:5]
	s_cbranch_vccnz .LBB517_16
; %bb.15:
	global_load_dword v6, v10, s[22:23] offset:20
	s_waitcnt vmcnt(0)
	v_add_f32_e32 v5, v5, v6
.LBB517_16:
	v_lshlrev_b32_e32 v6, 16, v7
	v_mul_f32_e32 v11, 0x3fb8aa3b, v6
	v_exp_f32_e32 v11, v11
	v_mov_b32_e32 v13, 0x4f800000
	v_add_f32_e32 v11, 1.0, v11
	v_cmp_gt_f32_e32 vcc, s10, v11
	s_nop 1
	v_cndmask_b32_e32 v14, 1.0, v13, vcc
	v_mul_f32_e32 v11, v11, v14
	v_log_f32_e32 v11, v11
	s_nop 0
	v_mul_f32_e32 v14, 0x3f317217, v11
	v_fma_f32 v14, v11, s7, -v14
	v_fmac_f32_e32 v14, 0x3377d1cf, v11
	v_fmac_f32_e32 v14, 0x3f317217, v11
	v_cmp_lt_f32_e64 s[4:5], |v11|, s8
	s_nop 1
	v_cndmask_b32_e64 v11, v11, v14, s[4:5]
	v_mov_b32_e32 v14, 0x41b17218
	v_cndmask_b32_e32 v15, 0, v14, vcc
	v_sub_f32_e32 v11, v11, v15
	v_cmp_lt_f32_e32 vcc, s6, v6
	s_nop 1
	v_cndmask_b32_e32 v6, v11, v6, vcc
	v_mul_f32_e32 v11, 0x4f800000, v6
	v_cmp_gt_f32_e32 vcc, s9, v6
	s_nop 1
	v_cndmask_b32_e32 v6, v6, v11, vcc
	v_sqrt_f32_e32 v11, v6
	s_nop 0
	v_add_u32_e32 v15, -1, v11
	v_fma_f32 v16, -v15, v11, v6
	v_cmp_ge_f32_e64 s[4:5], 0, v16
	v_add_u32_e32 v16, 1, v11
	s_nop 0
	v_cndmask_b32_e64 v15, v11, v15, s[4:5]
	v_fma_f32 v11, -v16, v11, v6
	v_cmp_lt_f32_e64 s[4:5], 0, v11
	s_nop 1
	v_cndmask_b32_e64 v11, v15, v16, s[4:5]
	v_mul_f32_e32 v15, 0x37800000, v11
	v_cndmask_b32_e32 v15, v11, v15, vcc
	v_mov_b32_e32 v11, 0x260
	v_cmp_class_f32_e64 s[4:5], v6, v11
	s_and_b64 vcc, exec, s[2:3]
	s_nop 0
	v_cndmask_b32_e64 v6, v15, v6, s[4:5]
	s_cbranch_vccnz .LBB517_18
; %bb.17:
	global_load_dword v15, v10, s[22:23] offset:24
	s_waitcnt vmcnt(0)
	v_add_f32_e32 v6, v6, v15
.LBB517_18:
	v_and_b32_e32 v7, 0xffff0000, v7
	v_mul_f32_e32 v15, 0x3fb8aa3b, v7
	v_exp_f32_e32 v15, v15
	s_nop 0
	v_add_f32_e32 v15, 1.0, v15
	v_cmp_gt_f32_e32 vcc, s10, v15
	s_nop 1
	v_cndmask_b32_e32 v13, 1.0, v13, vcc
	v_mul_f32_e32 v13, v15, v13
	v_log_f32_e32 v13, v13
	v_cndmask_b32_e32 v14, 0, v14, vcc
	v_mul_f32_e32 v15, 0x3f317217, v13
	v_fma_f32 v15, v13, s7, -v15
	v_fmac_f32_e32 v15, 0x3377d1cf, v13
	v_fmac_f32_e32 v15, 0x3f317217, v13
	v_cmp_lt_f32_e64 vcc, |v13|, s8
	s_nop 1
	v_cndmask_b32_e32 v13, v13, v15, vcc
	v_sub_f32_e32 v13, v13, v14
	v_cmp_lt_f32_e32 vcc, s6, v7
	s_nop 1
	v_cndmask_b32_e32 v7, v13, v7, vcc
	v_mul_f32_e32 v13, 0x4f800000, v7
	v_cmp_gt_f32_e32 vcc, s9, v7
	s_nop 1
	v_cndmask_b32_e32 v7, v7, v13, vcc
	v_sqrt_f32_e32 v13, v7
	s_nop 0
	v_add_u32_e32 v14, -1, v13
	v_add_u32_e32 v15, 1, v13
	v_fma_f32 v16, -v14, v13, v7
	v_fma_f32 v17, -v15, v13, v7
	v_cmp_ge_f32_e64 s[4:5], 0, v16
	s_nop 1
	v_cndmask_b32_e64 v13, v13, v14, s[4:5]
	v_cmp_lt_f32_e64 s[4:5], 0, v17
	s_nop 1
	v_cndmask_b32_e64 v13, v13, v15, s[4:5]
	v_mul_f32_e32 v14, 0x37800000, v13
	v_cndmask_b32_e32 v13, v13, v14, vcc
	v_cmp_class_f32_e64 s[4:5], v7, v11
	s_and_b64 vcc, exec, s[2:3]
	s_nop 0
	v_cndmask_b32_e64 v7, v13, v7, s[4:5]
	s_cbranch_vccnz .LBB517_20
; %bb.19:
	global_load_dword v10, v10, s[22:23] offset:28
	s_waitcnt vmcnt(0)
	v_add_f32_e32 v7, v7, v10
.LBB517_20:
	s_load_dwordx4 s[24:27], s[0:1], 0x30
	s_mov_b32 s42, 0
	v_cmp_eq_u32_e64 s[6:7], 0, v9
	s_waitcnt lgkmcnt(0)
	s_bitcmp1_b32 s27, 0
	s_cselect_b64 s[4:5], -1, 0
	s_cmp_gt_i32 s24, 0
	s_cselect_b64 s[38:39], -1, 0
	s_and_b64 vcc, exec, s[38:39]
	s_cbranch_vccz .LBB517_55
; %bb.21:
	v_mbcnt_lo_u32_b32 v10, -1, 0
	v_mbcnt_hi_u32_b32 v10, -1, v10
	v_and_b32_e32 v11, 64, v10
	v_add_u32_e32 v11, 64, v11
	v_xor_b32_e32 v13, 32, v10
	v_cmp_lt_i32_e32 vcc, v13, v11
	s_load_dwordx4 s[28:31], s[0:1], 0x20
	v_mul_lo_u32 v14, v8, s24
	v_cndmask_b32_e32 v13, v10, v13, vcc
	v_lshlrev_b32_e32 v15, 2, v13
	v_xor_b32_e32 v13, 16, v10
	v_cmp_lt_i32_e32 vcc, v13, v11
	v_mov_b32_e32 v21, 0x200
	v_mov_b32_e32 v22, 0xc61c4000
	v_cndmask_b32_e32 v13, v10, v13, vcc
	v_lshlrev_b32_e32 v16, 2, v13
	v_xor_b32_e32 v13, 8, v10
	v_cmp_lt_i32_e32 vcc, v13, v11
	v_mov_b32_e32 v23, v8
	s_nop 0
	v_cndmask_b32_e32 v13, v10, v13, vcc
	v_lshlrev_b32_e32 v17, 2, v13
	v_xor_b32_e32 v13, 4, v10
	v_cmp_lt_i32_e32 vcc, v13, v11
	s_nop 1
	v_cndmask_b32_e32 v13, v10, v13, vcc
	v_lshlrev_b32_e32 v18, 2, v13
	v_xor_b32_e32 v13, 2, v10
	v_cmp_lt_i32_e32 vcc, v13, v11
	;; [unrolled: 5-line block ×3, first 2 shown]
	s_nop 1
	v_cndmask_b32_e32 v10, v10, v13, vcc
	v_lshlrev_b32_e32 v20, 2, v10
	v_mov_b32_e32 v13, 0
	s_branch .LBB517_24
.LBB517_22:                             ;   in Loop: Header=BB517_24 Depth=1
	s_or_b64 exec, exec, s[40:41]
.LBB517_23:                             ;   in Loop: Header=BB517_24 Depth=1
	s_cmp_eq_u32 s24, s42
	v_add_u32_e32 v23, s33, v23
	s_cbranch_scc1 .LBB517_56
.LBB517_24:                             ; =>This Inner Loop Header: Depth=1
	v_cmp_gt_f32_e32 vcc, v1, v0
	s_nop 1
	v_cndmask_b32_e32 v11, v0, v1, vcc
	v_cndmask_b32_e64 v10, 0, 1, vcc
	v_cmp_gt_f32_e32 vcc, v2, v11
	s_nop 1
	v_cndmask_b32_e32 v11, v11, v2, vcc
	v_cndmask_b32_e64 v10, v10, 2, vcc
	;; [unrolled: 4-line block ×6, first 2 shown]
	v_cmp_gt_f32_e32 vcc, v7, v11
	s_nop 1
	v_cndmask_b32_e64 v10, v10, 7, vcc
	v_cndmask_b32_e32 v24, v11, v7, vcc
	ds_bpermute_b32 v11, v15, v24
	v_or_b32_e32 v10, v12, v10
	s_waitcnt lgkmcnt(0)
	ds_bpermute_b32 v25, v15, v10
	s_waitcnt lgkmcnt(0)
	v_cmp_lt_f32_e64 s[8:9], v24, v11
	v_cmp_nlt_f32_e32 vcc, v24, v11
	s_and_saveexec_b64 s[10:11], vcc
; %bb.25:                               ;   in Loop: Header=BB517_24 Depth=1
	v_cmp_eq_f32_e32 vcc, v24, v11
	v_cmp_lt_i32_e64 s[0:1], v25, v10
	s_and_b64 s[0:1], vcc, s[0:1]
	s_andn2_b64 s[8:9], s[8:9], exec
	s_and_b64 s[0:1], s[0:1], exec
	s_or_b64 s[8:9], s[8:9], s[0:1]
; %bb.26:                               ;   in Loop: Header=BB517_24 Depth=1
	s_or_b64 exec, exec, s[10:11]
	s_and_saveexec_b64 s[0:1], s[8:9]
; %bb.27:                               ;   in Loop: Header=BB517_24 Depth=1
	v_mov_b32_e32 v24, v11
	v_mov_b32_e32 v10, v25
; %bb.28:                               ;   in Loop: Header=BB517_24 Depth=1
	s_or_b64 exec, exec, s[0:1]
	ds_bpermute_b32 v11, v16, v24
	ds_bpermute_b32 v25, v16, v10
	s_waitcnt lgkmcnt(1)
	v_cmp_lt_f32_e64 s[8:9], v24, v11
	v_cmp_nlt_f32_e32 vcc, v24, v11
	s_and_saveexec_b64 s[10:11], vcc
	s_cbranch_execz .LBB517_30
; %bb.29:                               ;   in Loop: Header=BB517_24 Depth=1
	v_cmp_eq_f32_e32 vcc, v24, v11
	s_waitcnt lgkmcnt(0)
	v_cmp_lt_i32_e64 s[0:1], v25, v10
	s_and_b64 s[0:1], vcc, s[0:1]
	s_andn2_b64 s[8:9], s[8:9], exec
	s_and_b64 s[0:1], s[0:1], exec
	s_or_b64 s[8:9], s[8:9], s[0:1]
.LBB517_30:                             ;   in Loop: Header=BB517_24 Depth=1
	s_or_b64 exec, exec, s[10:11]
	s_and_saveexec_b64 s[0:1], s[8:9]
	s_cbranch_execz .LBB517_32
; %bb.31:                               ;   in Loop: Header=BB517_24 Depth=1
	v_mov_b32_e32 v24, v11
	s_waitcnt lgkmcnt(0)
	v_mov_b32_e32 v10, v25
.LBB517_32:                             ;   in Loop: Header=BB517_24 Depth=1
	s_or_b64 exec, exec, s[0:1]
	ds_bpermute_b32 v11, v17, v24
	s_waitcnt lgkmcnt(1)
	ds_bpermute_b32 v25, v17, v10
	s_waitcnt lgkmcnt(1)
	v_cmp_lt_f32_e64 s[8:9], v24, v11
	v_cmp_nlt_f32_e32 vcc, v24, v11
	s_and_saveexec_b64 s[10:11], vcc
	s_cbranch_execz .LBB517_34
; %bb.33:                               ;   in Loop: Header=BB517_24 Depth=1
	v_cmp_eq_f32_e32 vcc, v24, v11
	s_waitcnt lgkmcnt(0)
	v_cmp_lt_i32_e64 s[0:1], v25, v10
	s_and_b64 s[0:1], vcc, s[0:1]
	s_andn2_b64 s[8:9], s[8:9], exec
	s_and_b64 s[0:1], s[0:1], exec
	s_or_b64 s[8:9], s[8:9], s[0:1]
.LBB517_34:                             ;   in Loop: Header=BB517_24 Depth=1
	s_or_b64 exec, exec, s[10:11]
	s_and_saveexec_b64 s[0:1], s[8:9]
	s_cbranch_execz .LBB517_36
; %bb.35:                               ;   in Loop: Header=BB517_24 Depth=1
	v_mov_b32_e32 v24, v11
	s_waitcnt lgkmcnt(0)
	v_mov_b32_e32 v10, v25
.LBB517_36:                             ;   in Loop: Header=BB517_24 Depth=1
	s_or_b64 exec, exec, s[0:1]
	ds_bpermute_b32 v11, v18, v24
	s_waitcnt lgkmcnt(1)
	;; [unrolled: 26-line block ×4, first 2 shown]
	ds_bpermute_b32 v25, v20, v10
	s_waitcnt lgkmcnt(1)
	v_cmp_lt_f32_e64 s[8:9], v24, v11
	v_cmp_nlt_f32_e32 vcc, v24, v11
	s_and_saveexec_b64 s[10:11], vcc
	s_cbranch_execnz .LBB517_48
; %bb.45:                               ;   in Loop: Header=BB517_24 Depth=1
	s_or_b64 exec, exec, s[10:11]
	s_and_saveexec_b64 s[0:1], s[8:9]
	s_cbranch_execnz .LBB517_49
.LBB517_46:                             ;   in Loop: Header=BB517_24 Depth=1
	s_or_b64 exec, exec, s[0:1]
	s_and_saveexec_b64 s[8:9], s[6:7]
	s_cbranch_execnz .LBB517_50
.LBB517_47:                             ;   in Loop: Header=BB517_24 Depth=1
	s_or_b64 exec, exec, s[8:9]
	s_add_i32 s42, s42, 1
	s_cmp_ge_i32 s42, s24
	s_cbranch_scc1 .LBB517_23
	s_branch .LBB517_53
.LBB517_48:                             ;   in Loop: Header=BB517_24 Depth=1
	v_cmp_eq_f32_e32 vcc, v24, v11
	s_waitcnt lgkmcnt(0)
	v_cmp_lt_i32_e64 s[0:1], v25, v10
	s_and_b64 s[0:1], vcc, s[0:1]
	s_andn2_b64 s[8:9], s[8:9], exec
	s_and_b64 s[0:1], s[0:1], exec
	s_or_b64 s[8:9], s[8:9], s[0:1]
	s_or_b64 exec, exec, s[10:11]
	s_and_saveexec_b64 s[0:1], s[8:9]
	s_cbranch_execz .LBB517_46
.LBB517_49:                             ;   in Loop: Header=BB517_24 Depth=1
	s_waitcnt lgkmcnt(0)
	v_mov_b32_e32 v10, v25
	v_mov_b32_e32 v24, v11
	s_or_b64 exec, exec, s[0:1]
	s_and_saveexec_b64 s[8:9], s[6:7]
	s_cbranch_execz .LBB517_47
.LBB517_50:                             ;   in Loop: Header=BB517_24 Depth=1
	s_and_b64 vcc, exec, s[2:3]
	s_cbranch_vccnz .LBB517_52
; %bb.51:                               ;   in Loop: Header=BB517_24 Depth=1
	v_ashrrev_i32_e32 v11, 31, v10
	v_lshl_add_u64 v[26:27], v[10:11], 2, s[22:23]
	global_load_dword v11, v[26:27], off
	s_waitcnt vmcnt(0)
	v_sub_f32_e32 v24, v24, v11
.LBB517_52:                             ;   in Loop: Header=BB517_24 Depth=1
	v_add_u32_e32 v26, s42, v14
	v_cmp_le_i32_e32 vcc, s25, v10
	v_cmp_gt_i32_e64 s[0:1], s26, v10
	v_ashrrev_i32_e32 v27, 31, v26
	s_and_b64 s[0:1], vcc, s[0:1]
	v_lshlrev_b64 v[28:29], 2, v[26:27]
	v_subrev_u32_e32 v11, s25, v10
	v_lshl_add_u64 v[30:31], s[34:35], 0, v[28:29]
	s_waitcnt lgkmcnt(0)
	v_ashrrev_i32_e32 v25, 31, v11
	s_and_b64 vcc, s[36:37], s[0:1]
	global_store_dword v[30:31], v24, off
	v_cndmask_b32_e32 v31, 0, v25, vcc
	v_cndmask_b32_e32 v30, v21, v11, vcc
	v_lshl_add_u64 v[26:27], v[26:27], 3, s[28:29]
	v_add_f32_e32 v11, v13, v24
	global_store_dwordx2 v[26:27], v[30:31], off
	v_lshl_add_u64 v[26:27], s[30:31], 0, v[28:29]
	v_cndmask_b32_e64 v13, v13, v11, s[4:5]
	global_store_dword v[26:27], v23, off
	s_or_b64 exec, exec, s[8:9]
	s_add_i32 s42, s42, 1
	s_cmp_ge_i32 s42, s24
	s_cbranch_scc1 .LBB517_23
.LBB517_53:                             ;   in Loop: Header=BB517_24 Depth=1
	v_ashrrev_i32_e32 v24, 31, v10
	v_lshrrev_b32_e32 v11, 29, v24
	s_waitcnt lgkmcnt(0)
	v_add_u32_e32 v25, v10, v11
	v_ashrrev_i32_e32 v11, 3, v25
	v_ashrrev_i32_e32 v25, 31, v25
	v_lshrrev_b32_e32 v25, 26, v25
	v_add_u32_e32 v25, v11, v25
	v_and_b32_e32 v25, 0xffffffc0, v25
	v_sub_u32_e32 v25, v11, v25
	v_cmp_eq_u32_e32 vcc, v9, v25
	s_and_saveexec_b64 s[40:41], vcc
	s_cbranch_execz .LBB517_22
; %bb.54:                               ;   in Loop: Header=BB517_24 Depth=1
	v_lshrrev_b32_e32 v24, 23, v24
	v_add_u32_e32 v24, v10, v24
	v_lshlrev_b32_e32 v11, 3, v11
	v_sub_u32_e32 v10, v10, v11
	v_ashrrev_i32_e32 v11, 9, v24
	v_lshl_add_u32 v10, v11, 3, v10
	v_cmp_ne_u32_e32 vcc, 6, v10
	v_cmp_ne_u32_e64 s[0:1], 5, v10
	v_cmp_ne_u32_e64 s[8:9], 4, v10
	;; [unrolled: 1-line block ×7, first 2 shown]
	v_cndmask_b32_e32 v6, v22, v6, vcc
	v_cndmask_b32_e64 v5, v22, v5, s[0:1]
	v_cndmask_b32_e64 v7, v22, v7, s[18:19]
	;; [unrolled: 1-line block ×7, first 2 shown]
	s_branch .LBB517_22
.LBB517_55:
	v_mov_b32_e32 v13, 0
.LBB517_56:
	v_cmp_eq_u32_e32 vcc, 0, v9
	s_and_b64 exec, exec, vcc
	s_cbranch_execz .LBB517_69
; %bb.57:
	s_andn2_b64 vcc, exec, s[4:5]
	v_cvt_f32_f64_e32 v0, s[20:21]
	s_cbranch_vccnz .LBB517_59
; %bb.58:
	v_cmp_lt_f32_e32 vcc, 0, v13
	s_nop 1
	v_cndmask_b32_e32 v1, 1.0, v13, vcc
	v_div_scale_f32 v2, s[0:1], v1, v1, v0
	v_rcp_f32_e32 v3, v2
	s_nop 0
	v_fma_f32 v4, -v2, v3, 1.0
	v_fmac_f32_e32 v3, v4, v3
	v_div_scale_f32 v4, vcc, v0, v1, v0
	v_mul_f32_e32 v5, v4, v3
	v_fma_f32 v6, -v2, v5, v4
	v_fmac_f32_e32 v5, v6, v3
	v_fma_f32 v2, -v2, v5, v4
	v_div_fmas_f32 v2, v2, v3, v5
	v_div_fixup_f32 v0, v2, v1, v0
.LBB517_59:
	s_andn2_b64 vcc, exec, s[38:39]
	s_cbranch_vccnz .LBB517_69
; %bb.60:
	v_mul_lo_u32 v2, v8, s24
	s_cmp_gt_u32 s24, 3
	v_ashrrev_i32_e32 v3, 31, v2
	s_cbranch_scc0 .LBB517_64
; %bb.61:
	s_and_b32 s0, s24, 0x7ffffffc
	v_lshl_add_u64 v[4:5], v[2:3], 2, s[34:35]
	v_mov_b32_e32 v1, v0
	v_lshl_add_u64 v[4:5], v[4:5], 0, 8
	s_mov_b32 s1, s0
.LBB517_62:                             ; =>This Inner Loop Header: Depth=1
	global_load_dwordx4 v[6:9], v[4:5], off offset:-8
	s_add_i32 s1, s1, -4
	s_cmp_lg_u32 s1, 0
	s_waitcnt vmcnt(0)
	v_pk_mul_f32 v[6:7], v[0:1], v[6:7]
	v_pk_mul_f32 v[8:9], v[0:1], v[8:9]
	global_store_dwordx4 v[4:5], v[6:9], off offset:-8
	v_lshl_add_u64 v[4:5], v[4:5], 0, 16
	s_cbranch_scc1 .LBB517_62
; %bb.63:
	s_cmp_lg_u32 s0, s24
	s_cselect_b64 s[2:3], -1, 0
	s_branch .LBB517_66
.LBB517_64:
	s_mov_b64 s[2:3], 0
                                        ; implicit-def: $sgpr0
	s_cbranch_execz .LBB517_66
; %bb.65:
	s_mov_b64 s[2:3], -1
	s_mov_b32 s0, 0
.LBB517_66:
	s_andn2_b64 vcc, exec, s[2:3]
	s_cbranch_vccnz .LBB517_69
; %bb.67:
	s_mov_b32 s1, 0
	v_lshl_add_u64 v[2:3], v[2:3], 0, s[0:1]
	s_sub_i32 s2, s24, s0
	v_lshl_add_u64 v[2:3], v[2:3], 2, s[34:35]
.LBB517_68:                             ; =>This Inner Loop Header: Depth=1
	global_load_dword v1, v[2:3], off
	s_add_i32 s2, s2, -1
	s_cmp_lg_u32 s2, 0
	s_waitcnt vmcnt(0)
	v_mul_f32_e32 v1, v0, v1
	global_store_dword v[2:3], v1, off
	v_lshl_add_u64 v[2:3], v[2:3], 0, 4
	s_cbranch_scc1 .LBB517_68
.LBB517_69:
	s_endpgm
	.section	.rodata,"a",@progbits
	.p2align	6, 0x0
	.amdhsa_kernel _ZN4vllm3moe22topkGatingSoftplusSqrtILi8ELi512ELi4ELi16ELi64ELb0El14__hip_bfloat16EEvPKT6_PKbPfiPT5_PiiiibdPKfPKS9_SF_
		.amdhsa_group_segment_fixed_size 0
		.amdhsa_private_segment_fixed_size 0
		.amdhsa_kernarg_size 96
		.amdhsa_user_sgpr_count 2
		.amdhsa_user_sgpr_dispatch_ptr 0
		.amdhsa_user_sgpr_queue_ptr 0
		.amdhsa_user_sgpr_kernarg_segment_ptr 1
		.amdhsa_user_sgpr_dispatch_id 0
		.amdhsa_user_sgpr_kernarg_preload_length 0
		.amdhsa_user_sgpr_kernarg_preload_offset 0
		.amdhsa_user_sgpr_private_segment_size 0
		.amdhsa_uses_dynamic_stack 0
		.amdhsa_enable_private_segment 0
		.amdhsa_system_sgpr_workgroup_id_x 1
		.amdhsa_system_sgpr_workgroup_id_y 0
		.amdhsa_system_sgpr_workgroup_id_z 0
		.amdhsa_system_sgpr_workgroup_info 0
		.amdhsa_system_vgpr_workitem_id 1
		.amdhsa_next_free_vgpr 32
		.amdhsa_next_free_sgpr 43
		.amdhsa_accum_offset 32
		.amdhsa_reserve_vcc 1
		.amdhsa_float_round_mode_32 0
		.amdhsa_float_round_mode_16_64 0
		.amdhsa_float_denorm_mode_32 3
		.amdhsa_float_denorm_mode_16_64 3
		.amdhsa_dx10_clamp 1
		.amdhsa_ieee_mode 1
		.amdhsa_fp16_overflow 0
		.amdhsa_tg_split 0
		.amdhsa_exception_fp_ieee_invalid_op 0
		.amdhsa_exception_fp_denorm_src 0
		.amdhsa_exception_fp_ieee_div_zero 0
		.amdhsa_exception_fp_ieee_overflow 0
		.amdhsa_exception_fp_ieee_underflow 0
		.amdhsa_exception_fp_ieee_inexact 0
		.amdhsa_exception_int_div_zero 0
	.end_amdhsa_kernel
	.section	.text._ZN4vllm3moe22topkGatingSoftplusSqrtILi8ELi512ELi4ELi16ELi64ELb0El14__hip_bfloat16EEvPKT6_PKbPfiPT5_PiiiibdPKfPKS9_SF_,"axG",@progbits,_ZN4vllm3moe22topkGatingSoftplusSqrtILi8ELi512ELi4ELi16ELi64ELb0El14__hip_bfloat16EEvPKT6_PKbPfiPT5_PiiiibdPKfPKS9_SF_,comdat
.Lfunc_end517:
	.size	_ZN4vllm3moe22topkGatingSoftplusSqrtILi8ELi512ELi4ELi16ELi64ELb0El14__hip_bfloat16EEvPKT6_PKbPfiPT5_PiiiibdPKfPKS9_SF_, .Lfunc_end517-_ZN4vllm3moe22topkGatingSoftplusSqrtILi8ELi512ELi4ELi16ELi64ELb0El14__hip_bfloat16EEvPKT6_PKbPfiPT5_PiiiibdPKfPKS9_SF_
                                        ; -- End function
	.section	.AMDGPU.csdata,"",@progbits
; Kernel info:
; codeLenInByte = 4252
; NumSgprs: 49
; NumVgprs: 32
; NumAgprs: 0
; TotalNumVgprs: 32
; ScratchSize: 0
; MemoryBound: 0
; FloatMode: 240
; IeeeMode: 1
; LDSByteSize: 0 bytes/workgroup (compile time only)
; SGPRBlocks: 6
; VGPRBlocks: 3
; NumSGPRsForWavesPerEU: 49
; NumVGPRsForWavesPerEU: 32
; AccumOffset: 32
; Occupancy: 8
; WaveLimiterHint : 0
; COMPUTE_PGM_RSRC2:SCRATCH_EN: 0
; COMPUTE_PGM_RSRC2:USER_SGPR: 2
; COMPUTE_PGM_RSRC2:TRAP_HANDLER: 0
; COMPUTE_PGM_RSRC2:TGID_X_EN: 1
; COMPUTE_PGM_RSRC2:TGID_Y_EN: 0
; COMPUTE_PGM_RSRC2:TGID_Z_EN: 0
; COMPUTE_PGM_RSRC2:TIDIG_COMP_CNT: 1
; COMPUTE_PGM_RSRC3_GFX90A:ACCUM_OFFSET: 7
; COMPUTE_PGM_RSRC3_GFX90A:TG_SPLIT: 0
	.section	.text._ZN4vllm3moe22topkGatingSoftplusSqrtILi16ELi512ELi4ELi16ELi32ELb1El14__hip_bfloat16EEvPKT6_PKbPfiPT5_PiiiibdPKfPKS9_SF_,"axG",@progbits,_ZN4vllm3moe22topkGatingSoftplusSqrtILi16ELi512ELi4ELi16ELi32ELb1El14__hip_bfloat16EEvPKT6_PKbPfiPT5_PiiiibdPKfPKS9_SF_,comdat
	.protected	_ZN4vllm3moe22topkGatingSoftplusSqrtILi16ELi512ELi4ELi16ELi32ELb1El14__hip_bfloat16EEvPKT6_PKbPfiPT5_PiiiibdPKfPKS9_SF_ ; -- Begin function _ZN4vllm3moe22topkGatingSoftplusSqrtILi16ELi512ELi4ELi16ELi32ELb1El14__hip_bfloat16EEvPKT6_PKbPfiPT5_PiiiibdPKfPKS9_SF_
	.globl	_ZN4vllm3moe22topkGatingSoftplusSqrtILi16ELi512ELi4ELi16ELi32ELb1El14__hip_bfloat16EEvPKT6_PKbPfiPT5_PiiiibdPKfPKS9_SF_
	.p2align	8
	.type	_ZN4vllm3moe22topkGatingSoftplusSqrtILi16ELi512ELi4ELi16ELi32ELb1El14__hip_bfloat16EEvPKT6_PKbPfiPT5_PiiiibdPKfPKS9_SF_,@function
_ZN4vllm3moe22topkGatingSoftplusSqrtILi16ELi512ELi4ELi16ELi32ELb1El14__hip_bfloat16EEvPKT6_PKbPfiPT5_PiiiibdPKfPKS9_SF_: ; @_ZN4vllm3moe22topkGatingSoftplusSqrtILi16ELi512ELi4ELi16ELi32ELb1El14__hip_bfloat16EEvPKT6_PKbPfiPT5_PiiiibdPKfPKS9_SF_
; %bb.0:
	s_load_dword s3, s[0:1], 0x18
	v_and_b32_e32 v1, 0x3ff, v0
	s_lshl_b32 s2, s2, 2
	v_lshrrev_b32_e32 v2, 5, v1
	v_bfe_u32 v0, v0, 10, 10
	v_add3_u32 v4, s2, v0, v2
	s_waitcnt lgkmcnt(0)
	v_cmp_gt_i32_e32 vcc, s3, v4
	s_and_saveexec_b64 s[2:3], vcc
	s_cbranch_execz .LBB518_67
; %bb.1:
	s_load_dwordx2 s[2:3], s[0:1], 0x0
	s_load_dword s28, s[0:1], 0x30
	v_lshlrev_b32_e32 v0, 9, v4
	v_lshlrev_b32_e32 v2, 3, v1
	v_ashrrev_i32_e32 v1, 31, v0
	v_and_b32_e32 v12, 0xf8, v2
	s_waitcnt lgkmcnt(0)
	v_lshl_add_u64 v[0:1], v[0:1], 1, s[2:3]
	v_lshlrev_b32_e32 v2, 1, v12
	v_mov_b32_e32 v3, 0
	v_lshl_add_u64 v[0:1], v[0:1], 0, v[2:3]
	global_load_dwordx4 v[20:23], v[0:1], off
	global_load_dwordx4 v[24:27], v[0:1], off offset:512
	s_load_dwordx4 s[4:7], s[0:1], 0x50
	v_ashrrev_i32_e32 v5, 31, v4
	s_mov_b32 s15, 0x800000
	s_ashr_i32 s29, s28, 31
	v_mov_b32_e32 v10, 0x4f800000
	s_waitcnt lgkmcnt(0)
	v_mov_b32_e32 v0, s4
	v_mov_b32_e32 v1, s5
	v_lshl_add_u64 v[0:1], v[4:5], 3, v[0:1]
	global_load_dwordx2 v[8:9], v[0:1], off
	s_mov_b32 s13, 0x3f317217
	s_mov_b32 s14, 0x7f800000
	v_mov_b32_e32 v11, 0x41b17218
	s_mov_b32 s9, 0x41a00000
	s_mov_b32 s12, 0xf800000
	v_mov_b32_e32 v5, 0x260
	v_mov_b32_e32 v6, s6
	v_mov_b32_e32 v7, s7
	v_cmp_lt_i64_e64 s[10:11], s[28:29], 1
	s_mov_b32 s8, 0
	v_cmp_gt_i64_e64 s[6:7], s[28:29], 0
	s_waitcnt vmcnt(2)
	v_and_b32_e32 v2, 0xffff0000, v23
	v_lshlrev_b32_e32 v1, 16, v23
	v_and_b32_e32 v0, 0xffff0000, v22
	s_waitcnt vmcnt(1)
	v_and_b32_e32 v28, 0xffff0000, v24
	v_lshlrev_b32_e32 v29, 16, v24
	v_and_b32_e32 v18, 0xffff0000, v25
	v_lshlrev_b32_e32 v17, 16, v25
	;; [unrolled: 2-line block ×3, first 2 shown]
	scratch_store_dwordx3 off, v[0:2], off offset:20
	v_and_b32_e32 v16, 0xffff0000, v26
	v_lshlrev_b32_e32 v15, 16, v26
	v_mul_f32_e32 v1, 0x3fb8aa3b, v25
	v_mul_f32_e32 v2, 0x3fb8aa3b, v24
	v_and_b32_e32 v14, 0xffff0000, v27
	v_lshlrev_b32_e32 v13, 16, v27
	v_and_b32_e32 v26, 0xffff0000, v21
	v_lshlrev_b32_e32 v27, 16, v21
	v_exp_f32_e32 v20, v1
	v_exp_f32_e32 v21, v2
	v_lshlrev_b32_e32 v19, 16, v22
	s_waitcnt vmcnt(1)
	v_mul_lo_u32 v22, v9, s28
	v_mul_lo_u32 v23, v8, s29
	v_pk_add_f32 v[20:21], v[20:21], 1.0 op_sel_hi:[1,0]
	v_mad_u64_u32 v[8:9], s[2:3], v8, s28, 0
	v_mul_f32_e32 v1, 0x3fb8aa3b, v27
	v_cmp_gt_f32_e32 vcc, s15, v21
	v_add3_u32 v9, v9, v23, v22
	v_exp_f32_e32 v22, v1
	v_cndmask_b32_e32 v1, 1.0, v10, vcc
	v_cmp_gt_f32_e64 s[2:3], s15, v20
	v_mul_f32_e32 v1, v21, v1
	v_log_f32_e32 v1, v1
	v_cndmask_b32_e64 v23, 1.0, v10, s[2:3]
	v_mul_f32_e32 v20, v20, v23
	v_log_f32_e32 v20, v20
	v_mul_f32_e32 v30, 0x3f317217, v1
	v_fma_f32 v30, v1, s13, -v30
	v_fmac_f32_e32 v30, 0x3377d1cf, v1
	v_mul_f32_e32 v31, 0x3f317217, v20
	v_fma_f32 v31, v20, s13, -v31
	v_cndmask_b32_e32 v21, 0, v11, vcc
	v_fmac_f32_e32 v31, 0x3377d1cf, v20
	v_fmac_f32_e32 v30, 0x3f317217, v1
	v_cmp_lt_f32_e64 vcc, |v1|, s14
	v_fmac_f32_e32 v31, 0x3f317217, v20
	v_cndmask_b32_e64 v23, 0, v11, s[2:3]
	v_cndmask_b32_e32 v1, v1, v30, vcc
	v_cmp_lt_f32_e64 vcc, |v20|, s14
	v_sub_f32_e32 v1, v1, v21
	v_mul_f32_e32 v2, 0x3fb8aa3b, v26
	v_cndmask_b32_e32 v20, v20, v31, vcc
	v_sub_f32_e32 v20, v20, v23
	v_cmp_lt_f32_e32 vcc, s9, v25
	s_nop 1
	v_cndmask_b32_e32 v20, v20, v25, vcc
	v_cmp_lt_f32_e32 vcc, s9, v24
	v_mul_f32_e32 v23, 0x4f800000, v20
	v_cmp_gt_f32_e64 s[2:3], s12, v20
	v_cndmask_b32_e32 v1, v1, v24, vcc
	v_mul_f32_e32 v21, 0x4f800000, v1
	v_cmp_gt_f32_e32 vcc, s12, v1
	v_cndmask_b32_e64 v20, v20, v23, s[2:3]
	v_sqrt_f32_e32 v24, v20
	v_cndmask_b32_e32 v1, v1, v21, vcc
	v_sqrt_f32_e32 v21, v1
	v_exp_f32_e32 v23, v2
	v_add_u32_e32 v30, -1, v24
	v_fma_f32 v34, -v30, v24, v20
	v_add_u32_e32 v2, -1, v21
	v_fma_f32 v32, -v2, v21, v1
	v_add_u32_e32 v25, 1, v21
	v_cmp_ge_f32_e64 s[4:5], 0, v32
	v_add_u32_e32 v31, 1, v24
	v_fma_f32 v33, -v25, v21, v1
	v_cndmask_b32_e64 v2, v21, v2, s[4:5]
	v_cmp_ge_f32_e64 s[4:5], 0, v34
	v_fma_f32 v35, -v31, v24, v20
	v_pk_add_f32 v[22:23], v[22:23], 1.0 op_sel_hi:[1,0]
	v_cndmask_b32_e64 v21, v24, v30, s[4:5]
	v_cmp_lt_f32_e64 s[4:5], 0, v33
	s_nop 1
	v_cndmask_b32_e64 v2, v2, v25, s[4:5]
	v_cmp_lt_f32_e64 s[4:5], 0, v35
	s_nop 1
	v_cndmask_b32_e64 v24, v21, v31, s[4:5]
	v_mul_f32_e32 v21, 0x37800000, v2
	v_cndmask_b32_e32 v2, v2, v21, vcc
	v_cmp_class_f32_e32 vcc, v1, v5
	v_mul_f32_e32 v25, 0x37800000, v24
	s_nop 0
	v_cndmask_b32_e32 v21, v2, v1, vcc
	v_cmp_gt_f32_e32 vcc, s15, v23
	v_cndmask_b32_e64 v2, v24, v25, s[2:3]
	v_cmp_class_f32_e64 s[2:3], v20, v5
	v_cndmask_b32_e32 v1, 1.0, v10, vcc
	v_mul_f32_e32 v1, v23, v1
	v_log_f32_e32 v1, v1
	v_cndmask_b32_e64 v20, v2, v20, s[2:3]
	v_cmp_gt_f32_e64 s[2:3], s15, v22
	v_mul_f32_e32 v2, 0x3f317217, v1
	s_nop 0
	v_cndmask_b32_e64 v23, 1.0, v10, s[2:3]
	v_mul_f32_e32 v22, v22, v23
	v_fma_f32 v2, v1, s13, -v2
	v_log_f32_e32 v22, v22
	v_fmac_f32_e32 v2, 0x3377d1cf, v1
	v_fmac_f32_e32 v2, 0x3f317217, v1
	v_cmp_lt_f32_e64 s[4:5], |v1|, s14
	s_nop 1
	v_cndmask_b32_e64 v1, v1, v2, s[4:5]
	v_cndmask_b32_e32 v2, 0, v11, vcc
	v_sub_f32_e32 v1, v1, v2
	v_mul_f32_e32 v2, 0x3f317217, v22
	v_fma_f32 v2, v22, s13, -v2
	v_fmac_f32_e32 v2, 0x3377d1cf, v22
	v_fmac_f32_e32 v2, 0x3f317217, v22
	v_cmp_lt_f32_e64 vcc, |v22|, s14
	s_nop 1
	v_cndmask_b32_e32 v2, v22, v2, vcc
	v_cmp_lt_f32_e32 vcc, s9, v26
	v_cndmask_b32_e64 v22, 0, v11, s[2:3]
	v_sub_f32_e32 v2, v2, v22
	v_cndmask_b32_e32 v1, v1, v26, vcc
	v_mul_f32_e32 v23, 0x4f800000, v1
	v_cmp_gt_f32_e32 vcc, s12, v1
	v_cmp_lt_f32_e64 s[2:3], s9, v27
	s_nop 0
	v_cndmask_b32_e32 v1, v1, v23, vcc
	v_sqrt_f32_e32 v23, v1
	v_cndmask_b32_e64 v2, v2, v27, s[2:3]
	v_mul_f32_e32 v26, 0x4f800000, v2
	v_mul_f32_e32 v27, 0x3fb8aa3b, v0
	v_add_u32_e32 v22, -1, v23
	v_fma_f32 v24, -v22, v23, v1
	v_cmp_ge_f32_e64 s[2:3], 0, v24
	v_add_u32_e32 v24, 1, v23
	v_exp_f32_e32 v27, v27
	v_cndmask_b32_e64 v22, v23, v22, s[2:3]
	v_fma_f32 v23, -v24, v23, v1
	v_cmp_lt_f32_e64 s[2:3], 0, v23
	s_nop 1
	v_cndmask_b32_e64 v22, v22, v24, s[2:3]
	scratch_load_dwordx2 v[24:25], off, off offset:24
	v_cmp_gt_f32_e64 s[2:3], s12, v2
	v_mul_f32_e32 v23, 0x37800000, v22
	v_cndmask_b32_e32 v22, v22, v23, vcc
	v_cndmask_b32_e64 v2, v2, v26, s[2:3]
	v_sqrt_f32_e32 v26, v2
	v_cmp_class_f32_e32 vcc, v1, v5
	s_nop 1
	v_cndmask_b32_e32 v23, v22, v1, vcc
	v_add_u32_e32 v1, -1, v26
	v_fma_f32 v22, -v1, v26, v2
	v_cmp_ge_f32_e32 vcc, 0, v22
	v_add_u32_e32 v22, 1, v26
	v_fma_f32 v30, -v22, v26, v2
	v_cndmask_b32_e32 v1, v26, v1, vcc
	v_mul_f32_e32 v26, 0x3fb8aa3b, v19
	v_exp_f32_e32 v26, v26
	v_cmp_lt_f32_e32 vcc, 0, v30
	v_pk_add_f32 v[26:27], v[26:27], 1.0 op_sel_hi:[1,0]
	s_nop 0
	v_cndmask_b32_e32 v1, v1, v22, vcc
	v_mul_f32_e32 v22, 0x37800000, v1
	v_cmp_gt_f32_e32 vcc, s15, v27
	v_cndmask_b32_e64 v1, v1, v22, s[2:3]
	v_cmp_class_f32_e64 s[2:3], v2, v5
	v_cndmask_b32_e32 v22, 1.0, v10, vcc
	v_mul_f32_e32 v22, v27, v22
	v_log_f32_e32 v27, v22
	v_cndmask_b32_e64 v22, v1, v2, s[2:3]
	v_cmp_gt_f32_e64 s[2:3], s15, v26
	scratch_store_dwordx4 off, v[20:23], off
	v_mul_f32_e32 v1, 0x3f317217, v27
	v_cndmask_b32_e64 v2, 1.0, v10, s[2:3]
	v_mul_f32_e32 v2, v26, v2
	v_fma_f32 v1, v27, s13, -v1
	v_log_f32_e32 v2, v2
	v_fmac_f32_e32 v1, 0x3377d1cf, v27
	v_fmac_f32_e32 v1, 0x3f317217, v27
	v_cmp_lt_f32_e64 s[4:5], |v27|, s14
	v_cndmask_b32_e32 v20, 0, v11, vcc
	v_cmp_lt_f32_e64 vcc, |v2|, s14
	v_cndmask_b32_e64 v1, v27, v1, s[4:5]
	v_sub_f32_e32 v1, v1, v20
	v_mul_f32_e32 v20, 0x3f317217, v2
	v_fma_f32 v20, v2, s13, -v20
	v_fmac_f32_e32 v20, 0x3377d1cf, v2
	v_fmac_f32_e32 v20, 0x3f317217, v2
	v_cndmask_b32_e32 v2, v2, v20, vcc
	v_cmp_lt_f32_e32 vcc, s9, v0
	v_cndmask_b32_e64 v20, 0, v11, s[2:3]
	v_sub_f32_e32 v2, v2, v20
	v_cndmask_b32_e32 v0, v1, v0, vcc
	v_mul_f32_e32 v1, 0x4f800000, v0
	v_cmp_gt_f32_e32 vcc, s12, v0
	v_cmp_lt_f32_e64 s[2:3], s9, v19
	s_nop 0
	v_cndmask_b32_e32 v0, v0, v1, vcc
	v_sqrt_f32_e32 v1, v0
	v_cndmask_b32_e64 v2, v2, v19, s[2:3]
	v_add_u32_e32 v19, -1, v1
	v_fma_f32 v20, -v19, v1, v0
	v_cmp_ge_f32_e64 s[2:3], 0, v20
	v_add_u32_e32 v20, 1, v1
	s_nop 0
	v_cndmask_b32_e64 v19, v1, v19, s[2:3]
	v_fma_f32 v1, -v20, v1, v0
	v_cmp_lt_f32_e64 s[2:3], 0, v1
	s_nop 1
	v_cndmask_b32_e64 v1, v19, v20, s[2:3]
	v_mul_f32_e32 v20, 0x4f800000, v2
	v_cmp_gt_f32_e64 s[2:3], s12, v2
	v_mul_f32_e32 v19, 0x37800000, v1
	v_cndmask_b32_e32 v1, v1, v19, vcc
	v_cndmask_b32_e64 v2, v2, v20, s[2:3]
	v_sqrt_f32_e32 v20, v2
	v_cmp_class_f32_e32 vcc, v0, v5
	v_add_u32_e32 v22, 1, v20
	s_nop 0
	v_cndmask_b32_e32 v21, v1, v0, vcc
	v_add_u32_e32 v0, -1, v20
	v_fma_f32 v1, -v0, v20, v2
	v_cmp_ge_f32_e32 vcc, 0, v1
	s_waitcnt vmcnt(1)
	v_mul_f32_e32 v1, 0x3fb8aa3b, v25
	v_exp_f32_e32 v1, v1
	v_cndmask_b32_e32 v19, v20, v0, vcc
	v_mul_f32_e32 v0, 0x3fb8aa3b, v24
	v_exp_f32_e32 v0, v0
	v_fma_f32 v20, -v22, v20, v2
	v_cmp_lt_f32_e32 vcc, 0, v20
	v_pk_add_f32 v[0:1], v[0:1], 1.0 op_sel_hi:[1,0]
	s_nop 0
	v_cndmask_b32_e32 v19, v19, v22, vcc
	v_cmp_gt_f32_e32 vcc, s15, v1
	v_mul_f32_e32 v20, 0x37800000, v19
	v_cndmask_b32_e64 v19, v19, v20, s[2:3]
	v_cndmask_b32_e32 v22, 1.0, v10, vcc
	v_mul_f32_e32 v1, v1, v22
	v_log_f32_e32 v1, v1
	v_cmp_class_f32_e64 s[2:3], v2, v5
	v_cmp_lt_f32_e64 s[4:5], |v1|, s14
	s_nop 0
	v_cndmask_b32_e64 v20, v19, v2, s[2:3]
	v_cmp_gt_f32_e64 s[2:3], s15, v0
	v_mul_f32_e32 v2, 0x3f317217, v1
	v_fma_f32 v2, v1, s13, -v2
	v_cndmask_b32_e64 v19, 1.0, v10, s[2:3]
	v_mul_f32_e32 v0, v0, v19
	v_log_f32_e32 v0, v0
	v_fmac_f32_e32 v2, 0x3377d1cf, v1
	v_fmac_f32_e32 v2, 0x3f317217, v1
	v_cndmask_b32_e64 v1, v1, v2, s[4:5]
	v_cndmask_b32_e32 v2, 0, v11, vcc
	v_sub_f32_e32 v1, v1, v2
	v_mul_f32_e32 v2, 0x3f317217, v0
	v_fma_f32 v2, v0, s13, -v2
	v_fmac_f32_e32 v2, 0x3377d1cf, v0
	v_fmac_f32_e32 v2, 0x3f317217, v0
	v_cmp_lt_f32_e64 vcc, |v0|, s14
	s_nop 1
	v_cndmask_b32_e32 v0, v0, v2, vcc
	v_cmp_lt_f32_e32 vcc, s9, v25
	v_cndmask_b32_e64 v2, 0, v11, s[2:3]
	v_sub_f32_e32 v0, v0, v2
	v_cndmask_b32_e32 v1, v1, v25, vcc
	v_mul_f32_e32 v19, 0x4f800000, v1
	v_cmp_gt_f32_e32 vcc, s12, v1
	v_cmp_lt_f32_e64 s[2:3], s9, v24
	s_nop 0
	v_cndmask_b32_e32 v1, v1, v19, vcc
	v_sqrt_f32_e32 v19, v1
	v_cndmask_b32_e64 v0, v0, v24, s[2:3]
	v_add_u32_e32 v2, -1, v19
	v_fma_f32 v22, -v2, v19, v1
	v_cmp_ge_f32_e64 s[2:3], 0, v22
	v_add_u32_e32 v22, 1, v19
	s_nop 0
	v_cndmask_b32_e64 v2, v19, v2, s[2:3]
	v_fma_f32 v19, -v22, v19, v1
	v_cmp_lt_f32_e64 s[2:3], 0, v19
	s_nop 1
	v_cndmask_b32_e64 v2, v2, v22, s[2:3]
	v_mul_f32_e32 v22, 0x4f800000, v0
	v_cmp_gt_f32_e64 s[2:3], s12, v0
	v_mul_f32_e32 v19, 0x37800000, v2
	v_cndmask_b32_e32 v2, v2, v19, vcc
	v_cndmask_b32_e64 v22, v0, v22, s[2:3]
	v_sqrt_f32_e32 v0, v22
	v_cmp_class_f32_e32 vcc, v1, v5
	v_add_u32_e32 v19, 1, v0
	s_nop 0
	v_cndmask_b32_e32 v23, v2, v1, vcc
	v_add_u32_e32 v1, -1, v0
	v_fma_f32 v2, -v1, v0, v22
	v_cmp_ge_f32_e32 vcc, 0, v2
	v_fma_f32 v24, -v19, v0, v22
	s_nop 0
	v_cndmask_b32_e32 v2, v0, v1, vcc
	v_mul_f32_e32 v0, 0x3fb8aa3b, v29
	v_mul_f32_e32 v1, 0x3fb8aa3b, v28
	v_exp_f32_e32 v0, v0
	v_exp_f32_e32 v1, v1
	v_cmp_lt_f32_e32 vcc, 0, v24
	v_pk_add_f32 v[0:1], v[0:1], 1.0 op_sel_hi:[1,0]
	s_nop 0
	v_cndmask_b32_e32 v2, v2, v19, vcc
	v_mul_f32_e32 v19, 0x37800000, v2
	v_cmp_gt_f32_e32 vcc, s15, v1
	v_cndmask_b32_e64 v2, v2, v19, s[2:3]
	v_cmp_class_f32_e64 s[2:3], v22, v5
	v_cndmask_b32_e32 v19, 1.0, v10, vcc
	v_mul_f32_e32 v1, v1, v19
	v_log_f32_e32 v1, v1
	v_cndmask_b32_e64 v22, v2, v22, s[2:3]
	v_cmp_gt_f32_e64 s[2:3], s15, v0
	scratch_store_dwordx4 off, v[20:23], off offset:16
	v_mul_f32_e32 v2, 0x3f317217, v1
	v_cndmask_b32_e64 v19, 1.0, v10, s[2:3]
	v_mul_f32_e32 v0, v0, v19
	v_fma_f32 v2, v1, s13, -v2
	v_log_f32_e32 v0, v0
	v_fmac_f32_e32 v2, 0x3377d1cf, v1
	v_fmac_f32_e32 v2, 0x3f317217, v1
	v_cmp_lt_f32_e64 s[4:5], |v1|, s14
	s_nop 1
	v_cndmask_b32_e64 v1, v1, v2, s[4:5]
	v_cndmask_b32_e32 v2, 0, v11, vcc
	v_sub_f32_e32 v1, v1, v2
	v_mul_f32_e32 v2, 0x3f317217, v0
	v_fma_f32 v2, v0, s13, -v2
	v_fmac_f32_e32 v2, 0x3377d1cf, v0
	v_fmac_f32_e32 v2, 0x3f317217, v0
	v_cmp_lt_f32_e64 vcc, |v0|, s14
	s_nop 1
	v_cndmask_b32_e32 v0, v0, v2, vcc
	v_cmp_lt_f32_e32 vcc, s9, v28
	v_cndmask_b32_e64 v2, 0, v11, s[2:3]
	v_sub_f32_e32 v0, v0, v2
	v_cndmask_b32_e32 v1, v1, v28, vcc
	v_mul_f32_e32 v19, 0x4f800000, v1
	v_cmp_gt_f32_e32 vcc, s12, v1
	v_cmp_lt_f32_e64 s[2:3], s9, v29
	s_nop 0
	v_cndmask_b32_e32 v1, v1, v19, vcc
	v_sqrt_f32_e32 v19, v1
	v_cndmask_b32_e64 v0, v0, v29, s[2:3]
	v_add_u32_e32 v2, -1, v19
	v_fma_f32 v20, -v2, v19, v1
	v_cmp_ge_f32_e64 s[2:3], 0, v20
	v_add_u32_e32 v20, 1, v19
	s_nop 0
	v_cndmask_b32_e64 v2, v19, v2, s[2:3]
	v_fma_f32 v19, -v20, v19, v1
	v_cmp_lt_f32_e64 s[2:3], 0, v19
	s_nop 1
	v_cndmask_b32_e64 v2, v2, v20, s[2:3]
	v_mul_f32_e32 v20, 0x4f800000, v0
	v_cmp_gt_f32_e64 s[2:3], s12, v0
	v_mul_f32_e32 v19, 0x37800000, v2
	v_cndmask_b32_e32 v2, v2, v19, vcc
	v_cndmask_b32_e64 v20, v0, v20, s[2:3]
	v_sqrt_f32_e32 v0, v20
	v_cmp_class_f32_e32 vcc, v1, v5
	v_add_u32_e32 v19, 1, v0
	s_nop 0
	v_cndmask_b32_e32 v21, v2, v1, vcc
	v_add_u32_e32 v1, -1, v0
	v_fma_f32 v2, -v1, v0, v20
	v_cmp_ge_f32_e32 vcc, 0, v2
	v_fma_f32 v22, -v19, v0, v20
	s_nop 0
	v_cndmask_b32_e32 v2, v0, v1, vcc
	v_mul_f32_e32 v0, 0x3fb8aa3b, v17
	v_mul_f32_e32 v1, 0x3fb8aa3b, v18
	v_exp_f32_e32 v0, v0
	v_exp_f32_e32 v1, v1
	v_cmp_lt_f32_e32 vcc, 0, v22
	v_pk_add_f32 v[0:1], v[0:1], 1.0 op_sel_hi:[1,0]
	s_nop 0
	v_cndmask_b32_e32 v2, v2, v19, vcc
	v_cmp_gt_f32_e32 vcc, s15, v1
	v_mul_f32_e32 v19, 0x37800000, v2
	v_cndmask_b32_e64 v2, v2, v19, s[2:3]
	v_cndmask_b32_e32 v22, 1.0, v10, vcc
	v_mul_f32_e32 v1, v1, v22
	v_log_f32_e32 v1, v1
	v_cmp_class_f32_e64 s[2:3], v20, v5
	v_cmp_lt_f32_e64 s[4:5], |v1|, s14
	s_nop 0
	v_cndmask_b32_e64 v20, v2, v20, s[2:3]
	v_cmp_gt_f32_e64 s[2:3], s15, v0
	v_mul_f32_e32 v2, 0x3f317217, v1
	v_fma_f32 v2, v1, s13, -v2
	v_cndmask_b32_e64 v19, 1.0, v10, s[2:3]
	v_mul_f32_e32 v0, v0, v19
	v_log_f32_e32 v0, v0
	v_fmac_f32_e32 v2, 0x3377d1cf, v1
	v_fmac_f32_e32 v2, 0x3f317217, v1
	v_cndmask_b32_e64 v1, v1, v2, s[4:5]
	v_cndmask_b32_e32 v2, 0, v11, vcc
	v_sub_f32_e32 v1, v1, v2
	v_mul_f32_e32 v2, 0x3f317217, v0
	v_fma_f32 v2, v0, s13, -v2
	v_fmac_f32_e32 v2, 0x3377d1cf, v0
	v_fmac_f32_e32 v2, 0x3f317217, v0
	v_cmp_lt_f32_e64 vcc, |v0|, s14
	s_nop 1
	v_cndmask_b32_e32 v0, v0, v2, vcc
	v_cmp_lt_f32_e32 vcc, s9, v18
	v_cndmask_b32_e64 v2, 0, v11, s[2:3]
	v_sub_f32_e32 v0, v0, v2
	v_cndmask_b32_e32 v1, v1, v18, vcc
	v_mul_f32_e32 v18, 0x4f800000, v1
	v_cmp_gt_f32_e32 vcc, s12, v1
	v_cmp_lt_f32_e64 s[2:3], s9, v17
	s_nop 0
	v_cndmask_b32_e32 v1, v1, v18, vcc
	v_sqrt_f32_e32 v18, v1
	v_cndmask_b32_e64 v0, v0, v17, s[2:3]
	v_add_u32_e32 v2, -1, v18
	v_fma_f32 v17, -v2, v18, v1
	v_cmp_ge_f32_e64 s[2:3], 0, v17
	v_add_u32_e32 v17, 1, v18
	s_nop 0
	v_cndmask_b32_e64 v2, v18, v2, s[2:3]
	v_fma_f32 v18, -v17, v18, v1
	v_cmp_lt_f32_e64 s[2:3], 0, v18
	v_mul_f32_e32 v18, 0x4f800000, v0
	s_nop 0
	v_cndmask_b32_e64 v2, v2, v17, s[2:3]
	v_cmp_gt_f32_e64 s[2:3], s12, v0
	v_mul_f32_e32 v17, 0x37800000, v2
	v_cndmask_b32_e32 v2, v2, v17, vcc
	v_cndmask_b32_e64 v18, v0, v18, s[2:3]
	v_sqrt_f32_e32 v0, v18
	v_cmp_class_f32_e32 vcc, v1, v5
	v_add_u32_e32 v17, 1, v0
	s_nop 0
	v_cndmask_b32_e32 v23, v2, v1, vcc
	v_add_u32_e32 v1, -1, v0
	v_fma_f32 v2, -v1, v0, v18
	v_cmp_ge_f32_e32 vcc, 0, v2
	v_fma_f32 v19, -v17, v0, v18
	s_nop 0
	v_cndmask_b32_e32 v2, v0, v1, vcc
	v_mul_f32_e32 v0, 0x3fb8aa3b, v15
	v_mul_f32_e32 v1, 0x3fb8aa3b, v16
	v_exp_f32_e32 v0, v0
	v_exp_f32_e32 v1, v1
	v_cmp_lt_f32_e32 vcc, 0, v19
	v_pk_add_f32 v[0:1], v[0:1], 1.0 op_sel_hi:[1,0]
	s_nop 0
	v_cndmask_b32_e32 v2, v2, v17, vcc
	v_mul_f32_e32 v17, 0x37800000, v2
	v_cmp_gt_f32_e32 vcc, s15, v1
	v_cndmask_b32_e64 v2, v2, v17, s[2:3]
	v_cmp_class_f32_e64 s[2:3], v18, v5
	v_cndmask_b32_e32 v17, 1.0, v10, vcc
	v_mul_f32_e32 v1, v1, v17
	v_log_f32_e32 v1, v1
	v_cndmask_b32_e64 v22, v2, v18, s[2:3]
	v_cmp_gt_f32_e64 s[2:3], s15, v0
	scratch_store_dwordx4 off, v[20:23], off offset:32
	v_mul_f32_e32 v2, 0x3f317217, v1
	v_cndmask_b32_e64 v17, 1.0, v10, s[2:3]
	v_mul_f32_e32 v0, v0, v17
	v_fma_f32 v2, v1, s13, -v2
	v_log_f32_e32 v0, v0
	v_fmac_f32_e32 v2, 0x3377d1cf, v1
	v_fmac_f32_e32 v2, 0x3f317217, v1
	v_cmp_lt_f32_e64 s[4:5], |v1|, s14
	s_nop 1
	v_cndmask_b32_e64 v1, v1, v2, s[4:5]
	v_cndmask_b32_e32 v2, 0, v11, vcc
	v_sub_f32_e32 v1, v1, v2
	v_mul_f32_e32 v2, 0x3f317217, v0
	v_fma_f32 v2, v0, s13, -v2
	v_fmac_f32_e32 v2, 0x3377d1cf, v0
	v_fmac_f32_e32 v2, 0x3f317217, v0
	v_cmp_lt_f32_e64 vcc, |v0|, s14
	s_nop 1
	v_cndmask_b32_e32 v0, v0, v2, vcc
	v_cmp_lt_f32_e32 vcc, s9, v16
	v_cndmask_b32_e64 v2, 0, v11, s[2:3]
	v_sub_f32_e32 v0, v0, v2
	v_cndmask_b32_e32 v1, v1, v16, vcc
	v_mul_f32_e32 v16, 0x4f800000, v1
	v_cmp_gt_f32_e32 vcc, s12, v1
	v_cmp_lt_f32_e64 s[2:3], s9, v15
	s_nop 0
	v_cndmask_b32_e32 v1, v1, v16, vcc
	v_sqrt_f32_e32 v16, v1
	v_cndmask_b32_e64 v0, v0, v15, s[2:3]
	v_add_u32_e32 v2, -1, v16
	v_fma_f32 v15, -v2, v16, v1
	v_cmp_ge_f32_e64 s[2:3], 0, v15
	v_add_u32_e32 v15, 1, v16
	s_nop 0
	v_cndmask_b32_e64 v2, v16, v2, s[2:3]
	v_fma_f32 v16, -v15, v16, v1
	v_cmp_lt_f32_e64 s[2:3], 0, v16
	v_mul_f32_e32 v16, 0x4f800000, v0
	s_nop 0
	v_cndmask_b32_e64 v2, v2, v15, s[2:3]
	v_cmp_gt_f32_e64 s[2:3], s12, v0
	v_mul_f32_e32 v15, 0x37800000, v2
	v_cndmask_b32_e32 v2, v2, v15, vcc
	v_cndmask_b32_e64 v16, v0, v16, s[2:3]
	v_sqrt_f32_e32 v0, v16
	v_cmp_class_f32_e32 vcc, v1, v5
	v_add_u32_e32 v15, 1, v0
	s_nop 0
	v_cndmask_b32_e32 v17, v2, v1, vcc
	v_add_u32_e32 v1, -1, v0
	v_fma_f32 v2, -v1, v0, v16
	v_cmp_ge_f32_e32 vcc, 0, v2
	v_fma_f32 v18, -v15, v0, v16
	s_nop 0
	v_cndmask_b32_e32 v2, v0, v1, vcc
	v_mul_f32_e32 v0, 0x3fb8aa3b, v13
	v_mul_f32_e32 v1, 0x3fb8aa3b, v14
	v_exp_f32_e32 v0, v0
	v_exp_f32_e32 v1, v1
	v_cmp_lt_f32_e32 vcc, 0, v18
	v_pk_add_f32 v[0:1], v[0:1], 1.0 op_sel_hi:[1,0]
	s_nop 0
	v_cndmask_b32_e32 v2, v2, v15, vcc
	v_cmp_gt_f32_e32 vcc, s15, v1
	v_mul_f32_e32 v15, 0x37800000, v2
	v_cndmask_b32_e64 v2, v2, v15, s[2:3]
	v_cndmask_b32_e32 v18, 1.0, v10, vcc
	v_mul_f32_e32 v1, v1, v18
	v_log_f32_e32 v1, v1
	v_cmp_class_f32_e64 s[2:3], v16, v5
	v_cmp_lt_f32_e64 s[4:5], |v1|, s14
	s_nop 0
	v_cndmask_b32_e64 v16, v2, v16, s[2:3]
	v_cmp_gt_f32_e64 s[2:3], s15, v0
	v_mul_f32_e32 v2, 0x3f317217, v1
	v_fma_f32 v2, v1, s13, -v2
	v_cndmask_b32_e64 v10, 1.0, v10, s[2:3]
	v_mul_f32_e32 v0, v0, v10
	v_log_f32_e32 v0, v0
	v_fmac_f32_e32 v2, 0x3377d1cf, v1
	v_fmac_f32_e32 v2, 0x3f317217, v1
	v_cndmask_b32_e64 v1, v1, v2, s[4:5]
	v_cndmask_b32_e32 v2, 0, v11, vcc
	v_sub_f32_e32 v1, v1, v2
	v_mul_f32_e32 v2, 0x3f317217, v0
	v_fma_f32 v2, v0, s13, -v2
	v_fmac_f32_e32 v2, 0x3377d1cf, v0
	v_fmac_f32_e32 v2, 0x3f317217, v0
	v_cmp_lt_f32_e64 vcc, |v0|, s14
	s_nop 1
	v_cndmask_b32_e32 v0, v0, v2, vcc
	v_cmp_lt_f32_e32 vcc, s9, v14
	v_cndmask_b32_e64 v2, 0, v11, s[2:3]
	v_sub_f32_e32 v0, v0, v2
	v_cndmask_b32_e32 v1, v1, v14, vcc
	v_mul_f32_e32 v10, 0x4f800000, v1
	v_cmp_gt_f32_e32 vcc, s12, v1
	v_cmp_lt_f32_e64 s[2:3], s9, v13
	s_nop 0
	v_cndmask_b32_e32 v1, v1, v10, vcc
	v_sqrt_f32_e32 v10, v1
	v_cndmask_b32_e64 v0, v0, v13, s[2:3]
	v_add_u32_e32 v2, -1, v10
	v_fma_f32 v11, -v2, v10, v1
	v_cmp_ge_f32_e64 s[2:3], 0, v11
	v_add_u32_e32 v11, 1, v10
	s_nop 0
	v_cndmask_b32_e64 v2, v10, v2, s[2:3]
	v_fma_f32 v10, -v11, v10, v1
	v_cmp_lt_f32_e64 s[2:3], 0, v10
	s_nop 1
	v_cndmask_b32_e64 v2, v2, v11, s[2:3]
	v_mul_f32_e32 v11, 0x4f800000, v0
	v_cmp_gt_f32_e64 s[2:3], s12, v0
	v_mul_f32_e32 v10, 0x37800000, v2
	v_cndmask_b32_e32 v2, v2, v10, vcc
	v_cndmask_b32_e64 v0, v0, v11, s[2:3]
	v_sqrt_f32_e32 v11, v0
	v_cmp_class_f32_e32 vcc, v1, v5
	s_nop 1
	v_cndmask_b32_e32 v19, v2, v1, vcc
	v_add_u32_e32 v1, -1, v11
	v_fma_f32 v2, -v1, v11, v0
	v_cmp_ge_f32_e32 vcc, 0, v2
	v_add_u32_e32 v2, 1, v11
	v_fma_f32 v10, -v2, v11, v0
	v_cndmask_b32_e32 v1, v11, v1, vcc
	v_cmp_lt_f32_e32 vcc, 0, v10
	s_nop 1
	v_cndmask_b32_e32 v1, v1, v2, vcc
	v_mul_f32_e32 v2, 0x37800000, v1
	v_cndmask_b32_e64 v1, v1, v2, s[2:3]
	v_cmp_class_f32_e32 vcc, v0, v5
	v_mul_lo_u32 v2, v4, s28
	s_nop 0
	v_cndmask_b32_e32 v18, v1, v0, vcc
	v_lshl_add_u64 v[0:1], v[8:9], 3, v[6:7]
	s_and_b64 vcc, exec, s[10:11]
	scratch_store_dwordx4 off, v[16:19], off offset:48
	s_cbranch_vccnz .LBB518_28
; %bb.2:
	s_load_dwordx2 s[4:5], s[0:1], 0x20
	s_cmp_lt_u32 s28, 4
	v_mul_lo_u32 v4, v4, s28
	s_cbranch_scc1 .LBB518_21
; %bb.3:
	s_mov_b32 s11, 0
	s_and_b32 s8, s28, 0x7ffffffc
	v_ashrrev_i32_e32 v5, 31, v4
	v_mov_b32_e32 v3, 0
	s_mov_b32 s10, s11
	s_branch .LBB518_5
.LBB518_4:                              ;   in Loop: Header=BB518_5 Depth=1
	s_or_b64 exec, exec, s[12:13]
	s_add_i32 s10, s10, 4
	s_cmp_eq_u32 s10, s8
	s_cbranch_scc1 .LBB518_21
.LBB518_5:                              ; =>This Loop Header: Depth=1
                                        ;     Child Loop BB518_7 Depth 2
                                        ;     Child Loop BB518_11 Depth 2
	;; [unrolled: 1-line block ×4, first 2 shown]
	v_lshl_add_u64 v[6:7], s[10:11], 3, v[0:1]
	global_load_dwordx2 v[8:9], v[6:7], off
	v_add_u32_e32 v10, s10, v4
	v_ashrrev_i32_e32 v11, 31, v10
	v_mov_b32_e32 v13, 0
	s_mov_b64 s[12:13], 0
	s_mov_b32 s9, 0
	s_waitcnt lgkmcnt(0)
	v_lshl_add_u64 v[10:11], v[10:11], 3, s[4:5]
	s_mov_b32 s16, 0
	s_waitcnt vmcnt(0)
	v_ashrrev_i32_e32 v9, 31, v8
	s_branch .LBB518_7
.LBB518_6:                              ;   in Loop: Header=BB518_7 Depth=2
	s_or_b64 exec, exec, s[14:15]
	s_add_i32 s17, s16, 1
	s_cmp_gt_u32 s16, 14
	s_cselect_b64 s[2:3], -1, 0
	s_xor_b64 s[14:15], vcc, -1
	s_or_b64 s[2:3], s[14:15], s[2:3]
	s_add_i32 s9, s9, 32
	s_and_b64 s[2:3], exec, s[2:3]
	v_add_u32_e32 v13, 4, v13
	s_or_b64 s[12:13], s[2:3], s[12:13]
	s_mov_b32 s16, s17
	s_andn2_b64 exec, exec, s[12:13]
	s_cbranch_execz .LBB518_9
.LBB518_7:                              ;   Parent Loop BB518_5 Depth=1
                                        ; =>  This Inner Loop Header: Depth=2
	s_and_b32 s2, s16, 7
	s_and_b32 s3, s9, 0x100
	s_or_b32 s2, s2, s3
	v_or_b32_e32 v14, s2, v12
	v_cmp_ne_u32_e32 vcc, v14, v8
	v_cmp_eq_u32_e64 s[2:3], v14, v8
	s_and_saveexec_b64 s[14:15], s[2:3]
	s_cbranch_execz .LBB518_6
; %bb.8:                                ;   in Loop: Header=BB518_7 Depth=2
	scratch_load_dword v14, v13, off
	s_waitcnt vmcnt(0)
	v_add_f32_e32 v3, v3, v14
	global_store_dwordx2 v[10:11], v[8:9], off
	s_branch .LBB518_6
.LBB518_9:                              ;   in Loop: Header=BB518_5 Depth=1
	s_or_b64 exec, exec, s[12:13]
	global_load_dwordx2 v[10:11], v[6:7], off offset:8
	s_ashr_i32 s3, s10, 31
	s_mov_b32 s2, s10
	v_lshl_add_u64 v[8:9], s[2:3], 0, v[4:5]
	v_mov_b32_e32 v13, 0
	s_mov_b32 s9, 0
	s_mov_b64 s[12:13], 0
	v_lshl_add_u64 v[8:9], v[8:9], 3, s[4:5]
	s_mov_b32 s16, 0
	s_waitcnt vmcnt(0)
	v_ashrrev_i32_e32 v11, 31, v10
	s_branch .LBB518_11
.LBB518_10:                             ;   in Loop: Header=BB518_11 Depth=2
	s_or_b64 exec, exec, s[14:15]
	s_add_i32 s17, s16, 1
	s_cmp_gt_u32 s16, 14
	s_cselect_b64 s[2:3], -1, 0
	s_xor_b64 s[14:15], vcc, -1
	s_or_b64 s[2:3], s[14:15], s[2:3]
	s_add_i32 s9, s9, 32
	s_and_b64 s[2:3], exec, s[2:3]
	v_add_u32_e32 v13, 4, v13
	s_or_b64 s[12:13], s[2:3], s[12:13]
	s_mov_b32 s16, s17
	s_andn2_b64 exec, exec, s[12:13]
	s_cbranch_execz .LBB518_13
.LBB518_11:                             ;   Parent Loop BB518_5 Depth=1
                                        ; =>  This Inner Loop Header: Depth=2
	s_and_b32 s2, s16, 7
	s_and_b32 s3, s9, 0x100
	s_or_b32 s2, s2, s3
	v_or_b32_e32 v14, s2, v12
	v_cmp_ne_u32_e32 vcc, v14, v10
	v_cmp_eq_u32_e64 s[2:3], v14, v10
	s_and_saveexec_b64 s[14:15], s[2:3]
	s_cbranch_execz .LBB518_10
; %bb.12:                               ;   in Loop: Header=BB518_11 Depth=2
	scratch_load_dword v14, v13, off
	s_waitcnt vmcnt(0)
	v_add_f32_e32 v3, v3, v14
	global_store_dwordx2 v[8:9], v[10:11], off offset:8
	s_branch .LBB518_10
.LBB518_13:                             ;   in Loop: Header=BB518_5 Depth=1
	s_or_b64 exec, exec, s[12:13]
	global_load_dwordx2 v[10:11], v[6:7], off offset:16
	v_mov_b32_e32 v13, 0
	s_mov_b32 s9, 0
	s_mov_b64 s[12:13], 0
	s_mov_b32 s16, 0
	s_waitcnt vmcnt(0)
	v_ashrrev_i32_e32 v11, 31, v10
	s_branch .LBB518_15
.LBB518_14:                             ;   in Loop: Header=BB518_15 Depth=2
	s_or_b64 exec, exec, s[14:15]
	s_add_i32 s17, s16, 1
	s_cmp_gt_u32 s16, 14
	s_cselect_b64 s[2:3], -1, 0
	s_xor_b64 s[14:15], vcc, -1
	s_or_b64 s[2:3], s[14:15], s[2:3]
	s_add_i32 s9, s9, 32
	s_and_b64 s[2:3], exec, s[2:3]
	v_add_u32_e32 v13, 4, v13
	s_or_b64 s[12:13], s[2:3], s[12:13]
	s_mov_b32 s16, s17
	s_andn2_b64 exec, exec, s[12:13]
	s_cbranch_execz .LBB518_17
.LBB518_15:                             ;   Parent Loop BB518_5 Depth=1
                                        ; =>  This Inner Loop Header: Depth=2
	s_and_b32 s2, s16, 7
	s_and_b32 s3, s9, 0x100
	s_or_b32 s2, s2, s3
	v_or_b32_e32 v14, s2, v12
	v_cmp_ne_u32_e32 vcc, v14, v10
	v_cmp_eq_u32_e64 s[2:3], v14, v10
	s_and_saveexec_b64 s[14:15], s[2:3]
	s_cbranch_execz .LBB518_14
; %bb.16:                               ;   in Loop: Header=BB518_15 Depth=2
	scratch_load_dword v14, v13, off
	s_waitcnt vmcnt(0)
	v_add_f32_e32 v3, v3, v14
	global_store_dwordx2 v[8:9], v[10:11], off offset:16
	s_branch .LBB518_14
.LBB518_17:                             ;   in Loop: Header=BB518_5 Depth=1
	s_or_b64 exec, exec, s[12:13]
	global_load_dwordx2 v[6:7], v[6:7], off offset:24
	v_mov_b32_e32 v10, 0
	s_mov_b32 s9, 0
	s_mov_b64 s[12:13], 0
	s_mov_b32 s16, 0
	s_waitcnt vmcnt(0)
	v_ashrrev_i32_e32 v7, 31, v6
	s_branch .LBB518_19
.LBB518_18:                             ;   in Loop: Header=BB518_19 Depth=2
	s_or_b64 exec, exec, s[14:15]
	s_add_i32 s17, s16, 1
	s_cmp_gt_u32 s16, 14
	s_cselect_b64 s[2:3], -1, 0
	s_xor_b64 s[14:15], vcc, -1
	s_or_b64 s[2:3], s[14:15], s[2:3]
	s_add_i32 s9, s9, 32
	s_and_b64 s[2:3], exec, s[2:3]
	v_add_u32_e32 v10, 4, v10
	s_or_b64 s[12:13], s[2:3], s[12:13]
	s_mov_b32 s16, s17
	s_andn2_b64 exec, exec, s[12:13]
	s_cbranch_execz .LBB518_4
.LBB518_19:                             ;   Parent Loop BB518_5 Depth=1
                                        ; =>  This Inner Loop Header: Depth=2
	s_and_b32 s2, s16, 7
	s_and_b32 s3, s9, 0x100
	s_or_b32 s2, s2, s3
	v_or_b32_e32 v11, s2, v12
	v_cmp_ne_u32_e32 vcc, v11, v6
	v_cmp_eq_u32_e64 s[2:3], v11, v6
	s_and_saveexec_b64 s[14:15], s[2:3]
	s_cbranch_execz .LBB518_18
; %bb.20:                               ;   in Loop: Header=BB518_19 Depth=2
	scratch_load_dword v11, v10, off
	s_waitcnt vmcnt(0)
	v_add_f32_e32 v3, v3, v11
	global_store_dwordx2 v[8:9], v[6:7], off offset:24
	s_branch .LBB518_18
.LBB518_21:
	s_and_b32 s14, s28, 3
	s_cmp_eq_u32 s14, 0
	s_mov_b32 s9, 0
	s_cbranch_scc1 .LBB518_28
; %bb.22:
	s_mov_b32 s15, s9
	s_branch .LBB518_24
.LBB518_23:                             ;   in Loop: Header=BB518_24 Depth=1
	s_or_b64 exec, exec, s[10:11]
	s_add_i32 s8, s8, 1
	s_add_i32 s15, s15, 1
	s_cmp_lg_u32 s15, s14
	s_cbranch_scc0 .LBB518_28
.LBB518_24:                             ; =>This Loop Header: Depth=1
                                        ;     Child Loop BB518_26 Depth 2
	v_lshl_add_u64 v[6:7], s[8:9], 3, v[0:1]
	global_load_dwordx2 v[6:7], v[6:7], off
	v_add_u32_e32 v8, s8, v4
	v_ashrrev_i32_e32 v9, 31, v8
	v_mov_b32_e32 v5, 0
	s_mov_b32 s16, 0
	s_mov_b64 s[10:11], 0
	s_waitcnt lgkmcnt(0)
	v_lshl_add_u64 v[8:9], v[8:9], 3, s[4:5]
	s_mov_b32 s17, 0
	s_waitcnt vmcnt(0)
	v_ashrrev_i32_e32 v7, 31, v6
	s_branch .LBB518_26
.LBB518_25:                             ;   in Loop: Header=BB518_26 Depth=2
	s_or_b64 exec, exec, s[12:13]
	s_add_i32 s18, s17, 1
	s_cmp_gt_u32 s17, 14
	s_cselect_b64 s[2:3], -1, 0
	s_xor_b64 s[12:13], vcc, -1
	s_or_b64 s[2:3], s[12:13], s[2:3]
	s_add_i32 s16, s16, 32
	s_and_b64 s[2:3], exec, s[2:3]
	v_add_u32_e32 v5, 4, v5
	s_or_b64 s[10:11], s[2:3], s[10:11]
	s_mov_b32 s17, s18
	s_andn2_b64 exec, exec, s[10:11]
	s_cbranch_execz .LBB518_23
.LBB518_26:                             ;   Parent Loop BB518_24 Depth=1
                                        ; =>  This Inner Loop Header: Depth=2
	s_and_b32 s2, s17, 7
	s_and_b32 s3, s16, 0x100
	s_or_b32 s2, s2, s3
	v_or_b32_e32 v10, s2, v12
	v_cmp_ne_u32_e32 vcc, v10, v6
	v_cmp_eq_u32_e64 s[2:3], v10, v6
	s_and_saveexec_b64 s[12:13], s[2:3]
	s_cbranch_execz .LBB518_25
; %bb.27:                               ;   in Loop: Header=BB518_26 Depth=2
	scratch_load_dword v10, v5, off
	s_waitcnt vmcnt(0)
	v_add_f32_e32 v3, v3, v10
	global_store_dwordx2 v[8:9], v[6:7], off
	s_branch .LBB518_25
.LBB518_28:
	s_waitcnt lgkmcnt(0)
	s_load_dword s4, s[0:1], 0x3c
	s_waitcnt lgkmcnt(0)
	s_bitcmp1_b32 s4, 0
	s_cselect_b64 s[2:3], -1, 0
	s_bitcmp0_b32 s4, 0
	s_cbranch_scc0 .LBB518_31
; %bb.29:
	s_load_dwordx2 s[4:5], s[0:1], 0x40
	s_andn2_b64 vcc, exec, s[2:3]
	s_waitcnt lgkmcnt(0)
	v_cvt_f32_f64_e32 v4, s[4:5]
	s_cbranch_vccz .LBB518_32
.LBB518_30:
	s_andn2_b64 vcc, exec, s[6:7]
	s_cbranch_vccz .LBB518_33
	s_branch .LBB518_67
.LBB518_31:
	v_mbcnt_lo_u32_b32 v4, -1, 0
	v_mbcnt_hi_u32_b32 v4, -1, v4
	v_and_b32_e32 v5, 0x60, v4
	v_add_u32_e32 v5, 32, v5
	v_xor_b32_e32 v6, 16, v4
	v_cmp_lt_i32_e32 vcc, v6, v5
	v_xor_b32_e32 v7, 8, v4
	s_nop 0
	v_cndmask_b32_e32 v6, v4, v6, vcc
	v_lshlrev_b32_e32 v6, 2, v6
	ds_bpermute_b32 v6, v6, v3
	v_cmp_lt_i32_e32 vcc, v7, v5
	s_waitcnt lgkmcnt(0)
	v_add_f32_e32 v3, v3, v6
	v_cndmask_b32_e32 v6, v4, v7, vcc
	v_lshlrev_b32_e32 v6, 2, v6
	ds_bpermute_b32 v6, v6, v3
	v_xor_b32_e32 v7, 4, v4
	v_cmp_lt_i32_e32 vcc, v7, v5
	s_waitcnt lgkmcnt(0)
	v_add_f32_e32 v3, v3, v6
	v_cndmask_b32_e32 v6, v4, v7, vcc
	v_lshlrev_b32_e32 v6, 2, v6
	ds_bpermute_b32 v6, v6, v3
	v_xor_b32_e32 v7, 2, v4
	;; [unrolled: 7-line block ×3, first 2 shown]
	v_cmp_lt_i32_e32 vcc, v7, v5
	s_waitcnt lgkmcnt(0)
	v_add_f32_e32 v3, v3, v6
	v_cndmask_b32_e32 v4, v4, v7, vcc
	v_lshlrev_b32_e32 v4, 2, v4
	ds_bpermute_b32 v4, v4, v3
	s_waitcnt lgkmcnt(0)
	v_add_f32_e32 v3, v3, v4
	s_load_dwordx2 s[4:5], s[0:1], 0x40
	s_andn2_b64 vcc, exec, s[2:3]
	s_waitcnt lgkmcnt(0)
	v_cvt_f32_f64_e32 v4, s[4:5]
	s_cbranch_vccnz .LBB518_30
.LBB518_32:
	v_cmp_lt_f32_e32 vcc, 0, v3
	s_nop 1
	v_cndmask_b32_e32 v3, 1.0, v3, vcc
	v_div_scale_f32 v5, s[2:3], v3, v3, v4
	v_rcp_f32_e32 v6, v5
	s_nop 0
	v_fma_f32 v7, -v5, v6, 1.0
	v_fmac_f32_e32 v6, v7, v6
	v_div_scale_f32 v7, vcc, v4, v3, v4
	v_mul_f32_e32 v8, v7, v6
	v_fma_f32 v9, -v5, v8, v7
	v_fmac_f32_e32 v8, v9, v6
	v_fma_f32 v5, -v5, v8, v7
	v_div_fmas_f32 v5, v5, v6, v8
	v_div_fixup_f32 v4, v5, v3, v4
	s_andn2_b64 vcc, exec, s[6:7]
	s_cbranch_vccnz .LBB518_67
.LBB518_33:
	s_load_dwordx2 s[30:31], s[0:1], 0x10
	v_mov_b32_e32 v3, 0
	v_or_b32_e32 v5, 4, v3
	v_or_b32_e32 v6, 8, v3
	;; [unrolled: 1-line block ×3, first 2 shown]
	v_add_u32_e32 v8, 16, v3
	v_add_u32_e32 v9, 20, v3
	;; [unrolled: 1-line block ×12, first 2 shown]
	v_or_b32_e32 v21, 1, v12
	v_or_b32_e32 v22, 2, v12
	;; [unrolled: 1-line block ×15, first 2 shown]
	s_branch .LBB518_35
.LBB518_34:                             ;   in Loop: Header=BB518_35 Depth=1
	s_or_b64 exec, exec, s[0:1]
	s_add_i32 s28, s28, -1
	v_add_u32_e32 v2, 1, v2
	s_cmp_eq_u32 s28, 0
	v_lshl_add_u64 v[0:1], v[0:1], 0, 8
	s_cbranch_scc1 .LBB518_67
.LBB518_35:                             ; =>This Inner Loop Header: Depth=1
	global_load_dword v36, v[0:1], off
	v_mov_b32_e32 v3, 0
	s_waitcnt vmcnt(0)
	v_cmp_eq_u32_e32 vcc, v12, v36
	v_cmp_ne_u32_e64 s[0:1], v12, v36
	s_and_saveexec_b64 s[34:35], s[0:1]
	s_cbranch_execz .LBB518_65
; %bb.36:                               ;   in Loop: Header=BB518_35 Depth=1
	v_cmp_eq_u32_e64 s[0:1], v21, v36
	v_cmp_ne_u32_e64 s[2:3], v21, v36
	v_mov_b32_e32 v3, v5
	s_and_saveexec_b64 s[36:37], s[2:3]
	s_cbranch_execz .LBB518_64
; %bb.37:                               ;   in Loop: Header=BB518_35 Depth=1
	v_cmp_eq_u32_e64 s[2:3], v22, v36
	v_cmp_ne_u32_e64 s[4:5], v22, v36
	v_mov_b32_e32 v3, v6
	;; [unrolled: 6-line block ×14, first 2 shown]
	s_and_saveexec_b64 s[64:65], s[26:27]
	s_xor_b64 s[64:65], exec, s[64:65]
; %bb.50:                               ;   in Loop: Header=BB518_35 Depth=1
	v_cmp_eq_u32_e64 s[26:27], v35, v36
	s_andn2_b64 s[62:63], s[62:63], exec
	s_and_b64 s[26:27], s[26:27], exec
	s_or_b64 s[62:63], s[62:63], s[26:27]
	v_mov_b32_e32 v3, v20
; %bb.51:                               ;   in Loop: Header=BB518_35 Depth=1
	s_or_b64 exec, exec, s[64:65]
	s_andn2_b64 s[24:25], s[24:25], exec
	s_and_b64 s[26:27], s[62:63], exec
	s_or_b64 s[24:25], s[24:25], s[26:27]
.LBB518_52:                             ;   in Loop: Header=BB518_35 Depth=1
	s_or_b64 exec, exec, s[60:61]
	s_andn2_b64 s[22:23], s[22:23], exec
	s_and_b64 s[24:25], s[24:25], exec
	s_or_b64 s[22:23], s[22:23], s[24:25]
.LBB518_53:                             ;   in Loop: Header=BB518_35 Depth=1
	s_or_b64 exec, exec, s[58:59]
	s_andn2_b64 s[20:21], s[20:21], exec
	s_and_b64 s[22:23], s[22:23], exec
	s_or_b64 s[20:21], s[20:21], s[22:23]
.LBB518_54:                             ;   in Loop: Header=BB518_35 Depth=1
	s_or_b64 exec, exec, s[56:57]
	s_andn2_b64 s[18:19], s[18:19], exec
	s_and_b64 s[20:21], s[20:21], exec
	s_or_b64 s[18:19], s[18:19], s[20:21]
.LBB518_55:                             ;   in Loop: Header=BB518_35 Depth=1
	s_or_b64 exec, exec, s[54:55]
	s_andn2_b64 s[16:17], s[16:17], exec
	s_and_b64 s[18:19], s[18:19], exec
	s_or_b64 s[16:17], s[16:17], s[18:19]
.LBB518_56:                             ;   in Loop: Header=BB518_35 Depth=1
	s_or_b64 exec, exec, s[52:53]
	s_andn2_b64 s[14:15], s[14:15], exec
	s_and_b64 s[16:17], s[16:17], exec
	s_or_b64 s[14:15], s[14:15], s[16:17]
.LBB518_57:                             ;   in Loop: Header=BB518_35 Depth=1
	s_or_b64 exec, exec, s[50:51]
	s_andn2_b64 s[12:13], s[12:13], exec
	s_and_b64 s[14:15], s[14:15], exec
	s_or_b64 s[12:13], s[12:13], s[14:15]
.LBB518_58:                             ;   in Loop: Header=BB518_35 Depth=1
	s_or_b64 exec, exec, s[48:49]
	s_andn2_b64 s[10:11], s[10:11], exec
	s_and_b64 s[12:13], s[12:13], exec
	s_or_b64 s[10:11], s[10:11], s[12:13]
.LBB518_59:                             ;   in Loop: Header=BB518_35 Depth=1
	s_or_b64 exec, exec, s[46:47]
	s_andn2_b64 s[8:9], s[8:9], exec
	s_and_b64 s[10:11], s[10:11], exec
	s_or_b64 s[8:9], s[8:9], s[10:11]
.LBB518_60:                             ;   in Loop: Header=BB518_35 Depth=1
	s_or_b64 exec, exec, s[44:45]
	s_andn2_b64 s[6:7], s[6:7], exec
	s_and_b64 s[8:9], s[8:9], exec
	s_or_b64 s[6:7], s[6:7], s[8:9]
.LBB518_61:                             ;   in Loop: Header=BB518_35 Depth=1
	s_or_b64 exec, exec, s[42:43]
	s_andn2_b64 s[4:5], s[4:5], exec
	s_and_b64 s[6:7], s[6:7], exec
	s_or_b64 s[4:5], s[4:5], s[6:7]
.LBB518_62:                             ;   in Loop: Header=BB518_35 Depth=1
	s_or_b64 exec, exec, s[40:41]
	s_andn2_b64 s[2:3], s[2:3], exec
	s_and_b64 s[4:5], s[4:5], exec
	s_or_b64 s[2:3], s[2:3], s[4:5]
.LBB518_63:                             ;   in Loop: Header=BB518_35 Depth=1
	s_or_b64 exec, exec, s[38:39]
	s_andn2_b64 s[0:1], s[0:1], exec
	s_and_b64 s[2:3], s[2:3], exec
	s_or_b64 s[0:1], s[0:1], s[2:3]
.LBB518_64:                             ;   in Loop: Header=BB518_35 Depth=1
	s_or_b64 exec, exec, s[36:37]
	s_andn2_b64 s[2:3], vcc, exec
	s_and_b64 s[0:1], s[0:1], exec
	s_or_b64 vcc, s[2:3], s[0:1]
.LBB518_65:                             ;   in Loop: Header=BB518_35 Depth=1
	s_or_b64 exec, exec, s[34:35]
	s_and_saveexec_b64 s[0:1], vcc
	s_cbranch_execz .LBB518_34
; %bb.66:                               ;   in Loop: Header=BB518_35 Depth=1
	scratch_load_dword v36, v3, off
	v_ashrrev_i32_e32 v3, 31, v2
	s_waitcnt vmcnt(0)
	v_mul_f32_e32 v38, v4, v36
	s_waitcnt lgkmcnt(0)
	v_lshl_add_u64 v[36:37], v[2:3], 2, s[30:31]
	global_store_dword v[36:37], v38, off
	s_branch .LBB518_34
.LBB518_67:
	s_endpgm
	.section	.rodata,"a",@progbits
	.p2align	6, 0x0
	.amdhsa_kernel _ZN4vllm3moe22topkGatingSoftplusSqrtILi16ELi512ELi4ELi16ELi32ELb1El14__hip_bfloat16EEvPKT6_PKbPfiPT5_PiiiibdPKfPKS9_SF_
		.amdhsa_group_segment_fixed_size 0
		.amdhsa_private_segment_fixed_size 80
		.amdhsa_kernarg_size 96
		.amdhsa_user_sgpr_count 2
		.amdhsa_user_sgpr_dispatch_ptr 0
		.amdhsa_user_sgpr_queue_ptr 0
		.amdhsa_user_sgpr_kernarg_segment_ptr 1
		.amdhsa_user_sgpr_dispatch_id 0
		.amdhsa_user_sgpr_kernarg_preload_length 0
		.amdhsa_user_sgpr_kernarg_preload_offset 0
		.amdhsa_user_sgpr_private_segment_size 0
		.amdhsa_uses_dynamic_stack 0
		.amdhsa_enable_private_segment 1
		.amdhsa_system_sgpr_workgroup_id_x 1
		.amdhsa_system_sgpr_workgroup_id_y 0
		.amdhsa_system_sgpr_workgroup_id_z 0
		.amdhsa_system_sgpr_workgroup_info 0
		.amdhsa_system_vgpr_workitem_id 1
		.amdhsa_next_free_vgpr 39
		.amdhsa_next_free_sgpr 66
		.amdhsa_accum_offset 40
		.amdhsa_reserve_vcc 1
		.amdhsa_float_round_mode_32 0
		.amdhsa_float_round_mode_16_64 0
		.amdhsa_float_denorm_mode_32 3
		.amdhsa_float_denorm_mode_16_64 3
		.amdhsa_dx10_clamp 1
		.amdhsa_ieee_mode 1
		.amdhsa_fp16_overflow 0
		.amdhsa_tg_split 0
		.amdhsa_exception_fp_ieee_invalid_op 0
		.amdhsa_exception_fp_denorm_src 0
		.amdhsa_exception_fp_ieee_div_zero 0
		.amdhsa_exception_fp_ieee_overflow 0
		.amdhsa_exception_fp_ieee_underflow 0
		.amdhsa_exception_fp_ieee_inexact 0
		.amdhsa_exception_int_div_zero 0
	.end_amdhsa_kernel
	.section	.text._ZN4vllm3moe22topkGatingSoftplusSqrtILi16ELi512ELi4ELi16ELi32ELb1El14__hip_bfloat16EEvPKT6_PKbPfiPT5_PiiiibdPKfPKS9_SF_,"axG",@progbits,_ZN4vllm3moe22topkGatingSoftplusSqrtILi16ELi512ELi4ELi16ELi32ELb1El14__hip_bfloat16EEvPKT6_PKbPfiPT5_PiiiibdPKfPKS9_SF_,comdat
.Lfunc_end518:
	.size	_ZN4vllm3moe22topkGatingSoftplusSqrtILi16ELi512ELi4ELi16ELi32ELb1El14__hip_bfloat16EEvPKT6_PKbPfiPT5_PiiiibdPKfPKS9_SF_, .Lfunc_end518-_ZN4vllm3moe22topkGatingSoftplusSqrtILi16ELi512ELi4ELi16ELi32ELb1El14__hip_bfloat16EEvPKT6_PKbPfiPT5_PiiiibdPKfPKS9_SF_
                                        ; -- End function
	.section	.AMDGPU.csdata,"",@progbits
; Kernel info:
; codeLenInByte = 6236
; NumSgprs: 72
; NumVgprs: 39
; NumAgprs: 0
; TotalNumVgprs: 39
; ScratchSize: 80
; MemoryBound: 0
; FloatMode: 240
; IeeeMode: 1
; LDSByteSize: 0 bytes/workgroup (compile time only)
; SGPRBlocks: 8
; VGPRBlocks: 4
; NumSGPRsForWavesPerEU: 72
; NumVGPRsForWavesPerEU: 39
; AccumOffset: 40
; Occupancy: 8
; WaveLimiterHint : 1
; COMPUTE_PGM_RSRC2:SCRATCH_EN: 1
; COMPUTE_PGM_RSRC2:USER_SGPR: 2
; COMPUTE_PGM_RSRC2:TRAP_HANDLER: 0
; COMPUTE_PGM_RSRC2:TGID_X_EN: 1
; COMPUTE_PGM_RSRC2:TGID_Y_EN: 0
; COMPUTE_PGM_RSRC2:TGID_Z_EN: 0
; COMPUTE_PGM_RSRC2:TIDIG_COMP_CNT: 1
; COMPUTE_PGM_RSRC3_GFX90A:ACCUM_OFFSET: 9
; COMPUTE_PGM_RSRC3_GFX90A:TG_SPLIT: 0
	.section	.text._ZN4vllm3moe22topkGatingSoftplusSqrtILi16ELi512ELi4ELi16ELi32ELb0El14__hip_bfloat16EEvPKT6_PKbPfiPT5_PiiiibdPKfPKS9_SF_,"axG",@progbits,_ZN4vllm3moe22topkGatingSoftplusSqrtILi16ELi512ELi4ELi16ELi32ELb0El14__hip_bfloat16EEvPKT6_PKbPfiPT5_PiiiibdPKfPKS9_SF_,comdat
	.protected	_ZN4vllm3moe22topkGatingSoftplusSqrtILi16ELi512ELi4ELi16ELi32ELb0El14__hip_bfloat16EEvPKT6_PKbPfiPT5_PiiiibdPKfPKS9_SF_ ; -- Begin function _ZN4vllm3moe22topkGatingSoftplusSqrtILi16ELi512ELi4ELi16ELi32ELb0El14__hip_bfloat16EEvPKT6_PKbPfiPT5_PiiiibdPKfPKS9_SF_
	.globl	_ZN4vllm3moe22topkGatingSoftplusSqrtILi16ELi512ELi4ELi16ELi32ELb0El14__hip_bfloat16EEvPKT6_PKbPfiPT5_PiiiibdPKfPKS9_SF_
	.p2align	8
	.type	_ZN4vllm3moe22topkGatingSoftplusSqrtILi16ELi512ELi4ELi16ELi32ELb0El14__hip_bfloat16EEvPKT6_PKbPfiPT5_PiiiibdPKfPKS9_SF_,@function
_ZN4vllm3moe22topkGatingSoftplusSqrtILi16ELi512ELi4ELi16ELi32ELb0El14__hip_bfloat16EEvPKT6_PKbPfiPT5_PiiiibdPKfPKS9_SF_: ; @_ZN4vllm3moe22topkGatingSoftplusSqrtILi16ELi512ELi4ELi16ELi32ELb0El14__hip_bfloat16EEvPKT6_PKbPfiPT5_PiiiibdPKfPKS9_SF_
; %bb.0:
	s_load_dword s33, s[0:1], 0x18
	v_and_b32_e32 v1, 0x3ff, v0
	s_lshl_b32 s2, s2, 2
	v_lshrrev_b32_e32 v2, 5, v1
	v_bfe_u32 v0, v0, 10, 10
	v_add3_u32 v16, s2, v0, v2
	s_waitcnt lgkmcnt(0)
	v_cmp_gt_i32_e32 vcc, s33, v16
	s_and_saveexec_b64 s[2:3], vcc
	s_cbranch_execz .LBB519_81
; %bb.1:
	s_load_dwordx4 s[4:7], s[0:1], 0x0
	s_load_dwordx2 s[38:39], s[0:1], 0x10
	s_waitcnt lgkmcnt(0)
	s_cmp_eq_u64 s[6:7], 0
	s_cbranch_scc1 .LBB519_3
; %bb.2:
	v_ashrrev_i32_e32 v17, 31, v16
	v_lshl_add_u64 v[2:3], s[6:7], 0, v[16:17]
	global_load_ubyte v0, v[2:3], off
	s_waitcnt vmcnt(0)
	v_and_b32_e32 v0, 1, v0
	v_cmp_eq_u32_e32 vcc, 1, v0
	s_xor_b64 s[2:3], vcc, -1
	s_orn2_b64 s[52:53], s[2:3], exec
	s_branch .LBB519_4
.LBB519_3:
	s_mov_b64 s[52:53], -1
.LBB519_4:
	v_lshlrev_b32_e32 v4, 9, v16
	v_mov_b32_e32 v2, s4
	v_mov_b32_e32 v3, s5
	v_ashrrev_i32_e32 v5, 31, v4
	v_and_b32_e32 v17, 31, v1
	v_lshl_add_u64 v[2:3], v[4:5], 1, v[2:3]
	v_mov_b32_e32 v1, 0
	v_lshlrev_b32_e32 v0, 4, v17
	v_lshl_add_u64 v[0:1], v[2:3], 0, v[0:1]
	global_load_dwordx4 v[4:7], v[0:1], off
	global_load_dwordx4 v[12:15], v[0:1], off offset:512
	s_mov_b32 s12, 0x800000
	v_mov_b32_e32 v2, 0x4f800000
	s_mov_b32 s9, 0x3f317217
	s_mov_b32 s10, 0x7f800000
	v_mov_b32_e32 v3, 0x41b17218
	s_mov_b32 s8, 0x41a00000
	s_mov_b32 s11, 0xf800000
	s_load_dwordx4 s[40:43], s[0:1], 0x40
	v_lshlrev_b32_e32 v20, 3, v17
	v_lshlrev_b32_e32 v18, 2, v20
	s_waitcnt lgkmcnt(0)
	s_cmp_lg_u64 s[42:43], 0
	s_cselect_b64 s[6:7], -1, 0
	s_and_b64 s[2:3], exec, s[6:7]
	s_waitcnt vmcnt(1)
	v_lshlrev_b32_e32 v0, 16, v4
	v_mul_f32_e32 v1, 0x3fb8aa3b, v0
	v_exp_f32_e32 v8, v1
	v_mov_b32_e32 v1, 0x260
	v_add_f32_e32 v8, 1.0, v8
	v_cmp_gt_f32_e32 vcc, s12, v8
	s_nop 1
	v_cndmask_b32_e32 v9, 1.0, v2, vcc
	v_mul_f32_e32 v8, v8, v9
	v_log_f32_e32 v8, v8
	v_cndmask_b32_e32 v9, 0, v3, vcc
	v_mul_f32_e32 v10, 0x3f317217, v8
	v_fma_f32 v10, v8, s9, -v10
	v_fmac_f32_e32 v10, 0x3377d1cf, v8
	v_fmac_f32_e32 v10, 0x3f317217, v8
	v_cmp_lt_f32_e64 vcc, |v8|, s10
	s_nop 1
	v_cndmask_b32_e32 v8, v8, v10, vcc
	v_sub_f32_e32 v8, v8, v9
	v_cmp_lt_f32_e32 vcc, s8, v0
	s_nop 1
	v_cndmask_b32_e32 v0, v8, v0, vcc
	v_mul_f32_e32 v8, 0x4f800000, v0
	v_cmp_gt_f32_e32 vcc, s11, v0
	s_nop 1
	v_cndmask_b32_e32 v0, v0, v8, vcc
	v_sqrt_f32_e32 v8, v0
	s_nop 0
	v_add_u32_e32 v9, -1, v8
	v_add_u32_e32 v10, 1, v8
	v_fma_f32 v11, -v9, v8, v0
	v_fma_f32 v19, -v10, v8, v0
	v_cmp_ge_f32_e64 s[4:5], 0, v11
	s_nop 1
	v_cndmask_b32_e64 v8, v8, v9, s[4:5]
	v_cmp_lt_f32_e64 s[4:5], 0, v19
	s_nop 1
	v_cndmask_b32_e64 v8, v8, v10, s[4:5]
	v_mul_f32_e32 v9, 0x37800000, v8
	v_cndmask_b32_e32 v8, v8, v9, vcc
	v_cmp_class_f32_e32 vcc, v0, v1
	s_nop 1
	v_cndmask_b32_e32 v0, v8, v0, vcc
	s_mov_b64 vcc, s[2:3]
	s_cbranch_vccz .LBB519_6
; %bb.5:
	global_load_dword v8, v18, s[42:43]
	s_waitcnt vmcnt(0)
	v_add_f32_e32 v0, v0, v8
.LBB519_6:
	v_and_b32_e32 v4, 0xffff0000, v4
	v_mul_f32_e32 v8, 0x3fb8aa3b, v4
	v_exp_f32_e32 v8, v8
	s_nop 0
	v_add_f32_e32 v8, 1.0, v8
	v_cmp_gt_f32_e32 vcc, s12, v8
	s_nop 1
	v_cndmask_b32_e32 v2, 1.0, v2, vcc
	v_mul_f32_e32 v2, v8, v2
	v_log_f32_e32 v2, v2
	v_cndmask_b32_e32 v3, 0, v3, vcc
	v_mul_f32_e32 v8, 0x3f317217, v2
	v_fma_f32 v8, v2, s9, -v8
	v_fmac_f32_e32 v8, 0x3377d1cf, v2
	v_fmac_f32_e32 v8, 0x3f317217, v2
	v_cmp_lt_f32_e64 vcc, |v2|, s10
	s_nop 1
	v_cndmask_b32_e32 v2, v2, v8, vcc
	v_sub_f32_e32 v2, v2, v3
	v_cmp_lt_f32_e32 vcc, s8, v4
	s_nop 1
	v_cndmask_b32_e32 v2, v2, v4, vcc
	v_mul_f32_e32 v3, 0x4f800000, v2
	v_cmp_gt_f32_e32 vcc, s11, v2
	s_nop 1
	v_cndmask_b32_e32 v2, v2, v3, vcc
	v_sqrt_f32_e32 v3, v2
	v_cmp_class_f32_e64 s[4:5], v2, v1
	v_add_u32_e32 v4, -1, v3
	v_add_u32_e32 v8, 1, v3
	v_fma_f32 v9, -v4, v3, v2
	v_fma_f32 v10, -v8, v3, v2
	v_cmp_ge_f32_e64 s[2:3], 0, v9
	s_nop 1
	v_cndmask_b32_e64 v3, v3, v4, s[2:3]
	v_cmp_lt_f32_e64 s[2:3], 0, v10
	s_nop 1
	v_cndmask_b32_e64 v3, v3, v8, s[2:3]
	v_mul_f32_e32 v4, 0x37800000, v3
	v_cndmask_b32_e32 v3, v3, v4, vcc
	v_cndmask_b32_e64 v4, 0, 1, s[6:7]
	v_cmp_ne_u32_e64 s[2:3], 1, v4
	s_andn2_b64 vcc, exec, s[6:7]
	v_cndmask_b32_e64 v1, v3, v2, s[4:5]
	s_cbranch_vccnz .LBB519_8
; %bb.7:
	global_load_dword v2, v18, s[42:43] offset:4
	s_waitcnt vmcnt(0)
	v_add_f32_e32 v1, v1, v2
.LBB519_8:
	v_lshlrev_b32_e32 v2, 16, v5
	v_mul_f32_e32 v3, 0x3fb8aa3b, v2
	v_exp_f32_e32 v3, v3
	s_mov_b32 s10, 0x800000
	v_mov_b32_e32 v4, 0x4f800000
	s_mov_b32 s7, 0x3f317217
	v_add_f32_e32 v3, 1.0, v3
	v_cmp_gt_f32_e32 vcc, s10, v3
	s_mov_b32 s8, 0x7f800000
	s_mov_b32 s6, 0x41a00000
	v_cndmask_b32_e32 v8, 1.0, v4, vcc
	v_mul_f32_e32 v3, v3, v8
	v_log_f32_e32 v3, v3
	s_mov_b32 s9, 0xf800000
	v_mul_f32_e32 v8, 0x3f317217, v3
	v_fma_f32 v8, v3, s7, -v8
	v_fmac_f32_e32 v8, 0x3377d1cf, v3
	v_fmac_f32_e32 v8, 0x3f317217, v3
	v_cmp_lt_f32_e64 s[4:5], |v3|, s8
	s_nop 1
	v_cndmask_b32_e64 v3, v3, v8, s[4:5]
	v_mov_b32_e32 v8, 0x41b17218
	v_cndmask_b32_e32 v9, 0, v8, vcc
	v_sub_f32_e32 v3, v3, v9
	v_cmp_lt_f32_e32 vcc, s6, v2
	s_nop 1
	v_cndmask_b32_e32 v2, v3, v2, vcc
	v_mul_f32_e32 v3, 0x4f800000, v2
	v_cmp_gt_f32_e32 vcc, s9, v2
	s_nop 1
	v_cndmask_b32_e32 v2, v2, v3, vcc
	v_sqrt_f32_e32 v3, v2
	s_nop 0
	v_add_u32_e32 v9, -1, v3
	v_fma_f32 v10, -v9, v3, v2
	v_cmp_ge_f32_e64 s[4:5], 0, v10
	v_add_u32_e32 v10, 1, v3
	s_nop 0
	v_cndmask_b32_e64 v9, v3, v9, s[4:5]
	v_fma_f32 v3, -v10, v3, v2
	v_cmp_lt_f32_e64 s[4:5], 0, v3
	s_nop 1
	v_cndmask_b32_e64 v3, v9, v10, s[4:5]
	v_mul_f32_e32 v9, 0x37800000, v3
	v_cndmask_b32_e32 v9, v3, v9, vcc
	v_mov_b32_e32 v3, 0x260
	v_cmp_class_f32_e64 s[4:5], v2, v3
	s_and_b64 vcc, exec, s[2:3]
	s_nop 0
	v_cndmask_b32_e64 v2, v9, v2, s[4:5]
	s_cbranch_vccnz .LBB519_10
; %bb.9:
	global_load_dword v9, v18, s[42:43] offset:8
	s_waitcnt vmcnt(0)
	v_add_f32_e32 v2, v2, v9
.LBB519_10:
	v_and_b32_e32 v5, 0xffff0000, v5
	v_mul_f32_e32 v9, 0x3fb8aa3b, v5
	v_exp_f32_e32 v9, v9
	s_nop 0
	v_add_f32_e32 v9, 1.0, v9
	v_cmp_gt_f32_e32 vcc, s10, v9
	s_nop 1
	v_cndmask_b32_e32 v4, 1.0, v4, vcc
	v_mul_f32_e32 v4, v9, v4
	v_log_f32_e32 v4, v4
	v_cndmask_b32_e32 v8, 0, v8, vcc
	v_mul_f32_e32 v9, 0x3f317217, v4
	v_fma_f32 v9, v4, s7, -v9
	v_fmac_f32_e32 v9, 0x3377d1cf, v4
	v_fmac_f32_e32 v9, 0x3f317217, v4
	v_cmp_lt_f32_e64 vcc, |v4|, s8
	s_nop 1
	v_cndmask_b32_e32 v4, v4, v9, vcc
	v_sub_f32_e32 v4, v4, v8
	v_cmp_lt_f32_e32 vcc, s6, v5
	s_nop 1
	v_cndmask_b32_e32 v4, v4, v5, vcc
	v_mul_f32_e32 v5, 0x4f800000, v4
	v_cmp_gt_f32_e32 vcc, s9, v4
	s_nop 1
	v_cndmask_b32_e32 v4, v4, v5, vcc
	v_sqrt_f32_e32 v5, v4
	s_nop 0
	v_add_u32_e32 v8, -1, v5
	v_add_u32_e32 v9, 1, v5
	v_fma_f32 v10, -v8, v5, v4
	v_fma_f32 v11, -v9, v5, v4
	v_cmp_ge_f32_e64 s[4:5], 0, v10
	s_nop 1
	v_cndmask_b32_e64 v5, v5, v8, s[4:5]
	v_cmp_lt_f32_e64 s[4:5], 0, v11
	s_nop 1
	v_cndmask_b32_e64 v5, v5, v9, s[4:5]
	v_mul_f32_e32 v8, 0x37800000, v5
	v_cndmask_b32_e32 v5, v5, v8, vcc
	v_cmp_class_f32_e64 s[4:5], v4, v3
	s_and_b64 vcc, exec, s[2:3]
	s_nop 0
	v_cndmask_b32_e64 v3, v5, v4, s[4:5]
	s_cbranch_vccnz .LBB519_12
; %bb.11:
	global_load_dword v4, v18, s[42:43] offset:12
	s_waitcnt vmcnt(0)
	v_add_f32_e32 v3, v3, v4
.LBB519_12:
	v_lshlrev_b32_e32 v4, 16, v6
	v_mul_f32_e32 v5, 0x3fb8aa3b, v4
	v_exp_f32_e32 v5, v5
	v_mov_b32_e32 v8, 0x4f800000
	v_add_f32_e32 v5, 1.0, v5
	v_cmp_gt_f32_e32 vcc, s10, v5
	s_nop 1
	v_cndmask_b32_e32 v9, 1.0, v8, vcc
	v_mul_f32_e32 v5, v5, v9
	v_log_f32_e32 v5, v5
	s_nop 0
	v_mul_f32_e32 v9, 0x3f317217, v5
	v_fma_f32 v9, v5, s7, -v9
	v_fmac_f32_e32 v9, 0x3377d1cf, v5
	v_fmac_f32_e32 v9, 0x3f317217, v5
	v_cmp_lt_f32_e64 s[4:5], |v5|, s8
	s_nop 1
	v_cndmask_b32_e64 v5, v5, v9, s[4:5]
	v_mov_b32_e32 v9, 0x41b17218
	v_cndmask_b32_e32 v10, 0, v9, vcc
	v_sub_f32_e32 v5, v5, v10
	v_cmp_lt_f32_e32 vcc, s6, v4
	s_nop 1
	v_cndmask_b32_e32 v4, v5, v4, vcc
	v_mul_f32_e32 v5, 0x4f800000, v4
	v_cmp_gt_f32_e32 vcc, s9, v4
	s_nop 1
	v_cndmask_b32_e32 v4, v4, v5, vcc
	v_sqrt_f32_e32 v5, v4
	s_nop 0
	v_add_u32_e32 v10, -1, v5
	v_fma_f32 v11, -v10, v5, v4
	v_cmp_ge_f32_e64 s[4:5], 0, v11
	v_add_u32_e32 v11, 1, v5
	s_nop 0
	v_cndmask_b32_e64 v10, v5, v10, s[4:5]
	v_fma_f32 v5, -v11, v5, v4
	v_cmp_lt_f32_e64 s[4:5], 0, v5
	s_nop 1
	v_cndmask_b32_e64 v5, v10, v11, s[4:5]
	v_mul_f32_e32 v10, 0x37800000, v5
	v_cndmask_b32_e32 v10, v5, v10, vcc
	v_mov_b32_e32 v5, 0x260
	v_cmp_class_f32_e64 s[4:5], v4, v5
	s_and_b64 vcc, exec, s[2:3]
	s_nop 0
	v_cndmask_b32_e64 v4, v10, v4, s[4:5]
	s_cbranch_vccnz .LBB519_14
; %bb.13:
	global_load_dword v10, v18, s[42:43] offset:16
	s_waitcnt vmcnt(0)
	v_add_f32_e32 v4, v4, v10
.LBB519_14:
	v_and_b32_e32 v6, 0xffff0000, v6
	v_mul_f32_e32 v10, 0x3fb8aa3b, v6
	v_exp_f32_e32 v10, v10
	s_nop 0
	v_add_f32_e32 v10, 1.0, v10
	v_cmp_gt_f32_e32 vcc, s10, v10
	s_nop 1
	v_cndmask_b32_e32 v8, 1.0, v8, vcc
	v_mul_f32_e32 v8, v10, v8
	v_log_f32_e32 v8, v8
	v_cndmask_b32_e32 v9, 0, v9, vcc
	v_mul_f32_e32 v10, 0x3f317217, v8
	v_fma_f32 v10, v8, s7, -v10
	v_fmac_f32_e32 v10, 0x3377d1cf, v8
	v_fmac_f32_e32 v10, 0x3f317217, v8
	v_cmp_lt_f32_e64 vcc, |v8|, s8
	s_nop 1
	v_cndmask_b32_e32 v8, v8, v10, vcc
	v_sub_f32_e32 v8, v8, v9
	v_cmp_lt_f32_e32 vcc, s6, v6
	s_nop 1
	v_cndmask_b32_e32 v6, v8, v6, vcc
	v_mul_f32_e32 v8, 0x4f800000, v6
	v_cmp_gt_f32_e32 vcc, s9, v6
	s_nop 1
	v_cndmask_b32_e32 v6, v6, v8, vcc
	v_sqrt_f32_e32 v8, v6
	s_nop 0
	v_add_u32_e32 v9, -1, v8
	v_add_u32_e32 v10, 1, v8
	v_fma_f32 v11, -v9, v8, v6
	v_fma_f32 v19, -v10, v8, v6
	v_cmp_ge_f32_e64 s[4:5], 0, v11
	s_nop 1
	v_cndmask_b32_e64 v8, v8, v9, s[4:5]
	v_cmp_lt_f32_e64 s[4:5], 0, v19
	s_nop 1
	v_cndmask_b32_e64 v8, v8, v10, s[4:5]
	v_mul_f32_e32 v9, 0x37800000, v8
	v_cndmask_b32_e32 v8, v8, v9, vcc
	v_cmp_class_f32_e64 s[4:5], v6, v5
	s_and_b64 vcc, exec, s[2:3]
	s_nop 0
	v_cndmask_b32_e64 v5, v8, v6, s[4:5]
	s_cbranch_vccnz .LBB519_16
; %bb.15:
	global_load_dword v6, v18, s[42:43] offset:20
	s_waitcnt vmcnt(0)
	v_add_f32_e32 v5, v5, v6
.LBB519_16:
	v_lshlrev_b32_e32 v6, 16, v7
	v_mul_f32_e32 v8, 0x3fb8aa3b, v6
	v_exp_f32_e32 v8, v8
	v_mov_b32_e32 v9, 0x4f800000
	v_add_f32_e32 v8, 1.0, v8
	v_cmp_gt_f32_e32 vcc, s10, v8
	s_nop 1
	v_cndmask_b32_e32 v10, 1.0, v9, vcc
	v_mul_f32_e32 v8, v8, v10
	v_log_f32_e32 v8, v8
	s_nop 0
	v_mul_f32_e32 v10, 0x3f317217, v8
	v_fma_f32 v10, v8, s7, -v10
	v_fmac_f32_e32 v10, 0x3377d1cf, v8
	v_fmac_f32_e32 v10, 0x3f317217, v8
	v_cmp_lt_f32_e64 s[4:5], |v8|, s8
	s_nop 1
	v_cndmask_b32_e64 v8, v8, v10, s[4:5]
	v_mov_b32_e32 v10, 0x41b17218
	v_cndmask_b32_e32 v11, 0, v10, vcc
	v_sub_f32_e32 v8, v8, v11
	v_cmp_lt_f32_e32 vcc, s6, v6
	s_nop 1
	v_cndmask_b32_e32 v6, v8, v6, vcc
	v_mul_f32_e32 v8, 0x4f800000, v6
	v_cmp_gt_f32_e32 vcc, s9, v6
	s_nop 1
	v_cndmask_b32_e32 v6, v6, v8, vcc
	v_sqrt_f32_e32 v8, v6
	s_nop 0
	v_add_u32_e32 v11, -1, v8
	v_fma_f32 v19, -v11, v8, v6
	v_cmp_ge_f32_e64 s[4:5], 0, v19
	v_add_u32_e32 v19, 1, v8
	s_nop 0
	v_cndmask_b32_e64 v11, v8, v11, s[4:5]
	v_fma_f32 v8, -v19, v8, v6
	v_cmp_lt_f32_e64 s[4:5], 0, v8
	s_nop 1
	v_cndmask_b32_e64 v8, v11, v19, s[4:5]
	v_mul_f32_e32 v11, 0x37800000, v8
	v_cndmask_b32_e32 v11, v8, v11, vcc
	v_mov_b32_e32 v8, 0x260
	v_cmp_class_f32_e64 s[4:5], v6, v8
	s_and_b64 vcc, exec, s[2:3]
	s_nop 0
	v_cndmask_b32_e64 v6, v11, v6, s[4:5]
	s_cbranch_vccnz .LBB519_18
; %bb.17:
	global_load_dword v11, v18, s[42:43] offset:24
	s_waitcnt vmcnt(0)
	v_add_f32_e32 v6, v6, v11
.LBB519_18:
	v_and_b32_e32 v7, 0xffff0000, v7
	v_mul_f32_e32 v11, 0x3fb8aa3b, v7
	v_exp_f32_e32 v11, v11
	s_nop 0
	v_add_f32_e32 v11, 1.0, v11
	v_cmp_gt_f32_e32 vcc, s10, v11
	s_nop 1
	v_cndmask_b32_e32 v9, 1.0, v9, vcc
	v_mul_f32_e32 v9, v11, v9
	v_log_f32_e32 v9, v9
	v_cndmask_b32_e32 v10, 0, v10, vcc
	v_mul_f32_e32 v11, 0x3f317217, v9
	v_fma_f32 v11, v9, s7, -v11
	v_fmac_f32_e32 v11, 0x3377d1cf, v9
	v_fmac_f32_e32 v11, 0x3f317217, v9
	v_cmp_lt_f32_e64 vcc, |v9|, s8
	s_nop 1
	v_cndmask_b32_e32 v9, v9, v11, vcc
	v_sub_f32_e32 v9, v9, v10
	v_cmp_lt_f32_e32 vcc, s6, v7
	s_nop 1
	v_cndmask_b32_e32 v7, v9, v7, vcc
	v_mul_f32_e32 v9, 0x4f800000, v7
	v_cmp_gt_f32_e32 vcc, s9, v7
	s_nop 1
	v_cndmask_b32_e32 v7, v7, v9, vcc
	v_sqrt_f32_e32 v9, v7
	s_nop 0
	v_add_u32_e32 v10, -1, v9
	v_add_u32_e32 v11, 1, v9
	v_fma_f32 v19, -v10, v9, v7
	v_fma_f32 v21, -v11, v9, v7
	v_cmp_ge_f32_e64 s[4:5], 0, v19
	s_nop 1
	v_cndmask_b32_e64 v9, v9, v10, s[4:5]
	v_cmp_lt_f32_e64 s[4:5], 0, v21
	s_nop 1
	v_cndmask_b32_e64 v9, v9, v11, s[4:5]
	v_mul_f32_e32 v10, 0x37800000, v9
	v_cndmask_b32_e32 v9, v9, v10, vcc
	v_cmp_class_f32_e64 s[4:5], v7, v8
	s_and_b64 vcc, exec, s[2:3]
	s_nop 0
	v_cndmask_b32_e64 v7, v9, v7, s[4:5]
	s_cbranch_vccnz .LBB519_20
; %bb.19:
	global_load_dword v8, v18, s[42:43] offset:28
	s_waitcnt vmcnt(0)
	v_add_f32_e32 v7, v7, v8
.LBB519_20:
	s_waitcnt vmcnt(0)
	v_lshlrev_b32_e32 v8, 16, v12
	v_mul_f32_e32 v9, 0x3fb8aa3b, v8
	v_exp_f32_e32 v9, v9
	v_mov_b32_e32 v10, 0x4f800000
	v_add_f32_e32 v9, 1.0, v9
	v_cmp_gt_f32_e32 vcc, s10, v9
	s_nop 1
	v_cndmask_b32_e32 v11, 1.0, v10, vcc
	v_mul_f32_e32 v9, v9, v11
	v_log_f32_e32 v9, v9
	s_nop 0
	v_mul_f32_e32 v11, 0x3f317217, v9
	v_fma_f32 v11, v9, s7, -v11
	v_fmac_f32_e32 v11, 0x3377d1cf, v9
	v_fmac_f32_e32 v11, 0x3f317217, v9
	v_cmp_lt_f32_e64 s[4:5], |v9|, s8
	s_nop 1
	v_cndmask_b32_e64 v9, v9, v11, s[4:5]
	v_mov_b32_e32 v11, 0x41b17218
	v_cndmask_b32_e32 v19, 0, v11, vcc
	v_sub_f32_e32 v9, v9, v19
	v_cmp_lt_f32_e32 vcc, s6, v8
	s_nop 1
	v_cndmask_b32_e32 v8, v9, v8, vcc
	v_mul_f32_e32 v9, 0x4f800000, v8
	v_cmp_gt_f32_e32 vcc, s9, v8
	s_nop 1
	v_cndmask_b32_e32 v8, v8, v9, vcc
	v_sqrt_f32_e32 v9, v8
	s_nop 0
	v_add_u32_e32 v19, -1, v9
	v_fma_f32 v21, -v19, v9, v8
	v_cmp_ge_f32_e64 s[4:5], 0, v21
	v_add_u32_e32 v21, 1, v9
	s_nop 0
	v_cndmask_b32_e64 v19, v9, v19, s[4:5]
	v_fma_f32 v9, -v21, v9, v8
	v_cmp_lt_f32_e64 s[4:5], 0, v9
	s_nop 1
	v_cndmask_b32_e64 v9, v19, v21, s[4:5]
	v_mul_f32_e32 v19, 0x37800000, v9
	v_cndmask_b32_e32 v19, v9, v19, vcc
	v_mov_b32_e32 v9, 0x260
	v_cmp_class_f32_e64 s[4:5], v8, v9
	s_and_b64 vcc, exec, s[2:3]
	s_nop 0
	v_cndmask_b32_e64 v8, v19, v8, s[4:5]
	s_cbranch_vccnz .LBB519_22
; %bb.21:
	global_load_dword v19, v18, s[42:43] offset:1024
	s_waitcnt vmcnt(0)
	v_add_f32_e32 v8, v8, v19
.LBB519_22:
	v_and_b32_e32 v12, 0xffff0000, v12
	v_mul_f32_e32 v19, 0x3fb8aa3b, v12
	v_exp_f32_e32 v19, v19
	s_nop 0
	v_add_f32_e32 v19, 1.0, v19
	v_cmp_gt_f32_e32 vcc, s10, v19
	s_nop 1
	v_cndmask_b32_e32 v10, 1.0, v10, vcc
	v_mul_f32_e32 v10, v19, v10
	v_log_f32_e32 v10, v10
	v_cndmask_b32_e32 v11, 0, v11, vcc
	v_mul_f32_e32 v19, 0x3f317217, v10
	v_fma_f32 v19, v10, s7, -v19
	v_fmac_f32_e32 v19, 0x3377d1cf, v10
	v_fmac_f32_e32 v19, 0x3f317217, v10
	v_cmp_lt_f32_e64 vcc, |v10|, s8
	s_nop 1
	v_cndmask_b32_e32 v10, v10, v19, vcc
	v_sub_f32_e32 v10, v10, v11
	v_cmp_lt_f32_e32 vcc, s6, v12
	s_nop 1
	v_cndmask_b32_e32 v10, v10, v12, vcc
	v_mul_f32_e32 v11, 0x4f800000, v10
	v_cmp_gt_f32_e32 vcc, s9, v10
	s_nop 1
	v_cndmask_b32_e32 v10, v10, v11, vcc
	v_sqrt_f32_e32 v11, v10
	s_nop 0
	v_add_u32_e32 v12, -1, v11
	v_add_u32_e32 v19, 1, v11
	v_fma_f32 v21, -v12, v11, v10
	v_fma_f32 v22, -v19, v11, v10
	v_cmp_ge_f32_e64 s[4:5], 0, v21
	s_nop 1
	v_cndmask_b32_e64 v11, v11, v12, s[4:5]
	v_cmp_lt_f32_e64 s[4:5], 0, v22
	s_nop 1
	v_cndmask_b32_e64 v11, v11, v19, s[4:5]
	v_mul_f32_e32 v12, 0x37800000, v11
	v_cndmask_b32_e32 v11, v11, v12, vcc
	v_cmp_class_f32_e64 s[4:5], v10, v9
	s_and_b64 vcc, exec, s[2:3]
	s_nop 0
	v_cndmask_b32_e64 v9, v11, v10, s[4:5]
	s_cbranch_vccnz .LBB519_24
; %bb.23:
	global_load_dword v10, v18, s[42:43] offset:1028
	s_waitcnt vmcnt(0)
	v_add_f32_e32 v9, v9, v10
.LBB519_24:
	v_lshlrev_b32_e32 v10, 16, v13
	v_mul_f32_e32 v11, 0x3fb8aa3b, v10
	v_exp_f32_e32 v11, v11
	v_mov_b32_e32 v12, 0x4f800000
	v_add_f32_e32 v11, 1.0, v11
	v_cmp_gt_f32_e32 vcc, s10, v11
	s_nop 1
	v_cndmask_b32_e32 v19, 1.0, v12, vcc
	v_mul_f32_e32 v11, v11, v19
	v_log_f32_e32 v11, v11
	s_nop 0
	v_mul_f32_e32 v19, 0x3f317217, v11
	v_fma_f32 v19, v11, s7, -v19
	v_fmac_f32_e32 v19, 0x3377d1cf, v11
	v_fmac_f32_e32 v19, 0x3f317217, v11
	v_cmp_lt_f32_e64 s[4:5], |v11|, s8
	s_nop 1
	v_cndmask_b32_e64 v11, v11, v19, s[4:5]
	v_mov_b32_e32 v19, 0x41b17218
	v_cndmask_b32_e32 v21, 0, v19, vcc
	v_sub_f32_e32 v11, v11, v21
	v_cmp_lt_f32_e32 vcc, s6, v10
	s_nop 1
	v_cndmask_b32_e32 v10, v11, v10, vcc
	v_mul_f32_e32 v11, 0x4f800000, v10
	v_cmp_gt_f32_e32 vcc, s9, v10
	s_nop 1
	v_cndmask_b32_e32 v10, v10, v11, vcc
	v_sqrt_f32_e32 v11, v10
	s_nop 0
	v_add_u32_e32 v21, -1, v11
	v_fma_f32 v22, -v21, v11, v10
	v_cmp_ge_f32_e64 s[4:5], 0, v22
	v_add_u32_e32 v22, 1, v11
	s_nop 0
	v_cndmask_b32_e64 v21, v11, v21, s[4:5]
	v_fma_f32 v11, -v22, v11, v10
	v_cmp_lt_f32_e64 s[4:5], 0, v11
	s_nop 1
	v_cndmask_b32_e64 v11, v21, v22, s[4:5]
	v_mul_f32_e32 v21, 0x37800000, v11
	v_cndmask_b32_e32 v21, v11, v21, vcc
	v_mov_b32_e32 v11, 0x260
	v_cmp_class_f32_e64 s[4:5], v10, v11
	s_and_b64 vcc, exec, s[2:3]
	s_nop 0
	v_cndmask_b32_e64 v10, v21, v10, s[4:5]
	s_cbranch_vccnz .LBB519_26
; %bb.25:
	global_load_dword v21, v18, s[42:43] offset:1032
	s_waitcnt vmcnt(0)
	v_add_f32_e32 v10, v10, v21
.LBB519_26:
	v_and_b32_e32 v13, 0xffff0000, v13
	v_mul_f32_e32 v21, 0x3fb8aa3b, v13
	v_exp_f32_e32 v21, v21
	s_nop 0
	v_add_f32_e32 v21, 1.0, v21
	v_cmp_gt_f32_e32 vcc, s10, v21
	s_nop 1
	v_cndmask_b32_e32 v12, 1.0, v12, vcc
	v_mul_f32_e32 v12, v21, v12
	v_log_f32_e32 v12, v12
	v_cndmask_b32_e32 v19, 0, v19, vcc
	v_mul_f32_e32 v21, 0x3f317217, v12
	v_fma_f32 v21, v12, s7, -v21
	v_fmac_f32_e32 v21, 0x3377d1cf, v12
	v_fmac_f32_e32 v21, 0x3f317217, v12
	v_cmp_lt_f32_e64 vcc, |v12|, s8
	s_nop 1
	v_cndmask_b32_e32 v12, v12, v21, vcc
	v_sub_f32_e32 v12, v12, v19
	v_cmp_lt_f32_e32 vcc, s6, v13
	s_nop 1
	v_cndmask_b32_e32 v12, v12, v13, vcc
	v_mul_f32_e32 v13, 0x4f800000, v12
	v_cmp_gt_f32_e32 vcc, s9, v12
	s_nop 1
	v_cndmask_b32_e32 v12, v12, v13, vcc
	v_sqrt_f32_e32 v13, v12
	s_nop 0
	v_add_u32_e32 v19, -1, v13
	v_add_u32_e32 v21, 1, v13
	v_fma_f32 v22, -v19, v13, v12
	v_fma_f32 v23, -v21, v13, v12
	v_cmp_ge_f32_e64 s[4:5], 0, v22
	s_nop 1
	v_cndmask_b32_e64 v13, v13, v19, s[4:5]
	v_cmp_lt_f32_e64 s[4:5], 0, v23
	s_nop 1
	v_cndmask_b32_e64 v13, v13, v21, s[4:5]
	v_mul_f32_e32 v19, 0x37800000, v13
	v_cndmask_b32_e32 v13, v13, v19, vcc
	v_cmp_class_f32_e64 s[4:5], v12, v11
	s_and_b64 vcc, exec, s[2:3]
	s_nop 0
	v_cndmask_b32_e64 v11, v13, v12, s[4:5]
	s_cbranch_vccnz .LBB519_28
; %bb.27:
	global_load_dword v12, v18, s[42:43] offset:1036
	s_waitcnt vmcnt(0)
	v_add_f32_e32 v11, v11, v12
.LBB519_28:
	v_lshlrev_b32_e32 v12, 16, v14
	v_mul_f32_e32 v13, 0x3fb8aa3b, v12
	v_exp_f32_e32 v13, v13
	v_mov_b32_e32 v19, 0x4f800000
	v_add_f32_e32 v13, 1.0, v13
	v_cmp_gt_f32_e32 vcc, s10, v13
	s_nop 1
	v_cndmask_b32_e32 v21, 1.0, v19, vcc
	v_mul_f32_e32 v13, v13, v21
	v_log_f32_e32 v13, v13
	s_nop 0
	v_mul_f32_e32 v21, 0x3f317217, v13
	v_fma_f32 v21, v13, s7, -v21
	v_fmac_f32_e32 v21, 0x3377d1cf, v13
	v_fmac_f32_e32 v21, 0x3f317217, v13
	v_cmp_lt_f32_e64 s[4:5], |v13|, s8
	s_nop 1
	v_cndmask_b32_e64 v13, v13, v21, s[4:5]
	v_mov_b32_e32 v21, 0x41b17218
	v_cndmask_b32_e32 v22, 0, v21, vcc
	v_sub_f32_e32 v13, v13, v22
	v_cmp_lt_f32_e32 vcc, s6, v12
	s_nop 1
	v_cndmask_b32_e32 v12, v13, v12, vcc
	v_mul_f32_e32 v13, 0x4f800000, v12
	v_cmp_gt_f32_e32 vcc, s9, v12
	s_nop 1
	v_cndmask_b32_e32 v12, v12, v13, vcc
	v_sqrt_f32_e32 v13, v12
	s_nop 0
	v_add_u32_e32 v22, -1, v13
	v_fma_f32 v23, -v22, v13, v12
	v_cmp_ge_f32_e64 s[4:5], 0, v23
	v_add_u32_e32 v23, 1, v13
	s_nop 0
	v_cndmask_b32_e64 v22, v13, v22, s[4:5]
	v_fma_f32 v13, -v23, v13, v12
	v_cmp_lt_f32_e64 s[4:5], 0, v13
	s_nop 1
	v_cndmask_b32_e64 v13, v22, v23, s[4:5]
	v_mul_f32_e32 v22, 0x37800000, v13
	v_cndmask_b32_e32 v22, v13, v22, vcc
	v_mov_b32_e32 v13, 0x260
	v_cmp_class_f32_e64 s[4:5], v12, v13
	s_and_b64 vcc, exec, s[2:3]
	s_nop 0
	v_cndmask_b32_e64 v12, v22, v12, s[4:5]
	s_cbranch_vccnz .LBB519_30
; %bb.29:
	global_load_dword v22, v18, s[42:43] offset:1040
	s_waitcnt vmcnt(0)
	v_add_f32_e32 v12, v12, v22
.LBB519_30:
	v_and_b32_e32 v14, 0xffff0000, v14
	v_mul_f32_e32 v22, 0x3fb8aa3b, v14
	v_exp_f32_e32 v22, v22
	s_nop 0
	v_add_f32_e32 v22, 1.0, v22
	v_cmp_gt_f32_e32 vcc, s10, v22
	s_nop 1
	v_cndmask_b32_e32 v19, 1.0, v19, vcc
	v_mul_f32_e32 v19, v22, v19
	v_log_f32_e32 v19, v19
	v_cndmask_b32_e32 v21, 0, v21, vcc
	v_mul_f32_e32 v22, 0x3f317217, v19
	v_fma_f32 v22, v19, s7, -v22
	v_fmac_f32_e32 v22, 0x3377d1cf, v19
	v_fmac_f32_e32 v22, 0x3f317217, v19
	v_cmp_lt_f32_e64 vcc, |v19|, s8
	s_nop 1
	v_cndmask_b32_e32 v19, v19, v22, vcc
	v_sub_f32_e32 v19, v19, v21
	v_cmp_lt_f32_e32 vcc, s6, v14
	s_nop 1
	v_cndmask_b32_e32 v14, v19, v14, vcc
	v_mul_f32_e32 v19, 0x4f800000, v14
	v_cmp_gt_f32_e32 vcc, s9, v14
	s_nop 1
	v_cndmask_b32_e32 v14, v14, v19, vcc
	v_sqrt_f32_e32 v19, v14
	s_nop 0
	v_add_u32_e32 v21, -1, v19
	v_add_u32_e32 v22, 1, v19
	v_fma_f32 v23, -v21, v19, v14
	v_fma_f32 v24, -v22, v19, v14
	v_cmp_ge_f32_e64 s[4:5], 0, v23
	s_nop 1
	v_cndmask_b32_e64 v19, v19, v21, s[4:5]
	v_cmp_lt_f32_e64 s[4:5], 0, v24
	s_nop 1
	v_cndmask_b32_e64 v19, v19, v22, s[4:5]
	v_mul_f32_e32 v21, 0x37800000, v19
	v_cndmask_b32_e32 v19, v19, v21, vcc
	v_cmp_class_f32_e64 s[4:5], v14, v13
	s_and_b64 vcc, exec, s[2:3]
	s_nop 0
	v_cndmask_b32_e64 v13, v19, v14, s[4:5]
	s_cbranch_vccnz .LBB519_32
; %bb.31:
	global_load_dword v14, v18, s[42:43] offset:1044
	s_waitcnt vmcnt(0)
	v_add_f32_e32 v13, v13, v14
.LBB519_32:
	v_lshlrev_b32_e32 v14, 16, v15
	v_mul_f32_e32 v19, 0x3fb8aa3b, v14
	v_exp_f32_e32 v19, v19
	v_mov_b32_e32 v21, 0x4f800000
	v_add_f32_e32 v19, 1.0, v19
	v_cmp_gt_f32_e32 vcc, s10, v19
	s_nop 1
	v_cndmask_b32_e32 v22, 1.0, v21, vcc
	v_mul_f32_e32 v19, v19, v22
	v_log_f32_e32 v19, v19
	s_nop 0
	v_mul_f32_e32 v22, 0x3f317217, v19
	v_fma_f32 v22, v19, s7, -v22
	v_fmac_f32_e32 v22, 0x3377d1cf, v19
	v_fmac_f32_e32 v22, 0x3f317217, v19
	v_cmp_lt_f32_e64 s[4:5], |v19|, s8
	s_nop 1
	v_cndmask_b32_e64 v19, v19, v22, s[4:5]
	v_mov_b32_e32 v22, 0x41b17218
	v_cndmask_b32_e32 v23, 0, v22, vcc
	v_sub_f32_e32 v19, v19, v23
	v_cmp_lt_f32_e32 vcc, s6, v14
	s_nop 1
	v_cndmask_b32_e32 v14, v19, v14, vcc
	v_mul_f32_e32 v19, 0x4f800000, v14
	v_cmp_gt_f32_e32 vcc, s9, v14
	s_nop 1
	v_cndmask_b32_e32 v14, v14, v19, vcc
	v_sqrt_f32_e32 v19, v14
	s_nop 0
	v_add_u32_e32 v23, -1, v19
	v_fma_f32 v24, -v23, v19, v14
	v_cmp_ge_f32_e64 s[4:5], 0, v24
	v_add_u32_e32 v24, 1, v19
	s_nop 0
	v_cndmask_b32_e64 v23, v19, v23, s[4:5]
	v_fma_f32 v19, -v24, v19, v14
	v_cmp_lt_f32_e64 s[4:5], 0, v19
	s_nop 1
	v_cndmask_b32_e64 v19, v23, v24, s[4:5]
	v_mul_f32_e32 v23, 0x37800000, v19
	v_cndmask_b32_e32 v23, v19, v23, vcc
	v_mov_b32_e32 v19, 0x260
	v_cmp_class_f32_e64 s[4:5], v14, v19
	s_and_b64 vcc, exec, s[2:3]
	s_nop 0
	v_cndmask_b32_e64 v14, v23, v14, s[4:5]
	s_cbranch_vccnz .LBB519_34
; %bb.33:
	global_load_dword v23, v18, s[42:43] offset:1048
	s_waitcnt vmcnt(0)
	v_add_f32_e32 v14, v14, v23
.LBB519_34:
	v_and_b32_e32 v15, 0xffff0000, v15
	v_mul_f32_e32 v23, 0x3fb8aa3b, v15
	v_exp_f32_e32 v23, v23
	s_nop 0
	v_add_f32_e32 v23, 1.0, v23
	v_cmp_gt_f32_e32 vcc, s10, v23
	s_nop 1
	v_cndmask_b32_e32 v21, 1.0, v21, vcc
	v_mul_f32_e32 v21, v23, v21
	v_log_f32_e32 v21, v21
	v_cndmask_b32_e32 v22, 0, v22, vcc
	v_mul_f32_e32 v23, 0x3f317217, v21
	v_fma_f32 v23, v21, s7, -v23
	v_fmac_f32_e32 v23, 0x3377d1cf, v21
	v_fmac_f32_e32 v23, 0x3f317217, v21
	v_cmp_lt_f32_e64 vcc, |v21|, s8
	s_nop 1
	v_cndmask_b32_e32 v21, v21, v23, vcc
	v_sub_f32_e32 v21, v21, v22
	v_cmp_lt_f32_e32 vcc, s6, v15
	s_nop 1
	v_cndmask_b32_e32 v15, v21, v15, vcc
	v_mul_f32_e32 v21, 0x4f800000, v15
	v_cmp_gt_f32_e32 vcc, s9, v15
	s_nop 1
	v_cndmask_b32_e32 v15, v15, v21, vcc
	v_sqrt_f32_e32 v21, v15
	s_nop 0
	v_add_u32_e32 v22, -1, v21
	v_add_u32_e32 v23, 1, v21
	v_fma_f32 v24, -v22, v21, v15
	v_fma_f32 v25, -v23, v21, v15
	v_cmp_ge_f32_e64 s[4:5], 0, v24
	s_nop 1
	v_cndmask_b32_e64 v21, v21, v22, s[4:5]
	v_cmp_lt_f32_e64 s[4:5], 0, v25
	s_nop 1
	v_cndmask_b32_e64 v21, v21, v23, s[4:5]
	v_mul_f32_e32 v22, 0x37800000, v21
	v_cndmask_b32_e32 v21, v21, v22, vcc
	v_cmp_class_f32_e64 s[4:5], v15, v19
	s_and_b64 vcc, exec, s[2:3]
	s_nop 0
	v_cndmask_b32_e64 v15, v21, v15, s[4:5]
	s_cbranch_vccnz .LBB519_36
; %bb.35:
	global_load_dword v18, v18, s[42:43] offset:1052
	s_waitcnt vmcnt(0)
	v_add_f32_e32 v15, v15, v18
.LBB519_36:
	s_load_dwordx4 s[44:47], s[0:1], 0x30
	s_mov_b32 s58, 0
	v_cmp_eq_u32_e64 s[6:7], 0, v17
	s_waitcnt lgkmcnt(0)
	s_bitcmp1_b32 s47, 0
	s_cselect_b64 s[4:5], -1, 0
	s_cmp_gt_i32 s44, 0
	s_cselect_b64 s[54:55], -1, 0
	s_and_b64 vcc, exec, s[54:55]
	s_cbranch_vccz .LBB519_67
; %bb.37:
	v_mbcnt_lo_u32_b32 v18, -1, 0
	v_mbcnt_hi_u32_b32 v18, -1, v18
	v_and_b32_e32 v19, 0x60, v18
	v_add_u32_e32 v19, 32, v19
	v_xor_b32_e32 v21, 16, v18
	v_cmp_lt_i32_e32 vcc, v21, v19
	s_load_dwordx4 s[48:51], s[0:1], 0x20
	v_mul_lo_u32 v22, v16, s44
	v_cndmask_b32_e32 v21, v18, v21, vcc
	v_lshlrev_b32_e32 v23, 2, v21
	v_xor_b32_e32 v21, 8, v18
	v_cmp_lt_i32_e32 vcc, v21, v19
	v_mov_b32_e32 v28, 0x100
	v_mov_b32_e32 v29, 0x101
	v_cndmask_b32_e32 v21, v18, v21, vcc
	v_lshlrev_b32_e32 v24, 2, v21
	v_xor_b32_e32 v21, 4, v18
	v_cmp_lt_i32_e32 vcc, v21, v19
	v_bfrev_b32_e32 v30, 4.0
	v_bfrev_b32_e32 v31, -4.0
	v_cndmask_b32_e32 v21, v18, v21, vcc
	v_lshlrev_b32_e32 v25, 2, v21
	v_xor_b32_e32 v21, 2, v18
	v_cmp_lt_i32_e32 vcc, v21, v19
	v_mov_b32_e32 v32, 0x104
	v_mov_b32_e32 v33, 0x105
	v_cndmask_b32_e32 v21, v18, v21, vcc
	v_lshlrev_b32_e32 v26, 2, v21
	v_xor_b32_e32 v21, 1, v18
	v_cmp_lt_i32_e32 vcc, v21, v19
	v_mov_b32_e32 v34, 0x106
	v_mov_b32_e32 v35, 0x107
	v_cndmask_b32_e32 v18, v18, v21, vcc
	v_lshlrev_b32_e32 v27, 2, v18
	v_mov_b32_e32 v21, 0
	v_mov_b32_e32 v36, 0x200
	;; [unrolled: 1-line block ×4, first 2 shown]
	s_branch .LBB519_40
.LBB519_38:                             ;   in Loop: Header=BB519_40 Depth=1
	s_or_b64 exec, exec, s[56:57]
.LBB519_39:                             ;   in Loop: Header=BB519_40 Depth=1
	s_cmp_eq_u32 s44, s58
	v_add_u32_e32 v38, s33, v38
	s_cbranch_scc1 .LBB519_68
.LBB519_40:                             ; =>This Inner Loop Header: Depth=1
	v_cmp_gt_f32_e32 vcc, v1, v0
	s_nop 1
	v_cndmask_b32_e32 v19, v0, v1, vcc
	v_cndmask_b32_e64 v18, 0, 1, vcc
	v_cmp_gt_f32_e32 vcc, v2, v19
	s_nop 1
	v_cndmask_b32_e32 v19, v19, v2, vcc
	v_cndmask_b32_e64 v18, v18, 2, vcc
	;; [unrolled: 4-line block ×7, first 2 shown]
	v_cmp_gt_f32_e32 vcc, v8, v19
	s_nop 1
	v_cndmask_b32_e32 v19, v19, v8, vcc
	v_cndmask_b32_e32 v18, v18, v28, vcc
	v_cmp_gt_f32_e32 vcc, v9, v19
	s_nop 1
	v_cndmask_b32_e32 v19, v19, v9, vcc
	v_cndmask_b32_e32 v18, v18, v29, vcc
	;; [unrolled: 4-line block ×8, first 2 shown]
	ds_bpermute_b32 v19, v23, v39
	v_or_b32_e32 v18, v20, v18
	s_waitcnt lgkmcnt(0)
	ds_bpermute_b32 v40, v23, v18
	s_waitcnt lgkmcnt(0)
	v_cmp_lt_f32_e64 s[8:9], v39, v19
	v_cmp_nlt_f32_e32 vcc, v39, v19
	s_and_saveexec_b64 s[10:11], vcc
; %bb.41:                               ;   in Loop: Header=BB519_40 Depth=1
	v_cmp_eq_f32_e32 vcc, v39, v19
	v_cmp_lt_i32_e64 s[0:1], v40, v18
	s_and_b64 s[0:1], vcc, s[0:1]
	s_andn2_b64 s[8:9], s[8:9], exec
	s_and_b64 s[0:1], s[0:1], exec
	s_or_b64 s[8:9], s[8:9], s[0:1]
; %bb.42:                               ;   in Loop: Header=BB519_40 Depth=1
	s_or_b64 exec, exec, s[10:11]
	s_and_saveexec_b64 s[0:1], s[8:9]
; %bb.43:                               ;   in Loop: Header=BB519_40 Depth=1
	v_mov_b32_e32 v39, v19
	v_mov_b32_e32 v18, v40
; %bb.44:                               ;   in Loop: Header=BB519_40 Depth=1
	s_or_b64 exec, exec, s[0:1]
	ds_bpermute_b32 v19, v24, v39
	ds_bpermute_b32 v40, v24, v18
	s_waitcnt lgkmcnt(1)
	v_cmp_lt_f32_e64 s[8:9], v39, v19
	v_cmp_nlt_f32_e32 vcc, v39, v19
	s_and_saveexec_b64 s[10:11], vcc
	s_cbranch_execz .LBB519_46
; %bb.45:                               ;   in Loop: Header=BB519_40 Depth=1
	v_cmp_eq_f32_e32 vcc, v39, v19
	s_waitcnt lgkmcnt(0)
	v_cmp_lt_i32_e64 s[0:1], v40, v18
	s_and_b64 s[0:1], vcc, s[0:1]
	s_andn2_b64 s[8:9], s[8:9], exec
	s_and_b64 s[0:1], s[0:1], exec
	s_or_b64 s[8:9], s[8:9], s[0:1]
.LBB519_46:                             ;   in Loop: Header=BB519_40 Depth=1
	s_or_b64 exec, exec, s[10:11]
	s_and_saveexec_b64 s[0:1], s[8:9]
	s_cbranch_execz .LBB519_48
; %bb.47:                               ;   in Loop: Header=BB519_40 Depth=1
	v_mov_b32_e32 v39, v19
	s_waitcnt lgkmcnt(0)
	v_mov_b32_e32 v18, v40
.LBB519_48:                             ;   in Loop: Header=BB519_40 Depth=1
	s_or_b64 exec, exec, s[0:1]
	ds_bpermute_b32 v19, v25, v39
	s_waitcnt lgkmcnt(1)
	ds_bpermute_b32 v40, v25, v18
	s_waitcnt lgkmcnt(1)
	v_cmp_lt_f32_e64 s[8:9], v39, v19
	v_cmp_nlt_f32_e32 vcc, v39, v19
	s_and_saveexec_b64 s[10:11], vcc
	s_cbranch_execz .LBB519_50
; %bb.49:                               ;   in Loop: Header=BB519_40 Depth=1
	v_cmp_eq_f32_e32 vcc, v39, v19
	s_waitcnt lgkmcnt(0)
	v_cmp_lt_i32_e64 s[0:1], v40, v18
	s_and_b64 s[0:1], vcc, s[0:1]
	s_andn2_b64 s[8:9], s[8:9], exec
	s_and_b64 s[0:1], s[0:1], exec
	s_or_b64 s[8:9], s[8:9], s[0:1]
.LBB519_50:                             ;   in Loop: Header=BB519_40 Depth=1
	s_or_b64 exec, exec, s[10:11]
	s_and_saveexec_b64 s[0:1], s[8:9]
	s_cbranch_execz .LBB519_52
; %bb.51:                               ;   in Loop: Header=BB519_40 Depth=1
	v_mov_b32_e32 v39, v19
	s_waitcnt lgkmcnt(0)
	v_mov_b32_e32 v18, v40
.LBB519_52:                             ;   in Loop: Header=BB519_40 Depth=1
	s_or_b64 exec, exec, s[0:1]
	ds_bpermute_b32 v19, v26, v39
	s_waitcnt lgkmcnt(1)
	;; [unrolled: 26-line block ×3, first 2 shown]
	ds_bpermute_b32 v40, v27, v18
	s_waitcnt lgkmcnt(1)
	v_cmp_lt_f32_e64 s[8:9], v39, v19
	v_cmp_nlt_f32_e32 vcc, v39, v19
	s_and_saveexec_b64 s[10:11], vcc
	s_cbranch_execnz .LBB519_60
; %bb.57:                               ;   in Loop: Header=BB519_40 Depth=1
	s_or_b64 exec, exec, s[10:11]
	s_and_saveexec_b64 s[0:1], s[8:9]
	s_cbranch_execnz .LBB519_61
.LBB519_58:                             ;   in Loop: Header=BB519_40 Depth=1
	s_or_b64 exec, exec, s[0:1]
	s_and_saveexec_b64 s[8:9], s[6:7]
	s_cbranch_execnz .LBB519_62
.LBB519_59:                             ;   in Loop: Header=BB519_40 Depth=1
	s_or_b64 exec, exec, s[8:9]
	s_add_i32 s58, s58, 1
	s_cmp_ge_i32 s58, s44
	s_cbranch_scc1 .LBB519_39
	s_branch .LBB519_65
.LBB519_60:                             ;   in Loop: Header=BB519_40 Depth=1
	v_cmp_eq_f32_e32 vcc, v39, v19
	s_waitcnt lgkmcnt(0)
	v_cmp_lt_i32_e64 s[0:1], v40, v18
	s_and_b64 s[0:1], vcc, s[0:1]
	s_andn2_b64 s[8:9], s[8:9], exec
	s_and_b64 s[0:1], s[0:1], exec
	s_or_b64 s[8:9], s[8:9], s[0:1]
	s_or_b64 exec, exec, s[10:11]
	s_and_saveexec_b64 s[0:1], s[8:9]
	s_cbranch_execz .LBB519_58
.LBB519_61:                             ;   in Loop: Header=BB519_40 Depth=1
	s_waitcnt lgkmcnt(0)
	v_mov_b32_e32 v18, v40
	v_mov_b32_e32 v39, v19
	s_or_b64 exec, exec, s[0:1]
	s_and_saveexec_b64 s[8:9], s[6:7]
	s_cbranch_execz .LBB519_59
.LBB519_62:                             ;   in Loop: Header=BB519_40 Depth=1
	s_and_b64 vcc, exec, s[2:3]
	s_cbranch_vccnz .LBB519_64
; %bb.63:                               ;   in Loop: Header=BB519_40 Depth=1
	v_ashrrev_i32_e32 v19, 31, v18
	s_waitcnt lgkmcnt(0)
	v_lshl_add_u64 v[40:41], v[18:19], 2, s[42:43]
	global_load_dword v19, v[40:41], off
	s_waitcnt vmcnt(0)
	v_sub_f32_e32 v39, v39, v19
.LBB519_64:                             ;   in Loop: Header=BB519_40 Depth=1
	s_waitcnt lgkmcnt(0)
	v_add_u32_e32 v40, s58, v22
	v_ashrrev_i32_e32 v41, 31, v40
	v_cmp_le_i32_e32 vcc, s45, v18
	v_cmp_gt_i32_e64 s[0:1], s46, v18
	v_lshlrev_b64 v[42:43], 2, v[40:41]
	s_and_b64 s[0:1], vcc, s[0:1]
	v_lshl_add_u64 v[44:45], s[38:39], 0, v[42:43]
	v_subrev_u32_e32 v19, s45, v18
	global_store_dword v[44:45], v39, off
	v_ashrrev_i32_e32 v44, 31, v19
	s_and_b64 vcc, s[52:53], s[0:1]
	v_cndmask_b32_e32 v45, 0, v44, vcc
	v_cndmask_b32_e32 v44, v36, v19, vcc
	v_lshl_add_u64 v[40:41], v[40:41], 3, s[48:49]
	v_add_f32_e32 v19, v21, v39
	global_store_dwordx2 v[40:41], v[44:45], off
	v_lshl_add_u64 v[40:41], s[50:51], 0, v[42:43]
	v_cndmask_b32_e64 v21, v21, v19, s[4:5]
	global_store_dword v[40:41], v38, off
	s_or_b64 exec, exec, s[8:9]
	s_add_i32 s58, s58, 1
	s_cmp_ge_i32 s58, s44
	s_cbranch_scc1 .LBB519_39
.LBB519_65:                             ;   in Loop: Header=BB519_40 Depth=1
	v_ashrrev_i32_e32 v19, 31, v18
	v_lshrrev_b32_e32 v39, 29, v19
	s_waitcnt lgkmcnt(0)
	v_add_u32_e32 v40, v18, v39
	v_ashrrev_i32_e32 v39, 3, v40
	v_ashrrev_i32_e32 v40, 31, v40
	v_lshrrev_b32_e32 v40, 27, v40
	v_add_u32_e32 v40, v39, v40
	v_and_b32_e32 v40, 0xffffffe0, v40
	v_sub_u32_e32 v40, v39, v40
	v_cmp_eq_u32_e32 vcc, v17, v40
	s_and_saveexec_b64 s[56:57], vcc
	s_cbranch_execz .LBB519_38
; %bb.66:                               ;   in Loop: Header=BB519_40 Depth=1
	v_add_u32_sdwa v19, v18, v19 dst_sel:DWORD dst_unused:UNUSED_PAD src0_sel:DWORD src1_sel:BYTE_3
	v_lshlrev_b32_e32 v39, 3, v39
	v_sub_u32_e32 v18, v18, v39
	v_ashrrev_i32_e32 v19, 8, v19
	v_lshl_add_u32 v18, v19, 3, v18
	v_cmp_ne_u32_e32 vcc, 14, v18
	v_cmp_ne_u32_e64 s[0:1], 13, v18
	v_cmp_ne_u32_e64 s[8:9], 12, v18
	;; [unrolled: 1-line block ×15, first 2 shown]
	v_cndmask_b32_e32 v14, v37, v14, vcc
	v_cndmask_b32_e64 v13, v37, v13, s[0:1]
	v_cndmask_b32_e64 v15, v37, v15, s[36:37]
	;; [unrolled: 1-line block ×15, first 2 shown]
	s_branch .LBB519_38
.LBB519_67:
	v_mov_b32_e32 v21, 0
.LBB519_68:
	v_cmp_eq_u32_e32 vcc, 0, v17
	s_and_b64 exec, exec, vcc
	s_cbranch_execz .LBB519_81
; %bb.69:
	s_andn2_b64 vcc, exec, s[4:5]
	v_cvt_f32_f64_e32 v0, s[40:41]
	s_cbranch_vccnz .LBB519_71
; %bb.70:
	v_cmp_lt_f32_e32 vcc, 0, v21
	s_nop 1
	v_cndmask_b32_e32 v1, 1.0, v21, vcc
	v_div_scale_f32 v2, s[0:1], v1, v1, v0
	v_rcp_f32_e32 v3, v2
	s_nop 0
	v_fma_f32 v4, -v2, v3, 1.0
	v_fmac_f32_e32 v3, v4, v3
	v_div_scale_f32 v4, vcc, v0, v1, v0
	v_mul_f32_e32 v5, v4, v3
	v_fma_f32 v6, -v2, v5, v4
	v_fmac_f32_e32 v5, v6, v3
	v_fma_f32 v2, -v2, v5, v4
	v_div_fmas_f32 v2, v2, v3, v5
	v_div_fixup_f32 v0, v2, v1, v0
.LBB519_71:
	s_andn2_b64 vcc, exec, s[54:55]
	s_cbranch_vccnz .LBB519_81
; %bb.72:
	v_mul_lo_u32 v2, v16, s44
	s_cmp_gt_u32 s44, 3
	v_ashrrev_i32_e32 v3, 31, v2
	s_cbranch_scc0 .LBB519_76
; %bb.73:
	s_and_b32 s0, s44, 0x7ffffffc
	v_lshl_add_u64 v[4:5], v[2:3], 2, s[38:39]
	v_mov_b32_e32 v1, v0
	v_lshl_add_u64 v[4:5], v[4:5], 0, 8
	s_mov_b32 s1, s0
.LBB519_74:                             ; =>This Inner Loop Header: Depth=1
	global_load_dwordx4 v[6:9], v[4:5], off offset:-8
	s_add_i32 s1, s1, -4
	s_cmp_lg_u32 s1, 0
	s_waitcnt vmcnt(0)
	v_pk_mul_f32 v[6:7], v[0:1], v[6:7]
	v_pk_mul_f32 v[8:9], v[0:1], v[8:9]
	global_store_dwordx4 v[4:5], v[6:9], off offset:-8
	v_lshl_add_u64 v[4:5], v[4:5], 0, 16
	s_cbranch_scc1 .LBB519_74
; %bb.75:
	s_cmp_lg_u32 s0, s44
	s_cselect_b64 s[2:3], -1, 0
	s_branch .LBB519_78
.LBB519_76:
	s_mov_b64 s[2:3], 0
                                        ; implicit-def: $sgpr0
	s_cbranch_execz .LBB519_78
; %bb.77:
	s_mov_b64 s[2:3], -1
	s_mov_b32 s0, 0
.LBB519_78:
	s_andn2_b64 vcc, exec, s[2:3]
	s_cbranch_vccnz .LBB519_81
; %bb.79:
	s_mov_b32 s1, 0
	v_lshl_add_u64 v[2:3], v[2:3], 0, s[0:1]
	s_sub_i32 s2, s44, s0
	v_lshl_add_u64 v[2:3], v[2:3], 2, s[38:39]
.LBB519_80:                             ; =>This Inner Loop Header: Depth=1
	global_load_dword v1, v[2:3], off
	s_add_i32 s2, s2, -1
	s_cmp_lg_u32 s2, 0
	s_waitcnt vmcnt(0)
	v_mul_f32_e32 v1, v0, v1
	global_store_dword v[2:3], v1, off
	v_lshl_add_u64 v[2:3], v[2:3], 0, 4
	s_cbranch_scc1 .LBB519_80
.LBB519_81:
	s_endpgm
	.section	.rodata,"a",@progbits
	.p2align	6, 0x0
	.amdhsa_kernel _ZN4vllm3moe22topkGatingSoftplusSqrtILi16ELi512ELi4ELi16ELi32ELb0El14__hip_bfloat16EEvPKT6_PKbPfiPT5_PiiiibdPKfPKS9_SF_
		.amdhsa_group_segment_fixed_size 0
		.amdhsa_private_segment_fixed_size 0
		.amdhsa_kernarg_size 96
		.amdhsa_user_sgpr_count 2
		.amdhsa_user_sgpr_dispatch_ptr 0
		.amdhsa_user_sgpr_queue_ptr 0
		.amdhsa_user_sgpr_kernarg_segment_ptr 1
		.amdhsa_user_sgpr_dispatch_id 0
		.amdhsa_user_sgpr_kernarg_preload_length 0
		.amdhsa_user_sgpr_kernarg_preload_offset 0
		.amdhsa_user_sgpr_private_segment_size 0
		.amdhsa_uses_dynamic_stack 0
		.amdhsa_enable_private_segment 0
		.amdhsa_system_sgpr_workgroup_id_x 1
		.amdhsa_system_sgpr_workgroup_id_y 0
		.amdhsa_system_sgpr_workgroup_id_z 0
		.amdhsa_system_sgpr_workgroup_info 0
		.amdhsa_system_vgpr_workitem_id 1
		.amdhsa_next_free_vgpr 46
		.amdhsa_next_free_sgpr 59
		.amdhsa_accum_offset 48
		.amdhsa_reserve_vcc 1
		.amdhsa_float_round_mode_32 0
		.amdhsa_float_round_mode_16_64 0
		.amdhsa_float_denorm_mode_32 3
		.amdhsa_float_denorm_mode_16_64 3
		.amdhsa_dx10_clamp 1
		.amdhsa_ieee_mode 1
		.amdhsa_fp16_overflow 0
		.amdhsa_tg_split 0
		.amdhsa_exception_fp_ieee_invalid_op 0
		.amdhsa_exception_fp_denorm_src 0
		.amdhsa_exception_fp_ieee_div_zero 0
		.amdhsa_exception_fp_ieee_overflow 0
		.amdhsa_exception_fp_ieee_underflow 0
		.amdhsa_exception_fp_ieee_inexact 0
		.amdhsa_exception_int_div_zero 0
	.end_amdhsa_kernel
	.section	.text._ZN4vllm3moe22topkGatingSoftplusSqrtILi16ELi512ELi4ELi16ELi32ELb0El14__hip_bfloat16EEvPKT6_PKbPfiPT5_PiiiibdPKfPKS9_SF_,"axG",@progbits,_ZN4vllm3moe22topkGatingSoftplusSqrtILi16ELi512ELi4ELi16ELi32ELb0El14__hip_bfloat16EEvPKT6_PKbPfiPT5_PiiiibdPKfPKS9_SF_,comdat
.Lfunc_end519:
	.size	_ZN4vllm3moe22topkGatingSoftplusSqrtILi16ELi512ELi4ELi16ELi32ELb0El14__hip_bfloat16EEvPKT6_PKbPfiPT5_PiiiibdPKfPKS9_SF_, .Lfunc_end519-_ZN4vllm3moe22topkGatingSoftplusSqrtILi16ELi512ELi4ELi16ELi32ELb0El14__hip_bfloat16EEvPKT6_PKbPfiPT5_PiiiibdPKfPKS9_SF_
                                        ; -- End function
	.section	.AMDGPU.csdata,"",@progbits
; Kernel info:
; codeLenInByte = 6656
; NumSgprs: 65
; NumVgprs: 46
; NumAgprs: 0
; TotalNumVgprs: 46
; ScratchSize: 0
; MemoryBound: 0
; FloatMode: 240
; IeeeMode: 1
; LDSByteSize: 0 bytes/workgroup (compile time only)
; SGPRBlocks: 8
; VGPRBlocks: 5
; NumSGPRsForWavesPerEU: 65
; NumVGPRsForWavesPerEU: 46
; AccumOffset: 48
; Occupancy: 8
; WaveLimiterHint : 1
; COMPUTE_PGM_RSRC2:SCRATCH_EN: 0
; COMPUTE_PGM_RSRC2:USER_SGPR: 2
; COMPUTE_PGM_RSRC2:TRAP_HANDLER: 0
; COMPUTE_PGM_RSRC2:TGID_X_EN: 1
; COMPUTE_PGM_RSRC2:TGID_Y_EN: 0
; COMPUTE_PGM_RSRC2:TGID_Z_EN: 0
; COMPUTE_PGM_RSRC2:TIDIG_COMP_CNT: 1
; COMPUTE_PGM_RSRC3_GFX90A:ACCUM_OFFSET: 11
; COMPUTE_PGM_RSRC3_GFX90A:TG_SPLIT: 0
	.section	.text._ZN4vllm3moe22topkGatingSoftplusSqrtILi3ELi192ELi4ELi2ELi64ELb1El14__hip_bfloat16EEvPKT6_PKbPfiPT5_PiiiibdPKfPKS9_SF_,"axG",@progbits,_ZN4vllm3moe22topkGatingSoftplusSqrtILi3ELi192ELi4ELi2ELi64ELb1El14__hip_bfloat16EEvPKT6_PKbPfiPT5_PiiiibdPKfPKS9_SF_,comdat
	.protected	_ZN4vllm3moe22topkGatingSoftplusSqrtILi3ELi192ELi4ELi2ELi64ELb1El14__hip_bfloat16EEvPKT6_PKbPfiPT5_PiiiibdPKfPKS9_SF_ ; -- Begin function _ZN4vllm3moe22topkGatingSoftplusSqrtILi3ELi192ELi4ELi2ELi64ELb1El14__hip_bfloat16EEvPKT6_PKbPfiPT5_PiiiibdPKfPKS9_SF_
	.globl	_ZN4vllm3moe22topkGatingSoftplusSqrtILi3ELi192ELi4ELi2ELi64ELb1El14__hip_bfloat16EEvPKT6_PKbPfiPT5_PiiiibdPKfPKS9_SF_
	.p2align	8
	.type	_ZN4vllm3moe22topkGatingSoftplusSqrtILi3ELi192ELi4ELi2ELi64ELb1El14__hip_bfloat16EEvPKT6_PKbPfiPT5_PiiiibdPKfPKS9_SF_,@function
_ZN4vllm3moe22topkGatingSoftplusSqrtILi3ELi192ELi4ELi2ELi64ELb1El14__hip_bfloat16EEvPKT6_PKbPfiPT5_PiiiibdPKfPKS9_SF_: ; @_ZN4vllm3moe22topkGatingSoftplusSqrtILi3ELi192ELi4ELi2ELi64ELb1El14__hip_bfloat16EEvPKT6_PKbPfiPT5_PiiiibdPKfPKS9_SF_
; %bb.0:
	s_load_dword s3, s[0:1], 0x18
	v_and_b32_e32 v1, 0x3ff, v0
	s_lshl_b32 s2, s2, 2
	v_lshrrev_b32_e32 v2, 6, v1
	v_bfe_u32 v0, v0, 10, 10
	v_add3_u32 v2, s2, v0, v2
	s_waitcnt lgkmcnt(0)
	v_cmp_gt_i32_e32 vcc, s3, v2
	s_and_saveexec_b64 s[2:3], vcc
	s_cbranch_execz .LBB520_69
; %bb.1:
	s_load_dwordx4 s[4:7], s[0:1], 0x50
	s_load_dwordx2 s[2:3], s[0:1], 0x0
	s_load_dword s8, s[0:1], 0x30
	s_movk_i32 s9, 0xc0
	v_mul_lo_u32 v4, v2, s9
	v_ashrrev_i32_e32 v5, 31, v4
	v_and_b32_e32 v14, 63, v1
	s_waitcnt lgkmcnt(0)
	v_lshl_add_u64 v[8:9], v[4:5], 1, s[2:3]
	v_lshlrev_b32_e32 v4, 1, v14
	v_mov_b32_e32 v5, 0
	v_mov_b32_e32 v6, s4
	;; [unrolled: 1-line block ×3, first 2 shown]
	v_lshl_add_u64 v[0:1], v[8:9], 0, v[4:5]
	v_ashrrev_i32_e32 v3, 31, v2
	v_lshl_add_u64 v[6:7], v[2:3], 3, v[6:7]
	global_load_ushort v3, v[0:1], off offset:256
	global_load_dwordx2 v[8:9], v[6:7], off
	global_load_ushort v4, v[0:1], off offset:128
	global_load_ushort v10, v[0:1], off
	s_mov_b32 s4, 0x800000
	s_ashr_i32 s9, s8, 31
	v_mov_b32_e32 v11, 0x4f800000
	v_mov_b32_e32 v12, 0x41b17218
	s_mov_b32 s16, 0x3f317217
	s_mov_b32 s17, 0x7f800000
	;; [unrolled: 1-line block ×4, first 2 shown]
	v_mov_b32_e32 v13, 0x260
	v_cmp_lt_i64_e64 s[14:15], s[8:9], 1
	s_mov_b32 s12, 0
	v_cmp_gt_i64_e64 s[10:11], s[8:9], 0
	v_mul_lo_u32 v2, v2, s8
	s_waitcnt vmcnt(3)
	v_lshlrev_b32_e32 v3, 16, v3
	v_mul_f32_e32 v16, 0x3fb8aa3b, v3
	s_waitcnt vmcnt(1)
	v_lshlrev_b32_e32 v4, 16, v4
	s_waitcnt vmcnt(0)
	v_lshlrev_b32_e32 v10, 16, v10
	v_mul_f32_e32 v0, 0x3fb8aa3b, v10
	v_mul_f32_e32 v1, 0x3fb8aa3b, v4
	v_exp_f32_e32 v6, v0
	v_exp_f32_e32 v7, v1
	;; [unrolled: 1-line block ×3, first 2 shown]
	v_mul_lo_u32 v9, v9, s8
	v_mul_lo_u32 v15, v8, s9
	v_pk_add_f32 v[6:7], v[6:7], 1.0 op_sel_hi:[1,0]
	v_mad_u64_u32 v[0:1], s[2:3], v8, s8, 0
	v_cmp_gt_f32_e32 vcc, s4, v7
	v_add3_u32 v1, v1, v15, v9
	v_add_f32_e32 v8, 1.0, v16
	v_cndmask_b32_e32 v9, 1.0, v11, vcc
	v_cmp_gt_f32_e64 s[2:3], s4, v6
	v_cmp_gt_f32_e64 s[4:5], s4, v8
	v_mul_f32_e32 v7, v7, v9
	v_cndmask_b32_e64 v15, 1.0, v11, s[2:3]
	v_cndmask_b32_e64 v11, 1.0, v11, s[4:5]
	v_mul_f32_e32 v6, v6, v15
	v_log_f32_e32 v7, v7
	v_mul_f32_e32 v8, v8, v11
	v_log_f32_e32 v6, v6
	v_log_f32_e32 v8, v8
	v_cndmask_b32_e32 v9, 0, v12, vcc
	v_cndmask_b32_e64 v15, 0, v12, s[2:3]
	v_cndmask_b32_e64 v11, 0, v12, s[4:5]
	v_mul_f32_e32 v12, 0x3f317217, v7
	v_mul_f32_e32 v16, 0x3f317217, v6
	v_fma_f32 v12, v7, s16, -v12
	v_mul_f32_e32 v17, 0x3f317217, v8
	v_fma_f32 v16, v6, s16, -v16
	v_fmac_f32_e32 v12, 0x3377d1cf, v7
	v_fma_f32 v17, v8, s16, -v17
	v_fmac_f32_e32 v16, 0x3377d1cf, v6
	v_fmac_f32_e32 v12, 0x3f317217, v7
	v_cmp_lt_f32_e64 vcc, |v7|, s17
	v_fmac_f32_e32 v17, 0x3377d1cf, v8
	v_fmac_f32_e32 v16, 0x3f317217, v6
	v_cndmask_b32_e32 v7, v7, v12, vcc
	v_cmp_lt_f32_e64 vcc, |v6|, s17
	v_fmac_f32_e32 v17, 0x3f317217, v8
	v_sub_f32_e32 v7, v7, v9
	v_cndmask_b32_e32 v6, v6, v16, vcc
	v_cmp_lt_f32_e64 vcc, |v8|, s17
	v_sub_f32_e32 v6, v6, v15
	s_nop 0
	v_cndmask_b32_e32 v8, v8, v17, vcc
	v_cmp_lt_f32_e32 vcc, s13, v10
	v_sub_f32_e32 v8, v8, v11
	s_nop 0
	v_cndmask_b32_e32 v6, v6, v10, vcc
	v_cmp_lt_f32_e32 vcc, s13, v4
	v_cmp_gt_f32_e64 s[2:3], s18, v6
	s_nop 0
	v_cndmask_b32_e32 v4, v7, v4, vcc
	v_cmp_lt_f32_e32 vcc, s13, v3
	v_mul_f32_e32 v7, 0x4f800000, v4
	s_nop 0
	v_cndmask_b32_e32 v3, v8, v3, vcc
	v_cmp_gt_f32_e32 vcc, s18, v4
	v_mul_f32_e32 v8, 0x4f800000, v6
	v_cndmask_b32_e64 v6, v6, v8, s[2:3]
	v_cndmask_b32_e32 v4, v4, v7, vcc
	v_sqrt_f32_e32 v7, v4
	v_sqrt_f32_e32 v8, v6
	v_mul_f32_e32 v9, 0x4f800000, v3
	v_add_u32_e32 v10, -1, v7
	v_add_u32_e32 v12, -1, v8
	v_fma_f32 v16, -v10, v7, v4
	v_add_u32_e32 v11, 1, v7
	v_fma_f32 v18, -v12, v8, v6
	v_cmp_ge_f32_e64 s[4:5], 0, v16
	v_add_u32_e32 v15, 1, v8
	v_fma_f32 v17, -v11, v7, v4
	v_cndmask_b32_e64 v7, v7, v10, s[4:5]
	v_cmp_ge_f32_e64 s[4:5], 0, v18
	v_fma_f32 v19, -v15, v8, v6
	s_nop 0
	v_cndmask_b32_e64 v8, v8, v12, s[4:5]
	v_cmp_lt_f32_e64 s[4:5], 0, v17
	s_nop 1
	v_cndmask_b32_e64 v7, v7, v11, s[4:5]
	v_mul_f32_e32 v10, 0x37800000, v7
	v_cmp_lt_f32_e64 s[4:5], 0, v19
	v_cndmask_b32_e32 v7, v7, v10, vcc
	v_cmp_class_f32_e32 vcc, v4, v13
	v_cndmask_b32_e64 v8, v8, v15, s[4:5]
	v_mul_f32_e32 v11, 0x37800000, v8
	v_cndmask_b32_e32 v15, v7, v4, vcc
	v_cmp_gt_f32_e32 vcc, s18, v3
	v_cndmask_b32_e64 v7, v8, v11, s[2:3]
	v_cmp_class_f32_e64 s[2:3], v6, v13
	v_cndmask_b32_e32 v3, v3, v9, vcc
	v_sqrt_f32_e32 v4, v3
	v_cndmask_b32_e64 v16, v7, v6, s[2:3]
	v_add_u32_e32 v6, -1, v4
	v_fma_f32 v7, -v6, v4, v3
	v_cmp_ge_f32_e64 s[2:3], 0, v7
	v_add_u32_e32 v7, 1, v4
	s_nop 0
	v_cndmask_b32_e64 v6, v4, v6, s[2:3]
	v_fma_f32 v4, -v7, v4, v3
	v_cmp_lt_f32_e64 s[2:3], 0, v4
	s_nop 1
	v_cndmask_b32_e64 v4, v6, v7, s[2:3]
	v_mul_f32_e32 v6, 0x37800000, v4
	v_cndmask_b32_e32 v4, v4, v6, vcc
	v_cmp_class_f32_e32 vcc, v3, v13
	s_nop 1
	v_cndmask_b32_e32 v17, v4, v3, vcc
	s_and_b64 vcc, exec, s[14:15]
	s_cbranch_vccnz .LBB520_28
; %bb.2:
	s_load_dwordx2 s[4:5], s[0:1], 0x20
	v_lshl_add_u64 v[6:7], v[0:1], 3, s[6:7]
	s_cmp_lt_u32 s8, 4
	v_sub_u32_e32 v4, 0, v14
	s_cbranch_scc1 .LBB520_21
; %bb.3:
	s_mov_b32 s15, 0
	s_and_b32 s12, s8, 0x7ffffffc
	v_ashrrev_i32_e32 v3, 31, v2
	v_mov_b32_e32 v5, 0
	s_mov_b32 s14, s15
	s_branch .LBB520_5
.LBB520_4:                              ;   in Loop: Header=BB520_5 Depth=1
	s_or_b64 exec, exec, s[16:17]
	s_add_i32 s14, s14, 4
	s_cmp_eq_u32 s14, s12
	s_cbranch_scc1 .LBB520_21
.LBB520_5:                              ; =>This Loop Header: Depth=1
                                        ;     Child Loop BB520_7 Depth 2
                                        ;     Child Loop BB520_11 Depth 2
	;; [unrolled: 1-line block ×4, first 2 shown]
	v_lshl_add_u64 v[8:9], s[14:15], 3, v[6:7]
	global_load_dwordx2 v[10:11], v[8:9], off
	v_add_u32_e32 v12, s14, v2
	v_ashrrev_i32_e32 v13, 31, v12
	s_mov_b64 s[16:17], 0
	s_waitcnt lgkmcnt(0)
	v_lshl_add_u64 v[12:13], v[12:13], 3, s[4:5]
	s_mov_b64 s[18:19], 0
	s_waitcnt vmcnt(0)
	v_ashrrev_i32_e32 v11, 31, v10
	v_add_u32_e32 v18, v4, v10
	s_branch .LBB520_7
.LBB520_6:                              ;   in Loop: Header=BB520_7 Depth=2
	s_or_b64 exec, exec, s[20:21]
	s_cmp_gt_u32 s18, 1
	s_cselect_b64 s[2:3], -1, 0
	s_xor_b64 s[20:21], vcc, -1
	s_or_b64 s[2:3], s[20:21], s[2:3]
	s_add_u32 s18, s18, 1
	s_addc_u32 s19, s19, 0
	s_and_b64 s[2:3], exec, s[2:3]
	s_or_b64 s[16:17], s[2:3], s[16:17]
	v_subrev_u32_e32 v18, 64, v18
	s_andn2_b64 exec, exec, s[16:17]
	s_cbranch_execz .LBB520_9
.LBB520_7:                              ;   Parent Loop BB520_5 Depth=1
                                        ; =>  This Inner Loop Header: Depth=2
	v_cmp_ne_u32_e32 vcc, 0, v18
	v_cmp_eq_u32_e64 s[2:3], 0, v18
	s_and_saveexec_b64 s[20:21], s[2:3]
	s_cbranch_execz .LBB520_6
; %bb.8:                                ;   in Loop: Header=BB520_7 Depth=2
	s_cmp_eq_u32 s18, 1
	s_cselect_b64 s[2:3], -1, 0
	s_cmp_eq_u32 s18, 2
	v_cndmask_b32_e64 v19, v16, v15, s[2:3]
	s_cselect_b64 s[2:3], -1, 0
	v_cndmask_b32_e64 v19, v19, v17, s[2:3]
	v_add_f32_e32 v5, v5, v19
	global_store_dwordx2 v[12:13], v[10:11], off
	s_branch .LBB520_6
.LBB520_9:                              ;   in Loop: Header=BB520_5 Depth=1
	s_or_b64 exec, exec, s[16:17]
	global_load_dwordx2 v[12:13], v[8:9], off offset:8
	s_ashr_i32 s3, s14, 31
	s_mov_b32 s2, s14
	v_lshl_add_u64 v[10:11], s[2:3], 0, v[2:3]
	s_mov_b64 s[16:17], 0
	v_lshl_add_u64 v[10:11], v[10:11], 3, s[4:5]
	s_mov_b64 s[18:19], 0
	s_waitcnt vmcnt(0)
	v_ashrrev_i32_e32 v13, 31, v12
	v_add_u32_e32 v18, v4, v12
	s_branch .LBB520_11
.LBB520_10:                             ;   in Loop: Header=BB520_11 Depth=2
	s_or_b64 exec, exec, s[20:21]
	s_cmp_gt_u32 s18, 1
	s_cselect_b64 s[2:3], -1, 0
	s_xor_b64 s[20:21], vcc, -1
	s_or_b64 s[2:3], s[20:21], s[2:3]
	s_add_u32 s18, s18, 1
	s_addc_u32 s19, s19, 0
	s_and_b64 s[2:3], exec, s[2:3]
	s_or_b64 s[16:17], s[2:3], s[16:17]
	v_subrev_u32_e32 v18, 64, v18
	s_andn2_b64 exec, exec, s[16:17]
	s_cbranch_execz .LBB520_13
.LBB520_11:                             ;   Parent Loop BB520_5 Depth=1
                                        ; =>  This Inner Loop Header: Depth=2
	v_cmp_ne_u32_e32 vcc, 0, v18
	v_cmp_eq_u32_e64 s[2:3], 0, v18
	s_and_saveexec_b64 s[20:21], s[2:3]
	s_cbranch_execz .LBB520_10
; %bb.12:                               ;   in Loop: Header=BB520_11 Depth=2
	s_cmp_eq_u32 s18, 1
	s_cselect_b64 s[2:3], -1, 0
	s_cmp_eq_u32 s18, 2
	v_cndmask_b32_e64 v19, v16, v15, s[2:3]
	s_cselect_b64 s[2:3], -1, 0
	v_cndmask_b32_e64 v19, v19, v17, s[2:3]
	v_add_f32_e32 v5, v5, v19
	global_store_dwordx2 v[10:11], v[12:13], off offset:8
	s_branch .LBB520_10
.LBB520_13:                             ;   in Loop: Header=BB520_5 Depth=1
	s_or_b64 exec, exec, s[16:17]
	global_load_dwordx2 v[12:13], v[8:9], off offset:16
	s_mov_b64 s[16:17], 0
	s_mov_b64 s[18:19], 0
	s_waitcnt vmcnt(0)
	v_ashrrev_i32_e32 v13, 31, v12
	v_add_u32_e32 v18, v4, v12
	s_branch .LBB520_15
.LBB520_14:                             ;   in Loop: Header=BB520_15 Depth=2
	s_or_b64 exec, exec, s[20:21]
	s_cmp_gt_u32 s18, 1
	s_cselect_b64 s[2:3], -1, 0
	s_xor_b64 s[20:21], vcc, -1
	s_or_b64 s[2:3], s[20:21], s[2:3]
	s_add_u32 s18, s18, 1
	s_addc_u32 s19, s19, 0
	s_and_b64 s[2:3], exec, s[2:3]
	s_or_b64 s[16:17], s[2:3], s[16:17]
	v_subrev_u32_e32 v18, 64, v18
	s_andn2_b64 exec, exec, s[16:17]
	s_cbranch_execz .LBB520_17
.LBB520_15:                             ;   Parent Loop BB520_5 Depth=1
                                        ; =>  This Inner Loop Header: Depth=2
	v_cmp_ne_u32_e32 vcc, 0, v18
	v_cmp_eq_u32_e64 s[2:3], 0, v18
	s_and_saveexec_b64 s[20:21], s[2:3]
	s_cbranch_execz .LBB520_14
; %bb.16:                               ;   in Loop: Header=BB520_15 Depth=2
	s_cmp_eq_u32 s18, 1
	s_cselect_b64 s[2:3], -1, 0
	s_cmp_eq_u32 s18, 2
	v_cndmask_b32_e64 v19, v16, v15, s[2:3]
	s_cselect_b64 s[2:3], -1, 0
	v_cndmask_b32_e64 v19, v19, v17, s[2:3]
	v_add_f32_e32 v5, v5, v19
	global_store_dwordx2 v[10:11], v[12:13], off offset:16
	s_branch .LBB520_14
.LBB520_17:                             ;   in Loop: Header=BB520_5 Depth=1
	s_or_b64 exec, exec, s[16:17]
	global_load_dwordx2 v[8:9], v[8:9], off offset:24
	s_mov_b64 s[16:17], 0
	s_mov_b64 s[18:19], 0
	s_waitcnt vmcnt(0)
	v_ashrrev_i32_e32 v9, 31, v8
	v_add_u32_e32 v12, v4, v8
	s_branch .LBB520_19
.LBB520_18:                             ;   in Loop: Header=BB520_19 Depth=2
	s_or_b64 exec, exec, s[20:21]
	s_cmp_gt_u32 s18, 1
	s_cselect_b64 s[2:3], -1, 0
	s_xor_b64 s[20:21], vcc, -1
	s_or_b64 s[2:3], s[20:21], s[2:3]
	s_add_u32 s18, s18, 1
	s_addc_u32 s19, s19, 0
	s_and_b64 s[2:3], exec, s[2:3]
	s_or_b64 s[16:17], s[2:3], s[16:17]
	v_subrev_u32_e32 v12, 64, v12
	s_andn2_b64 exec, exec, s[16:17]
	s_cbranch_execz .LBB520_4
.LBB520_19:                             ;   Parent Loop BB520_5 Depth=1
                                        ; =>  This Inner Loop Header: Depth=2
	v_cmp_ne_u32_e32 vcc, 0, v12
	v_cmp_eq_u32_e64 s[2:3], 0, v12
	s_and_saveexec_b64 s[20:21], s[2:3]
	s_cbranch_execz .LBB520_18
; %bb.20:                               ;   in Loop: Header=BB520_19 Depth=2
	s_cmp_eq_u32 s18, 1
	s_cselect_b64 s[2:3], -1, 0
	s_cmp_eq_u32 s18, 2
	v_cndmask_b32_e64 v13, v16, v15, s[2:3]
	s_cselect_b64 s[2:3], -1, 0
	v_cndmask_b32_e64 v13, v13, v17, s[2:3]
	v_add_f32_e32 v5, v5, v13
	global_store_dwordx2 v[10:11], v[8:9], off offset:24
	s_branch .LBB520_18
.LBB520_21:
	s_and_b32 s9, s8, 3
	s_cmp_eq_u32 s9, 0
	s_mov_b32 s13, 0
	s_cbranch_scc1 .LBB520_28
; %bb.22:
	s_mov_b32 s20, s13
	s_branch .LBB520_24
.LBB520_23:                             ;   in Loop: Header=BB520_24 Depth=1
	s_or_b64 exec, exec, s[14:15]
	s_add_i32 s12, s12, 1
	s_add_i32 s20, s20, 1
	s_cmp_lg_u32 s20, s9
	s_cbranch_scc0 .LBB520_28
.LBB520_24:                             ; =>This Loop Header: Depth=1
                                        ;     Child Loop BB520_26 Depth 2
	v_lshl_add_u64 v[8:9], s[12:13], 3, v[6:7]
	global_load_dwordx2 v[8:9], v[8:9], off
	v_add_u32_e32 v10, s12, v2
	v_ashrrev_i32_e32 v11, 31, v10
	s_mov_b64 s[14:15], 0
	s_waitcnt lgkmcnt(0)
	v_lshl_add_u64 v[10:11], v[10:11], 3, s[4:5]
	s_mov_b64 s[16:17], 0
	s_waitcnt vmcnt(0)
	v_ashrrev_i32_e32 v9, 31, v8
	v_add_u32_e32 v3, v4, v8
	s_branch .LBB520_26
.LBB520_25:                             ;   in Loop: Header=BB520_26 Depth=2
	s_or_b64 exec, exec, s[18:19]
	s_cmp_gt_u32 s16, 1
	s_cselect_b64 s[2:3], -1, 0
	s_xor_b64 s[18:19], vcc, -1
	s_or_b64 s[2:3], s[18:19], s[2:3]
	s_add_u32 s16, s16, 1
	s_addc_u32 s17, s17, 0
	s_and_b64 s[2:3], exec, s[2:3]
	s_or_b64 s[14:15], s[2:3], s[14:15]
	v_subrev_u32_e32 v3, 64, v3
	s_andn2_b64 exec, exec, s[14:15]
	s_cbranch_execz .LBB520_23
.LBB520_26:                             ;   Parent Loop BB520_24 Depth=1
                                        ; =>  This Inner Loop Header: Depth=2
	v_cmp_ne_u32_e32 vcc, 0, v3
	v_cmp_eq_u32_e64 s[2:3], 0, v3
	s_and_saveexec_b64 s[18:19], s[2:3]
	s_cbranch_execz .LBB520_25
; %bb.27:                               ;   in Loop: Header=BB520_26 Depth=2
	s_cmp_eq_u32 s16, 1
	s_cselect_b64 s[2:3], -1, 0
	s_cmp_eq_u32 s16, 2
	v_cndmask_b32_e64 v12, v16, v15, s[2:3]
	s_cselect_b64 s[2:3], -1, 0
	v_cndmask_b32_e64 v12, v12, v17, s[2:3]
	v_add_f32_e32 v5, v5, v12
	global_store_dwordx2 v[10:11], v[8:9], off
	s_branch .LBB520_25
.LBB520_28:
	s_waitcnt lgkmcnt(0)
	s_load_dword s4, s[0:1], 0x3c
	s_waitcnt lgkmcnt(0)
	s_bitcmp1_b32 s4, 0
	s_cselect_b64 s[2:3], -1, 0
	s_bitcmp0_b32 s4, 0
	s_cbranch_scc0 .LBB520_31
; %bb.29:
	s_load_dwordx2 s[4:5], s[0:1], 0x40
	s_andn2_b64 vcc, exec, s[2:3]
	s_waitcnt lgkmcnt(0)
	v_cvt_f32_f64_e32 v10, s[4:5]
	s_cbranch_vccz .LBB520_32
.LBB520_30:
	s_andn2_b64 vcc, exec, s[10:11]
	s_cbranch_vccz .LBB520_33
	s_branch .LBB520_69
.LBB520_31:
	v_mbcnt_lo_u32_b32 v3, -1, 0
	v_mbcnt_hi_u32_b32 v3, -1, v3
	v_and_b32_e32 v4, 64, v3
	v_add_u32_e32 v4, 64, v4
	v_xor_b32_e32 v6, 32, v3
	v_cmp_lt_i32_e32 vcc, v6, v4
	v_xor_b32_e32 v7, 16, v3
	s_nop 0
	v_cndmask_b32_e32 v6, v3, v6, vcc
	v_lshlrev_b32_e32 v6, 2, v6
	ds_bpermute_b32 v6, v6, v5
	v_cmp_lt_i32_e32 vcc, v7, v4
	s_waitcnt lgkmcnt(0)
	v_add_f32_e32 v5, v5, v6
	v_cndmask_b32_e32 v6, v3, v7, vcc
	v_lshlrev_b32_e32 v6, 2, v6
	ds_bpermute_b32 v6, v6, v5
	v_xor_b32_e32 v7, 8, v3
	v_cmp_lt_i32_e32 vcc, v7, v4
	s_waitcnt lgkmcnt(0)
	v_add_f32_e32 v5, v5, v6
	v_cndmask_b32_e32 v6, v3, v7, vcc
	v_lshlrev_b32_e32 v6, 2, v6
	ds_bpermute_b32 v6, v6, v5
	v_xor_b32_e32 v7, 4, v3
	;; [unrolled: 7-line block ×4, first 2 shown]
	v_cmp_lt_i32_e32 vcc, v7, v4
	s_waitcnt lgkmcnt(0)
	v_add_f32_e32 v5, v5, v6
	v_cndmask_b32_e32 v3, v3, v7, vcc
	v_lshlrev_b32_e32 v3, 2, v3
	ds_bpermute_b32 v3, v3, v5
	s_waitcnt lgkmcnt(0)
	v_add_f32_e32 v5, v5, v3
	s_load_dwordx2 s[4:5], s[0:1], 0x40
	s_andn2_b64 vcc, exec, s[2:3]
	s_waitcnt lgkmcnt(0)
	v_cvt_f32_f64_e32 v10, s[4:5]
	s_cbranch_vccnz .LBB520_30
.LBB520_32:
	v_cmp_lt_f32_e32 vcc, 0, v5
	s_nop 1
	v_cndmask_b32_e32 v3, 1.0, v5, vcc
	v_div_scale_f32 v4, s[2:3], v3, v3, v10
	v_rcp_f32_e32 v5, v4
	s_nop 0
	v_fma_f32 v6, -v4, v5, 1.0
	v_fmac_f32_e32 v5, v6, v5
	v_div_scale_f32 v6, vcc, v10, v3, v10
	v_mul_f32_e32 v7, v6, v5
	v_fma_f32 v8, -v4, v7, v6
	v_fmac_f32_e32 v7, v8, v5
	v_fma_f32 v4, -v4, v7, v6
	v_div_fmas_f32 v4, v4, v5, v7
	v_div_fixup_f32 v10, v4, v3, v10
	s_andn2_b64 vcc, exec, s[10:11]
	s_cbranch_vccnz .LBB520_69
.LBB520_33:
	s_load_dwordx2 s[0:1], s[0:1], 0x10
	v_or_b32_e32 v11, 64, v14
	v_or_b32_e32 v12, 0x80, v14
	s_cmp_lt_u32 s8, 4
	s_mov_b32 s2, 0
	s_cbranch_scc1 .LBB520_60
; %bb.34:
	v_ashrrev_i32_e32 v3, 31, v2
	s_waitcnt lgkmcnt(0)
	v_lshl_add_u64 v[4:5], v[2:3], 2, s[0:1]
	v_lshl_add_u64 v[6:7], v[0:1], 3, s[6:7]
	s_and_b32 s2, s8, 0x7ffffffc
	v_lshl_add_u64 v[4:5], v[4:5], 0, 12
	v_lshl_add_u64 v[6:7], v[6:7], 0, 16
	s_mov_b32 s3, 0
	s_branch .LBB520_36
.LBB520_35:                             ;   in Loop: Header=BB520_36 Depth=1
	s_or_b64 exec, exec, s[10:11]
	s_add_i32 s3, s3, 4
	v_lshl_add_u64 v[4:5], v[4:5], 0, 16
	s_cmp_lg_u32 s2, s3
	v_lshl_add_u64 v[6:7], v[6:7], 0, 32
	s_cbranch_scc0 .LBB520_60
.LBB520_36:                             ; =>This Inner Loop Header: Depth=1
	global_load_dword v3, v[6:7], off offset:-16
	v_mov_b64_e32 v[8:9], 0
	s_waitcnt vmcnt(0)
	v_cmp_eq_u32_e64 s[4:5], v14, v3
	v_cmp_ne_u32_e32 vcc, v14, v3
	s_and_saveexec_b64 s[10:11], vcc
	s_cbranch_execz .LBB520_40
; %bb.37:                               ;   in Loop: Header=BB520_36 Depth=1
	v_cmp_eq_u32_e64 s[12:13], v11, v3
	v_cmp_ne_u32_e32 vcc, v11, v3
	v_mov_b64_e32 v[8:9], 1
	s_and_saveexec_b64 s[14:15], vcc
	s_xor_b64 s[14:15], exec, s[14:15]
; %bb.38:                               ;   in Loop: Header=BB520_36 Depth=1
	v_cmp_eq_u32_e32 vcc, v12, v3
	s_andn2_b64 s[12:13], s[12:13], exec
	s_and_b64 s[16:17], vcc, exec
	v_mov_b64_e32 v[8:9], 2
	s_or_b64 s[12:13], s[12:13], s[16:17]
; %bb.39:                               ;   in Loop: Header=BB520_36 Depth=1
	s_or_b64 exec, exec, s[14:15]
	s_andn2_b64 s[4:5], s[4:5], exec
	s_and_b64 s[12:13], s[12:13], exec
	s_or_b64 s[4:5], s[4:5], s[12:13]
.LBB520_40:                             ;   in Loop: Header=BB520_36 Depth=1
	s_or_b64 exec, exec, s[10:11]
	s_and_saveexec_b64 s[10:11], s[4:5]
	s_cbranch_execz .LBB520_42
; %bb.41:                               ;   in Loop: Header=BB520_36 Depth=1
	v_cmp_eq_u32_e32 vcc, 1, v8
	v_add_u32_e32 v18, s3, v2
	v_ashrrev_i32_e32 v19, 31, v18
	v_cndmask_b32_e32 v3, v16, v15, vcc
	v_cmp_eq_u32_e32 vcc, 2, v8
	v_lshl_add_u64 v[8:9], v[18:19], 2, s[0:1]
	s_nop 0
	v_cndmask_b32_e32 v3, v3, v17, vcc
	v_mul_f32_e32 v3, v10, v3
	global_store_dword v[8:9], v3, off
.LBB520_42:                             ;   in Loop: Header=BB520_36 Depth=1
	s_or_b64 exec, exec, s[10:11]
	global_load_dword v3, v[6:7], off offset:-8
	v_mov_b64_e32 v[8:9], 0
	s_waitcnt vmcnt(0)
	v_cmp_eq_u32_e64 s[4:5], v14, v3
	v_cmp_ne_u32_e32 vcc, v14, v3
	s_and_saveexec_b64 s[10:11], vcc
	s_cbranch_execz .LBB520_46
; %bb.43:                               ;   in Loop: Header=BB520_36 Depth=1
	v_cmp_eq_u32_e64 s[12:13], v11, v3
	v_cmp_ne_u32_e32 vcc, v11, v3
	v_mov_b64_e32 v[8:9], 1
	s_and_saveexec_b64 s[14:15], vcc
; %bb.44:                               ;   in Loop: Header=BB520_36 Depth=1
	v_cmp_eq_u32_e32 vcc, v12, v3
	s_andn2_b64 s[12:13], s[12:13], exec
	s_and_b64 s[16:17], vcc, exec
	v_mov_b64_e32 v[8:9], 2
	s_or_b64 s[12:13], s[12:13], s[16:17]
; %bb.45:                               ;   in Loop: Header=BB520_36 Depth=1
	s_or_b64 exec, exec, s[14:15]
	s_andn2_b64 s[4:5], s[4:5], exec
	s_and_b64 s[12:13], s[12:13], exec
	s_or_b64 s[4:5], s[4:5], s[12:13]
.LBB520_46:                             ;   in Loop: Header=BB520_36 Depth=1
	s_or_b64 exec, exec, s[10:11]
	s_and_saveexec_b64 s[10:11], s[4:5]
	s_cbranch_execz .LBB520_48
; %bb.47:                               ;   in Loop: Header=BB520_36 Depth=1
	v_cmp_eq_u32_e32 vcc, 1, v8
	s_nop 1
	v_cndmask_b32_e32 v3, v16, v15, vcc
	v_cmp_eq_u32_e32 vcc, 2, v8
	s_nop 1
	v_cndmask_b32_e32 v3, v3, v17, vcc
	v_mul_f32_e32 v3, v10, v3
	global_store_dword v[4:5], v3, off offset:-8
.LBB520_48:                             ;   in Loop: Header=BB520_36 Depth=1
	s_or_b64 exec, exec, s[10:11]
	global_load_dword v3, v[6:7], off
	v_mov_b64_e32 v[8:9], 0
	s_waitcnt vmcnt(0)
	v_cmp_eq_u32_e64 s[4:5], v14, v3
	v_cmp_ne_u32_e32 vcc, v14, v3
	s_and_saveexec_b64 s[10:11], vcc
	s_cbranch_execz .LBB520_52
; %bb.49:                               ;   in Loop: Header=BB520_36 Depth=1
	v_cmp_eq_u32_e64 s[12:13], v11, v3
	v_cmp_ne_u32_e32 vcc, v11, v3
	v_mov_b64_e32 v[8:9], 1
	s_and_saveexec_b64 s[14:15], vcc
; %bb.50:                               ;   in Loop: Header=BB520_36 Depth=1
	v_cmp_eq_u32_e32 vcc, v12, v3
	s_andn2_b64 s[12:13], s[12:13], exec
	s_and_b64 s[16:17], vcc, exec
	v_mov_b64_e32 v[8:9], 2
	s_or_b64 s[12:13], s[12:13], s[16:17]
; %bb.51:                               ;   in Loop: Header=BB520_36 Depth=1
	s_or_b64 exec, exec, s[14:15]
	s_andn2_b64 s[4:5], s[4:5], exec
	s_and_b64 s[12:13], s[12:13], exec
	s_or_b64 s[4:5], s[4:5], s[12:13]
.LBB520_52:                             ;   in Loop: Header=BB520_36 Depth=1
	s_or_b64 exec, exec, s[10:11]
	s_and_saveexec_b64 s[10:11], s[4:5]
	s_cbranch_execz .LBB520_54
; %bb.53:                               ;   in Loop: Header=BB520_36 Depth=1
	v_cmp_eq_u32_e32 vcc, 1, v8
	s_nop 1
	v_cndmask_b32_e32 v3, v16, v15, vcc
	v_cmp_eq_u32_e32 vcc, 2, v8
	s_nop 1
	v_cndmask_b32_e32 v3, v3, v17, vcc
	v_mul_f32_e32 v3, v10, v3
	global_store_dword v[4:5], v3, off offset:-4
.LBB520_54:                             ;   in Loop: Header=BB520_36 Depth=1
	s_or_b64 exec, exec, s[10:11]
	global_load_dword v3, v[6:7], off offset:8
	v_mov_b64_e32 v[8:9], 0
	s_waitcnt vmcnt(0)
	v_cmp_eq_u32_e64 s[4:5], v14, v3
	v_cmp_ne_u32_e32 vcc, v14, v3
	s_and_saveexec_b64 s[10:11], vcc
	s_cbranch_execz .LBB520_58
; %bb.55:                               ;   in Loop: Header=BB520_36 Depth=1
	v_cmp_eq_u32_e64 s[12:13], v11, v3
	v_cmp_ne_u32_e32 vcc, v11, v3
	v_mov_b64_e32 v[8:9], 1
	s_and_saveexec_b64 s[14:15], vcc
; %bb.56:                               ;   in Loop: Header=BB520_36 Depth=1
	v_cmp_eq_u32_e32 vcc, v12, v3
	s_andn2_b64 s[12:13], s[12:13], exec
	s_and_b64 s[16:17], vcc, exec
	v_mov_b64_e32 v[8:9], 2
	s_or_b64 s[12:13], s[12:13], s[16:17]
; %bb.57:                               ;   in Loop: Header=BB520_36 Depth=1
	s_or_b64 exec, exec, s[14:15]
	s_andn2_b64 s[4:5], s[4:5], exec
	s_and_b64 s[12:13], s[12:13], exec
	s_or_b64 s[4:5], s[4:5], s[12:13]
.LBB520_58:                             ;   in Loop: Header=BB520_36 Depth=1
	s_or_b64 exec, exec, s[10:11]
	s_and_saveexec_b64 s[10:11], s[4:5]
	s_cbranch_execz .LBB520_35
; %bb.59:                               ;   in Loop: Header=BB520_36 Depth=1
	v_cmp_eq_u32_e32 vcc, 1, v8
	s_nop 1
	v_cndmask_b32_e32 v3, v16, v15, vcc
	v_cmp_eq_u32_e32 vcc, 2, v8
	s_nop 1
	v_cndmask_b32_e32 v3, v3, v17, vcc
	v_mul_f32_e32 v3, v10, v3
	global_store_dword v[4:5], v3, off
	s_branch .LBB520_35
.LBB520_60:
	s_and_b32 s10, s8, 3
	s_cmp_eq_u32 s10, 0
	s_mov_b32 s3, 0
	s_cbranch_scc1 .LBB520_69
; %bb.61:
	v_add_u32_e32 v2, s2, v2
	s_lshl_b64 s[2:3], s[2:3], 3
	s_add_u32 s2, s6, s2
	s_addc_u32 s3, s7, s3
	v_lshl_add_u64 v[0:1], v[0:1], 3, s[2:3]
	s_branch .LBB520_63
.LBB520_62:                             ;   in Loop: Header=BB520_63 Depth=1
	s_or_b64 exec, exec, s[4:5]
	s_add_i32 s10, s10, -1
	v_add_u32_e32 v2, 1, v2
	s_cmp_lg_u32 s10, 0
	v_lshl_add_u64 v[0:1], v[0:1], 0, 8
	s_cbranch_scc0 .LBB520_69
.LBB520_63:                             ; =>This Inner Loop Header: Depth=1
	global_load_dword v3, v[0:1], off
	v_mov_b64_e32 v[4:5], 0
	s_waitcnt vmcnt(0)
	v_cmp_eq_u32_e64 s[2:3], v14, v3
	v_cmp_ne_u32_e32 vcc, v14, v3
	s_and_saveexec_b64 s[4:5], vcc
	s_cbranch_execz .LBB520_67
; %bb.64:                               ;   in Loop: Header=BB520_63 Depth=1
	v_cmp_eq_u32_e64 s[6:7], v11, v3
	v_cmp_ne_u32_e32 vcc, v11, v3
	v_mov_b64_e32 v[4:5], 1
	s_and_saveexec_b64 s[8:9], vcc
; %bb.65:                               ;   in Loop: Header=BB520_63 Depth=1
	v_cmp_eq_u32_e32 vcc, v12, v3
	s_andn2_b64 s[6:7], s[6:7], exec
	s_and_b64 s[12:13], vcc, exec
	v_mov_b64_e32 v[4:5], 2
	s_or_b64 s[6:7], s[6:7], s[12:13]
; %bb.66:                               ;   in Loop: Header=BB520_63 Depth=1
	s_or_b64 exec, exec, s[8:9]
	s_andn2_b64 s[2:3], s[2:3], exec
	s_and_b64 s[6:7], s[6:7], exec
	s_or_b64 s[2:3], s[2:3], s[6:7]
.LBB520_67:                             ;   in Loop: Header=BB520_63 Depth=1
	s_or_b64 exec, exec, s[4:5]
	s_and_saveexec_b64 s[4:5], s[2:3]
	s_cbranch_execz .LBB520_62
; %bb.68:                               ;   in Loop: Header=BB520_63 Depth=1
	v_cmp_eq_u32_e32 vcc, 1, v4
	s_nop 1
	v_cndmask_b32_e32 v3, v16, v15, vcc
	v_cmp_eq_u32_e32 vcc, 2, v4
	s_nop 1
	v_cndmask_b32_e32 v3, v3, v17, vcc
	v_mul_f32_e32 v6, v10, v3
	v_ashrrev_i32_e32 v3, 31, v2
	s_waitcnt lgkmcnt(0)
	v_lshl_add_u64 v[4:5], v[2:3], 2, s[0:1]
	global_store_dword v[4:5], v6, off
	s_branch .LBB520_62
.LBB520_69:
	s_endpgm
	.section	.rodata,"a",@progbits
	.p2align	6, 0x0
	.amdhsa_kernel _ZN4vllm3moe22topkGatingSoftplusSqrtILi3ELi192ELi4ELi2ELi64ELb1El14__hip_bfloat16EEvPKT6_PKbPfiPT5_PiiiibdPKfPKS9_SF_
		.amdhsa_group_segment_fixed_size 0
		.amdhsa_private_segment_fixed_size 0
		.amdhsa_kernarg_size 96
		.amdhsa_user_sgpr_count 2
		.amdhsa_user_sgpr_dispatch_ptr 0
		.amdhsa_user_sgpr_queue_ptr 0
		.amdhsa_user_sgpr_kernarg_segment_ptr 1
		.amdhsa_user_sgpr_dispatch_id 0
		.amdhsa_user_sgpr_kernarg_preload_length 0
		.amdhsa_user_sgpr_kernarg_preload_offset 0
		.amdhsa_user_sgpr_private_segment_size 0
		.amdhsa_uses_dynamic_stack 0
		.amdhsa_enable_private_segment 0
		.amdhsa_system_sgpr_workgroup_id_x 1
		.amdhsa_system_sgpr_workgroup_id_y 0
		.amdhsa_system_sgpr_workgroup_id_z 0
		.amdhsa_system_sgpr_workgroup_info 0
		.amdhsa_system_vgpr_workitem_id 1
		.amdhsa_next_free_vgpr 20
		.amdhsa_next_free_sgpr 22
		.amdhsa_accum_offset 20
		.amdhsa_reserve_vcc 1
		.amdhsa_float_round_mode_32 0
		.amdhsa_float_round_mode_16_64 0
		.amdhsa_float_denorm_mode_32 3
		.amdhsa_float_denorm_mode_16_64 3
		.amdhsa_dx10_clamp 1
		.amdhsa_ieee_mode 1
		.amdhsa_fp16_overflow 0
		.amdhsa_tg_split 0
		.amdhsa_exception_fp_ieee_invalid_op 0
		.amdhsa_exception_fp_denorm_src 0
		.amdhsa_exception_fp_ieee_div_zero 0
		.amdhsa_exception_fp_ieee_overflow 0
		.amdhsa_exception_fp_ieee_underflow 0
		.amdhsa_exception_fp_ieee_inexact 0
		.amdhsa_exception_int_div_zero 0
	.end_amdhsa_kernel
	.section	.text._ZN4vllm3moe22topkGatingSoftplusSqrtILi3ELi192ELi4ELi2ELi64ELb1El14__hip_bfloat16EEvPKT6_PKbPfiPT5_PiiiibdPKfPKS9_SF_,"axG",@progbits,_ZN4vllm3moe22topkGatingSoftplusSqrtILi3ELi192ELi4ELi2ELi64ELb1El14__hip_bfloat16EEvPKT6_PKbPfiPT5_PiiiibdPKfPKS9_SF_,comdat
.Lfunc_end520:
	.size	_ZN4vllm3moe22topkGatingSoftplusSqrtILi3ELi192ELi4ELi2ELi64ELb1El14__hip_bfloat16EEvPKT6_PKbPfiPT5_PiiiibdPKfPKS9_SF_, .Lfunc_end520-_ZN4vllm3moe22topkGatingSoftplusSqrtILi3ELi192ELi4ELi2ELi64ELb1El14__hip_bfloat16EEvPKT6_PKbPfiPT5_PiiiibdPKfPKS9_SF_
                                        ; -- End function
	.section	.AMDGPU.csdata,"",@progbits
; Kernel info:
; codeLenInByte = 3288
; NumSgprs: 28
; NumVgprs: 20
; NumAgprs: 0
; TotalNumVgprs: 20
; ScratchSize: 0
; MemoryBound: 0
; FloatMode: 240
; IeeeMode: 1
; LDSByteSize: 0 bytes/workgroup (compile time only)
; SGPRBlocks: 3
; VGPRBlocks: 2
; NumSGPRsForWavesPerEU: 28
; NumVGPRsForWavesPerEU: 20
; AccumOffset: 20
; Occupancy: 8
; WaveLimiterHint : 1
; COMPUTE_PGM_RSRC2:SCRATCH_EN: 0
; COMPUTE_PGM_RSRC2:USER_SGPR: 2
; COMPUTE_PGM_RSRC2:TRAP_HANDLER: 0
; COMPUTE_PGM_RSRC2:TGID_X_EN: 1
; COMPUTE_PGM_RSRC2:TGID_Y_EN: 0
; COMPUTE_PGM_RSRC2:TGID_Z_EN: 0
; COMPUTE_PGM_RSRC2:TIDIG_COMP_CNT: 1
; COMPUTE_PGM_RSRC3_GFX90A:ACCUM_OFFSET: 4
; COMPUTE_PGM_RSRC3_GFX90A:TG_SPLIT: 0
	.section	.text._ZN4vllm3moe22topkGatingSoftplusSqrtILi3ELi192ELi4ELi2ELi64ELb0El14__hip_bfloat16EEvPKT6_PKbPfiPT5_PiiiibdPKfPKS9_SF_,"axG",@progbits,_ZN4vllm3moe22topkGatingSoftplusSqrtILi3ELi192ELi4ELi2ELi64ELb0El14__hip_bfloat16EEvPKT6_PKbPfiPT5_PiiiibdPKfPKS9_SF_,comdat
	.protected	_ZN4vllm3moe22topkGatingSoftplusSqrtILi3ELi192ELi4ELi2ELi64ELb0El14__hip_bfloat16EEvPKT6_PKbPfiPT5_PiiiibdPKfPKS9_SF_ ; -- Begin function _ZN4vllm3moe22topkGatingSoftplusSqrtILi3ELi192ELi4ELi2ELi64ELb0El14__hip_bfloat16EEvPKT6_PKbPfiPT5_PiiiibdPKfPKS9_SF_
	.globl	_ZN4vllm3moe22topkGatingSoftplusSqrtILi3ELi192ELi4ELi2ELi64ELb0El14__hip_bfloat16EEvPKT6_PKbPfiPT5_PiiiibdPKfPKS9_SF_
	.p2align	8
	.type	_ZN4vllm3moe22topkGatingSoftplusSqrtILi3ELi192ELi4ELi2ELi64ELb0El14__hip_bfloat16EEvPKT6_PKbPfiPT5_PiiiibdPKfPKS9_SF_,@function
_ZN4vllm3moe22topkGatingSoftplusSqrtILi3ELi192ELi4ELi2ELi64ELb0El14__hip_bfloat16EEvPKT6_PKbPfiPT5_PiiiibdPKfPKS9_SF_: ; @_ZN4vllm3moe22topkGatingSoftplusSqrtILi3ELi192ELi4ELi2ELi64ELb0El14__hip_bfloat16EEvPKT6_PKbPfiPT5_PiiiibdPKfPKS9_SF_
; %bb.0:
	s_load_dword s30, s[0:1], 0x18
	v_and_b32_e32 v1, 0x3ff, v0
	s_lshl_b32 s2, s2, 2
	v_lshrrev_b32_e32 v2, 6, v1
	v_bfe_u32 v0, v0, 10, 10
	v_add3_u32 v4, s2, v0, v2
	s_waitcnt lgkmcnt(0)
	v_cmp_gt_i32_e32 vcc, s30, v4
	s_and_saveexec_b64 s[2:3], vcc
	s_cbranch_execz .LBB521_55
; %bb.1:
	s_load_dwordx4 s[4:7], s[0:1], 0x0
	s_load_dwordx2 s[20:21], s[0:1], 0x10
	s_waitcnt lgkmcnt(0)
	s_cmp_eq_u64 s[6:7], 0
	s_cbranch_scc1 .LBB521_3
; %bb.2:
	v_ashrrev_i32_e32 v5, 31, v4
	v_lshl_add_u64 v[2:3], s[6:7], 0, v[4:5]
	global_load_ubyte v0, v[2:3], off
	s_waitcnt vmcnt(0)
	v_and_b32_e32 v0, 1, v0
	v_cmp_eq_u32_e32 vcc, 1, v0
	s_xor_b64 s[2:3], vcc, -1
	s_orn2_b64 s[22:23], s[2:3], exec
	s_branch .LBB521_4
.LBB521_3:
	s_mov_b64 s[22:23], -1
.LBB521_4:
	s_movk_i32 s2, 0xc0
	v_mul_lo_u32 v6, v4, s2
	v_mov_b32_e32 v2, s4
	v_mov_b32_e32 v3, s5
	v_ashrrev_i32_e32 v7, 31, v6
	v_lshl_add_u64 v[2:3], v[6:7], 1, v[2:3]
	v_and_b32_e32 v6, 63, v1
	v_mov_b32_e32 v1, 0
	v_lshlrev_b32_e32 v0, 1, v6
	v_lshl_add_u64 v[0:1], v[2:3], 0, v[0:1]
	global_load_ushort v3, v[0:1], off
	global_load_ushort v5, v[0:1], off offset:128
	global_load_ushort v2, v[0:1], off offset:256
	s_mov_b32 s16, 0x800000
	v_mov_b32_e32 v7, 0x4f800000
	s_mov_b32 s7, 0x3f317217
	s_mov_b32 s14, 0x7f800000
	v_mov_b32_e32 v8, 0x41b17218
	s_mov_b32 s6, 0x41a00000
	s_mov_b32 s15, 0xf800000
	s_load_dwordx4 s[8:11], s[0:1], 0x40
	s_waitcnt lgkmcnt(0)
	s_cmp_lg_u64 s[10:11], 0
	s_cselect_b64 s[12:13], -1, 0
	s_and_b64 s[2:3], exec, s[12:13]
	s_waitcnt vmcnt(2)
	v_lshlrev_b32_e32 v0, 16, v3
	v_mul_f32_e32 v1, 0x3fb8aa3b, v0
	v_exp_f32_e32 v1, v1
	s_nop 0
	v_add_f32_e32 v1, 1.0, v1
	v_cmp_gt_f32_e32 vcc, s16, v1
	s_nop 1
	v_cndmask_b32_e32 v3, 1.0, v7, vcc
	v_mul_f32_e32 v1, v1, v3
	v_log_f32_e32 v9, v1
	v_cndmask_b32_e32 v10, 0, v8, vcc
	v_mov_b32_e32 v1, 0x260
	v_lshlrev_b32_e32 v3, 2, v6
	v_mul_f32_e32 v11, 0x3f317217, v9
	v_fma_f32 v11, v9, s7, -v11
	v_fmac_f32_e32 v11, 0x3377d1cf, v9
	v_fmac_f32_e32 v11, 0x3f317217, v9
	v_cmp_lt_f32_e64 vcc, |v9|, s14
	s_nop 1
	v_cndmask_b32_e32 v9, v9, v11, vcc
	v_sub_f32_e32 v9, v9, v10
	v_cmp_lt_f32_e32 vcc, s6, v0
	s_nop 1
	v_cndmask_b32_e32 v0, v9, v0, vcc
	v_mul_f32_e32 v9, 0x4f800000, v0
	v_cmp_gt_f32_e32 vcc, s15, v0
	s_nop 1
	v_cndmask_b32_e32 v0, v0, v9, vcc
	v_sqrt_f32_e32 v9, v0
	s_nop 0
	v_add_u32_e32 v10, -1, v9
	v_add_u32_e32 v11, 1, v9
	v_fma_f32 v12, -v10, v9, v0
	v_fma_f32 v13, -v11, v9, v0
	v_cmp_ge_f32_e64 s[4:5], 0, v12
	s_nop 1
	v_cndmask_b32_e64 v9, v9, v10, s[4:5]
	v_cmp_lt_f32_e64 s[4:5], 0, v13
	s_nop 1
	v_cndmask_b32_e64 v9, v9, v11, s[4:5]
	v_mul_f32_e32 v10, 0x37800000, v9
	v_cndmask_b32_e32 v9, v9, v10, vcc
	v_cmp_class_f32_e32 vcc, v0, v1
	s_nop 1
	v_cndmask_b32_e32 v0, v9, v0, vcc
	s_mov_b64 vcc, s[2:3]
	s_cbranch_vccz .LBB521_6
; %bb.5:
	global_load_dword v9, v3, s[10:11]
	s_waitcnt vmcnt(0)
	v_add_f32_e32 v0, v0, v9
.LBB521_6:
	s_waitcnt vmcnt(1)
	v_lshlrev_b32_e32 v5, 16, v5
	v_mul_f32_e32 v9, 0x3fb8aa3b, v5
	v_exp_f32_e32 v9, v9
	s_nop 0
	v_add_f32_e32 v9, 1.0, v9
	v_cmp_gt_f32_e32 vcc, s16, v9
	s_nop 1
	v_cndmask_b32_e32 v7, 1.0, v7, vcc
	v_mul_f32_e32 v7, v9, v7
	v_log_f32_e32 v7, v7
	v_cndmask_b32_e32 v8, 0, v8, vcc
	v_mul_f32_e32 v9, 0x3f317217, v7
	v_fma_f32 v9, v7, s7, -v9
	v_fmac_f32_e32 v9, 0x3377d1cf, v7
	v_fmac_f32_e32 v9, 0x3f317217, v7
	v_cmp_lt_f32_e64 vcc, |v7|, s14
	s_nop 1
	v_cndmask_b32_e32 v7, v7, v9, vcc
	v_sub_f32_e32 v7, v7, v8
	v_cmp_lt_f32_e32 vcc, s6, v5
	s_nop 1
	v_cndmask_b32_e32 v5, v7, v5, vcc
	v_mul_f32_e32 v7, 0x4f800000, v5
	v_cmp_gt_f32_e32 vcc, s15, v5
	s_nop 1
	v_cndmask_b32_e32 v5, v5, v7, vcc
	v_sqrt_f32_e32 v7, v5
	s_nop 0
	v_add_u32_e32 v8, -1, v7
	v_add_u32_e32 v9, 1, v7
	v_fma_f32 v10, -v8, v7, v5
	v_fma_f32 v11, -v9, v7, v5
	v_cmp_ge_f32_e64 s[2:3], 0, v10
	s_nop 1
	v_cndmask_b32_e64 v7, v7, v8, s[2:3]
	v_cmp_lt_f32_e64 s[2:3], 0, v11
	s_nop 1
	v_cndmask_b32_e64 v7, v7, v9, s[2:3]
	v_mul_f32_e32 v8, 0x37800000, v7
	v_cndmask_b32_e32 v7, v7, v8, vcc
	v_cndmask_b32_e64 v8, 0, 1, s[12:13]
	v_cmp_class_f32_e64 s[2:3], v5, v1
	v_cmp_ne_u32_e64 s[6:7], 1, v8
	s_andn2_b64 vcc, exec, s[12:13]
	v_cndmask_b32_e64 v1, v7, v5, s[2:3]
	s_cbranch_vccnz .LBB521_8
; %bb.7:
	global_load_dword v5, v3, s[10:11] offset:256
	s_waitcnt vmcnt(0)
	v_add_f32_e32 v1, v1, v5
.LBB521_8:
	s_waitcnt vmcnt(0)
	v_lshlrev_b32_e32 v2, 16, v2
	v_mul_f32_e32 v5, 0x3fb8aa3b, v2
	v_exp_f32_e32 v5, v5
	s_mov_b32 s2, 0x800000
	v_mov_b32_e32 v7, 0x4f800000
	s_mov_b32 s3, 0x7f800000
	v_add_f32_e32 v5, 1.0, v5
	v_cmp_gt_f32_e32 vcc, s2, v5
	s_mov_b32 s2, 0x3f317217
	s_mov_b32 s4, 0x41a00000
	v_cndmask_b32_e32 v7, 1.0, v7, vcc
	v_mul_f32_e32 v5, v5, v7
	v_log_f32_e32 v5, v5
	s_nop 0
	v_mul_f32_e32 v7, 0x3f317217, v5
	v_fma_f32 v7, v5, s2, -v7
	v_fmamk_f32 v7, v5, 0x3377d1cf, v7
	v_fmac_f32_e32 v7, 0x3f317217, v5
	v_cmp_lt_f32_e64 s[2:3], |v5|, s3
	s_nop 1
	v_cndmask_b32_e64 v5, v5, v7, s[2:3]
	v_mov_b32_e32 v7, 0x41b17218
	v_cndmask_b32_e32 v7, 0, v7, vcc
	v_sub_f32_e32 v5, v5, v7
	v_cmp_lt_f32_e32 vcc, s4, v2
	s_mov_b32 s2, 0xf800000
	s_nop 0
	v_cndmask_b32_e32 v2, v5, v2, vcc
	v_mul_f32_e32 v5, 0x4f800000, v2
	v_cmp_gt_f32_e32 vcc, s2, v2
	s_nop 1
	v_cndmask_b32_e32 v2, v2, v5, vcc
	v_sqrt_f32_e32 v5, v2
	s_nop 0
	v_add_u32_e32 v7, -1, v5
	v_fma_f32 v8, -v7, v5, v2
	v_cmp_ge_f32_e64 s[2:3], 0, v8
	v_add_u32_e32 v8, 1, v5
	s_nop 0
	v_cndmask_b32_e64 v7, v5, v7, s[2:3]
	v_fma_f32 v5, -v8, v5, v2
	v_cmp_lt_f32_e64 s[2:3], 0, v5
	s_nop 1
	v_cndmask_b32_e64 v5, v7, v8, s[2:3]
	v_mul_f32_e32 v7, 0x37800000, v5
	v_cndmask_b32_e32 v5, v5, v7, vcc
	v_mov_b32_e32 v7, 0x260
	v_cmp_class_f32_e64 s[2:3], v2, v7
	s_and_b64 vcc, exec, s[6:7]
	s_nop 0
	v_cndmask_b32_e64 v2, v5, v2, s[2:3]
	s_cbranch_vccnz .LBB521_10
; %bb.9:
	global_load_dword v3, v3, s[10:11] offset:512
	s_waitcnt vmcnt(0)
	v_add_f32_e32 v2, v2, v3
.LBB521_10:
	s_load_dwordx4 s[12:15], s[0:1], 0x30
	v_cmp_eq_u32_e64 s[4:5], 0, v6
	s_waitcnt lgkmcnt(0)
	s_bitcmp1_b32 s15, 0
	s_cselect_b64 s[2:3], -1, 0
	s_cmp_gt_i32 s12, 0
	s_cselect_b64 s[24:25], -1, 0
	s_and_b64 vcc, exec, s[24:25]
	s_cbranch_vccz .LBB521_41
; %bb.11:
	v_mbcnt_lo_u32_b32 v3, -1, 0
	v_mbcnt_hi_u32_b32 v3, -1, v3
	v_and_b32_e32 v5, 64, v3
	v_add_u32_e32 v8, 64, v5
	v_xor_b32_e32 v9, 32, v3
	v_cmp_lt_i32_e32 vcc, v9, v8
	s_load_dwordx4 s[16:19], s[0:1], 0x20
	s_mov_b32 s15, 0
	v_cndmask_b32_e32 v9, v3, v9, vcc
	v_lshlrev_b32_e32 v11, 2, v9
	v_xor_b32_e32 v9, 16, v3
	v_cmp_lt_i32_e32 vcc, v9, v8
	v_mul_lo_u32 v5, v4, s12
	v_or_b32_e32 v7, 64, v6
	v_cndmask_b32_e32 v9, v3, v9, vcc
	v_lshlrev_b32_e32 v12, 2, v9
	v_xor_b32_e32 v9, 8, v3
	v_cmp_lt_i32_e32 vcc, v9, v8
	v_or_b32_e32 v10, 0x80, v6
	v_mov_b32_e32 v17, 0xc0
	v_cndmask_b32_e32 v9, v3, v9, vcc
	v_lshlrev_b32_e32 v13, 2, v9
	v_xor_b32_e32 v9, 4, v3
	v_cmp_lt_i32_e32 vcc, v9, v8
	v_mov_b32_e32 v18, 0xc61c4000
	v_mov_b32_e32 v19, v4
	v_cndmask_b32_e32 v9, v3, v9, vcc
	v_lshlrev_b32_e32 v14, 2, v9
	v_xor_b32_e32 v9, 2, v3
	v_cmp_lt_i32_e32 vcc, v9, v8
	s_nop 1
	v_cndmask_b32_e32 v9, v3, v9, vcc
	v_lshlrev_b32_e32 v15, 2, v9
	v_xor_b32_e32 v9, 1, v3
	v_cmp_lt_i32_e32 vcc, v9, v8
	s_nop 1
	v_cndmask_b32_e32 v3, v3, v9, vcc
	v_lshlrev_b32_e32 v16, 2, v3
	v_mov_b32_e32 v3, 0
	s_branch .LBB521_14
.LBB521_12:                             ;   in Loop: Header=BB521_14 Depth=1
	v_add_u32_e32 v22, s15, v5
	v_cmp_le_i32_e32 vcc, s13, v8
	v_cmp_gt_i32_e64 s[0:1], s14, v8
	v_ashrrev_i32_e32 v23, 31, v22
	s_and_b64 s[0:1], vcc, s[0:1]
	v_lshlrev_b64 v[24:25], 2, v[22:23]
	v_subrev_u32_e32 v9, s13, v8
	v_lshl_add_u64 v[26:27], s[20:21], 0, v[24:25]
	s_waitcnt lgkmcnt(0)
	v_ashrrev_i32_e32 v21, 31, v9
	s_and_b64 vcc, s[22:23], s[0:1]
	global_store_dword v[26:27], v20, off
	v_cndmask_b32_e32 v27, 0, v21, vcc
	v_cndmask_b32_e32 v26, v17, v9, vcc
	v_lshl_add_u64 v[22:23], v[22:23], 3, s[16:17]
	v_add_f32_e32 v9, v3, v20
	global_store_dwordx2 v[22:23], v[26:27], off
	v_lshl_add_u64 v[22:23], s[18:19], 0, v[24:25]
	v_cndmask_b32_e64 v3, v3, v9, s[2:3]
	global_store_dword v[22:23], v19, off
.LBB521_13:                             ;   in Loop: Header=BB521_14 Depth=1
	s_or_b64 exec, exec, s[26:27]
	v_ashrrev_i32_e32 v9, 31, v8
	v_lshrrev_b32_e32 v9, 26, v9
	v_add_u32_e32 v9, v8, v9
	v_ashrrev_i32_e32 v20, 6, v9
	v_and_b32_e32 v9, 0xffffffc0, v9
	s_add_i32 s15, s15, 1
	v_sub_u32_e32 v8, v8, v9
	v_cmp_ne_u32_e64 s[0:1], 0, v20
	s_cmp_lt_i32 s15, s12
	v_cmp_eq_u32_e32 vcc, v6, v8
	v_cndmask_b32_e64 v8, v18, v0, s[0:1]
	v_cmp_ne_u32_e64 s[0:1], 1, v20
	s_cselect_b64 s[26:27], -1, 0
	s_and_b64 vcc, s[26:27], vcc
	v_cndmask_b32_e64 v9, v18, v1, s[0:1]
	v_cmp_ne_u32_e64 s[0:1], 2, v20
	v_cndmask_b32_e32 v1, v1, v9, vcc
	v_cndmask_b32_e32 v0, v0, v8, vcc
	v_cndmask_b32_e64 v20, v18, v2, s[0:1]
	v_cndmask_b32_e32 v2, v2, v20, vcc
	s_cmp_eq_u32 s12, s15
	v_add_u32_e32 v19, s30, v19
	s_cbranch_scc1 .LBB521_42
.LBB521_14:                             ; =>This Inner Loop Header: Depth=1
	v_cmp_gt_f32_e32 vcc, v1, v0
	s_nop 1
	v_cndmask_b32_e32 v9, v0, v1, vcc
	v_cndmask_b32_e32 v8, v6, v7, vcc
	v_cmp_gt_f32_e32 vcc, v2, v9
	s_nop 1
	v_cndmask_b32_e32 v20, v9, v2, vcc
	v_cndmask_b32_e32 v8, v8, v10, vcc
	ds_bpermute_b32 v9, v11, v20
	s_waitcnt lgkmcnt(0)
	ds_bpermute_b32 v21, v11, v8
	s_waitcnt lgkmcnt(0)
	v_cmp_lt_f32_e64 s[26:27], v20, v9
	v_cmp_nlt_f32_e32 vcc, v20, v9
	s_and_saveexec_b64 s[28:29], vcc
; %bb.15:                               ;   in Loop: Header=BB521_14 Depth=1
	v_cmp_eq_f32_e32 vcc, v20, v9
	v_cmp_lt_i32_e64 s[0:1], v21, v8
	s_and_b64 s[0:1], vcc, s[0:1]
	s_andn2_b64 s[26:27], s[26:27], exec
	s_and_b64 s[0:1], s[0:1], exec
	s_or_b64 s[26:27], s[26:27], s[0:1]
; %bb.16:                               ;   in Loop: Header=BB521_14 Depth=1
	s_or_b64 exec, exec, s[28:29]
	s_and_saveexec_b64 s[0:1], s[26:27]
; %bb.17:                               ;   in Loop: Header=BB521_14 Depth=1
	v_mov_b32_e32 v20, v9
	v_mov_b32_e32 v8, v21
; %bb.18:                               ;   in Loop: Header=BB521_14 Depth=1
	s_or_b64 exec, exec, s[0:1]
	ds_bpermute_b32 v9, v12, v20
	ds_bpermute_b32 v21, v12, v8
	s_waitcnt lgkmcnt(1)
	v_cmp_lt_f32_e64 s[26:27], v20, v9
	v_cmp_nlt_f32_e32 vcc, v20, v9
	s_and_saveexec_b64 s[28:29], vcc
	s_cbranch_execz .LBB521_20
; %bb.19:                               ;   in Loop: Header=BB521_14 Depth=1
	v_cmp_eq_f32_e32 vcc, v20, v9
	s_waitcnt lgkmcnt(0)
	v_cmp_lt_i32_e64 s[0:1], v21, v8
	s_and_b64 s[0:1], vcc, s[0:1]
	s_andn2_b64 s[26:27], s[26:27], exec
	s_and_b64 s[0:1], s[0:1], exec
	s_or_b64 s[26:27], s[26:27], s[0:1]
.LBB521_20:                             ;   in Loop: Header=BB521_14 Depth=1
	s_or_b64 exec, exec, s[28:29]
	s_and_saveexec_b64 s[0:1], s[26:27]
	s_cbranch_execz .LBB521_22
; %bb.21:                               ;   in Loop: Header=BB521_14 Depth=1
	v_mov_b32_e32 v20, v9
	s_waitcnt lgkmcnt(0)
	v_mov_b32_e32 v8, v21
.LBB521_22:                             ;   in Loop: Header=BB521_14 Depth=1
	s_or_b64 exec, exec, s[0:1]
	ds_bpermute_b32 v9, v13, v20
	s_waitcnt lgkmcnt(1)
	ds_bpermute_b32 v21, v13, v8
	s_waitcnt lgkmcnt(1)
	v_cmp_lt_f32_e64 s[26:27], v20, v9
	v_cmp_nlt_f32_e32 vcc, v20, v9
	s_and_saveexec_b64 s[28:29], vcc
	s_cbranch_execz .LBB521_24
; %bb.23:                               ;   in Loop: Header=BB521_14 Depth=1
	v_cmp_eq_f32_e32 vcc, v20, v9
	s_waitcnt lgkmcnt(0)
	v_cmp_lt_i32_e64 s[0:1], v21, v8
	s_and_b64 s[0:1], vcc, s[0:1]
	s_andn2_b64 s[26:27], s[26:27], exec
	s_and_b64 s[0:1], s[0:1], exec
	s_or_b64 s[26:27], s[26:27], s[0:1]
.LBB521_24:                             ;   in Loop: Header=BB521_14 Depth=1
	s_or_b64 exec, exec, s[28:29]
	s_and_saveexec_b64 s[0:1], s[26:27]
	s_cbranch_execz .LBB521_26
; %bb.25:                               ;   in Loop: Header=BB521_14 Depth=1
	v_mov_b32_e32 v20, v9
	s_waitcnt lgkmcnt(0)
	v_mov_b32_e32 v8, v21
.LBB521_26:                             ;   in Loop: Header=BB521_14 Depth=1
	s_or_b64 exec, exec, s[0:1]
	ds_bpermute_b32 v9, v14, v20
	s_waitcnt lgkmcnt(1)
	;; [unrolled: 26-line block ×4, first 2 shown]
	ds_bpermute_b32 v21, v16, v8
	s_waitcnt lgkmcnt(1)
	v_cmp_lt_f32_e64 s[26:27], v20, v9
	v_cmp_nlt_f32_e32 vcc, v20, v9
	s_and_saveexec_b64 s[28:29], vcc
	s_cbranch_execnz .LBB521_37
; %bb.35:                               ;   in Loop: Header=BB521_14 Depth=1
	s_or_b64 exec, exec, s[28:29]
	s_and_saveexec_b64 s[0:1], s[26:27]
	s_cbranch_execnz .LBB521_38
.LBB521_36:                             ;   in Loop: Header=BB521_14 Depth=1
	s_or_b64 exec, exec, s[0:1]
	s_and_saveexec_b64 s[26:27], s[4:5]
	s_cbranch_execz .LBB521_13
	s_branch .LBB521_39
.LBB521_37:                             ;   in Loop: Header=BB521_14 Depth=1
	v_cmp_eq_f32_e32 vcc, v20, v9
	s_waitcnt lgkmcnt(0)
	v_cmp_lt_i32_e64 s[0:1], v21, v8
	s_and_b64 s[0:1], vcc, s[0:1]
	s_andn2_b64 s[26:27], s[26:27], exec
	s_and_b64 s[0:1], s[0:1], exec
	s_or_b64 s[26:27], s[26:27], s[0:1]
	s_or_b64 exec, exec, s[28:29]
	s_and_saveexec_b64 s[0:1], s[26:27]
	s_cbranch_execz .LBB521_36
.LBB521_38:                             ;   in Loop: Header=BB521_14 Depth=1
	s_waitcnt lgkmcnt(0)
	v_mov_b32_e32 v8, v21
	v_mov_b32_e32 v20, v9
	s_or_b64 exec, exec, s[0:1]
	s_and_saveexec_b64 s[26:27], s[4:5]
	s_cbranch_execz .LBB521_13
.LBB521_39:                             ;   in Loop: Header=BB521_14 Depth=1
	s_and_b64 vcc, exec, s[6:7]
	s_cbranch_vccnz .LBB521_12
; %bb.40:                               ;   in Loop: Header=BB521_14 Depth=1
	v_ashrrev_i32_e32 v9, 31, v8
	v_lshl_add_u64 v[22:23], v[8:9], 2, s[10:11]
	global_load_dword v9, v[22:23], off
	s_waitcnt vmcnt(0)
	v_sub_f32_e32 v20, v20, v9
	s_branch .LBB521_12
.LBB521_41:
	v_mov_b32_e32 v3, 0
.LBB521_42:
	v_cmp_eq_u32_e32 vcc, 0, v6
	s_and_b64 exec, exec, vcc
	s_cbranch_execz .LBB521_55
; %bb.43:
	s_andn2_b64 vcc, exec, s[2:3]
	v_cvt_f32_f64_e32 v0, s[8:9]
	s_cbranch_vccnz .LBB521_45
; %bb.44:
	v_cmp_lt_f32_e32 vcc, 0, v3
	s_nop 1
	v_cndmask_b32_e32 v1, 1.0, v3, vcc
	v_div_scale_f32 v2, s[0:1], v1, v1, v0
	v_rcp_f32_e32 v3, v2
	s_nop 0
	v_fma_f32 v5, -v2, v3, 1.0
	v_fmac_f32_e32 v3, v5, v3
	v_div_scale_f32 v5, vcc, v0, v1, v0
	v_mul_f32_e32 v6, v5, v3
	v_fma_f32 v7, -v2, v6, v5
	v_fmac_f32_e32 v6, v7, v3
	v_fma_f32 v2, -v2, v6, v5
	v_div_fmas_f32 v2, v2, v3, v6
	v_div_fixup_f32 v0, v2, v1, v0
.LBB521_45:
	s_andn2_b64 vcc, exec, s[24:25]
	s_cbranch_vccnz .LBB521_55
; %bb.46:
	v_mul_lo_u32 v2, v4, s12
	s_cmp_gt_u32 s12, 3
	v_ashrrev_i32_e32 v3, 31, v2
	s_cbranch_scc0 .LBB521_50
; %bb.47:
	s_and_b32 s0, s12, 0x7ffffffc
	v_lshl_add_u64 v[4:5], v[2:3], 2, s[20:21]
	v_mov_b32_e32 v1, v0
	v_lshl_add_u64 v[4:5], v[4:5], 0, 8
	s_mov_b32 s1, s0
.LBB521_48:                             ; =>This Inner Loop Header: Depth=1
	global_load_dwordx4 v[6:9], v[4:5], off offset:-8
	s_add_i32 s1, s1, -4
	s_cmp_lg_u32 s1, 0
	s_waitcnt vmcnt(0)
	v_pk_mul_f32 v[6:7], v[0:1], v[6:7]
	v_pk_mul_f32 v[8:9], v[0:1], v[8:9]
	global_store_dwordx4 v[4:5], v[6:9], off offset:-8
	v_lshl_add_u64 v[4:5], v[4:5], 0, 16
	s_cbranch_scc1 .LBB521_48
; %bb.49:
	s_cmp_lg_u32 s0, s12
	s_cselect_b64 s[2:3], -1, 0
	s_branch .LBB521_52
.LBB521_50:
	s_mov_b64 s[2:3], 0
                                        ; implicit-def: $sgpr0
	s_cbranch_execz .LBB521_52
; %bb.51:
	s_mov_b64 s[2:3], -1
	s_mov_b32 s0, 0
.LBB521_52:
	s_andn2_b64 vcc, exec, s[2:3]
	s_cbranch_vccnz .LBB521_55
; %bb.53:
	s_mov_b32 s1, 0
	v_lshl_add_u64 v[2:3], v[2:3], 0, s[0:1]
	s_sub_i32 s2, s12, s0
	v_lshl_add_u64 v[2:3], v[2:3], 2, s[20:21]
.LBB521_54:                             ; =>This Inner Loop Header: Depth=1
	global_load_dword v1, v[2:3], off
	s_add_i32 s2, s2, -1
	s_cmp_lg_u32 s2, 0
	s_waitcnt vmcnt(0)
	v_mul_f32_e32 v1, v0, v1
	global_store_dword v[2:3], v1, off
	v_lshl_add_u64 v[2:3], v[2:3], 0, 4
	s_cbranch_scc1 .LBB521_54
.LBB521_55:
	s_endpgm
	.section	.rodata,"a",@progbits
	.p2align	6, 0x0
	.amdhsa_kernel _ZN4vllm3moe22topkGatingSoftplusSqrtILi3ELi192ELi4ELi2ELi64ELb0El14__hip_bfloat16EEvPKT6_PKbPfiPT5_PiiiibdPKfPKS9_SF_
		.amdhsa_group_segment_fixed_size 0
		.amdhsa_private_segment_fixed_size 0
		.amdhsa_kernarg_size 96
		.amdhsa_user_sgpr_count 2
		.amdhsa_user_sgpr_dispatch_ptr 0
		.amdhsa_user_sgpr_queue_ptr 0
		.amdhsa_user_sgpr_kernarg_segment_ptr 1
		.amdhsa_user_sgpr_dispatch_id 0
		.amdhsa_user_sgpr_kernarg_preload_length 0
		.amdhsa_user_sgpr_kernarg_preload_offset 0
		.amdhsa_user_sgpr_private_segment_size 0
		.amdhsa_uses_dynamic_stack 0
		.amdhsa_enable_private_segment 0
		.amdhsa_system_sgpr_workgroup_id_x 1
		.amdhsa_system_sgpr_workgroup_id_y 0
		.amdhsa_system_sgpr_workgroup_id_z 0
		.amdhsa_system_sgpr_workgroup_info 0
		.amdhsa_system_vgpr_workitem_id 1
		.amdhsa_next_free_vgpr 28
		.amdhsa_next_free_sgpr 31
		.amdhsa_accum_offset 28
		.amdhsa_reserve_vcc 1
		.amdhsa_float_round_mode_32 0
		.amdhsa_float_round_mode_16_64 0
		.amdhsa_float_denorm_mode_32 3
		.amdhsa_float_denorm_mode_16_64 3
		.amdhsa_dx10_clamp 1
		.amdhsa_ieee_mode 1
		.amdhsa_fp16_overflow 0
		.amdhsa_tg_split 0
		.amdhsa_exception_fp_ieee_invalid_op 0
		.amdhsa_exception_fp_denorm_src 0
		.amdhsa_exception_fp_ieee_div_zero 0
		.amdhsa_exception_fp_ieee_overflow 0
		.amdhsa_exception_fp_ieee_underflow 0
		.amdhsa_exception_fp_ieee_inexact 0
		.amdhsa_exception_int_div_zero 0
	.end_amdhsa_kernel
	.section	.text._ZN4vllm3moe22topkGatingSoftplusSqrtILi3ELi192ELi4ELi2ELi64ELb0El14__hip_bfloat16EEvPKT6_PKbPfiPT5_PiiiibdPKfPKS9_SF_,"axG",@progbits,_ZN4vllm3moe22topkGatingSoftplusSqrtILi3ELi192ELi4ELi2ELi64ELb0El14__hip_bfloat16EEvPKT6_PKbPfiPT5_PiiiibdPKfPKS9_SF_,comdat
.Lfunc_end521:
	.size	_ZN4vllm3moe22topkGatingSoftplusSqrtILi3ELi192ELi4ELi2ELi64ELb0El14__hip_bfloat16EEvPKT6_PKbPfiPT5_PiiiibdPKfPKS9_SF_, .Lfunc_end521-_ZN4vllm3moe22topkGatingSoftplusSqrtILi3ELi192ELi4ELi2ELi64ELb0El14__hip_bfloat16EEvPKT6_PKbPfiPT5_PiiiibdPKfPKS9_SF_
                                        ; -- End function
	.section	.AMDGPU.csdata,"",@progbits
; Kernel info:
; codeLenInByte = 2684
; NumSgprs: 37
; NumVgprs: 28
; NumAgprs: 0
; TotalNumVgprs: 28
; ScratchSize: 0
; MemoryBound: 0
; FloatMode: 240
; IeeeMode: 1
; LDSByteSize: 0 bytes/workgroup (compile time only)
; SGPRBlocks: 4
; VGPRBlocks: 3
; NumSGPRsForWavesPerEU: 37
; NumVGPRsForWavesPerEU: 28
; AccumOffset: 28
; Occupancy: 8
; WaveLimiterHint : 1
; COMPUTE_PGM_RSRC2:SCRATCH_EN: 0
; COMPUTE_PGM_RSRC2:USER_SGPR: 2
; COMPUTE_PGM_RSRC2:TRAP_HANDLER: 0
; COMPUTE_PGM_RSRC2:TGID_X_EN: 1
; COMPUTE_PGM_RSRC2:TGID_Y_EN: 0
; COMPUTE_PGM_RSRC2:TGID_Z_EN: 0
; COMPUTE_PGM_RSRC2:TIDIG_COMP_CNT: 1
; COMPUTE_PGM_RSRC3_GFX90A:ACCUM_OFFSET: 6
; COMPUTE_PGM_RSRC3_GFX90A:TG_SPLIT: 0
	.section	.text._ZN4vllm3moe22topkGatingSoftplusSqrtILi6ELi192ELi4ELi2ELi32ELb1El14__hip_bfloat16EEvPKT6_PKbPfiPT5_PiiiibdPKfPKS9_SF_,"axG",@progbits,_ZN4vllm3moe22topkGatingSoftplusSqrtILi6ELi192ELi4ELi2ELi32ELb1El14__hip_bfloat16EEvPKT6_PKbPfiPT5_PiiiibdPKfPKS9_SF_,comdat
	.protected	_ZN4vllm3moe22topkGatingSoftplusSqrtILi6ELi192ELi4ELi2ELi32ELb1El14__hip_bfloat16EEvPKT6_PKbPfiPT5_PiiiibdPKfPKS9_SF_ ; -- Begin function _ZN4vllm3moe22topkGatingSoftplusSqrtILi6ELi192ELi4ELi2ELi32ELb1El14__hip_bfloat16EEvPKT6_PKbPfiPT5_PiiiibdPKfPKS9_SF_
	.globl	_ZN4vllm3moe22topkGatingSoftplusSqrtILi6ELi192ELi4ELi2ELi32ELb1El14__hip_bfloat16EEvPKT6_PKbPfiPT5_PiiiibdPKfPKS9_SF_
	.p2align	8
	.type	_ZN4vllm3moe22topkGatingSoftplusSqrtILi6ELi192ELi4ELi2ELi32ELb1El14__hip_bfloat16EEvPKT6_PKbPfiPT5_PiiiibdPKfPKS9_SF_,@function
_ZN4vllm3moe22topkGatingSoftplusSqrtILi6ELi192ELi4ELi2ELi32ELb1El14__hip_bfloat16EEvPKT6_PKbPfiPT5_PiiiibdPKfPKS9_SF_: ; @_ZN4vllm3moe22topkGatingSoftplusSqrtILi6ELi192ELi4ELi2ELi32ELb1El14__hip_bfloat16EEvPKT6_PKbPfiPT5_PiiiibdPKfPKS9_SF_
; %bb.0:
	s_load_dword s3, s[0:1], 0x18
	v_and_b32_e32 v1, 0x3ff, v0
	s_lshl_b32 s2, s2, 2
	v_lshrrev_b32_e32 v2, 5, v1
	v_bfe_u32 v0, v0, 10, 10
	v_add3_u32 v0, s2, v0, v2
	s_waitcnt lgkmcnt(0)
	v_cmp_gt_i32_e32 vcc, s3, v0
	s_and_saveexec_b64 s[2:3], vcc
	s_cbranch_execz .LBB522_31
; %bb.1:
	s_load_dwordx4 s[8:11], s[0:1], 0x50
	s_load_dwordx2 s[2:3], s[0:1], 0x0
	s_load_dword s12, s[0:1], 0x30
	s_movk_i32 s4, 0xc0
	v_mul_lo_u32 v2, v0, s4
	s_waitcnt lgkmcnt(0)
	v_mov_b32_e32 v4, s8
	v_mov_b32_e32 v5, s9
	v_ashrrev_i32_e32 v3, 31, v2
	v_and_b32_e32 v12, 31, v1
	v_ashrrev_i32_e32 v1, 31, v0
	v_lshl_add_u64 v[6:7], v[2:3], 1, s[2:3]
	v_lshlrev_b32_e32 v2, 1, v12
	v_mov_b32_e32 v3, 0
	v_lshl_add_u64 v[4:5], v[0:1], 3, v[4:5]
	global_load_dwordx2 v[4:5], v[4:5], off
	v_lshl_add_u64 v[6:7], v[6:7], 0, v[2:3]
	global_load_ushort v1, v[6:7], off offset:64
	global_load_ushort v2, v[6:7], off
	global_load_ushort v8, v[6:7], off offset:192
	global_load_ushort v9, v[6:7], off offset:128
	;; [unrolled: 1-line block ×4, first 2 shown]
	s_mov_b32 s21, 0x800000
	s_ashr_i32 s13, s12, 31
	v_mov_b32_e32 v10, 0x4f800000
	s_mov_b32 s20, 0x3f317217
	s_mov_b32 s19, 0x7f800000
	v_mov_b32_e32 v11, 0x41b17218
	s_mov_b32 s18, 0x41a00000
	s_mov_b32 s15, 0xf800000
	v_mov_b32_e32 v18, 0x260
	v_cmp_lt_i64_e64 s[16:17], s[12:13], 1
	s_mov_b32 s14, 0
	v_cmp_gt_i64_e64 s[8:9], s[12:13], 0
	v_mul_lo_u32 v0, v0, s12
	s_waitcnt vmcnt(5)
	v_lshlrev_b32_e32 v1, 16, v1
	s_waitcnt vmcnt(4)
	v_lshlrev_b32_e32 v2, 16, v2
	v_mul_lo_u32 v13, v5, s12
	v_mul_f32_e32 v5, 0x3fb8aa3b, v2
	v_mul_f32_e32 v7, 0x3fb8aa3b, v1
	v_exp_f32_e32 v6, v5
	v_exp_f32_e32 v7, v7
	s_waitcnt vmcnt(3)
	v_lshlrev_b32_e32 v15, 16, v8
	s_waitcnt vmcnt(2)
	v_lshlrev_b32_e32 v19, 16, v9
	v_mul_f32_e32 v8, 0x3fb8aa3b, v19
	v_mul_f32_e32 v9, 0x3fb8aa3b, v15
	v_pk_add_f32 v[6:7], v[6:7], 1.0 op_sel_hi:[1,0]
	v_mul_lo_u32 v14, v4, s13
	v_exp_f32_e32 v8, v8
	v_exp_f32_e32 v9, v9
	v_mad_u64_u32 v[4:5], s[2:3], v4, s12, 0
	v_cmp_gt_f32_e32 vcc, s21, v7
	v_add3_u32 v5, v5, v14, v13
	v_cmp_gt_f32_e64 s[2:3], s21, v6
	v_cndmask_b32_e32 v13, 1.0, v10, vcc
	v_mul_f32_e32 v7, v7, v13
	v_cndmask_b32_e64 v14, 1.0, v10, s[2:3]
	v_mul_f32_e32 v6, v6, v14
	v_log_f32_e32 v7, v7
	v_pk_add_f32 v[8:9], v[8:9], 1.0 op_sel_hi:[1,0]
	v_log_f32_e32 v6, v6
	v_cmp_gt_f32_e64 s[4:5], s21, v9
	v_cndmask_b32_e32 v13, 0, v11, vcc
	v_cmp_lt_f32_e64 vcc, |v7|, s19
	v_cndmask_b32_e64 v20, 1.0, v10, s[4:5]
	v_mul_f32_e32 v9, v9, v20
	v_mul_f32_e32 v20, 0x3f317217, v7
	;; [unrolled: 1-line block ×3, first 2 shown]
	v_fma_f32 v20, v7, s20, -v20
	v_fma_f32 v21, v6, s20, -v21
	v_fmac_f32_e32 v20, 0x3377d1cf, v7
	v_fmac_f32_e32 v21, 0x3377d1cf, v6
	v_fmac_f32_e32 v20, 0x3f317217, v7
	v_fmac_f32_e32 v21, 0x3f317217, v6
	v_cndmask_b32_e32 v7, v7, v20, vcc
	v_cmp_lt_f32_e64 vcc, |v6|, s19
	v_cndmask_b32_e64 v14, 0, v11, s[2:3]
	v_sub_f32_e32 v7, v7, v13
	v_cndmask_b32_e32 v6, v6, v21, vcc
	v_sub_f32_e32 v6, v6, v14
	v_cmp_lt_f32_e32 vcc, s18, v2
	v_log_f32_e32 v9, v9
	s_waitcnt vmcnt(0)
	v_lshlrev_b32_e32 v17, 16, v17
	v_cndmask_b32_e32 v2, v6, v2, vcc
	v_cmp_lt_f32_e32 vcc, s18, v1
	v_cmp_gt_f32_e64 s[2:3], s15, v2
	v_mul_f32_e32 v22, 0x3f317217, v9
	v_cndmask_b32_e32 v1, v7, v1, vcc
	v_mul_f32_e32 v6, 0x4f800000, v1
	v_cmp_gt_f32_e32 vcc, s15, v1
	v_mul_f32_e32 v7, 0x4f800000, v2
	v_cndmask_b32_e64 v2, v2, v7, s[2:3]
	v_cndmask_b32_e32 v1, v1, v6, vcc
	v_sqrt_f32_e32 v6, v1
	v_sqrt_f32_e32 v7, v2
	v_fma_f32 v22, v9, s20, -v22
	v_fmac_f32_e32 v22, 0x3377d1cf, v9
	v_add_u32_e32 v13, -1, v6
	v_add_u32_e32 v20, -1, v7
	v_fma_f32 v23, -v13, v6, v1
	v_add_u32_e32 v14, 1, v6
	v_fma_f32 v25, -v20, v7, v2
	v_cmp_ge_f32_e64 s[6:7], 0, v23
	v_add_u32_e32 v21, 1, v7
	v_fma_f32 v24, -v14, v6, v1
	v_cndmask_b32_e64 v6, v6, v13, s[6:7]
	v_cmp_ge_f32_e64 s[6:7], 0, v25
	v_fma_f32 v26, -v21, v7, v2
	v_fmac_f32_e32 v22, 0x3f317217, v9
	v_cndmask_b32_e64 v7, v7, v20, s[6:7]
	v_cmp_lt_f32_e64 s[6:7], 0, v24
	v_lshl_add_u64 v[4:5], v[4:5], 3, s[10:11]
	s_nop 0
	v_cndmask_b32_e64 v6, v6, v14, s[6:7]
	v_cmp_lt_f32_e64 s[6:7], 0, v26
	v_mul_f32_e32 v13, 0x37800000, v6
	v_cndmask_b32_e32 v6, v6, v13, vcc
	v_cndmask_b32_e64 v7, v7, v21, s[6:7]
	v_mul_f32_e32 v14, 0x37800000, v7
	v_cmp_class_f32_e32 vcc, v1, v18
	v_cndmask_b32_e64 v7, v7, v14, s[2:3]
	v_cmp_lt_f32_e64 s[2:3], |v9|, s19
	v_cndmask_b32_e32 v13, v6, v1, vcc
	v_cmp_class_f32_e32 vcc, v2, v18
	v_cndmask_b32_e64 v6, 0, v11, s[4:5]
	s_nop 0
	v_cndmask_b32_e32 v14, v7, v2, vcc
	v_cmp_gt_f32_e32 vcc, s21, v8
	v_cndmask_b32_e64 v2, v9, v22, s[2:3]
	v_sub_f32_e32 v2, v2, v6
	v_cndmask_b32_e32 v1, 1.0, v10, vcc
	v_mul_f32_e32 v1, v8, v1
	v_log_f32_e32 v1, v1
	s_nop 0
	v_mul_f32_e32 v6, 0x3f317217, v1
	v_fma_f32 v6, v1, s20, -v6
	v_fmac_f32_e32 v6, 0x3377d1cf, v1
	v_fmac_f32_e32 v6, 0x3f317217, v1
	v_cmp_lt_f32_e64 s[2:3], |v1|, s19
	s_nop 1
	v_cndmask_b32_e64 v1, v1, v6, s[2:3]
	v_cndmask_b32_e32 v6, 0, v11, vcc
	v_cmp_lt_f32_e32 vcc, s18, v15
	v_sub_f32_e32 v1, v1, v6
	v_cmp_lt_f32_e64 s[2:3], s18, v19
	v_cndmask_b32_e32 v2, v2, v15, vcc
	v_mul_f32_e32 v7, 0x4f800000, v2
	v_cmp_gt_f32_e32 vcc, s15, v2
	v_cndmask_b32_e64 v1, v1, v19, s[2:3]
	v_lshlrev_b32_e32 v19, 16, v16
	v_cndmask_b32_e32 v2, v2, v7, vcc
	v_sqrt_f32_e32 v7, v2
	s_nop 0
	v_add_u32_e32 v6, -1, v7
	v_fma_f32 v8, -v6, v7, v2
	v_cmp_ge_f32_e64 s[2:3], 0, v8
	v_add_u32_e32 v8, 1, v7
	s_nop 0
	v_cndmask_b32_e64 v6, v7, v6, s[2:3]
	v_fma_f32 v7, -v8, v7, v2
	v_cmp_lt_f32_e64 s[2:3], 0, v7
	s_nop 1
	v_cndmask_b32_e64 v6, v6, v8, s[2:3]
	v_mul_f32_e32 v8, 0x4f800000, v1
	v_cmp_gt_f32_e64 s[2:3], s15, v1
	v_mul_f32_e32 v7, 0x37800000, v6
	v_cndmask_b32_e32 v6, v6, v7, vcc
	v_cndmask_b32_e64 v1, v1, v8, s[2:3]
	v_sqrt_f32_e32 v8, v1
	v_cmp_class_f32_e32 vcc, v2, v18
	v_mul_f32_e32 v7, 0x3fb8aa3b, v17
	v_exp_f32_e32 v7, v7
	v_cndmask_b32_e32 v15, v6, v2, vcc
	v_add_u32_e32 v2, -1, v8
	v_fma_f32 v6, -v2, v8, v1
	v_cmp_ge_f32_e32 vcc, 0, v6
	v_mul_f32_e32 v6, 0x3fb8aa3b, v19
	v_exp_f32_e32 v6, v6
	v_add_u32_e32 v9, 1, v8
	v_cndmask_b32_e32 v2, v8, v2, vcc
	v_fma_f32 v8, -v9, v8, v1
	v_cmp_lt_f32_e32 vcc, 0, v8
	v_pk_add_f32 v[6:7], v[6:7], 1.0 op_sel_hi:[1,0]
	s_nop 0
	v_cndmask_b32_e32 v2, v2, v9, vcc
	v_cmp_gt_f32_e32 vcc, s21, v7
	v_mul_f32_e32 v8, 0x37800000, v2
	v_cndmask_b32_e64 v2, v2, v8, s[2:3]
	v_cndmask_b32_e32 v9, 1.0, v10, vcc
	v_mul_f32_e32 v7, v7, v9
	v_log_f32_e32 v7, v7
	v_cmp_class_f32_e64 s[2:3], v1, v18
	v_cmp_lt_f32_e64 s[4:5], |v7|, s19
	s_nop 0
	v_cndmask_b32_e64 v16, v2, v1, s[2:3]
	v_cmp_gt_f32_e64 s[2:3], s21, v6
	v_mul_f32_e32 v1, 0x3f317217, v7
	v_fma_f32 v1, v7, s20, -v1
	v_cndmask_b32_e64 v2, 1.0, v10, s[2:3]
	v_mul_f32_e32 v2, v6, v2
	v_log_f32_e32 v2, v2
	v_fmac_f32_e32 v1, 0x3377d1cf, v7
	v_fmac_f32_e32 v1, 0x3f317217, v7
	v_cndmask_b32_e64 v1, v7, v1, s[4:5]
	v_cndmask_b32_e32 v6, 0, v11, vcc
	v_sub_f32_e32 v1, v1, v6
	v_mul_f32_e32 v6, 0x3f317217, v2
	v_fma_f32 v6, v2, s20, -v6
	v_fmac_f32_e32 v6, 0x3377d1cf, v2
	v_fmac_f32_e32 v6, 0x3f317217, v2
	v_cmp_lt_f32_e64 vcc, |v2|, s19
	s_nop 1
	v_cndmask_b32_e32 v2, v2, v6, vcc
	v_cmp_lt_f32_e32 vcc, s18, v17
	v_cndmask_b32_e64 v6, 0, v11, s[2:3]
	v_sub_f32_e32 v2, v2, v6
	v_cndmask_b32_e32 v1, v1, v17, vcc
	v_mul_f32_e32 v7, 0x4f800000, v1
	v_cmp_gt_f32_e32 vcc, s15, v1
	v_cmp_lt_f32_e64 s[2:3], s18, v19
	s_nop 0
	v_cndmask_b32_e32 v1, v1, v7, vcc
	v_sqrt_f32_e32 v7, v1
	v_cndmask_b32_e64 v2, v2, v19, s[2:3]
	v_add_u32_e32 v6, -1, v7
	v_fma_f32 v8, -v6, v7, v1
	v_cmp_ge_f32_e64 s[2:3], 0, v8
	v_add_u32_e32 v8, 1, v7
	s_nop 0
	v_cndmask_b32_e64 v6, v7, v6, s[2:3]
	v_fma_f32 v7, -v8, v7, v1
	v_cmp_lt_f32_e64 s[2:3], 0, v7
	s_nop 1
	v_cndmask_b32_e64 v6, v6, v8, s[2:3]
	v_mul_f32_e32 v8, 0x4f800000, v2
	v_cmp_gt_f32_e64 s[2:3], s15, v2
	v_mul_f32_e32 v7, 0x37800000, v6
	v_cndmask_b32_e32 v6, v6, v7, vcc
	v_cndmask_b32_e64 v2, v2, v8, s[2:3]
	v_sqrt_f32_e32 v8, v2
	v_cmp_class_f32_e32 vcc, v1, v18
	s_nop 1
	v_cndmask_b32_e32 v17, v6, v1, vcc
	v_add_u32_e32 v1, -1, v8
	v_fma_f32 v6, -v1, v8, v2
	v_cmp_ge_f32_e32 vcc, 0, v6
	v_add_u32_e32 v6, 1, v8
	v_fma_f32 v7, -v6, v8, v2
	v_cndmask_b32_e32 v1, v8, v1, vcc
	v_cmp_lt_f32_e32 vcc, 0, v7
	s_nop 1
	v_cndmask_b32_e32 v1, v1, v6, vcc
	v_mul_f32_e32 v6, 0x37800000, v1
	v_cndmask_b32_e64 v1, v1, v6, s[2:3]
	v_cmp_class_f32_e32 vcc, v2, v18
	s_nop 1
	v_cndmask_b32_e32 v18, v1, v2, vcc
	s_and_b64 vcc, exec, s[16:17]
	s_cbranch_vccnz .LBB522_28
; %bb.2:
	s_load_dwordx2 s[4:5], s[0:1], 0x20
	s_cmp_lt_u32 s12, 4
	v_sub_u32_e32 v2, 0, v12
	s_cbranch_scc1 .LBB522_21
; %bb.3:
	s_mov_b32 s7, 0
	s_and_b32 s14, s12, 0x7ffffffc
	v_ashrrev_i32_e32 v1, 31, v0
	v_mov_b32_e32 v3, 0
	s_mov_b32 s6, s7
	s_branch .LBB522_5
.LBB522_4:                              ;   in Loop: Header=BB522_5 Depth=1
	s_or_b64 exec, exec, s[10:11]
	s_add_i32 s6, s6, 4
	s_cmp_eq_u32 s6, s14
	s_cbranch_scc1 .LBB522_21
.LBB522_5:                              ; =>This Loop Header: Depth=1
                                        ;     Child Loop BB522_7 Depth 2
                                        ;     Child Loop BB522_11 Depth 2
	;; [unrolled: 1-line block ×4, first 2 shown]
	v_lshl_add_u64 v[6:7], s[6:7], 3, v[4:5]
	global_load_dwordx2 v[8:9], v[6:7], off
	v_add_u32_e32 v10, s6, v0
	v_ashrrev_i32_e32 v11, 31, v10
	s_mov_b64 s[10:11], 0
	s_waitcnt lgkmcnt(0)
	v_lshl_add_u64 v[10:11], v[10:11], 3, s[4:5]
	s_mov_b64 s[16:17], 0
	s_waitcnt vmcnt(0)
	v_ashrrev_i32_e32 v9, 31, v8
	v_add_u32_e32 v19, v2, v8
	s_branch .LBB522_7
.LBB522_6:                              ;   in Loop: Header=BB522_7 Depth=2
	s_or_b64 exec, exec, s[18:19]
	s_cmp_gt_u32 s16, 4
	s_cselect_b64 s[2:3], -1, 0
	s_xor_b64 s[18:19], vcc, -1
	s_or_b64 s[2:3], s[18:19], s[2:3]
	s_add_u32 s16, s16, 1
	s_addc_u32 s17, s17, 0
	s_and_b64 s[2:3], exec, s[2:3]
	s_or_b64 s[10:11], s[2:3], s[10:11]
	v_subrev_u32_e32 v19, 32, v19
	s_andn2_b64 exec, exec, s[10:11]
	s_cbranch_execz .LBB522_9
.LBB522_7:                              ;   Parent Loop BB522_5 Depth=1
                                        ; =>  This Inner Loop Header: Depth=2
	v_cmp_ne_u32_e32 vcc, 0, v19
	v_cmp_eq_u32_e64 s[2:3], 0, v19
	s_and_saveexec_b64 s[18:19], s[2:3]
	s_cbranch_execz .LBB522_6
; %bb.8:                                ;   in Loop: Header=BB522_7 Depth=2
	s_cmp_eq_u32 s16, 1
	s_cselect_b64 s[2:3], -1, 0
	s_cmp_eq_u32 s16, 2
	v_cndmask_b32_e64 v20, v14, v13, s[2:3]
	s_cselect_b64 s[2:3], -1, 0
	s_cmp_eq_u32 s16, 3
	v_cndmask_b32_e64 v20, v20, v16, s[2:3]
	;; [unrolled: 3-line block ×4, first 2 shown]
	s_cselect_b64 s[2:3], -1, 0
	v_cndmask_b32_e64 v20, v20, v17, s[2:3]
	v_add_f32_e32 v3, v3, v20
	global_store_dwordx2 v[10:11], v[8:9], off
	s_branch .LBB522_6
.LBB522_9:                              ;   in Loop: Header=BB522_5 Depth=1
	s_or_b64 exec, exec, s[10:11]
	global_load_dwordx2 v[10:11], v[6:7], off offset:8
	s_ashr_i32 s3, s6, 31
	s_mov_b32 s2, s6
	v_lshl_add_u64 v[8:9], s[2:3], 0, v[0:1]
	s_mov_b64 s[10:11], 0
	v_lshl_add_u64 v[8:9], v[8:9], 3, s[4:5]
	s_mov_b64 s[16:17], 0
	s_waitcnt vmcnt(0)
	v_ashrrev_i32_e32 v11, 31, v10
	v_add_u32_e32 v19, v2, v10
	s_branch .LBB522_11
.LBB522_10:                             ;   in Loop: Header=BB522_11 Depth=2
	s_or_b64 exec, exec, s[18:19]
	s_cmp_gt_u32 s16, 4
	s_cselect_b64 s[2:3], -1, 0
	s_xor_b64 s[18:19], vcc, -1
	s_or_b64 s[2:3], s[18:19], s[2:3]
	s_add_u32 s16, s16, 1
	s_addc_u32 s17, s17, 0
	s_and_b64 s[2:3], exec, s[2:3]
	s_or_b64 s[10:11], s[2:3], s[10:11]
	v_subrev_u32_e32 v19, 32, v19
	s_andn2_b64 exec, exec, s[10:11]
	s_cbranch_execz .LBB522_13
.LBB522_11:                             ;   Parent Loop BB522_5 Depth=1
                                        ; =>  This Inner Loop Header: Depth=2
	v_cmp_ne_u32_e32 vcc, 0, v19
	v_cmp_eq_u32_e64 s[2:3], 0, v19
	s_and_saveexec_b64 s[18:19], s[2:3]
	s_cbranch_execz .LBB522_10
; %bb.12:                               ;   in Loop: Header=BB522_11 Depth=2
	s_cmp_eq_u32 s16, 1
	s_cselect_b64 s[2:3], -1, 0
	s_cmp_eq_u32 s16, 2
	v_cndmask_b32_e64 v20, v14, v13, s[2:3]
	s_cselect_b64 s[2:3], -1, 0
	s_cmp_eq_u32 s16, 3
	v_cndmask_b32_e64 v20, v20, v16, s[2:3]
	;; [unrolled: 3-line block ×4, first 2 shown]
	s_cselect_b64 s[2:3], -1, 0
	v_cndmask_b32_e64 v20, v20, v17, s[2:3]
	v_add_f32_e32 v3, v3, v20
	global_store_dwordx2 v[8:9], v[10:11], off offset:8
	s_branch .LBB522_10
.LBB522_13:                             ;   in Loop: Header=BB522_5 Depth=1
	s_or_b64 exec, exec, s[10:11]
	global_load_dwordx2 v[10:11], v[6:7], off offset:16
	s_mov_b64 s[10:11], 0
	s_mov_b64 s[16:17], 0
	s_waitcnt vmcnt(0)
	v_ashrrev_i32_e32 v11, 31, v10
	v_add_u32_e32 v19, v2, v10
	s_branch .LBB522_15
.LBB522_14:                             ;   in Loop: Header=BB522_15 Depth=2
	s_or_b64 exec, exec, s[18:19]
	s_cmp_gt_u32 s16, 4
	s_cselect_b64 s[2:3], -1, 0
	s_xor_b64 s[18:19], vcc, -1
	s_or_b64 s[2:3], s[18:19], s[2:3]
	s_add_u32 s16, s16, 1
	s_addc_u32 s17, s17, 0
	s_and_b64 s[2:3], exec, s[2:3]
	s_or_b64 s[10:11], s[2:3], s[10:11]
	v_subrev_u32_e32 v19, 32, v19
	s_andn2_b64 exec, exec, s[10:11]
	s_cbranch_execz .LBB522_17
.LBB522_15:                             ;   Parent Loop BB522_5 Depth=1
                                        ; =>  This Inner Loop Header: Depth=2
	v_cmp_ne_u32_e32 vcc, 0, v19
	v_cmp_eq_u32_e64 s[2:3], 0, v19
	s_and_saveexec_b64 s[18:19], s[2:3]
	s_cbranch_execz .LBB522_14
; %bb.16:                               ;   in Loop: Header=BB522_15 Depth=2
	s_cmp_eq_u32 s16, 1
	s_cselect_b64 s[2:3], -1, 0
	s_cmp_eq_u32 s16, 2
	v_cndmask_b32_e64 v20, v14, v13, s[2:3]
	s_cselect_b64 s[2:3], -1, 0
	s_cmp_eq_u32 s16, 3
	v_cndmask_b32_e64 v20, v20, v16, s[2:3]
	;; [unrolled: 3-line block ×4, first 2 shown]
	s_cselect_b64 s[2:3], -1, 0
	v_cndmask_b32_e64 v20, v20, v17, s[2:3]
	v_add_f32_e32 v3, v3, v20
	global_store_dwordx2 v[8:9], v[10:11], off offset:16
	s_branch .LBB522_14
.LBB522_17:                             ;   in Loop: Header=BB522_5 Depth=1
	s_or_b64 exec, exec, s[10:11]
	global_load_dwordx2 v[6:7], v[6:7], off offset:24
	s_mov_b64 s[10:11], 0
	s_mov_b64 s[16:17], 0
	s_waitcnt vmcnt(0)
	v_ashrrev_i32_e32 v7, 31, v6
	v_add_u32_e32 v10, v2, v6
	s_branch .LBB522_19
.LBB522_18:                             ;   in Loop: Header=BB522_19 Depth=2
	s_or_b64 exec, exec, s[18:19]
	s_cmp_gt_u32 s16, 4
	s_cselect_b64 s[2:3], -1, 0
	s_xor_b64 s[18:19], vcc, -1
	s_or_b64 s[2:3], s[18:19], s[2:3]
	s_add_u32 s16, s16, 1
	s_addc_u32 s17, s17, 0
	s_and_b64 s[2:3], exec, s[2:3]
	s_or_b64 s[10:11], s[2:3], s[10:11]
	v_subrev_u32_e32 v10, 32, v10
	s_andn2_b64 exec, exec, s[10:11]
	s_cbranch_execz .LBB522_4
.LBB522_19:                             ;   Parent Loop BB522_5 Depth=1
                                        ; =>  This Inner Loop Header: Depth=2
	v_cmp_ne_u32_e32 vcc, 0, v10
	v_cmp_eq_u32_e64 s[2:3], 0, v10
	s_and_saveexec_b64 s[18:19], s[2:3]
	s_cbranch_execz .LBB522_18
; %bb.20:                               ;   in Loop: Header=BB522_19 Depth=2
	s_cmp_eq_u32 s16, 1
	s_cselect_b64 s[2:3], -1, 0
	s_cmp_eq_u32 s16, 2
	v_cndmask_b32_e64 v11, v14, v13, s[2:3]
	s_cselect_b64 s[2:3], -1, 0
	s_cmp_eq_u32 s16, 3
	v_cndmask_b32_e64 v11, v11, v16, s[2:3]
	;; [unrolled: 3-line block ×4, first 2 shown]
	s_cselect_b64 s[2:3], -1, 0
	v_cndmask_b32_e64 v11, v11, v17, s[2:3]
	v_add_f32_e32 v3, v3, v11
	global_store_dwordx2 v[8:9], v[6:7], off offset:24
	s_branch .LBB522_18
.LBB522_21:
	s_and_b32 s13, s12, 3
	s_cmp_eq_u32 s13, 0
	s_mov_b32 s15, 0
	s_cbranch_scc1 .LBB522_28
; %bb.22:
	s_mov_b32 s18, s15
	s_branch .LBB522_24
.LBB522_23:                             ;   in Loop: Header=BB522_24 Depth=1
	s_or_b64 exec, exec, s[6:7]
	s_add_i32 s14, s14, 1
	s_add_i32 s18, s18, 1
	s_cmp_lg_u32 s18, s13
	s_cbranch_scc0 .LBB522_28
.LBB522_24:                             ; =>This Loop Header: Depth=1
                                        ;     Child Loop BB522_26 Depth 2
	v_lshl_add_u64 v[6:7], s[14:15], 3, v[4:5]
	global_load_dwordx2 v[6:7], v[6:7], off
	v_add_u32_e32 v8, s14, v0
	v_ashrrev_i32_e32 v9, 31, v8
	s_mov_b64 s[6:7], 0
	s_waitcnt lgkmcnt(0)
	v_lshl_add_u64 v[8:9], v[8:9], 3, s[4:5]
	s_mov_b64 s[10:11], 0
	s_waitcnt vmcnt(0)
	v_ashrrev_i32_e32 v7, 31, v6
	v_add_u32_e32 v1, v2, v6
	s_branch .LBB522_26
.LBB522_25:                             ;   in Loop: Header=BB522_26 Depth=2
	s_or_b64 exec, exec, s[16:17]
	s_cmp_gt_u32 s10, 4
	s_cselect_b64 s[2:3], -1, 0
	s_xor_b64 s[16:17], vcc, -1
	s_or_b64 s[2:3], s[16:17], s[2:3]
	s_add_u32 s10, s10, 1
	s_addc_u32 s11, s11, 0
	s_and_b64 s[2:3], exec, s[2:3]
	s_or_b64 s[6:7], s[2:3], s[6:7]
	v_subrev_u32_e32 v1, 32, v1
	s_andn2_b64 exec, exec, s[6:7]
	s_cbranch_execz .LBB522_23
.LBB522_26:                             ;   Parent Loop BB522_24 Depth=1
                                        ; =>  This Inner Loop Header: Depth=2
	v_cmp_ne_u32_e32 vcc, 0, v1
	v_cmp_eq_u32_e64 s[2:3], 0, v1
	s_and_saveexec_b64 s[16:17], s[2:3]
	s_cbranch_execz .LBB522_25
; %bb.27:                               ;   in Loop: Header=BB522_26 Depth=2
	s_cmp_eq_u32 s10, 1
	s_cselect_b64 s[2:3], -1, 0
	s_cmp_eq_u32 s10, 2
	v_cndmask_b32_e64 v10, v14, v13, s[2:3]
	s_cselect_b64 s[2:3], -1, 0
	s_cmp_eq_u32 s10, 3
	v_cndmask_b32_e64 v10, v10, v16, s[2:3]
	;; [unrolled: 3-line block ×4, first 2 shown]
	s_cselect_b64 s[2:3], -1, 0
	v_cndmask_b32_e64 v10, v10, v17, s[2:3]
	v_add_f32_e32 v3, v3, v10
	global_store_dwordx2 v[8:9], v[6:7], off
	s_branch .LBB522_25
.LBB522_28:
	s_waitcnt lgkmcnt(0)
	s_load_dword s4, s[0:1], 0x3c
	s_waitcnt lgkmcnt(0)
	s_bitcmp1_b32 s4, 0
	s_cselect_b64 s[2:3], -1, 0
	s_bitcmp0_b32 s4, 0
	s_cbranch_scc0 .LBB522_32
; %bb.29:
	s_load_dwordx2 s[4:5], s[0:1], 0x40
	s_andn2_b64 vcc, exec, s[2:3]
	s_waitcnt lgkmcnt(0)
	v_cvt_f32_f64_e32 v10, s[4:5]
	s_cbranch_vccz .LBB522_33
.LBB522_30:
	s_andn2_b64 vcc, exec, s[8:9]
	s_cbranch_vccz .LBB522_34
.LBB522_31:
	s_endpgm
.LBB522_32:
	v_mbcnt_lo_u32_b32 v1, -1, 0
	v_mbcnt_hi_u32_b32 v1, -1, v1
	v_and_b32_e32 v2, 0x60, v1
	v_add_u32_e32 v2, 32, v2
	v_xor_b32_e32 v6, 16, v1
	v_cmp_lt_i32_e32 vcc, v6, v2
	v_xor_b32_e32 v7, 8, v1
	s_nop 0
	v_cndmask_b32_e32 v6, v1, v6, vcc
	v_lshlrev_b32_e32 v6, 2, v6
	ds_bpermute_b32 v6, v6, v3
	v_cmp_lt_i32_e32 vcc, v7, v2
	s_waitcnt lgkmcnt(0)
	v_add_f32_e32 v3, v3, v6
	v_cndmask_b32_e32 v6, v1, v7, vcc
	v_lshlrev_b32_e32 v6, 2, v6
	ds_bpermute_b32 v6, v6, v3
	v_xor_b32_e32 v7, 4, v1
	v_cmp_lt_i32_e32 vcc, v7, v2
	s_waitcnt lgkmcnt(0)
	v_add_f32_e32 v3, v3, v6
	v_cndmask_b32_e32 v6, v1, v7, vcc
	v_lshlrev_b32_e32 v6, 2, v6
	ds_bpermute_b32 v6, v6, v3
	v_xor_b32_e32 v7, 2, v1
	;; [unrolled: 7-line block ×3, first 2 shown]
	v_cmp_lt_i32_e32 vcc, v7, v2
	s_waitcnt lgkmcnt(0)
	v_add_f32_e32 v3, v3, v6
	v_cndmask_b32_e32 v1, v1, v7, vcc
	v_lshlrev_b32_e32 v1, 2, v1
	ds_bpermute_b32 v1, v1, v3
	s_waitcnt lgkmcnt(0)
	v_add_f32_e32 v3, v3, v1
	s_load_dwordx2 s[4:5], s[0:1], 0x40
	s_andn2_b64 vcc, exec, s[2:3]
	s_waitcnt lgkmcnt(0)
	v_cvt_f32_f64_e32 v10, s[4:5]
	s_cbranch_vccnz .LBB522_30
.LBB522_33:
	v_cmp_lt_f32_e32 vcc, 0, v3
	s_nop 1
	v_cndmask_b32_e32 v1, 1.0, v3, vcc
	v_div_scale_f32 v2, s[2:3], v1, v1, v10
	v_rcp_f32_e32 v3, v2
	s_nop 0
	v_fma_f32 v6, -v2, v3, 1.0
	v_fmac_f32_e32 v3, v6, v3
	v_div_scale_f32 v6, vcc, v10, v1, v10
	v_mul_f32_e32 v7, v6, v3
	v_fma_f32 v8, -v2, v7, v6
	v_fmac_f32_e32 v7, v8, v3
	v_fma_f32 v2, -v2, v7, v6
	v_div_fmas_f32 v2, v2, v3, v7
	v_div_fixup_f32 v10, v2, v1, v10
	s_andn2_b64 vcc, exec, s[8:9]
	s_cbranch_vccnz .LBB522_31
.LBB522_34:
	s_load_dwordx2 s[8:9], s[0:1], 0x10
	v_or_b32_e32 v22, 32, v12
	v_or_b32_e32 v21, 64, v12
	;; [unrolled: 1-line block ×5, first 2 shown]
	s_cmp_eq_u32 s12, 1
	s_mov_b32 s10, 0
	s_cbranch_scc1 .LBB522_61
; %bb.35:
	v_ashrrev_i32_e32 v1, 31, v0
	s_waitcnt lgkmcnt(0)
	v_lshl_add_u64 v[2:3], v[0:1], 2, s[8:9]
	s_and_b32 s10, s12, 0x7ffffffe
	v_lshl_add_u64 v[2:3], v[2:3], 0, 4
	v_lshl_add_u64 v[6:7], v[4:5], 0, 8
	s_mov_b32 s11, 0
	s_branch .LBB522_37
.LBB522_36:                             ;   in Loop: Header=BB522_37 Depth=1
	s_or_b64 exec, exec, s[0:1]
	s_add_i32 s11, s11, 2
	v_lshl_add_u64 v[2:3], v[2:3], 0, 8
	s_cmp_lg_u32 s10, s11
	v_lshl_add_u64 v[6:7], v[6:7], 0, 16
	s_cbranch_scc0 .LBB522_61
.LBB522_37:                             ; =>This Inner Loop Header: Depth=1
	global_load_dword v1, v[6:7], off offset:-8
	v_mov_b64_e32 v[8:9], 0
	s_waitcnt vmcnt(0)
	v_cmp_eq_u32_e32 vcc, v12, v1
	v_cmp_ne_u32_e64 s[0:1], v12, v1
	s_and_saveexec_b64 s[14:15], s[0:1]
	s_cbranch_execz .LBB522_47
; %bb.38:                               ;   in Loop: Header=BB522_37 Depth=1
	v_cmp_eq_u32_e64 s[0:1], v22, v1
	v_cmp_ne_u32_e64 s[2:3], v22, v1
	v_mov_b64_e32 v[8:9], 1
	s_and_saveexec_b64 s[16:17], s[2:3]
	s_cbranch_execz .LBB522_46
; %bb.39:                               ;   in Loop: Header=BB522_37 Depth=1
	v_cmp_eq_u32_e64 s[2:3], v21, v1
	v_cmp_ne_u32_e64 s[4:5], v21, v1
	v_mov_b64_e32 v[8:9], 2
	;; [unrolled: 6-line block ×4, first 2 shown]
	s_and_saveexec_b64 s[24:25], s[6:7]
	s_xor_b64 s[24:25], exec, s[24:25]
; %bb.42:                               ;   in Loop: Header=BB522_37 Depth=1
	v_cmp_eq_u32_e64 s[6:7], v11, v1
	s_andn2_b64 s[22:23], s[22:23], exec
	s_and_b64 s[6:7], s[6:7], exec
	v_mov_b64_e32 v[8:9], 5
	s_or_b64 s[22:23], s[22:23], s[6:7]
; %bb.43:                               ;   in Loop: Header=BB522_37 Depth=1
	s_or_b64 exec, exec, s[24:25]
	s_andn2_b64 s[4:5], s[4:5], exec
	s_and_b64 s[6:7], s[22:23], exec
	s_or_b64 s[4:5], s[4:5], s[6:7]
.LBB522_44:                             ;   in Loop: Header=BB522_37 Depth=1
	s_or_b64 exec, exec, s[20:21]
	s_andn2_b64 s[2:3], s[2:3], exec
	s_and_b64 s[4:5], s[4:5], exec
	s_or_b64 s[2:3], s[2:3], s[4:5]
.LBB522_45:                             ;   in Loop: Header=BB522_37 Depth=1
	s_or_b64 exec, exec, s[18:19]
	s_andn2_b64 s[0:1], s[0:1], exec
	s_and_b64 s[2:3], s[2:3], exec
	s_or_b64 s[0:1], s[0:1], s[2:3]
.LBB522_46:                             ;   in Loop: Header=BB522_37 Depth=1
	s_or_b64 exec, exec, s[16:17]
	s_andn2_b64 s[2:3], vcc, exec
	s_and_b64 s[0:1], s[0:1], exec
	s_or_b64 vcc, s[2:3], s[0:1]
.LBB522_47:                             ;   in Loop: Header=BB522_37 Depth=1
	s_or_b64 exec, exec, s[14:15]
	s_and_saveexec_b64 s[0:1], vcc
	s_cbranch_execz .LBB522_49
; %bb.48:                               ;   in Loop: Header=BB522_37 Depth=1
	v_cmp_eq_u32_e32 vcc, 1, v8
	v_add_u32_e32 v24, s11, v0
	v_ashrrev_i32_e32 v25, 31, v24
	v_cndmask_b32_e32 v1, v14, v13, vcc
	v_cmp_eq_u32_e32 vcc, 2, v8
	s_nop 1
	v_cndmask_b32_e32 v1, v1, v16, vcc
	v_cmp_eq_u32_e32 vcc, 3, v8
	s_nop 1
	;; [unrolled: 3-line block ×3, first 2 shown]
	v_cndmask_b32_e32 v1, v1, v18, vcc
	v_cmp_eq_u32_e32 vcc, 5, v8
	v_lshl_add_u64 v[8:9], v[24:25], 2, s[8:9]
	s_nop 0
	v_cndmask_b32_e32 v1, v1, v17, vcc
	v_mul_f32_e32 v1, v10, v1
	global_store_dword v[8:9], v1, off
.LBB522_49:                             ;   in Loop: Header=BB522_37 Depth=1
	s_or_b64 exec, exec, s[0:1]
	global_load_dword v1, v[6:7], off
	v_mov_b64_e32 v[8:9], 0
	s_waitcnt vmcnt(0)
	v_cmp_eq_u32_e64 s[4:5], v12, v1
	v_cmp_ne_u32_e32 vcc, v12, v1
	s_and_saveexec_b64 s[6:7], vcc
	s_cbranch_execz .LBB522_59
; %bb.50:                               ;   in Loop: Header=BB522_37 Depth=1
	v_cmp_eq_u32_e32 vcc, v22, v1
	v_cmp_ne_u32_e64 s[0:1], v22, v1
	v_mov_b64_e32 v[8:9], 1
	s_and_saveexec_b64 s[14:15], s[0:1]
	s_cbranch_execz .LBB522_58
; %bb.51:                               ;   in Loop: Header=BB522_37 Depth=1
	v_cmp_eq_u32_e64 s[0:1], v21, v1
	v_cmp_ne_u32_e64 s[2:3], v21, v1
	v_mov_b64_e32 v[8:9], 2
	s_and_saveexec_b64 s[16:17], s[2:3]
	s_cbranch_execz .LBB522_57
; %bb.52:                               ;   in Loop: Header=BB522_37 Depth=1
	v_cmp_eq_u32_e64 s[18:19], v20, v1
	;; [unrolled: 6-line block ×3, first 2 shown]
	v_cmp_ne_u32_e64 s[2:3], v19, v1
	v_mov_b64_e32 v[8:9], 4
	s_and_saveexec_b64 s[24:25], s[2:3]
; %bb.54:                               ;   in Loop: Header=BB522_37 Depth=1
	v_cmp_eq_u32_e64 s[2:3], v11, v1
	s_andn2_b64 s[22:23], s[22:23], exec
	s_and_b64 s[2:3], s[2:3], exec
	v_mov_b64_e32 v[8:9], 5
	s_or_b64 s[22:23], s[22:23], s[2:3]
; %bb.55:                               ;   in Loop: Header=BB522_37 Depth=1
	s_or_b64 exec, exec, s[24:25]
	s_andn2_b64 s[2:3], s[18:19], exec
	s_and_b64 s[18:19], s[22:23], exec
	s_or_b64 s[18:19], s[2:3], s[18:19]
.LBB522_56:                             ;   in Loop: Header=BB522_37 Depth=1
	s_or_b64 exec, exec, s[20:21]
	s_andn2_b64 s[0:1], s[0:1], exec
	s_and_b64 s[2:3], s[18:19], exec
	s_or_b64 s[0:1], s[0:1], s[2:3]
.LBB522_57:                             ;   in Loop: Header=BB522_37 Depth=1
	s_or_b64 exec, exec, s[16:17]
	s_andn2_b64 s[2:3], vcc, exec
	s_and_b64 s[0:1], s[0:1], exec
	s_or_b64 vcc, s[2:3], s[0:1]
.LBB522_58:                             ;   in Loop: Header=BB522_37 Depth=1
	s_or_b64 exec, exec, s[14:15]
	s_andn2_b64 s[0:1], s[4:5], exec
	s_and_b64 s[2:3], vcc, exec
	s_or_b64 s[4:5], s[0:1], s[2:3]
.LBB522_59:                             ;   in Loop: Header=BB522_37 Depth=1
	s_or_b64 exec, exec, s[6:7]
	s_and_saveexec_b64 s[0:1], s[4:5]
	s_cbranch_execz .LBB522_36
; %bb.60:                               ;   in Loop: Header=BB522_37 Depth=1
	v_cmp_eq_u32_e32 vcc, 1, v8
	s_nop 1
	v_cndmask_b32_e32 v1, v14, v13, vcc
	v_cmp_eq_u32_e32 vcc, 2, v8
	s_nop 1
	v_cndmask_b32_e32 v1, v1, v16, vcc
	v_cmp_eq_u32_e32 vcc, 3, v8
	s_nop 1
	v_cndmask_b32_e32 v1, v1, v15, vcc
	v_cmp_eq_u32_e32 vcc, 4, v8
	s_nop 1
	v_cndmask_b32_e32 v1, v1, v18, vcc
	v_cmp_eq_u32_e32 vcc, 5, v8
	s_nop 1
	v_cndmask_b32_e32 v1, v1, v17, vcc
	v_mul_f32_e32 v1, v10, v1
	global_store_dword v[2:3], v1, off
	s_branch .LBB522_36
.LBB522_61:
	s_bitcmp0_b32 s12, 0
	s_mov_b32 s11, 0
	s_cbranch_scc1 .LBB522_31
; %bb.62:
	v_lshl_add_u64 v[2:3], s[10:11], 3, v[4:5]
	global_load_dword v1, v[2:3], off
	v_mov_b64_e32 v[2:3], 0
	s_waitcnt vmcnt(0)
	v_cmp_eq_u32_e64 s[4:5], v12, v1
	v_cmp_ne_u32_e32 vcc, v12, v1
	s_and_saveexec_b64 s[6:7], vcc
	s_cbranch_execz .LBB522_72
; %bb.63:
	v_cmp_eq_u32_e32 vcc, v22, v1
	v_cmp_ne_u32_e64 s[0:1], v22, v1
	v_mov_b64_e32 v[2:3], 1
	s_and_saveexec_b64 s[12:13], s[0:1]
	s_cbranch_execz .LBB522_71
; %bb.64:
	v_cmp_eq_u32_e64 s[0:1], v21, v1
	v_cmp_ne_u32_e64 s[2:3], v21, v1
	v_mov_b64_e32 v[2:3], 2
	s_and_saveexec_b64 s[14:15], s[2:3]
	s_cbranch_execz .LBB522_70
; %bb.65:
	v_cmp_eq_u32_e64 s[16:17], v20, v1
	;; [unrolled: 6-line block ×3, first 2 shown]
	v_cmp_ne_u32_e64 s[2:3], v19, v1
	v_mov_b64_e32 v[2:3], 4
	s_and_saveexec_b64 s[22:23], s[2:3]
; %bb.67:
	v_cmp_eq_u32_e64 s[2:3], v11, v1
	s_andn2_b64 s[20:21], s[20:21], exec
	s_and_b64 s[2:3], s[2:3], exec
	v_mov_b64_e32 v[2:3], 5
	s_or_b64 s[20:21], s[20:21], s[2:3]
; %bb.68:
	s_or_b64 exec, exec, s[22:23]
	s_andn2_b64 s[2:3], s[16:17], exec
	s_and_b64 s[16:17], s[20:21], exec
	s_or_b64 s[16:17], s[2:3], s[16:17]
.LBB522_69:
	s_or_b64 exec, exec, s[18:19]
	s_andn2_b64 s[0:1], s[0:1], exec
	s_and_b64 s[2:3], s[16:17], exec
	s_or_b64 s[0:1], s[0:1], s[2:3]
.LBB522_70:
	s_or_b64 exec, exec, s[14:15]
	s_andn2_b64 s[2:3], vcc, exec
	s_and_b64 s[0:1], s[0:1], exec
	s_or_b64 vcc, s[2:3], s[0:1]
.LBB522_71:
	s_or_b64 exec, exec, s[12:13]
	s_andn2_b64 s[0:1], s[4:5], exec
	s_and_b64 s[2:3], vcc, exec
	s_or_b64 s[4:5], s[0:1], s[2:3]
.LBB522_72:
	s_or_b64 exec, exec, s[6:7]
	s_and_b64 exec, exec, s[4:5]
	s_cbranch_execz .LBB522_31
; %bb.73:
	v_cmp_eq_u32_e32 vcc, 1, v2
	v_add_u32_e32 v0, s10, v0
	s_nop 0
	v_cndmask_b32_e32 v1, v14, v13, vcc
	v_cmp_eq_u32_e32 vcc, 2, v2
	s_nop 1
	v_cndmask_b32_e32 v1, v1, v16, vcc
	v_cmp_eq_u32_e32 vcc, 3, v2
	;; [unrolled: 3-line block ×4, first 2 shown]
	s_nop 1
	v_cndmask_b32_e32 v1, v1, v17, vcc
	v_mul_f32_e32 v2, v10, v1
	v_ashrrev_i32_e32 v1, 31, v0
	s_waitcnt lgkmcnt(0)
	v_lshl_add_u64 v[0:1], v[0:1], 2, s[8:9]
	global_store_dword v[0:1], v2, off
	s_endpgm
	.section	.rodata,"a",@progbits
	.p2align	6, 0x0
	.amdhsa_kernel _ZN4vllm3moe22topkGatingSoftplusSqrtILi6ELi192ELi4ELi2ELi32ELb1El14__hip_bfloat16EEvPKT6_PKbPfiPT5_PiiiibdPKfPKS9_SF_
		.amdhsa_group_segment_fixed_size 0
		.amdhsa_private_segment_fixed_size 0
		.amdhsa_kernarg_size 96
		.amdhsa_user_sgpr_count 2
		.amdhsa_user_sgpr_dispatch_ptr 0
		.amdhsa_user_sgpr_queue_ptr 0
		.amdhsa_user_sgpr_kernarg_segment_ptr 1
		.amdhsa_user_sgpr_dispatch_id 0
		.amdhsa_user_sgpr_kernarg_preload_length 0
		.amdhsa_user_sgpr_kernarg_preload_offset 0
		.amdhsa_user_sgpr_private_segment_size 0
		.amdhsa_uses_dynamic_stack 0
		.amdhsa_enable_private_segment 0
		.amdhsa_system_sgpr_workgroup_id_x 1
		.amdhsa_system_sgpr_workgroup_id_y 0
		.amdhsa_system_sgpr_workgroup_id_z 0
		.amdhsa_system_sgpr_workgroup_info 0
		.amdhsa_system_vgpr_workitem_id 1
		.amdhsa_next_free_vgpr 27
		.amdhsa_next_free_sgpr 26
		.amdhsa_accum_offset 28
		.amdhsa_reserve_vcc 1
		.amdhsa_float_round_mode_32 0
		.amdhsa_float_round_mode_16_64 0
		.amdhsa_float_denorm_mode_32 3
		.amdhsa_float_denorm_mode_16_64 3
		.amdhsa_dx10_clamp 1
		.amdhsa_ieee_mode 1
		.amdhsa_fp16_overflow 0
		.amdhsa_tg_split 0
		.amdhsa_exception_fp_ieee_invalid_op 0
		.amdhsa_exception_fp_denorm_src 0
		.amdhsa_exception_fp_ieee_div_zero 0
		.amdhsa_exception_fp_ieee_overflow 0
		.amdhsa_exception_fp_ieee_underflow 0
		.amdhsa_exception_fp_ieee_inexact 0
		.amdhsa_exception_int_div_zero 0
	.end_amdhsa_kernel
	.section	.text._ZN4vllm3moe22topkGatingSoftplusSqrtILi6ELi192ELi4ELi2ELi32ELb1El14__hip_bfloat16EEvPKT6_PKbPfiPT5_PiiiibdPKfPKS9_SF_,"axG",@progbits,_ZN4vllm3moe22topkGatingSoftplusSqrtILi6ELi192ELi4ELi2ELi32ELb1El14__hip_bfloat16EEvPKT6_PKbPfiPT5_PiiiibdPKfPKS9_SF_,comdat
.Lfunc_end522:
	.size	_ZN4vllm3moe22topkGatingSoftplusSqrtILi6ELi192ELi4ELi2ELi32ELb1El14__hip_bfloat16EEvPKT6_PKbPfiPT5_PiiiibdPKfPKS9_SF_, .Lfunc_end522-_ZN4vllm3moe22topkGatingSoftplusSqrtILi6ELi192ELi4ELi2ELi32ELb1El14__hip_bfloat16EEvPKT6_PKbPfiPT5_PiiiibdPKfPKS9_SF_
                                        ; -- End function
	.section	.AMDGPU.csdata,"",@progbits
; Kernel info:
; codeLenInByte = 4360
; NumSgprs: 32
; NumVgprs: 27
; NumAgprs: 0
; TotalNumVgprs: 27
; ScratchSize: 0
; MemoryBound: 0
; FloatMode: 240
; IeeeMode: 1
; LDSByteSize: 0 bytes/workgroup (compile time only)
; SGPRBlocks: 3
; VGPRBlocks: 3
; NumSGPRsForWavesPerEU: 32
; NumVGPRsForWavesPerEU: 27
; AccumOffset: 28
; Occupancy: 8
; WaveLimiterHint : 1
; COMPUTE_PGM_RSRC2:SCRATCH_EN: 0
; COMPUTE_PGM_RSRC2:USER_SGPR: 2
; COMPUTE_PGM_RSRC2:TRAP_HANDLER: 0
; COMPUTE_PGM_RSRC2:TGID_X_EN: 1
; COMPUTE_PGM_RSRC2:TGID_Y_EN: 0
; COMPUTE_PGM_RSRC2:TGID_Z_EN: 0
; COMPUTE_PGM_RSRC2:TIDIG_COMP_CNT: 1
; COMPUTE_PGM_RSRC3_GFX90A:ACCUM_OFFSET: 6
; COMPUTE_PGM_RSRC3_GFX90A:TG_SPLIT: 0
	.section	.text._ZN4vllm3moe22topkGatingSoftplusSqrtILi6ELi192ELi4ELi2ELi32ELb0El14__hip_bfloat16EEvPKT6_PKbPfiPT5_PiiiibdPKfPKS9_SF_,"axG",@progbits,_ZN4vllm3moe22topkGatingSoftplusSqrtILi6ELi192ELi4ELi2ELi32ELb0El14__hip_bfloat16EEvPKT6_PKbPfiPT5_PiiiibdPKfPKS9_SF_,comdat
	.protected	_ZN4vllm3moe22topkGatingSoftplusSqrtILi6ELi192ELi4ELi2ELi32ELb0El14__hip_bfloat16EEvPKT6_PKbPfiPT5_PiiiibdPKfPKS9_SF_ ; -- Begin function _ZN4vllm3moe22topkGatingSoftplusSqrtILi6ELi192ELi4ELi2ELi32ELb0El14__hip_bfloat16EEvPKT6_PKbPfiPT5_PiiiibdPKfPKS9_SF_
	.globl	_ZN4vllm3moe22topkGatingSoftplusSqrtILi6ELi192ELi4ELi2ELi32ELb0El14__hip_bfloat16EEvPKT6_PKbPfiPT5_PiiiibdPKfPKS9_SF_
	.p2align	8
	.type	_ZN4vllm3moe22topkGatingSoftplusSqrtILi6ELi192ELi4ELi2ELi32ELb0El14__hip_bfloat16EEvPKT6_PKbPfiPT5_PiiiibdPKfPKS9_SF_,@function
_ZN4vllm3moe22topkGatingSoftplusSqrtILi6ELi192ELi4ELi2ELi32ELb0El14__hip_bfloat16EEvPKT6_PKbPfiPT5_PiiiibdPKfPKS9_SF_: ; @_ZN4vllm3moe22topkGatingSoftplusSqrtILi6ELi192ELi4ELi2ELi32ELb0El14__hip_bfloat16EEvPKT6_PKbPfiPT5_PiiiibdPKfPKS9_SF_
; %bb.0:
	s_load_dword s30, s[0:1], 0x18
	v_and_b32_e32 v1, 0x3ff, v0
	s_lshl_b32 s2, s2, 2
	v_lshrrev_b32_e32 v2, 5, v1
	v_bfe_u32 v0, v0, 10, 10
	v_add3_u32 v6, s2, v0, v2
	s_waitcnt lgkmcnt(0)
	v_cmp_gt_i32_e32 vcc, s30, v6
	s_and_saveexec_b64 s[2:3], vcc
	s_cbranch_execz .LBB523_57
; %bb.1:
	s_load_dwordx4 s[4:7], s[0:1], 0x0
	s_load_dwordx2 s[20:21], s[0:1], 0x10
	s_waitcnt lgkmcnt(0)
	s_cmp_eq_u64 s[6:7], 0
	s_cbranch_scc1 .LBB523_3
; %bb.2:
	v_ashrrev_i32_e32 v7, 31, v6
	v_lshl_add_u64 v[2:3], s[6:7], 0, v[6:7]
	global_load_ubyte v0, v[2:3], off
	s_waitcnt vmcnt(0)
	v_and_b32_e32 v0, 1, v0
	v_cmp_eq_u32_e32 vcc, 1, v0
	s_xor_b64 s[2:3], vcc, -1
	s_orn2_b64 s[22:23], s[2:3], exec
	s_branch .LBB523_4
.LBB523_3:
	s_mov_b64 s[22:23], -1
.LBB523_4:
	s_movk_i32 s2, 0xc0
	v_mul_lo_u32 v4, v6, s2
	v_mov_b32_e32 v2, s4
	v_mov_b32_e32 v3, s5
	v_ashrrev_i32_e32 v5, 31, v4
	v_and_b32_e32 v8, 31, v1
	v_lshl_add_u64 v[2:3], v[4:5], 1, v[2:3]
	v_mov_b32_e32 v1, 0
	v_lshlrev_b32_e32 v0, 1, v8
	v_lshl_add_u64 v[10:11], v[2:3], 0, v[0:1]
	global_load_ushort v0, v[10:11], off
	global_load_ushort v1, v[10:11], off offset:64
	global_load_ushort v2, v[10:11], off offset:128
	global_load_ushort v3, v[10:11], off offset:192
	global_load_ushort v4, v[10:11], off offset:256
	global_load_ushort v5, v[10:11], off offset:320
	s_mov_b32 s16, 0x800000
	v_mov_b32_e32 v10, 0x4f800000
	s_mov_b32 s13, 0x3f317217
	s_mov_b32 s14, 0x7f800000
	v_mov_b32_e32 v11, 0x41b17218
	s_mov_b32 s12, 0x41a00000
	s_mov_b32 s15, 0xf800000
	s_load_dwordx4 s[8:11], s[0:1], 0x40
	s_waitcnt lgkmcnt(0)
	s_cmp_lg_u64 s[10:11], 0
	s_cselect_b64 s[6:7], -1, 0
	s_and_b64 s[2:3], exec, s[6:7]
	s_waitcnt vmcnt(5)
	v_lshlrev_b32_e32 v0, 16, v0
	v_mul_f32_e32 v7, 0x3fb8aa3b, v0
	v_exp_f32_e32 v7, v7
	s_nop 0
	v_add_f32_e32 v7, 1.0, v7
	v_cmp_gt_f32_e32 vcc, s16, v7
	s_nop 1
	v_cndmask_b32_e32 v9, 1.0, v10, vcc
	v_mul_f32_e32 v7, v7, v9
	v_log_f32_e32 v12, v7
	v_cndmask_b32_e32 v13, 0, v11, vcc
	v_mov_b32_e32 v9, 0x260
	v_lshlrev_b32_e32 v7, 2, v8
	v_mul_f32_e32 v14, 0x3f317217, v12
	v_fma_f32 v14, v12, s13, -v14
	v_fmac_f32_e32 v14, 0x3377d1cf, v12
	v_fmac_f32_e32 v14, 0x3f317217, v12
	v_cmp_lt_f32_e64 vcc, |v12|, s14
	s_nop 1
	v_cndmask_b32_e32 v12, v12, v14, vcc
	v_sub_f32_e32 v12, v12, v13
	v_cmp_lt_f32_e32 vcc, s12, v0
	s_nop 1
	v_cndmask_b32_e32 v0, v12, v0, vcc
	v_mul_f32_e32 v12, 0x4f800000, v0
	v_cmp_gt_f32_e32 vcc, s15, v0
	s_nop 1
	v_cndmask_b32_e32 v0, v0, v12, vcc
	v_sqrt_f32_e32 v12, v0
	s_nop 0
	v_add_u32_e32 v13, -1, v12
	v_add_u32_e32 v14, 1, v12
	v_fma_f32 v15, -v13, v12, v0
	v_fma_f32 v16, -v14, v12, v0
	v_cmp_ge_f32_e64 s[4:5], 0, v15
	s_nop 1
	v_cndmask_b32_e64 v12, v12, v13, s[4:5]
	v_cmp_lt_f32_e64 s[4:5], 0, v16
	s_nop 1
	v_cndmask_b32_e64 v12, v12, v14, s[4:5]
	v_mul_f32_e32 v13, 0x37800000, v12
	v_cndmask_b32_e32 v12, v12, v13, vcc
	v_cmp_class_f32_e32 vcc, v0, v9
	s_nop 1
	v_cndmask_b32_e32 v0, v12, v0, vcc
	s_mov_b64 vcc, s[2:3]
	s_cbranch_vccz .LBB523_6
; %bb.5:
	global_load_dword v12, v7, s[10:11]
	s_waitcnt vmcnt(0)
	v_add_f32_e32 v0, v0, v12
.LBB523_6:
	s_waitcnt vmcnt(4)
	v_lshlrev_b32_e32 v1, 16, v1
	v_mul_f32_e32 v12, 0x3fb8aa3b, v1
	v_exp_f32_e32 v12, v12
	s_nop 0
	v_add_f32_e32 v12, 1.0, v12
	v_cmp_gt_f32_e32 vcc, s16, v12
	s_nop 1
	v_cndmask_b32_e32 v10, 1.0, v10, vcc
	v_mul_f32_e32 v10, v12, v10
	v_log_f32_e32 v10, v10
	v_cndmask_b32_e32 v11, 0, v11, vcc
	v_mul_f32_e32 v12, 0x3f317217, v10
	v_fma_f32 v12, v10, s13, -v12
	v_fmac_f32_e32 v12, 0x3377d1cf, v10
	v_fmac_f32_e32 v12, 0x3f317217, v10
	v_cmp_lt_f32_e64 vcc, |v10|, s14
	s_nop 1
	v_cndmask_b32_e32 v10, v10, v12, vcc
	v_sub_f32_e32 v10, v10, v11
	v_cmp_lt_f32_e32 vcc, s12, v1
	s_nop 1
	v_cndmask_b32_e32 v1, v10, v1, vcc
	v_mul_f32_e32 v10, 0x4f800000, v1
	v_cmp_gt_f32_e32 vcc, s15, v1
	s_nop 1
	v_cndmask_b32_e32 v1, v1, v10, vcc
	v_sqrt_f32_e32 v10, v1
	v_cmp_class_f32_e64 s[4:5], v1, v9
	v_add_u32_e32 v11, -1, v10
	v_add_u32_e32 v12, 1, v10
	v_fma_f32 v13, -v11, v10, v1
	v_fma_f32 v14, -v12, v10, v1
	v_cmp_ge_f32_e64 s[2:3], 0, v13
	s_nop 1
	v_cndmask_b32_e64 v10, v10, v11, s[2:3]
	v_cmp_lt_f32_e64 s[2:3], 0, v14
	s_nop 1
	v_cndmask_b32_e64 v10, v10, v12, s[2:3]
	v_mul_f32_e32 v11, 0x37800000, v10
	v_cndmask_b32_e32 v10, v10, v11, vcc
	v_cndmask_b32_e64 v11, 0, 1, s[6:7]
	v_cmp_ne_u32_e64 s[2:3], 1, v11
	s_andn2_b64 vcc, exec, s[6:7]
	v_cndmask_b32_e64 v1, v10, v1, s[4:5]
	s_cbranch_vccnz .LBB523_8
; %bb.7:
	global_load_dword v9, v7, s[10:11] offset:128
	s_waitcnt vmcnt(0)
	v_add_f32_e32 v1, v1, v9
.LBB523_8:
	s_waitcnt vmcnt(3)
	v_lshlrev_b32_e32 v2, 16, v2
	v_mul_f32_e32 v9, 0x3fb8aa3b, v2
	v_exp_f32_e32 v9, v9
	s_mov_b32 s14, 0x800000
	v_mov_b32_e32 v10, 0x4f800000
	s_mov_b32 s7, 0x3f317217
	v_add_f32_e32 v9, 1.0, v9
	v_cmp_gt_f32_e32 vcc, s14, v9
	s_mov_b32 s12, 0x7f800000
	s_mov_b32 s6, 0x41a00000
	v_cndmask_b32_e32 v11, 1.0, v10, vcc
	v_mul_f32_e32 v9, v9, v11
	v_log_f32_e32 v9, v9
	s_mov_b32 s13, 0xf800000
	v_mul_f32_e32 v11, 0x3f317217, v9
	v_fma_f32 v11, v9, s7, -v11
	v_fmac_f32_e32 v11, 0x3377d1cf, v9
	v_fmac_f32_e32 v11, 0x3f317217, v9
	v_cmp_lt_f32_e64 s[4:5], |v9|, s12
	s_nop 1
	v_cndmask_b32_e64 v9, v9, v11, s[4:5]
	v_mov_b32_e32 v11, 0x41b17218
	v_cndmask_b32_e32 v12, 0, v11, vcc
	v_sub_f32_e32 v9, v9, v12
	v_cmp_lt_f32_e32 vcc, s6, v2
	s_nop 1
	v_cndmask_b32_e32 v2, v9, v2, vcc
	v_mul_f32_e32 v9, 0x4f800000, v2
	v_cmp_gt_f32_e32 vcc, s13, v2
	s_nop 1
	v_cndmask_b32_e32 v2, v2, v9, vcc
	v_sqrt_f32_e32 v9, v2
	s_nop 0
	v_add_u32_e32 v12, -1, v9
	v_fma_f32 v13, -v12, v9, v2
	v_cmp_ge_f32_e64 s[4:5], 0, v13
	v_add_u32_e32 v13, 1, v9
	s_nop 0
	v_cndmask_b32_e64 v12, v9, v12, s[4:5]
	v_fma_f32 v9, -v13, v9, v2
	v_cmp_lt_f32_e64 s[4:5], 0, v9
	s_nop 1
	v_cndmask_b32_e64 v9, v12, v13, s[4:5]
	v_mul_f32_e32 v12, 0x37800000, v9
	v_cndmask_b32_e32 v12, v9, v12, vcc
	v_mov_b32_e32 v9, 0x260
	v_cmp_class_f32_e64 s[4:5], v2, v9
	s_and_b64 vcc, exec, s[2:3]
	s_nop 0
	v_cndmask_b32_e64 v2, v12, v2, s[4:5]
	s_cbranch_vccnz .LBB523_10
; %bb.9:
	global_load_dword v12, v7, s[10:11] offset:256
	s_waitcnt vmcnt(0)
	v_add_f32_e32 v2, v2, v12
.LBB523_10:
	s_waitcnt vmcnt(2)
	v_lshlrev_b32_e32 v3, 16, v3
	v_mul_f32_e32 v12, 0x3fb8aa3b, v3
	v_exp_f32_e32 v12, v12
	s_nop 0
	v_add_f32_e32 v12, 1.0, v12
	v_cmp_gt_f32_e32 vcc, s14, v12
	s_nop 1
	v_cndmask_b32_e32 v10, 1.0, v10, vcc
	v_mul_f32_e32 v10, v12, v10
	v_log_f32_e32 v10, v10
	v_cndmask_b32_e32 v11, 0, v11, vcc
	v_mul_f32_e32 v12, 0x3f317217, v10
	v_fma_f32 v12, v10, s7, -v12
	v_fmac_f32_e32 v12, 0x3377d1cf, v10
	v_fmac_f32_e32 v12, 0x3f317217, v10
	v_cmp_lt_f32_e64 vcc, |v10|, s12
	s_nop 1
	v_cndmask_b32_e32 v10, v10, v12, vcc
	v_sub_f32_e32 v10, v10, v11
	v_cmp_lt_f32_e32 vcc, s6, v3
	s_nop 1
	v_cndmask_b32_e32 v3, v10, v3, vcc
	v_mul_f32_e32 v10, 0x4f800000, v3
	v_cmp_gt_f32_e32 vcc, s13, v3
	s_nop 1
	v_cndmask_b32_e32 v3, v3, v10, vcc
	v_sqrt_f32_e32 v10, v3
	s_nop 0
	v_add_u32_e32 v11, -1, v10
	v_add_u32_e32 v12, 1, v10
	v_fma_f32 v13, -v11, v10, v3
	v_fma_f32 v14, -v12, v10, v3
	v_cmp_ge_f32_e64 s[4:5], 0, v13
	s_nop 1
	v_cndmask_b32_e64 v10, v10, v11, s[4:5]
	v_cmp_lt_f32_e64 s[4:5], 0, v14
	s_nop 1
	v_cndmask_b32_e64 v10, v10, v12, s[4:5]
	v_mul_f32_e32 v11, 0x37800000, v10
	v_cndmask_b32_e32 v10, v10, v11, vcc
	v_cmp_class_f32_e64 s[4:5], v3, v9
	s_and_b64 vcc, exec, s[2:3]
	s_nop 0
	v_cndmask_b32_e64 v3, v10, v3, s[4:5]
	s_cbranch_vccnz .LBB523_12
; %bb.11:
	global_load_dword v9, v7, s[10:11] offset:384
	s_waitcnt vmcnt(0)
	v_add_f32_e32 v3, v3, v9
.LBB523_12:
	s_waitcnt vmcnt(1)
	v_lshlrev_b32_e32 v4, 16, v4
	v_mul_f32_e32 v9, 0x3fb8aa3b, v4
	v_exp_f32_e32 v9, v9
	v_mov_b32_e32 v10, 0x4f800000
	v_add_f32_e32 v9, 1.0, v9
	v_cmp_gt_f32_e32 vcc, s14, v9
	s_nop 1
	v_cndmask_b32_e32 v11, 1.0, v10, vcc
	v_mul_f32_e32 v9, v9, v11
	v_log_f32_e32 v9, v9
	s_nop 0
	v_mul_f32_e32 v11, 0x3f317217, v9
	v_fma_f32 v11, v9, s7, -v11
	v_fmac_f32_e32 v11, 0x3377d1cf, v9
	v_fmac_f32_e32 v11, 0x3f317217, v9
	v_cmp_lt_f32_e64 s[4:5], |v9|, s12
	s_nop 1
	v_cndmask_b32_e64 v9, v9, v11, s[4:5]
	v_mov_b32_e32 v11, 0x41b17218
	v_cndmask_b32_e32 v12, 0, v11, vcc
	v_sub_f32_e32 v9, v9, v12
	v_cmp_lt_f32_e32 vcc, s6, v4
	s_nop 1
	v_cndmask_b32_e32 v4, v9, v4, vcc
	v_mul_f32_e32 v9, 0x4f800000, v4
	v_cmp_gt_f32_e32 vcc, s13, v4
	s_nop 1
	v_cndmask_b32_e32 v4, v4, v9, vcc
	v_sqrt_f32_e32 v9, v4
	s_nop 0
	v_add_u32_e32 v12, -1, v9
	v_fma_f32 v13, -v12, v9, v4
	v_cmp_ge_f32_e64 s[4:5], 0, v13
	v_add_u32_e32 v13, 1, v9
	s_nop 0
	v_cndmask_b32_e64 v12, v9, v12, s[4:5]
	v_fma_f32 v9, -v13, v9, v4
	v_cmp_lt_f32_e64 s[4:5], 0, v9
	s_nop 1
	v_cndmask_b32_e64 v9, v12, v13, s[4:5]
	v_mul_f32_e32 v12, 0x37800000, v9
	v_cndmask_b32_e32 v12, v9, v12, vcc
	v_mov_b32_e32 v9, 0x260
	v_cmp_class_f32_e64 s[4:5], v4, v9
	s_and_b64 vcc, exec, s[2:3]
	s_nop 0
	v_cndmask_b32_e64 v4, v12, v4, s[4:5]
	s_cbranch_vccnz .LBB523_14
; %bb.13:
	global_load_dword v12, v7, s[10:11] offset:512
	s_waitcnt vmcnt(0)
	v_add_f32_e32 v4, v4, v12
.LBB523_14:
	s_waitcnt vmcnt(0)
	v_lshlrev_b32_e32 v5, 16, v5
	v_mul_f32_e32 v12, 0x3fb8aa3b, v5
	v_exp_f32_e32 v12, v12
	s_nop 0
	v_add_f32_e32 v12, 1.0, v12
	v_cmp_gt_f32_e32 vcc, s14, v12
	s_nop 1
	v_cndmask_b32_e32 v10, 1.0, v10, vcc
	v_mul_f32_e32 v10, v12, v10
	v_log_f32_e32 v10, v10
	v_cndmask_b32_e32 v11, 0, v11, vcc
	v_mul_f32_e32 v12, 0x3f317217, v10
	v_fma_f32 v12, v10, s7, -v12
	v_fmac_f32_e32 v12, 0x3377d1cf, v10
	v_fmac_f32_e32 v12, 0x3f317217, v10
	v_cmp_lt_f32_e64 vcc, |v10|, s12
	s_nop 1
	v_cndmask_b32_e32 v10, v10, v12, vcc
	v_sub_f32_e32 v10, v10, v11
	v_cmp_lt_f32_e32 vcc, s6, v5
	s_nop 1
	v_cndmask_b32_e32 v5, v10, v5, vcc
	v_mul_f32_e32 v10, 0x4f800000, v5
	v_cmp_gt_f32_e32 vcc, s13, v5
	s_nop 1
	v_cndmask_b32_e32 v5, v5, v10, vcc
	v_sqrt_f32_e32 v10, v5
	s_nop 0
	v_add_u32_e32 v11, -1, v10
	v_add_u32_e32 v12, 1, v10
	v_fma_f32 v13, -v11, v10, v5
	v_fma_f32 v14, -v12, v10, v5
	v_cmp_ge_f32_e64 s[4:5], 0, v13
	s_nop 1
	v_cndmask_b32_e64 v10, v10, v11, s[4:5]
	v_cmp_lt_f32_e64 s[4:5], 0, v14
	s_nop 1
	v_cndmask_b32_e64 v10, v10, v12, s[4:5]
	v_mul_f32_e32 v11, 0x37800000, v10
	v_cndmask_b32_e32 v10, v10, v11, vcc
	v_cmp_class_f32_e64 s[4:5], v5, v9
	s_and_b64 vcc, exec, s[2:3]
	s_nop 0
	v_cndmask_b32_e64 v5, v10, v5, s[4:5]
	s_cbranch_vccnz .LBB523_16
; %bb.15:
	global_load_dword v7, v7, s[10:11] offset:640
	s_waitcnt vmcnt(0)
	v_add_f32_e32 v5, v5, v7
.LBB523_16:
	s_load_dwordx4 s[12:15], s[0:1], 0x30
	s_mov_b32 s31, 0
	v_cmp_eq_u32_e64 s[6:7], 0, v8
	s_waitcnt lgkmcnt(0)
	s_bitcmp1_b32 s15, 0
	s_cselect_b64 s[4:5], -1, 0
	s_cmp_gt_i32 s12, 0
	s_cselect_b64 s[24:25], -1, 0
	s_and_b64 vcc, exec, s[24:25]
	s_cbranch_vccz .LBB523_43
; %bb.17:
	v_mbcnt_lo_u32_b32 v7, -1, 0
	v_mbcnt_hi_u32_b32 v7, -1, v7
	v_and_b32_e32 v9, 0x60, v7
	v_add_u32_e32 v10, 32, v9
	v_xor_b32_e32 v11, 16, v7
	v_cmp_lt_i32_e32 vcc, v11, v10
	s_load_dwordx4 s[16:19], s[0:1], 0x20
	v_mul_lo_u32 v9, v6, s12
	v_cndmask_b32_e32 v11, v7, v11, vcc
	v_lshlrev_b32_e32 v17, 2, v11
	v_xor_b32_e32 v11, 8, v7
	v_cmp_lt_i32_e32 vcc, v11, v10
	v_or_b32_e32 v12, 32, v8
	v_or_b32_e32 v13, 64, v8
	v_cndmask_b32_e32 v11, v7, v11, vcc
	v_lshlrev_b32_e32 v18, 2, v11
	v_xor_b32_e32 v11, 4, v7
	v_cmp_lt_i32_e32 vcc, v11, v10
	v_or_b32_e32 v14, 0x60, v8
	v_or_b32_e32 v15, 0x80, v8
	v_cndmask_b32_e32 v11, v7, v11, vcc
	v_lshlrev_b32_e32 v19, 2, v11
	v_xor_b32_e32 v11, 2, v7
	v_cmp_lt_i32_e32 vcc, v11, v10
	v_or_b32_e32 v16, 0xa0, v8
	v_mov_b32_e32 v22, 0xc0
	v_cndmask_b32_e32 v11, v7, v11, vcc
	v_lshlrev_b32_e32 v20, 2, v11
	v_xor_b32_e32 v11, 1, v7
	v_cmp_lt_i32_e32 vcc, v11, v10
	v_mov_b32_e32 v23, 0xc61c4000
	v_mov_b32_e32 v24, v6
	v_cndmask_b32_e32 v7, v7, v11, vcc
	v_lshlrev_b32_e32 v21, 2, v7
	v_mov_b32_e32 v7, 0
	s_branch .LBB523_20
.LBB523_18:                             ;   in Loop: Header=BB523_20 Depth=1
	s_waitcnt lgkmcnt(0)
	v_add_u32_e32 v26, s31, v9
	v_ashrrev_i32_e32 v27, 31, v26
	v_cmp_le_i32_e32 vcc, s13, v10
	v_cmp_gt_i32_e64 s[0:1], s14, v10
	v_lshlrev_b64 v[28:29], 2, v[26:27]
	s_and_b64 s[0:1], vcc, s[0:1]
	v_lshl_add_u64 v[30:31], s[20:21], 0, v[28:29]
	v_subrev_u32_e32 v11, s13, v10
	global_store_dword v[30:31], v25, off
	v_ashrrev_i32_e32 v30, 31, v11
	s_and_b64 vcc, s[22:23], s[0:1]
	v_cndmask_b32_e32 v31, 0, v30, vcc
	v_cndmask_b32_e32 v30, v22, v11, vcc
	v_lshl_add_u64 v[26:27], v[26:27], 3, s[16:17]
	v_add_f32_e32 v11, v7, v25
	global_store_dwordx2 v[26:27], v[30:31], off
	v_lshl_add_u64 v[26:27], s[18:19], 0, v[28:29]
	v_cndmask_b32_e64 v7, v7, v11, s[4:5]
	global_store_dword v[26:27], v24, off
.LBB523_19:                             ;   in Loop: Header=BB523_20 Depth=1
	s_or_b64 exec, exec, s[26:27]
	v_ashrrev_i32_e32 v11, 31, v10
	v_lshrrev_b32_e32 v11, 27, v11
	v_add_u32_e32 v11, v10, v11
	v_ashrrev_i32_e32 v25, 5, v11
	v_and_b32_e32 v11, 0xffffffe0, v11
	v_sub_u32_e32 v10, v10, v11
	v_cmp_ne_u32_e64 s[0:1], 0, v25
	v_cmp_eq_u32_e32 vcc, v8, v10
	s_add_i32 s31, s31, 1
	v_cndmask_b32_e64 v10, v23, v0, s[0:1]
	v_cmp_ne_u32_e64 s[0:1], 1, v25
	s_cmp_lt_i32 s31, s12
	s_cselect_b64 s[26:27], -1, 0
	v_cndmask_b32_e64 v11, v23, v1, s[0:1]
	v_cmp_ne_u32_e64 s[0:1], 2, v25
	s_and_b64 vcc, s[26:27], vcc
	v_cndmask_b32_e32 v1, v1, v11, vcc
	s_waitcnt lgkmcnt(0)
	v_cndmask_b32_e64 v26, v23, v2, s[0:1]
	v_cmp_ne_u32_e64 s[0:1], 3, v25
	v_cndmask_b32_e32 v2, v2, v26, vcc
	v_cndmask_b32_e32 v0, v0, v10, vcc
	v_cndmask_b32_e64 v27, v23, v3, s[0:1]
	v_cmp_ne_u32_e64 s[0:1], 4, v25
	v_cndmask_b32_e32 v3, v3, v27, vcc
	s_cmp_eq_u32 s12, s31
	v_cndmask_b32_e64 v28, v23, v4, s[0:1]
	v_cmp_ne_u32_e64 s[0:1], 5, v25
	v_cndmask_b32_e32 v4, v4, v28, vcc
	v_add_u32_e32 v24, s30, v24
	v_cndmask_b32_e64 v25, v23, v5, s[0:1]
	v_cndmask_b32_e32 v5, v5, v25, vcc
	s_cbranch_scc1 .LBB523_44
.LBB523_20:                             ; =>This Inner Loop Header: Depth=1
	v_cmp_gt_f32_e32 vcc, v1, v0
	s_nop 1
	v_cndmask_b32_e32 v11, v0, v1, vcc
	v_cndmask_b32_e32 v10, v8, v12, vcc
	v_cmp_gt_f32_e32 vcc, v2, v11
	s_nop 1
	v_cndmask_b32_e32 v11, v11, v2, vcc
	v_cndmask_b32_e32 v10, v10, v13, vcc
	v_cmp_gt_f32_e32 vcc, v3, v11
	s_nop 1
	v_cndmask_b32_e32 v11, v11, v3, vcc
	v_cndmask_b32_e32 v10, v10, v14, vcc
	v_cmp_gt_f32_e32 vcc, v4, v11
	s_nop 1
	v_cndmask_b32_e32 v11, v11, v4, vcc
	v_cndmask_b32_e32 v10, v10, v15, vcc
	v_cmp_gt_f32_e32 vcc, v5, v11
	s_nop 1
	v_cndmask_b32_e32 v25, v11, v5, vcc
	v_cndmask_b32_e32 v10, v10, v16, vcc
	ds_bpermute_b32 v11, v17, v25
	ds_bpermute_b32 v26, v17, v10
	s_waitcnt lgkmcnt(0)
	v_cmp_lt_f32_e64 s[26:27], v25, v11
	v_cmp_nlt_f32_e32 vcc, v25, v11
	s_and_saveexec_b64 s[28:29], vcc
; %bb.21:                               ;   in Loop: Header=BB523_20 Depth=1
	v_cmp_eq_f32_e32 vcc, v25, v11
	v_cmp_lt_i32_e64 s[0:1], v26, v10
	s_and_b64 s[0:1], vcc, s[0:1]
	s_andn2_b64 s[26:27], s[26:27], exec
	s_and_b64 s[0:1], s[0:1], exec
	s_or_b64 s[26:27], s[26:27], s[0:1]
; %bb.22:                               ;   in Loop: Header=BB523_20 Depth=1
	s_or_b64 exec, exec, s[28:29]
	s_and_saveexec_b64 s[0:1], s[26:27]
; %bb.23:                               ;   in Loop: Header=BB523_20 Depth=1
	v_mov_b32_e32 v25, v11
	v_mov_b32_e32 v10, v26
; %bb.24:                               ;   in Loop: Header=BB523_20 Depth=1
	s_or_b64 exec, exec, s[0:1]
	ds_bpermute_b32 v11, v18, v25
	ds_bpermute_b32 v26, v18, v10
	s_waitcnt lgkmcnt(1)
	v_cmp_lt_f32_e64 s[26:27], v25, v11
	v_cmp_nlt_f32_e32 vcc, v25, v11
	s_and_saveexec_b64 s[28:29], vcc
	s_cbranch_execz .LBB523_26
; %bb.25:                               ;   in Loop: Header=BB523_20 Depth=1
	v_cmp_eq_f32_e32 vcc, v25, v11
	s_waitcnt lgkmcnt(0)
	v_cmp_lt_i32_e64 s[0:1], v26, v10
	s_and_b64 s[0:1], vcc, s[0:1]
	s_andn2_b64 s[26:27], s[26:27], exec
	s_and_b64 s[0:1], s[0:1], exec
	s_or_b64 s[26:27], s[26:27], s[0:1]
.LBB523_26:                             ;   in Loop: Header=BB523_20 Depth=1
	s_or_b64 exec, exec, s[28:29]
	s_and_saveexec_b64 s[0:1], s[26:27]
	s_cbranch_execz .LBB523_28
; %bb.27:                               ;   in Loop: Header=BB523_20 Depth=1
	v_mov_b32_e32 v25, v11
	s_waitcnt lgkmcnt(0)
	v_mov_b32_e32 v10, v26
.LBB523_28:                             ;   in Loop: Header=BB523_20 Depth=1
	s_or_b64 exec, exec, s[0:1]
	ds_bpermute_b32 v11, v19, v25
	s_waitcnt lgkmcnt(1)
	ds_bpermute_b32 v26, v19, v10
	s_waitcnt lgkmcnt(1)
	v_cmp_lt_f32_e64 s[26:27], v25, v11
	v_cmp_nlt_f32_e32 vcc, v25, v11
	s_and_saveexec_b64 s[28:29], vcc
	s_cbranch_execz .LBB523_30
; %bb.29:                               ;   in Loop: Header=BB523_20 Depth=1
	v_cmp_eq_f32_e32 vcc, v25, v11
	s_waitcnt lgkmcnt(0)
	v_cmp_lt_i32_e64 s[0:1], v26, v10
	s_and_b64 s[0:1], vcc, s[0:1]
	s_andn2_b64 s[26:27], s[26:27], exec
	s_and_b64 s[0:1], s[0:1], exec
	s_or_b64 s[26:27], s[26:27], s[0:1]
.LBB523_30:                             ;   in Loop: Header=BB523_20 Depth=1
	s_or_b64 exec, exec, s[28:29]
	s_and_saveexec_b64 s[0:1], s[26:27]
	s_cbranch_execz .LBB523_32
; %bb.31:                               ;   in Loop: Header=BB523_20 Depth=1
	v_mov_b32_e32 v25, v11
	s_waitcnt lgkmcnt(0)
	v_mov_b32_e32 v10, v26
.LBB523_32:                             ;   in Loop: Header=BB523_20 Depth=1
	s_or_b64 exec, exec, s[0:1]
	ds_bpermute_b32 v11, v20, v25
	s_waitcnt lgkmcnt(1)
	;; [unrolled: 26-line block ×3, first 2 shown]
	ds_bpermute_b32 v26, v21, v10
	s_waitcnt lgkmcnt(1)
	v_cmp_lt_f32_e64 s[26:27], v25, v11
	v_cmp_nlt_f32_e32 vcc, v25, v11
	s_and_saveexec_b64 s[28:29], vcc
	s_cbranch_execnz .LBB523_39
; %bb.37:                               ;   in Loop: Header=BB523_20 Depth=1
	s_or_b64 exec, exec, s[28:29]
	s_and_saveexec_b64 s[0:1], s[26:27]
	s_cbranch_execnz .LBB523_40
.LBB523_38:                             ;   in Loop: Header=BB523_20 Depth=1
	s_or_b64 exec, exec, s[0:1]
	s_and_saveexec_b64 s[26:27], s[6:7]
	s_cbranch_execz .LBB523_19
	s_branch .LBB523_41
.LBB523_39:                             ;   in Loop: Header=BB523_20 Depth=1
	v_cmp_eq_f32_e32 vcc, v25, v11
	s_waitcnt lgkmcnt(0)
	v_cmp_lt_i32_e64 s[0:1], v26, v10
	s_and_b64 s[0:1], vcc, s[0:1]
	s_andn2_b64 s[26:27], s[26:27], exec
	s_and_b64 s[0:1], s[0:1], exec
	s_or_b64 s[26:27], s[26:27], s[0:1]
	s_or_b64 exec, exec, s[28:29]
	s_and_saveexec_b64 s[0:1], s[26:27]
	s_cbranch_execz .LBB523_38
.LBB523_40:                             ;   in Loop: Header=BB523_20 Depth=1
	s_waitcnt lgkmcnt(0)
	v_mov_b32_e32 v10, v26
	v_mov_b32_e32 v25, v11
	s_or_b64 exec, exec, s[0:1]
	s_and_saveexec_b64 s[26:27], s[6:7]
	s_cbranch_execz .LBB523_19
.LBB523_41:                             ;   in Loop: Header=BB523_20 Depth=1
	s_and_b64 vcc, exec, s[2:3]
	s_cbranch_vccnz .LBB523_18
; %bb.42:                               ;   in Loop: Header=BB523_20 Depth=1
	v_ashrrev_i32_e32 v11, 31, v10
	s_waitcnt lgkmcnt(0)
	v_lshl_add_u64 v[26:27], v[10:11], 2, s[10:11]
	global_load_dword v11, v[26:27], off
	s_waitcnt vmcnt(0)
	v_sub_f32_e32 v25, v25, v11
	s_branch .LBB523_18
.LBB523_43:
	v_mov_b32_e32 v7, 0
.LBB523_44:
	v_cmp_eq_u32_e32 vcc, 0, v8
	s_and_b64 exec, exec, vcc
	s_cbranch_execz .LBB523_57
; %bb.45:
	s_andn2_b64 vcc, exec, s[4:5]
	v_cvt_f32_f64_e32 v0, s[8:9]
	s_cbranch_vccnz .LBB523_47
; %bb.46:
	v_cmp_lt_f32_e32 vcc, 0, v7
	s_nop 1
	v_cndmask_b32_e32 v1, 1.0, v7, vcc
	v_div_scale_f32 v2, s[0:1], v1, v1, v0
	v_rcp_f32_e32 v3, v2
	s_nop 0
	v_fma_f32 v4, -v2, v3, 1.0
	v_fmac_f32_e32 v3, v4, v3
	v_div_scale_f32 v4, vcc, v0, v1, v0
	v_mul_f32_e32 v5, v4, v3
	v_fma_f32 v7, -v2, v5, v4
	v_fmac_f32_e32 v5, v7, v3
	v_fma_f32 v2, -v2, v5, v4
	v_div_fmas_f32 v2, v2, v3, v5
	v_div_fixup_f32 v0, v2, v1, v0
.LBB523_47:
	s_andn2_b64 vcc, exec, s[24:25]
	s_cbranch_vccnz .LBB523_57
; %bb.48:
	v_mul_lo_u32 v2, v6, s12
	s_cmp_gt_u32 s12, 3
	v_ashrrev_i32_e32 v3, 31, v2
	s_cbranch_scc0 .LBB523_52
; %bb.49:
	s_and_b32 s0, s12, 0x7ffffffc
	v_lshl_add_u64 v[4:5], v[2:3], 2, s[20:21]
	v_mov_b32_e32 v1, v0
	v_lshl_add_u64 v[4:5], v[4:5], 0, 8
	s_mov_b32 s1, s0
.LBB523_50:                             ; =>This Inner Loop Header: Depth=1
	global_load_dwordx4 v[6:9], v[4:5], off offset:-8
	s_add_i32 s1, s1, -4
	s_cmp_lg_u32 s1, 0
	s_waitcnt vmcnt(0)
	v_pk_mul_f32 v[6:7], v[0:1], v[6:7]
	v_pk_mul_f32 v[8:9], v[0:1], v[8:9]
	global_store_dwordx4 v[4:5], v[6:9], off offset:-8
	v_lshl_add_u64 v[4:5], v[4:5], 0, 16
	s_cbranch_scc1 .LBB523_50
; %bb.51:
	s_cmp_lg_u32 s0, s12
	s_cselect_b64 s[2:3], -1, 0
	s_branch .LBB523_54
.LBB523_52:
	s_mov_b64 s[2:3], 0
                                        ; implicit-def: $sgpr0
	s_cbranch_execz .LBB523_54
; %bb.53:
	s_mov_b64 s[2:3], -1
	s_mov_b32 s0, 0
.LBB523_54:
	s_andn2_b64 vcc, exec, s[2:3]
	s_cbranch_vccnz .LBB523_57
; %bb.55:
	s_mov_b32 s1, 0
	v_lshl_add_u64 v[2:3], v[2:3], 0, s[0:1]
	s_sub_i32 s2, s12, s0
	v_lshl_add_u64 v[2:3], v[2:3], 2, s[20:21]
.LBB523_56:                             ; =>This Inner Loop Header: Depth=1
	global_load_dword v1, v[2:3], off
	s_add_i32 s2, s2, -1
	s_cmp_lg_u32 s2, 0
	s_waitcnt vmcnt(0)
	v_mul_f32_e32 v1, v0, v1
	global_store_dword v[2:3], v1, off
	v_lshl_add_u64 v[2:3], v[2:3], 0, 4
	s_cbranch_scc1 .LBB523_56
.LBB523_57:
	s_endpgm
	.section	.rodata,"a",@progbits
	.p2align	6, 0x0
	.amdhsa_kernel _ZN4vllm3moe22topkGatingSoftplusSqrtILi6ELi192ELi4ELi2ELi32ELb0El14__hip_bfloat16EEvPKT6_PKbPfiPT5_PiiiibdPKfPKS9_SF_
		.amdhsa_group_segment_fixed_size 0
		.amdhsa_private_segment_fixed_size 0
		.amdhsa_kernarg_size 96
		.amdhsa_user_sgpr_count 2
		.amdhsa_user_sgpr_dispatch_ptr 0
		.amdhsa_user_sgpr_queue_ptr 0
		.amdhsa_user_sgpr_kernarg_segment_ptr 1
		.amdhsa_user_sgpr_dispatch_id 0
		.amdhsa_user_sgpr_kernarg_preload_length 0
		.amdhsa_user_sgpr_kernarg_preload_offset 0
		.amdhsa_user_sgpr_private_segment_size 0
		.amdhsa_uses_dynamic_stack 0
		.amdhsa_enable_private_segment 0
		.amdhsa_system_sgpr_workgroup_id_x 1
		.amdhsa_system_sgpr_workgroup_id_y 0
		.amdhsa_system_sgpr_workgroup_id_z 0
		.amdhsa_system_sgpr_workgroup_info 0
		.amdhsa_system_vgpr_workitem_id 1
		.amdhsa_next_free_vgpr 32
		.amdhsa_next_free_sgpr 32
		.amdhsa_accum_offset 32
		.amdhsa_reserve_vcc 1
		.amdhsa_float_round_mode_32 0
		.amdhsa_float_round_mode_16_64 0
		.amdhsa_float_denorm_mode_32 3
		.amdhsa_float_denorm_mode_16_64 3
		.amdhsa_dx10_clamp 1
		.amdhsa_ieee_mode 1
		.amdhsa_fp16_overflow 0
		.amdhsa_tg_split 0
		.amdhsa_exception_fp_ieee_invalid_op 0
		.amdhsa_exception_fp_denorm_src 0
		.amdhsa_exception_fp_ieee_div_zero 0
		.amdhsa_exception_fp_ieee_overflow 0
		.amdhsa_exception_fp_ieee_underflow 0
		.amdhsa_exception_fp_ieee_inexact 0
		.amdhsa_exception_int_div_zero 0
	.end_amdhsa_kernel
	.section	.text._ZN4vllm3moe22topkGatingSoftplusSqrtILi6ELi192ELi4ELi2ELi32ELb0El14__hip_bfloat16EEvPKT6_PKbPfiPT5_PiiiibdPKfPKS9_SF_,"axG",@progbits,_ZN4vllm3moe22topkGatingSoftplusSqrtILi6ELi192ELi4ELi2ELi32ELb0El14__hip_bfloat16EEvPKT6_PKbPfiPT5_PiiiibdPKfPKS9_SF_,comdat
.Lfunc_end523:
	.size	_ZN4vllm3moe22topkGatingSoftplusSqrtILi6ELi192ELi4ELi2ELi32ELb0El14__hip_bfloat16EEvPKT6_PKbPfiPT5_PiiiibdPKfPKS9_SF_, .Lfunc_end523-_ZN4vllm3moe22topkGatingSoftplusSqrtILi6ELi192ELi4ELi2ELi32ELb0El14__hip_bfloat16EEvPKT6_PKbPfiPT5_PiiiibdPKfPKS9_SF_
                                        ; -- End function
	.section	.AMDGPU.csdata,"",@progbits
; Kernel info:
; codeLenInByte = 3528
; NumSgprs: 38
; NumVgprs: 32
; NumAgprs: 0
; TotalNumVgprs: 32
; ScratchSize: 0
; MemoryBound: 0
; FloatMode: 240
; IeeeMode: 1
; LDSByteSize: 0 bytes/workgroup (compile time only)
; SGPRBlocks: 4
; VGPRBlocks: 3
; NumSGPRsForWavesPerEU: 38
; NumVGPRsForWavesPerEU: 32
; AccumOffset: 32
; Occupancy: 8
; WaveLimiterHint : 0
; COMPUTE_PGM_RSRC2:SCRATCH_EN: 0
; COMPUTE_PGM_RSRC2:USER_SGPR: 2
; COMPUTE_PGM_RSRC2:TRAP_HANDLER: 0
; COMPUTE_PGM_RSRC2:TGID_X_EN: 1
; COMPUTE_PGM_RSRC2:TGID_Y_EN: 0
; COMPUTE_PGM_RSRC2:TGID_Z_EN: 0
; COMPUTE_PGM_RSRC2:TIDIG_COMP_CNT: 1
; COMPUTE_PGM_RSRC3_GFX90A:ACCUM_OFFSET: 7
; COMPUTE_PGM_RSRC3_GFX90A:TG_SPLIT: 0
	.section	.text._ZN4vllm3moe22topkGatingSoftplusSqrtILi5ELi320ELi4ELi2ELi64ELb1El14__hip_bfloat16EEvPKT6_PKbPfiPT5_PiiiibdPKfPKS9_SF_,"axG",@progbits,_ZN4vllm3moe22topkGatingSoftplusSqrtILi5ELi320ELi4ELi2ELi64ELb1El14__hip_bfloat16EEvPKT6_PKbPfiPT5_PiiiibdPKfPKS9_SF_,comdat
	.protected	_ZN4vllm3moe22topkGatingSoftplusSqrtILi5ELi320ELi4ELi2ELi64ELb1El14__hip_bfloat16EEvPKT6_PKbPfiPT5_PiiiibdPKfPKS9_SF_ ; -- Begin function _ZN4vllm3moe22topkGatingSoftplusSqrtILi5ELi320ELi4ELi2ELi64ELb1El14__hip_bfloat16EEvPKT6_PKbPfiPT5_PiiiibdPKfPKS9_SF_
	.globl	_ZN4vllm3moe22topkGatingSoftplusSqrtILi5ELi320ELi4ELi2ELi64ELb1El14__hip_bfloat16EEvPKT6_PKbPfiPT5_PiiiibdPKfPKS9_SF_
	.p2align	8
	.type	_ZN4vllm3moe22topkGatingSoftplusSqrtILi5ELi320ELi4ELi2ELi64ELb1El14__hip_bfloat16EEvPKT6_PKbPfiPT5_PiiiibdPKfPKS9_SF_,@function
_ZN4vllm3moe22topkGatingSoftplusSqrtILi5ELi320ELi4ELi2ELi64ELb1El14__hip_bfloat16EEvPKT6_PKbPfiPT5_PiiiibdPKfPKS9_SF_: ; @_ZN4vllm3moe22topkGatingSoftplusSqrtILi5ELi320ELi4ELi2ELi64ELb1El14__hip_bfloat16EEvPKT6_PKbPfiPT5_PiiiibdPKfPKS9_SF_
; %bb.0:
	s_load_dword s3, s[0:1], 0x18
	v_and_b32_e32 v1, 0x3ff, v0
	s_lshl_b32 s2, s2, 2
	v_lshrrev_b32_e32 v2, 6, v1
	v_bfe_u32 v0, v0, 10, 10
	v_add3_u32 v0, s2, v0, v2
	s_waitcnt lgkmcnt(0)
	v_cmp_gt_i32_e32 vcc, s3, v0
	s_and_saveexec_b64 s[2:3], vcc
	s_cbranch_execz .LBB524_31
; %bb.1:
	s_load_dwordx4 s[8:11], s[0:1], 0x50
	s_load_dwordx2 s[2:3], s[0:1], 0x0
	s_load_dword s12, s[0:1], 0x30
	s_movk_i32 s4, 0x140
	v_mul_lo_u32 v4, v0, s4
	v_ashrrev_i32_e32 v5, 31, v4
	v_and_b32_e32 v12, 63, v1
	s_waitcnt lgkmcnt(0)
	v_mov_b32_e32 v2, s8
	v_mov_b32_e32 v3, s9
	v_lshl_add_u64 v[6:7], v[4:5], 1, s[2:3]
	v_lshlrev_b32_e32 v4, 1, v12
	v_mov_b32_e32 v5, 0
	v_ashrrev_i32_e32 v1, 31, v0
	v_lshl_add_u64 v[6:7], v[6:7], 0, v[4:5]
	v_lshl_add_u64 v[2:3], v[0:1], 3, v[2:3]
	global_load_ushort v4, v[6:7], off offset:512
	global_load_dwordx2 v[8:9], v[2:3], off
	global_load_ushort v1, v[6:7], off offset:128
	global_load_ushort v10, v[6:7], off
	global_load_ushort v11, v[6:7], off offset:384
	global_load_ushort v13, v[6:7], off offset:256
	s_mov_b32 s18, 0x800000
	s_ashr_i32 s13, s12, 31
	v_mov_b32_e32 v16, 0x4f800000
	s_mov_b32 s19, 0x3f317217
	s_mov_b32 s20, 0x7f800000
	v_mov_b32_e32 v17, 0x41b17218
	s_mov_b32 s15, 0x41a00000
	s_mov_b32 s21, 0xf800000
	v_mov_b32_e32 v18, 0x260
	v_cmp_lt_i64_e64 s[16:17], s[12:13], 1
	s_mov_b32 s14, 0
	v_cmp_gt_i64_e64 s[8:9], s[12:13], 0
	v_mul_lo_u32 v0, v0, s12
	s_waitcnt vmcnt(4)
	v_mul_lo_u32 v14, v9, s12
	s_waitcnt vmcnt(3)
	v_lshlrev_b32_e32 v1, 16, v1
	s_waitcnt vmcnt(2)
	v_lshlrev_b32_e32 v10, 16, v10
	v_mul_f32_e32 v2, 0x3fb8aa3b, v10
	v_mul_f32_e32 v3, 0x3fb8aa3b, v1
	v_exp_f32_e32 v2, v2
	v_exp_f32_e32 v3, v3
	s_waitcnt vmcnt(1)
	v_lshlrev_b32_e32 v11, 16, v11
	s_waitcnt vmcnt(0)
	v_lshlrev_b32_e32 v19, 16, v13
	v_mul_f32_e32 v6, 0x3fb8aa3b, v19
	v_mul_f32_e32 v7, 0x3fb8aa3b, v11
	v_pk_add_f32 v[2:3], v[2:3], 1.0 op_sel_hi:[1,0]
	v_mul_lo_u32 v15, v8, s13
	v_exp_f32_e32 v6, v6
	v_exp_f32_e32 v7, v7
	v_mad_u64_u32 v[8:9], s[2:3], v8, s12, 0
	v_cmp_gt_f32_e32 vcc, s18, v3
	v_cmp_gt_f32_e64 s[2:3], s18, v2
	v_add3_u32 v9, v9, v15, v14
	v_cndmask_b32_e32 v13, 1.0, v16, vcc
	v_cndmask_b32_e64 v14, 1.0, v16, s[2:3]
	v_mul_f32_e32 v3, v3, v13
	v_mul_f32_e32 v2, v2, v14
	v_log_f32_e32 v3, v3
	v_pk_add_f32 v[6:7], v[6:7], 1.0 op_sel_hi:[1,0]
	v_log_f32_e32 v2, v2
	v_cmp_gt_f32_e64 s[4:5], s18, v7
	v_cndmask_b32_e32 v13, 0, v17, vcc
	v_cmp_lt_f32_e64 vcc, |v3|, s20
	v_cndmask_b32_e64 v15, 1.0, v16, s[4:5]
	v_mul_f32_e32 v7, v7, v15
	v_mul_f32_e32 v15, 0x3f317217, v3
	;; [unrolled: 1-line block ×3, first 2 shown]
	v_fma_f32 v15, v3, s19, -v15
	v_fma_f32 v20, v2, s19, -v20
	v_fmac_f32_e32 v15, 0x3377d1cf, v3
	v_fmac_f32_e32 v20, 0x3377d1cf, v2
	;; [unrolled: 1-line block ×4, first 2 shown]
	v_cndmask_b32_e32 v3, v3, v15, vcc
	v_cmp_lt_f32_e64 vcc, |v2|, s20
	v_cndmask_b32_e64 v14, 0, v17, s[2:3]
	v_sub_f32_e32 v3, v3, v13
	v_cndmask_b32_e32 v2, v2, v20, vcc
	v_sub_f32_e32 v2, v2, v14
	v_cmp_lt_f32_e32 vcc, s15, v10
	v_log_f32_e32 v7, v7
	v_lshlrev_b32_e32 v4, 16, v4
	v_cndmask_b32_e32 v2, v2, v10, vcc
	v_cmp_lt_f32_e32 vcc, s15, v1
	v_mul_f32_e32 v10, 0x4f800000, v2
	v_cmp_gt_f32_e64 s[2:3], s21, v2
	v_cndmask_b32_e32 v1, v3, v1, vcc
	v_mul_f32_e32 v3, 0x4f800000, v1
	v_cmp_gt_f32_e32 vcc, s21, v1
	v_cndmask_b32_e64 v2, v2, v10, s[2:3]
	v_sqrt_f32_e32 v10, v2
	v_cndmask_b32_e32 v1, v1, v3, vcc
	v_sqrt_f32_e32 v3, v1
	v_mul_f32_e32 v21, 0x3f317217, v7
	v_add_u32_e32 v15, -1, v10
	v_fma_f32 v24, -v15, v10, v2
	v_add_u32_e32 v13, -1, v3
	v_fma_f32 v22, -v13, v3, v1
	v_add_u32_e32 v14, 1, v3
	v_cmp_ge_f32_e64 s[6:7], 0, v22
	v_add_u32_e32 v20, 1, v10
	v_fma_f32 v23, -v14, v3, v1
	v_cndmask_b32_e64 v3, v3, v13, s[6:7]
	v_cmp_ge_f32_e64 s[6:7], 0, v24
	v_fma_f32 v25, -v20, v10, v2
	v_fma_f32 v21, v7, s19, -v21
	v_cndmask_b32_e64 v10, v10, v15, s[6:7]
	v_cmp_lt_f32_e64 s[6:7], 0, v23
	v_fmac_f32_e32 v21, 0x3377d1cf, v7
	v_fmac_f32_e32 v21, 0x3f317217, v7
	v_cndmask_b32_e64 v3, v3, v14, s[6:7]
	v_cmp_lt_f32_e64 s[6:7], 0, v25
	v_mul_f32_e32 v13, 0x37800000, v3
	v_cndmask_b32_e32 v3, v3, v13, vcc
	v_cndmask_b32_e64 v10, v10, v20, s[6:7]
	v_mul_f32_e32 v14, 0x37800000, v10
	v_cmp_class_f32_e32 vcc, v1, v18
	v_cndmask_b32_e64 v10, v10, v14, s[2:3]
	v_cmp_lt_f32_e64 s[2:3], |v7|, s20
	v_cndmask_b32_e32 v13, v3, v1, vcc
	v_cmp_class_f32_e32 vcc, v2, v18
	v_cndmask_b32_e64 v3, 0, v17, s[4:5]
	s_nop 0
	v_cndmask_b32_e32 v14, v10, v2, vcc
	v_cmp_gt_f32_e32 vcc, s18, v6
	v_cndmask_b32_e64 v2, v7, v21, s[2:3]
	v_sub_f32_e32 v2, v2, v3
	v_cndmask_b32_e32 v1, 1.0, v16, vcc
	v_mul_f32_e32 v1, v6, v1
	v_log_f32_e32 v1, v1
	s_nop 0
	v_mul_f32_e32 v3, 0x3f317217, v1
	v_fma_f32 v3, v1, s19, -v3
	v_fmac_f32_e32 v3, 0x3377d1cf, v1
	v_fmac_f32_e32 v3, 0x3f317217, v1
	v_cmp_lt_f32_e64 s[2:3], |v1|, s20
	s_nop 1
	v_cndmask_b32_e64 v1, v1, v3, s[2:3]
	v_cndmask_b32_e32 v3, 0, v17, vcc
	v_cmp_lt_f32_e32 vcc, s15, v11
	v_sub_f32_e32 v1, v1, v3
	v_cmp_lt_f32_e64 s[2:3], s15, v19
	v_cndmask_b32_e32 v2, v2, v11, vcc
	v_mul_f32_e32 v6, 0x4f800000, v2
	v_cmp_gt_f32_e32 vcc, s21, v2
	v_cndmask_b32_e64 v1, v1, v19, s[2:3]
	s_nop 0
	v_cndmask_b32_e32 v2, v2, v6, vcc
	v_sqrt_f32_e32 v6, v2
	s_nop 0
	v_add_u32_e32 v3, -1, v6
	v_fma_f32 v7, -v3, v6, v2
	v_cmp_ge_f32_e64 s[2:3], 0, v7
	v_add_u32_e32 v7, 1, v6
	s_nop 0
	v_cndmask_b32_e64 v3, v6, v3, s[2:3]
	v_fma_f32 v6, -v7, v6, v2
	v_cmp_lt_f32_e64 s[2:3], 0, v6
	s_nop 1
	v_cndmask_b32_e64 v3, v3, v7, s[2:3]
	v_mul_f32_e32 v7, 0x4f800000, v1
	v_cmp_gt_f32_e64 s[2:3], s21, v1
	v_mul_f32_e32 v6, 0x37800000, v3
	v_cndmask_b32_e32 v3, v3, v6, vcc
	v_cndmask_b32_e64 v1, v1, v7, s[2:3]
	v_sqrt_f32_e32 v7, v1
	v_mul_f32_e32 v6, 0x3fb8aa3b, v4
	v_exp_f32_e32 v6, v6
	v_cmp_class_f32_e32 vcc, v2, v18
	v_add_f32_e32 v6, 1.0, v6
	s_nop 0
	v_cndmask_b32_e32 v15, v3, v2, vcc
	v_add_u32_e32 v2, -1, v7
	v_fma_f32 v3, -v2, v7, v1
	v_cmp_ge_f32_e32 vcc, 0, v3
	v_add_u32_e32 v3, 1, v7
	s_nop 0
	v_cndmask_b32_e32 v2, v7, v2, vcc
	v_cmp_gt_f32_e32 vcc, s18, v6
	v_fma_f32 v7, -v3, v7, v1
	v_cmp_lt_f32_e64 s[4:5], 0, v7
	v_cndmask_b32_e32 v10, 1.0, v16, vcc
	v_mul_f32_e32 v6, v6, v10
	v_log_f32_e32 v6, v6
	v_cndmask_b32_e64 v2, v2, v3, s[4:5]
	v_mul_f32_e32 v3, 0x37800000, v2
	v_cndmask_b32_e64 v2, v2, v3, s[2:3]
	v_mul_f32_e32 v7, 0x3f317217, v6
	v_fma_f32 v7, v6, s19, -v7
	v_fmac_f32_e32 v7, 0x3377d1cf, v6
	v_fmac_f32_e32 v7, 0x3f317217, v6
	v_cmp_lt_f32_e64 s[4:5], |v6|, s20
	v_cmp_class_f32_e64 s[2:3], v1, v18
	s_nop 0
	v_cndmask_b32_e64 v6, v6, v7, s[4:5]
	v_cndmask_b32_e32 v7, 0, v17, vcc
	v_sub_f32_e32 v6, v6, v7
	v_cmp_lt_f32_e32 vcc, s15, v4
	v_cndmask_b32_e64 v16, v2, v1, s[2:3]
	s_nop 0
	v_cndmask_b32_e32 v4, v6, v4, vcc
	v_mul_f32_e32 v6, 0x4f800000, v4
	v_cmp_gt_f32_e32 vcc, s21, v4
	s_nop 1
	v_cndmask_b32_e32 v4, v4, v6, vcc
	v_sqrt_f32_e32 v6, v4
	s_nop 0
	v_add_u32_e32 v1, -1, v6
	v_fma_f32 v2, -v1, v6, v4
	v_cmp_ge_f32_e64 s[2:3], 0, v2
	v_add_u32_e32 v2, 1, v6
	v_fma_f32 v3, -v2, v6, v4
	v_cndmask_b32_e64 v1, v6, v1, s[2:3]
	v_cmp_lt_f32_e64 s[2:3], 0, v3
	s_nop 1
	v_cndmask_b32_e64 v1, v1, v2, s[2:3]
	v_mul_f32_e32 v2, 0x37800000, v1
	v_cndmask_b32_e32 v1, v1, v2, vcc
	v_cmp_class_f32_e32 vcc, v4, v18
	v_lshl_add_u64 v[2:3], v[8:9], 3, s[10:11]
	s_nop 0
	v_cndmask_b32_e32 v17, v1, v4, vcc
	s_and_b64 vcc, exec, s[16:17]
	s_cbranch_vccnz .LBB524_28
; %bb.2:
	s_load_dwordx2 s[4:5], s[0:1], 0x20
	s_cmp_lt_u32 s12, 4
	v_sub_u32_e32 v4, 0, v12
	s_cbranch_scc1 .LBB524_21
; %bb.3:
	s_mov_b32 s7, 0
	s_and_b32 s14, s12, 0x7ffffffc
	v_ashrrev_i32_e32 v1, 31, v0
	v_mov_b32_e32 v5, 0
	s_mov_b32 s6, s7
	s_branch .LBB524_5
.LBB524_4:                              ;   in Loop: Header=BB524_5 Depth=1
	s_or_b64 exec, exec, s[10:11]
	s_add_i32 s6, s6, 4
	s_cmp_eq_u32 s6, s14
	s_cbranch_scc1 .LBB524_21
.LBB524_5:                              ; =>This Loop Header: Depth=1
                                        ;     Child Loop BB524_7 Depth 2
                                        ;     Child Loop BB524_11 Depth 2
                                        ;     Child Loop BB524_15 Depth 2
                                        ;     Child Loop BB524_19 Depth 2
	v_lshl_add_u64 v[6:7], s[6:7], 3, v[2:3]
	global_load_dwordx2 v[8:9], v[6:7], off
	v_add_u32_e32 v10, s6, v0
	v_ashrrev_i32_e32 v11, 31, v10
	s_mov_b64 s[10:11], 0
	s_waitcnt lgkmcnt(0)
	v_lshl_add_u64 v[10:11], v[10:11], 3, s[4:5]
	s_mov_b64 s[16:17], 0
	s_waitcnt vmcnt(0)
	v_ashrrev_i32_e32 v9, 31, v8
	v_add_u32_e32 v18, v4, v8
	s_branch .LBB524_7
.LBB524_6:                              ;   in Loop: Header=BB524_7 Depth=2
	s_or_b64 exec, exec, s[18:19]
	s_cmp_gt_u32 s16, 3
	s_cselect_b64 s[2:3], -1, 0
	s_xor_b64 s[18:19], vcc, -1
	s_or_b64 s[2:3], s[18:19], s[2:3]
	s_add_u32 s16, s16, 1
	s_addc_u32 s17, s17, 0
	s_and_b64 s[2:3], exec, s[2:3]
	s_or_b64 s[10:11], s[2:3], s[10:11]
	v_subrev_u32_e32 v18, 64, v18
	s_andn2_b64 exec, exec, s[10:11]
	s_cbranch_execz .LBB524_9
.LBB524_7:                              ;   Parent Loop BB524_5 Depth=1
                                        ; =>  This Inner Loop Header: Depth=2
	v_cmp_ne_u32_e32 vcc, 0, v18
	v_cmp_eq_u32_e64 s[2:3], 0, v18
	s_and_saveexec_b64 s[18:19], s[2:3]
	s_cbranch_execz .LBB524_6
; %bb.8:                                ;   in Loop: Header=BB524_7 Depth=2
	s_cmp_eq_u32 s16, 1
	s_cselect_b64 s[2:3], -1, 0
	s_cmp_eq_u32 s16, 2
	v_cndmask_b32_e64 v19, v14, v13, s[2:3]
	s_cselect_b64 s[2:3], -1, 0
	s_cmp_eq_u32 s16, 3
	v_cndmask_b32_e64 v19, v19, v16, s[2:3]
	;; [unrolled: 3-line block ×3, first 2 shown]
	s_cselect_b64 s[2:3], -1, 0
	v_cndmask_b32_e64 v19, v19, v17, s[2:3]
	v_add_f32_e32 v5, v5, v19
	global_store_dwordx2 v[10:11], v[8:9], off
	s_branch .LBB524_6
.LBB524_9:                              ;   in Loop: Header=BB524_5 Depth=1
	s_or_b64 exec, exec, s[10:11]
	global_load_dwordx2 v[10:11], v[6:7], off offset:8
	s_ashr_i32 s3, s6, 31
	s_mov_b32 s2, s6
	v_lshl_add_u64 v[8:9], s[2:3], 0, v[0:1]
	s_mov_b64 s[10:11], 0
	v_lshl_add_u64 v[8:9], v[8:9], 3, s[4:5]
	s_mov_b64 s[16:17], 0
	s_waitcnt vmcnt(0)
	v_ashrrev_i32_e32 v11, 31, v10
	v_add_u32_e32 v18, v4, v10
	s_branch .LBB524_11
.LBB524_10:                             ;   in Loop: Header=BB524_11 Depth=2
	s_or_b64 exec, exec, s[18:19]
	s_cmp_gt_u32 s16, 3
	s_cselect_b64 s[2:3], -1, 0
	s_xor_b64 s[18:19], vcc, -1
	s_or_b64 s[2:3], s[18:19], s[2:3]
	s_add_u32 s16, s16, 1
	s_addc_u32 s17, s17, 0
	s_and_b64 s[2:3], exec, s[2:3]
	s_or_b64 s[10:11], s[2:3], s[10:11]
	v_subrev_u32_e32 v18, 64, v18
	s_andn2_b64 exec, exec, s[10:11]
	s_cbranch_execz .LBB524_13
.LBB524_11:                             ;   Parent Loop BB524_5 Depth=1
                                        ; =>  This Inner Loop Header: Depth=2
	v_cmp_ne_u32_e32 vcc, 0, v18
	v_cmp_eq_u32_e64 s[2:3], 0, v18
	s_and_saveexec_b64 s[18:19], s[2:3]
	s_cbranch_execz .LBB524_10
; %bb.12:                               ;   in Loop: Header=BB524_11 Depth=2
	s_cmp_eq_u32 s16, 1
	s_cselect_b64 s[2:3], -1, 0
	s_cmp_eq_u32 s16, 2
	v_cndmask_b32_e64 v19, v14, v13, s[2:3]
	s_cselect_b64 s[2:3], -1, 0
	s_cmp_eq_u32 s16, 3
	v_cndmask_b32_e64 v19, v19, v16, s[2:3]
	;; [unrolled: 3-line block ×3, first 2 shown]
	s_cselect_b64 s[2:3], -1, 0
	v_cndmask_b32_e64 v19, v19, v17, s[2:3]
	v_add_f32_e32 v5, v5, v19
	global_store_dwordx2 v[8:9], v[10:11], off offset:8
	s_branch .LBB524_10
.LBB524_13:                             ;   in Loop: Header=BB524_5 Depth=1
	s_or_b64 exec, exec, s[10:11]
	global_load_dwordx2 v[10:11], v[6:7], off offset:16
	s_mov_b64 s[10:11], 0
	s_mov_b64 s[16:17], 0
	s_waitcnt vmcnt(0)
	v_ashrrev_i32_e32 v11, 31, v10
	v_add_u32_e32 v18, v4, v10
	s_branch .LBB524_15
.LBB524_14:                             ;   in Loop: Header=BB524_15 Depth=2
	s_or_b64 exec, exec, s[18:19]
	s_cmp_gt_u32 s16, 3
	s_cselect_b64 s[2:3], -1, 0
	s_xor_b64 s[18:19], vcc, -1
	s_or_b64 s[2:3], s[18:19], s[2:3]
	s_add_u32 s16, s16, 1
	s_addc_u32 s17, s17, 0
	s_and_b64 s[2:3], exec, s[2:3]
	s_or_b64 s[10:11], s[2:3], s[10:11]
	v_subrev_u32_e32 v18, 64, v18
	s_andn2_b64 exec, exec, s[10:11]
	s_cbranch_execz .LBB524_17
.LBB524_15:                             ;   Parent Loop BB524_5 Depth=1
                                        ; =>  This Inner Loop Header: Depth=2
	v_cmp_ne_u32_e32 vcc, 0, v18
	v_cmp_eq_u32_e64 s[2:3], 0, v18
	s_and_saveexec_b64 s[18:19], s[2:3]
	s_cbranch_execz .LBB524_14
; %bb.16:                               ;   in Loop: Header=BB524_15 Depth=2
	s_cmp_eq_u32 s16, 1
	s_cselect_b64 s[2:3], -1, 0
	s_cmp_eq_u32 s16, 2
	v_cndmask_b32_e64 v19, v14, v13, s[2:3]
	s_cselect_b64 s[2:3], -1, 0
	s_cmp_eq_u32 s16, 3
	v_cndmask_b32_e64 v19, v19, v16, s[2:3]
	;; [unrolled: 3-line block ×3, first 2 shown]
	s_cselect_b64 s[2:3], -1, 0
	v_cndmask_b32_e64 v19, v19, v17, s[2:3]
	v_add_f32_e32 v5, v5, v19
	global_store_dwordx2 v[8:9], v[10:11], off offset:16
	s_branch .LBB524_14
.LBB524_17:                             ;   in Loop: Header=BB524_5 Depth=1
	s_or_b64 exec, exec, s[10:11]
	global_load_dwordx2 v[6:7], v[6:7], off offset:24
	s_mov_b64 s[10:11], 0
	s_mov_b64 s[16:17], 0
	s_waitcnt vmcnt(0)
	v_ashrrev_i32_e32 v7, 31, v6
	v_add_u32_e32 v10, v4, v6
	s_branch .LBB524_19
.LBB524_18:                             ;   in Loop: Header=BB524_19 Depth=2
	s_or_b64 exec, exec, s[18:19]
	s_cmp_gt_u32 s16, 3
	s_cselect_b64 s[2:3], -1, 0
	s_xor_b64 s[18:19], vcc, -1
	s_or_b64 s[2:3], s[18:19], s[2:3]
	s_add_u32 s16, s16, 1
	s_addc_u32 s17, s17, 0
	s_and_b64 s[2:3], exec, s[2:3]
	s_or_b64 s[10:11], s[2:3], s[10:11]
	v_subrev_u32_e32 v10, 64, v10
	s_andn2_b64 exec, exec, s[10:11]
	s_cbranch_execz .LBB524_4
.LBB524_19:                             ;   Parent Loop BB524_5 Depth=1
                                        ; =>  This Inner Loop Header: Depth=2
	v_cmp_ne_u32_e32 vcc, 0, v10
	v_cmp_eq_u32_e64 s[2:3], 0, v10
	s_and_saveexec_b64 s[18:19], s[2:3]
	s_cbranch_execz .LBB524_18
; %bb.20:                               ;   in Loop: Header=BB524_19 Depth=2
	s_cmp_eq_u32 s16, 1
	s_cselect_b64 s[2:3], -1, 0
	s_cmp_eq_u32 s16, 2
	v_cndmask_b32_e64 v11, v14, v13, s[2:3]
	s_cselect_b64 s[2:3], -1, 0
	s_cmp_eq_u32 s16, 3
	v_cndmask_b32_e64 v11, v11, v16, s[2:3]
	;; [unrolled: 3-line block ×3, first 2 shown]
	s_cselect_b64 s[2:3], -1, 0
	v_cndmask_b32_e64 v11, v11, v17, s[2:3]
	v_add_f32_e32 v5, v5, v11
	global_store_dwordx2 v[8:9], v[6:7], off offset:24
	s_branch .LBB524_18
.LBB524_21:
	s_and_b32 s13, s12, 3
	s_cmp_eq_u32 s13, 0
	s_mov_b32 s15, 0
	s_cbranch_scc1 .LBB524_28
; %bb.22:
	s_mov_b32 s18, s15
	s_branch .LBB524_24
.LBB524_23:                             ;   in Loop: Header=BB524_24 Depth=1
	s_or_b64 exec, exec, s[6:7]
	s_add_i32 s14, s14, 1
	s_add_i32 s18, s18, 1
	s_cmp_lg_u32 s18, s13
	s_cbranch_scc0 .LBB524_28
.LBB524_24:                             ; =>This Loop Header: Depth=1
                                        ;     Child Loop BB524_26 Depth 2
	v_lshl_add_u64 v[6:7], s[14:15], 3, v[2:3]
	global_load_dwordx2 v[6:7], v[6:7], off
	v_add_u32_e32 v8, s14, v0
	v_ashrrev_i32_e32 v9, 31, v8
	s_mov_b64 s[6:7], 0
	s_waitcnt lgkmcnt(0)
	v_lshl_add_u64 v[8:9], v[8:9], 3, s[4:5]
	s_mov_b64 s[10:11], 0
	s_waitcnt vmcnt(0)
	v_ashrrev_i32_e32 v7, 31, v6
	v_add_u32_e32 v1, v4, v6
	s_branch .LBB524_26
.LBB524_25:                             ;   in Loop: Header=BB524_26 Depth=2
	s_or_b64 exec, exec, s[16:17]
	s_cmp_gt_u32 s10, 3
	s_cselect_b64 s[2:3], -1, 0
	s_xor_b64 s[16:17], vcc, -1
	s_or_b64 s[2:3], s[16:17], s[2:3]
	s_add_u32 s10, s10, 1
	s_addc_u32 s11, s11, 0
	s_and_b64 s[2:3], exec, s[2:3]
	s_or_b64 s[6:7], s[2:3], s[6:7]
	v_subrev_u32_e32 v1, 64, v1
	s_andn2_b64 exec, exec, s[6:7]
	s_cbranch_execz .LBB524_23
.LBB524_26:                             ;   Parent Loop BB524_24 Depth=1
                                        ; =>  This Inner Loop Header: Depth=2
	v_cmp_ne_u32_e32 vcc, 0, v1
	v_cmp_eq_u32_e64 s[2:3], 0, v1
	s_and_saveexec_b64 s[16:17], s[2:3]
	s_cbranch_execz .LBB524_25
; %bb.27:                               ;   in Loop: Header=BB524_26 Depth=2
	s_cmp_eq_u32 s10, 1
	s_cselect_b64 s[2:3], -1, 0
	s_cmp_eq_u32 s10, 2
	v_cndmask_b32_e64 v10, v14, v13, s[2:3]
	s_cselect_b64 s[2:3], -1, 0
	s_cmp_eq_u32 s10, 3
	v_cndmask_b32_e64 v10, v10, v16, s[2:3]
	;; [unrolled: 3-line block ×3, first 2 shown]
	s_cselect_b64 s[2:3], -1, 0
	v_cndmask_b32_e64 v10, v10, v17, s[2:3]
	v_add_f32_e32 v5, v5, v10
	global_store_dwordx2 v[8:9], v[6:7], off
	s_branch .LBB524_25
.LBB524_28:
	s_waitcnt lgkmcnt(0)
	s_load_dword s4, s[0:1], 0x3c
	s_waitcnt lgkmcnt(0)
	s_bitcmp1_b32 s4, 0
	s_cselect_b64 s[2:3], -1, 0
	s_bitcmp0_b32 s4, 0
	s_cbranch_scc0 .LBB524_32
; %bb.29:
	s_load_dwordx2 s[4:5], s[0:1], 0x40
	s_andn2_b64 vcc, exec, s[2:3]
	s_waitcnt lgkmcnt(0)
	v_cvt_f32_f64_e32 v10, s[4:5]
	s_cbranch_vccz .LBB524_33
.LBB524_30:
	s_andn2_b64 vcc, exec, s[8:9]
	s_cbranch_vccz .LBB524_34
.LBB524_31:
	s_endpgm
.LBB524_32:
	v_mbcnt_lo_u32_b32 v1, -1, 0
	v_mbcnt_hi_u32_b32 v1, -1, v1
	v_and_b32_e32 v4, 64, v1
	v_add_u32_e32 v4, 64, v4
	v_xor_b32_e32 v6, 32, v1
	v_cmp_lt_i32_e32 vcc, v6, v4
	v_xor_b32_e32 v7, 16, v1
	s_nop 0
	v_cndmask_b32_e32 v6, v1, v6, vcc
	v_lshlrev_b32_e32 v6, 2, v6
	ds_bpermute_b32 v6, v6, v5
	v_cmp_lt_i32_e32 vcc, v7, v4
	s_waitcnt lgkmcnt(0)
	v_add_f32_e32 v5, v5, v6
	v_cndmask_b32_e32 v6, v1, v7, vcc
	v_lshlrev_b32_e32 v6, 2, v6
	ds_bpermute_b32 v6, v6, v5
	v_xor_b32_e32 v7, 8, v1
	v_cmp_lt_i32_e32 vcc, v7, v4
	s_waitcnt lgkmcnt(0)
	v_add_f32_e32 v5, v5, v6
	v_cndmask_b32_e32 v6, v1, v7, vcc
	v_lshlrev_b32_e32 v6, 2, v6
	ds_bpermute_b32 v6, v6, v5
	v_xor_b32_e32 v7, 4, v1
	;; [unrolled: 7-line block ×4, first 2 shown]
	v_cmp_lt_i32_e32 vcc, v7, v4
	s_waitcnt lgkmcnt(0)
	v_add_f32_e32 v5, v5, v6
	v_cndmask_b32_e32 v1, v1, v7, vcc
	v_lshlrev_b32_e32 v1, 2, v1
	ds_bpermute_b32 v1, v1, v5
	s_waitcnt lgkmcnt(0)
	v_add_f32_e32 v5, v5, v1
	s_load_dwordx2 s[4:5], s[0:1], 0x40
	s_andn2_b64 vcc, exec, s[2:3]
	s_waitcnt lgkmcnt(0)
	v_cvt_f32_f64_e32 v10, s[4:5]
	s_cbranch_vccnz .LBB524_30
.LBB524_33:
	v_cmp_lt_f32_e32 vcc, 0, v5
	s_nop 1
	v_cndmask_b32_e32 v1, 1.0, v5, vcc
	v_div_scale_f32 v4, s[2:3], v1, v1, v10
	v_rcp_f32_e32 v5, v4
	s_nop 0
	v_fma_f32 v6, -v4, v5, 1.0
	v_fmac_f32_e32 v5, v6, v5
	v_div_scale_f32 v6, vcc, v10, v1, v10
	v_mul_f32_e32 v7, v6, v5
	v_fma_f32 v8, -v4, v7, v6
	v_fmac_f32_e32 v7, v8, v5
	v_fma_f32 v4, -v4, v7, v6
	v_div_fmas_f32 v4, v4, v5, v7
	v_div_fixup_f32 v10, v4, v1, v10
	s_andn2_b64 vcc, exec, s[8:9]
	s_cbranch_vccnz .LBB524_31
.LBB524_34:
	s_load_dwordx2 s[6:7], s[0:1], 0x10
	v_or_b32_e32 v20, 64, v12
	v_or_b32_e32 v19, 0x80, v12
	;; [unrolled: 1-line block ×4, first 2 shown]
	s_cmp_eq_u32 s12, 1
	s_mov_b32 s8, 0
	s_cbranch_scc1 .LBB524_57
; %bb.35:
	v_ashrrev_i32_e32 v1, 31, v0
	s_waitcnt lgkmcnt(0)
	v_lshl_add_u64 v[4:5], v[0:1], 2, s[6:7]
	s_and_b32 s8, s12, 0x7ffffffe
	v_lshl_add_u64 v[4:5], v[4:5], 0, 4
	v_lshl_add_u64 v[6:7], v[2:3], 0, 8
	s_mov_b32 s9, 0
	s_branch .LBB524_37
.LBB524_36:                             ;   in Loop: Header=BB524_37 Depth=1
	s_or_b64 exec, exec, s[0:1]
	s_add_i32 s9, s9, 2
	v_lshl_add_u64 v[4:5], v[4:5], 0, 8
	s_cmp_lg_u32 s8, s9
	v_lshl_add_u64 v[6:7], v[6:7], 0, 16
	s_cbranch_scc0 .LBB524_57
.LBB524_37:                             ; =>This Inner Loop Header: Depth=1
	global_load_dword v1, v[6:7], off offset:-8
	v_mov_b64_e32 v[8:9], 0
	s_waitcnt vmcnt(0)
	v_cmp_eq_u32_e32 vcc, v12, v1
	v_cmp_ne_u32_e64 s[0:1], v12, v1
	s_and_saveexec_b64 s[10:11], s[0:1]
	s_cbranch_execz .LBB524_45
; %bb.38:                               ;   in Loop: Header=BB524_37 Depth=1
	v_cmp_eq_u32_e64 s[0:1], v20, v1
	v_cmp_ne_u32_e64 s[2:3], v20, v1
	v_mov_b64_e32 v[8:9], 1
	s_and_saveexec_b64 s[14:15], s[2:3]
	s_cbranch_execz .LBB524_44
; %bb.39:                               ;   in Loop: Header=BB524_37 Depth=1
	v_cmp_eq_u32_e64 s[2:3], v19, v1
	v_cmp_ne_u32_e64 s[4:5], v19, v1
	v_mov_b64_e32 v[8:9], 2
	;; [unrolled: 6-line block ×3, first 2 shown]
	s_and_saveexec_b64 s[20:21], s[4:5]
	s_xor_b64 s[20:21], exec, s[20:21]
; %bb.41:                               ;   in Loop: Header=BB524_37 Depth=1
	v_cmp_eq_u32_e64 s[4:5], v11, v1
	s_andn2_b64 s[18:19], s[18:19], exec
	s_and_b64 s[4:5], s[4:5], exec
	v_mov_b64_e32 v[8:9], 4
	s_or_b64 s[18:19], s[18:19], s[4:5]
; %bb.42:                               ;   in Loop: Header=BB524_37 Depth=1
	s_or_b64 exec, exec, s[20:21]
	s_andn2_b64 s[2:3], s[2:3], exec
	s_and_b64 s[4:5], s[18:19], exec
	s_or_b64 s[2:3], s[2:3], s[4:5]
.LBB524_43:                             ;   in Loop: Header=BB524_37 Depth=1
	s_or_b64 exec, exec, s[16:17]
	s_andn2_b64 s[0:1], s[0:1], exec
	s_and_b64 s[2:3], s[2:3], exec
	s_or_b64 s[0:1], s[0:1], s[2:3]
.LBB524_44:                             ;   in Loop: Header=BB524_37 Depth=1
	s_or_b64 exec, exec, s[14:15]
	s_andn2_b64 s[2:3], vcc, exec
	s_and_b64 s[0:1], s[0:1], exec
	s_or_b64 vcc, s[2:3], s[0:1]
.LBB524_45:                             ;   in Loop: Header=BB524_37 Depth=1
	s_or_b64 exec, exec, s[10:11]
	s_and_saveexec_b64 s[0:1], vcc
	s_cbranch_execz .LBB524_47
; %bb.46:                               ;   in Loop: Header=BB524_37 Depth=1
	v_cmp_eq_u32_e32 vcc, 1, v8
	v_add_u32_e32 v22, s9, v0
	v_ashrrev_i32_e32 v23, 31, v22
	v_cndmask_b32_e32 v1, v14, v13, vcc
	v_cmp_eq_u32_e32 vcc, 2, v8
	s_nop 1
	v_cndmask_b32_e32 v1, v1, v16, vcc
	v_cmp_eq_u32_e32 vcc, 3, v8
	s_nop 1
	v_cndmask_b32_e32 v1, v1, v15, vcc
	v_cmp_eq_u32_e32 vcc, 4, v8
	v_lshl_add_u64 v[8:9], v[22:23], 2, s[6:7]
	s_nop 0
	v_cndmask_b32_e32 v1, v1, v17, vcc
	v_mul_f32_e32 v1, v10, v1
	global_store_dword v[8:9], v1, off
.LBB524_47:                             ;   in Loop: Header=BB524_37 Depth=1
	s_or_b64 exec, exec, s[0:1]
	global_load_dword v1, v[6:7], off
	v_mov_b64_e32 v[8:9], 0
	s_waitcnt vmcnt(0)
	v_cmp_eq_u32_e64 s[2:3], v12, v1
	v_cmp_ne_u32_e32 vcc, v12, v1
	s_and_saveexec_b64 s[4:5], vcc
	s_cbranch_execz .LBB524_55
; %bb.48:                               ;   in Loop: Header=BB524_37 Depth=1
	v_cmp_eq_u32_e32 vcc, v20, v1
	v_cmp_ne_u32_e64 s[0:1], v20, v1
	v_mov_b64_e32 v[8:9], 1
	s_and_saveexec_b64 s[10:11], s[0:1]
	s_cbranch_execz .LBB524_54
; %bb.49:                               ;   in Loop: Header=BB524_37 Depth=1
	v_cmp_eq_u32_e64 s[14:15], v19, v1
	v_cmp_ne_u32_e64 s[0:1], v19, v1
	v_mov_b64_e32 v[8:9], 2
	s_and_saveexec_b64 s[16:17], s[0:1]
	s_cbranch_execz .LBB524_53
; %bb.50:                               ;   in Loop: Header=BB524_37 Depth=1
	v_cmp_eq_u32_e64 s[18:19], v18, v1
	v_cmp_ne_u32_e64 s[0:1], v18, v1
	v_mov_b64_e32 v[8:9], 3
	s_and_saveexec_b64 s[20:21], s[0:1]
; %bb.51:                               ;   in Loop: Header=BB524_37 Depth=1
	v_cmp_eq_u32_e64 s[0:1], v11, v1
	s_andn2_b64 s[18:19], s[18:19], exec
	s_and_b64 s[0:1], s[0:1], exec
	v_mov_b64_e32 v[8:9], 4
	s_or_b64 s[18:19], s[18:19], s[0:1]
; %bb.52:                               ;   in Loop: Header=BB524_37 Depth=1
	s_or_b64 exec, exec, s[20:21]
	s_andn2_b64 s[0:1], s[14:15], exec
	s_and_b64 s[14:15], s[18:19], exec
	s_or_b64 s[14:15], s[0:1], s[14:15]
.LBB524_53:                             ;   in Loop: Header=BB524_37 Depth=1
	s_or_b64 exec, exec, s[16:17]
	s_andn2_b64 s[0:1], vcc, exec
	s_and_b64 s[14:15], s[14:15], exec
	s_or_b64 vcc, s[0:1], s[14:15]
.LBB524_54:                             ;   in Loop: Header=BB524_37 Depth=1
	s_or_b64 exec, exec, s[10:11]
	s_andn2_b64 s[0:1], s[2:3], exec
	s_and_b64 s[2:3], vcc, exec
	s_or_b64 s[2:3], s[0:1], s[2:3]
.LBB524_55:                             ;   in Loop: Header=BB524_37 Depth=1
	s_or_b64 exec, exec, s[4:5]
	s_and_saveexec_b64 s[0:1], s[2:3]
	s_cbranch_execz .LBB524_36
; %bb.56:                               ;   in Loop: Header=BB524_37 Depth=1
	v_cmp_eq_u32_e32 vcc, 1, v8
	s_nop 1
	v_cndmask_b32_e32 v1, v14, v13, vcc
	v_cmp_eq_u32_e32 vcc, 2, v8
	s_nop 1
	v_cndmask_b32_e32 v1, v1, v16, vcc
	;; [unrolled: 3-line block ×4, first 2 shown]
	v_mul_f32_e32 v1, v10, v1
	global_store_dword v[4:5], v1, off
	s_branch .LBB524_36
.LBB524_57:
	s_bitcmp0_b32 s12, 0
	s_mov_b32 s9, 0
	s_cbranch_scc1 .LBB524_31
; %bb.58:
	v_lshl_add_u64 v[2:3], s[8:9], 3, v[2:3]
	global_load_dword v1, v[2:3], off
	v_mov_b64_e32 v[2:3], 0
	s_waitcnt vmcnt(0)
	v_cmp_eq_u32_e64 s[2:3], v12, v1
	v_cmp_ne_u32_e32 vcc, v12, v1
	s_and_saveexec_b64 s[4:5], vcc
	s_cbranch_execz .LBB524_66
; %bb.59:
	v_cmp_eq_u32_e32 vcc, v20, v1
	v_cmp_ne_u32_e64 s[0:1], v20, v1
	v_mov_b64_e32 v[2:3], 1
	s_and_saveexec_b64 s[10:11], s[0:1]
	s_cbranch_execz .LBB524_65
; %bb.60:
	v_cmp_eq_u32_e64 s[12:13], v19, v1
	v_cmp_ne_u32_e64 s[0:1], v19, v1
	v_mov_b64_e32 v[2:3], 2
	s_and_saveexec_b64 s[14:15], s[0:1]
	s_cbranch_execz .LBB524_64
; %bb.61:
	v_cmp_eq_u32_e64 s[16:17], v18, v1
	v_cmp_ne_u32_e64 s[0:1], v18, v1
	v_mov_b64_e32 v[2:3], 3
	s_and_saveexec_b64 s[18:19], s[0:1]
; %bb.62:
	v_cmp_eq_u32_e64 s[0:1], v11, v1
	s_andn2_b64 s[16:17], s[16:17], exec
	s_and_b64 s[0:1], s[0:1], exec
	v_mov_b64_e32 v[2:3], 4
	s_or_b64 s[16:17], s[16:17], s[0:1]
; %bb.63:
	s_or_b64 exec, exec, s[18:19]
	s_andn2_b64 s[0:1], s[12:13], exec
	s_and_b64 s[12:13], s[16:17], exec
	s_or_b64 s[12:13], s[0:1], s[12:13]
.LBB524_64:
	s_or_b64 exec, exec, s[14:15]
	s_andn2_b64 s[0:1], vcc, exec
	s_and_b64 s[12:13], s[12:13], exec
	s_or_b64 vcc, s[0:1], s[12:13]
.LBB524_65:
	s_or_b64 exec, exec, s[10:11]
	s_andn2_b64 s[0:1], s[2:3], exec
	s_and_b64 s[2:3], vcc, exec
	s_or_b64 s[2:3], s[0:1], s[2:3]
.LBB524_66:
	s_or_b64 exec, exec, s[4:5]
	s_and_b64 exec, exec, s[2:3]
	s_cbranch_execz .LBB524_31
; %bb.67:
	v_cmp_eq_u32_e32 vcc, 1, v2
	v_add_u32_e32 v0, s8, v0
	s_nop 0
	v_cndmask_b32_e32 v1, v14, v13, vcc
	v_cmp_eq_u32_e32 vcc, 2, v2
	s_nop 1
	v_cndmask_b32_e32 v1, v1, v16, vcc
	v_cmp_eq_u32_e32 vcc, 3, v2
	;; [unrolled: 3-line block ×3, first 2 shown]
	s_nop 1
	v_cndmask_b32_e32 v1, v1, v17, vcc
	v_mul_f32_e32 v2, v10, v1
	v_ashrrev_i32_e32 v1, 31, v0
	s_waitcnt lgkmcnt(0)
	v_lshl_add_u64 v[0:1], v[0:1], 2, s[6:7]
	global_store_dword v[0:1], v2, off
	s_endpgm
	.section	.rodata,"a",@progbits
	.p2align	6, 0x0
	.amdhsa_kernel _ZN4vllm3moe22topkGatingSoftplusSqrtILi5ELi320ELi4ELi2ELi64ELb1El14__hip_bfloat16EEvPKT6_PKbPfiPT5_PiiiibdPKfPKS9_SF_
		.amdhsa_group_segment_fixed_size 0
		.amdhsa_private_segment_fixed_size 0
		.amdhsa_kernarg_size 96
		.amdhsa_user_sgpr_count 2
		.amdhsa_user_sgpr_dispatch_ptr 0
		.amdhsa_user_sgpr_queue_ptr 0
		.amdhsa_user_sgpr_kernarg_segment_ptr 1
		.amdhsa_user_sgpr_dispatch_id 0
		.amdhsa_user_sgpr_kernarg_preload_length 0
		.amdhsa_user_sgpr_kernarg_preload_offset 0
		.amdhsa_user_sgpr_private_segment_size 0
		.amdhsa_uses_dynamic_stack 0
		.amdhsa_enable_private_segment 0
		.amdhsa_system_sgpr_workgroup_id_x 1
		.amdhsa_system_sgpr_workgroup_id_y 0
		.amdhsa_system_sgpr_workgroup_id_z 0
		.amdhsa_system_sgpr_workgroup_info 0
		.amdhsa_system_vgpr_workitem_id 1
		.amdhsa_next_free_vgpr 26
		.amdhsa_next_free_sgpr 22
		.amdhsa_accum_offset 28
		.amdhsa_reserve_vcc 1
		.amdhsa_float_round_mode_32 0
		.amdhsa_float_round_mode_16_64 0
		.amdhsa_float_denorm_mode_32 3
		.amdhsa_float_denorm_mode_16_64 3
		.amdhsa_dx10_clamp 1
		.amdhsa_ieee_mode 1
		.amdhsa_fp16_overflow 0
		.amdhsa_tg_split 0
		.amdhsa_exception_fp_ieee_invalid_op 0
		.amdhsa_exception_fp_denorm_src 0
		.amdhsa_exception_fp_ieee_div_zero 0
		.amdhsa_exception_fp_ieee_overflow 0
		.amdhsa_exception_fp_ieee_underflow 0
		.amdhsa_exception_fp_ieee_inexact 0
		.amdhsa_exception_int_div_zero 0
	.end_amdhsa_kernel
	.section	.text._ZN4vllm3moe22topkGatingSoftplusSqrtILi5ELi320ELi4ELi2ELi64ELb1El14__hip_bfloat16EEvPKT6_PKbPfiPT5_PiiiibdPKfPKS9_SF_,"axG",@progbits,_ZN4vllm3moe22topkGatingSoftplusSqrtILi5ELi320ELi4ELi2ELi64ELb1El14__hip_bfloat16EEvPKT6_PKbPfiPT5_PiiiibdPKfPKS9_SF_,comdat
.Lfunc_end524:
	.size	_ZN4vllm3moe22topkGatingSoftplusSqrtILi5ELi320ELi4ELi2ELi64ELb1El14__hip_bfloat16EEvPKT6_PKbPfiPT5_PiiiibdPKfPKS9_SF_, .Lfunc_end524-_ZN4vllm3moe22topkGatingSoftplusSqrtILi5ELi320ELi4ELi2ELi64ELb1El14__hip_bfloat16EEvPKT6_PKbPfiPT5_PiiiibdPKfPKS9_SF_
                                        ; -- End function
	.section	.AMDGPU.csdata,"",@progbits
; Kernel info:
; codeLenInByte = 3924
; NumSgprs: 28
; NumVgprs: 26
; NumAgprs: 0
; TotalNumVgprs: 26
; ScratchSize: 0
; MemoryBound: 0
; FloatMode: 240
; IeeeMode: 1
; LDSByteSize: 0 bytes/workgroup (compile time only)
; SGPRBlocks: 3
; VGPRBlocks: 3
; NumSGPRsForWavesPerEU: 28
; NumVGPRsForWavesPerEU: 26
; AccumOffset: 28
; Occupancy: 8
; WaveLimiterHint : 1
; COMPUTE_PGM_RSRC2:SCRATCH_EN: 0
; COMPUTE_PGM_RSRC2:USER_SGPR: 2
; COMPUTE_PGM_RSRC2:TRAP_HANDLER: 0
; COMPUTE_PGM_RSRC2:TGID_X_EN: 1
; COMPUTE_PGM_RSRC2:TGID_Y_EN: 0
; COMPUTE_PGM_RSRC2:TGID_Z_EN: 0
; COMPUTE_PGM_RSRC2:TIDIG_COMP_CNT: 1
; COMPUTE_PGM_RSRC3_GFX90A:ACCUM_OFFSET: 6
; COMPUTE_PGM_RSRC3_GFX90A:TG_SPLIT: 0
	.section	.text._ZN4vllm3moe22topkGatingSoftplusSqrtILi5ELi320ELi4ELi2ELi64ELb0El14__hip_bfloat16EEvPKT6_PKbPfiPT5_PiiiibdPKfPKS9_SF_,"axG",@progbits,_ZN4vllm3moe22topkGatingSoftplusSqrtILi5ELi320ELi4ELi2ELi64ELb0El14__hip_bfloat16EEvPKT6_PKbPfiPT5_PiiiibdPKfPKS9_SF_,comdat
	.protected	_ZN4vllm3moe22topkGatingSoftplusSqrtILi5ELi320ELi4ELi2ELi64ELb0El14__hip_bfloat16EEvPKT6_PKbPfiPT5_PiiiibdPKfPKS9_SF_ ; -- Begin function _ZN4vllm3moe22topkGatingSoftplusSqrtILi5ELi320ELi4ELi2ELi64ELb0El14__hip_bfloat16EEvPKT6_PKbPfiPT5_PiiiibdPKfPKS9_SF_
	.globl	_ZN4vllm3moe22topkGatingSoftplusSqrtILi5ELi320ELi4ELi2ELi64ELb0El14__hip_bfloat16EEvPKT6_PKbPfiPT5_PiiiibdPKfPKS9_SF_
	.p2align	8
	.type	_ZN4vllm3moe22topkGatingSoftplusSqrtILi5ELi320ELi4ELi2ELi64ELb0El14__hip_bfloat16EEvPKT6_PKbPfiPT5_PiiiibdPKfPKS9_SF_,@function
_ZN4vllm3moe22topkGatingSoftplusSqrtILi5ELi320ELi4ELi2ELi64ELb0El14__hip_bfloat16EEvPKT6_PKbPfiPT5_PiiiibdPKfPKS9_SF_: ; @_ZN4vllm3moe22topkGatingSoftplusSqrtILi5ELi320ELi4ELi2ELi64ELb0El14__hip_bfloat16EEvPKT6_PKbPfiPT5_PiiiibdPKfPKS9_SF_
; %bb.0:
	s_load_dword s30, s[0:1], 0x18
	v_and_b32_e32 v1, 0x3ff, v0
	s_lshl_b32 s2, s2, 2
	v_lshrrev_b32_e32 v2, 6, v1
	v_bfe_u32 v0, v0, 10, 10
	v_add3_u32 v6, s2, v0, v2
	s_waitcnt lgkmcnt(0)
	v_cmp_gt_i32_e32 vcc, s30, v6
	s_and_saveexec_b64 s[2:3], vcc
	s_cbranch_execz .LBB525_59
; %bb.1:
	s_load_dwordx4 s[4:7], s[0:1], 0x0
	s_load_dwordx2 s[20:21], s[0:1], 0x10
	s_waitcnt lgkmcnt(0)
	s_cmp_eq_u64 s[6:7], 0
	s_cbranch_scc1 .LBB525_3
; %bb.2:
	v_ashrrev_i32_e32 v7, 31, v6
	v_lshl_add_u64 v[2:3], s[6:7], 0, v[6:7]
	global_load_ubyte v0, v[2:3], off
	s_waitcnt vmcnt(0)
	v_and_b32_e32 v0, 1, v0
	v_cmp_eq_u32_e32 vcc, 1, v0
	s_xor_b64 s[2:3], vcc, -1
	s_orn2_b64 s[22:23], s[2:3], exec
	s_branch .LBB525_4
.LBB525_3:
	s_mov_b64 s[22:23], -1
.LBB525_4:
	s_movk_i32 s2, 0x140
	v_mul_lo_u32 v4, v6, s2
	v_mov_b32_e32 v2, s4
	v_mov_b32_e32 v3, s5
	v_ashrrev_i32_e32 v5, 31, v4
	v_and_b32_e32 v8, 63, v1
	v_lshl_add_u64 v[2:3], v[4:5], 1, v[2:3]
	v_mov_b32_e32 v1, 0
	v_lshlrev_b32_e32 v0, 1, v8
	v_lshl_add_u64 v[10:11], v[2:3], 0, v[0:1]
	global_load_ushort v0, v[10:11], off
	global_load_ushort v1, v[10:11], off offset:128
	global_load_ushort v2, v[10:11], off offset:256
	;; [unrolled: 1-line block ×4, first 2 shown]
	s_mov_b32 s16, 0x800000
	v_mov_b32_e32 v9, 0x4f800000
	s_mov_b32 s7, 0x3f317217
	s_mov_b32 s14, 0x7f800000
	v_mov_b32_e32 v10, 0x41b17218
	s_mov_b32 s6, 0x41a00000
	s_mov_b32 s15, 0xf800000
	s_load_dwordx4 s[8:11], s[0:1], 0x40
	s_waitcnt lgkmcnt(0)
	s_cmp_lg_u64 s[10:11], 0
	s_cselect_b64 s[12:13], -1, 0
	s_and_b64 s[2:3], exec, s[12:13]
	s_waitcnt vmcnt(4)
	v_lshlrev_b32_e32 v0, 16, v0
	v_mul_f32_e32 v5, 0x3fb8aa3b, v0
	v_exp_f32_e32 v5, v5
	s_nop 0
	v_add_f32_e32 v5, 1.0, v5
	v_cmp_gt_f32_e32 vcc, s16, v5
	s_nop 1
	v_cndmask_b32_e32 v7, 1.0, v9, vcc
	v_mul_f32_e32 v5, v5, v7
	v_log_f32_e32 v11, v5
	v_cndmask_b32_e32 v12, 0, v10, vcc
	v_mov_b32_e32 v7, 0x260
	v_lshlrev_b32_e32 v5, 2, v8
	v_mul_f32_e32 v13, 0x3f317217, v11
	v_fma_f32 v13, v11, s7, -v13
	v_fmac_f32_e32 v13, 0x3377d1cf, v11
	v_fmac_f32_e32 v13, 0x3f317217, v11
	v_cmp_lt_f32_e64 vcc, |v11|, s14
	s_nop 1
	v_cndmask_b32_e32 v11, v11, v13, vcc
	v_sub_f32_e32 v11, v11, v12
	v_cmp_lt_f32_e32 vcc, s6, v0
	s_nop 1
	v_cndmask_b32_e32 v0, v11, v0, vcc
	v_mul_f32_e32 v11, 0x4f800000, v0
	v_cmp_gt_f32_e32 vcc, s15, v0
	s_nop 1
	v_cndmask_b32_e32 v0, v0, v11, vcc
	v_sqrt_f32_e32 v11, v0
	s_nop 0
	v_add_u32_e32 v12, -1, v11
	v_add_u32_e32 v13, 1, v11
	v_fma_f32 v14, -v12, v11, v0
	v_fma_f32 v15, -v13, v11, v0
	v_cmp_ge_f32_e64 s[4:5], 0, v14
	s_nop 1
	v_cndmask_b32_e64 v11, v11, v12, s[4:5]
	v_cmp_lt_f32_e64 s[4:5], 0, v15
	s_nop 1
	v_cndmask_b32_e64 v11, v11, v13, s[4:5]
	v_mul_f32_e32 v12, 0x37800000, v11
	v_cndmask_b32_e32 v11, v11, v12, vcc
	v_cmp_class_f32_e32 vcc, v0, v7
	s_nop 1
	v_cndmask_b32_e32 v0, v11, v0, vcc
	s_mov_b64 vcc, s[2:3]
	s_cbranch_vccz .LBB525_6
; %bb.5:
	global_load_dword v11, v5, s[10:11]
	s_waitcnt vmcnt(0)
	v_add_f32_e32 v0, v0, v11
.LBB525_6:
	s_waitcnt vmcnt(3)
	v_lshlrev_b32_e32 v1, 16, v1
	v_mul_f32_e32 v11, 0x3fb8aa3b, v1
	v_exp_f32_e32 v11, v11
	s_nop 0
	v_add_f32_e32 v11, 1.0, v11
	v_cmp_gt_f32_e32 vcc, s16, v11
	s_nop 1
	v_cndmask_b32_e32 v9, 1.0, v9, vcc
	v_mul_f32_e32 v9, v11, v9
	v_log_f32_e32 v9, v9
	v_cndmask_b32_e32 v10, 0, v10, vcc
	v_mul_f32_e32 v11, 0x3f317217, v9
	v_fma_f32 v11, v9, s7, -v11
	v_fmac_f32_e32 v11, 0x3377d1cf, v9
	v_fmac_f32_e32 v11, 0x3f317217, v9
	v_cmp_lt_f32_e64 vcc, |v9|, s14
	s_nop 1
	v_cndmask_b32_e32 v9, v9, v11, vcc
	v_sub_f32_e32 v9, v9, v10
	v_cmp_lt_f32_e32 vcc, s6, v1
	s_nop 1
	v_cndmask_b32_e32 v1, v9, v1, vcc
	v_mul_f32_e32 v9, 0x4f800000, v1
	v_cmp_gt_f32_e32 vcc, s15, v1
	s_nop 1
	v_cndmask_b32_e32 v1, v1, v9, vcc
	v_sqrt_f32_e32 v9, v1
	s_nop 0
	v_add_u32_e32 v10, -1, v9
	v_add_u32_e32 v11, 1, v9
	v_fma_f32 v12, -v10, v9, v1
	v_fma_f32 v13, -v11, v9, v1
	v_cmp_ge_f32_e64 s[2:3], 0, v12
	s_nop 1
	v_cndmask_b32_e64 v9, v9, v10, s[2:3]
	v_cmp_lt_f32_e64 s[2:3], 0, v13
	s_nop 1
	v_cndmask_b32_e64 v9, v9, v11, s[2:3]
	v_mul_f32_e32 v10, 0x37800000, v9
	v_cndmask_b32_e32 v9, v9, v10, vcc
	v_cndmask_b32_e64 v10, 0, 1, s[12:13]
	v_cmp_class_f32_e64 s[2:3], v1, v7
	v_cmp_ne_u32_e64 s[6:7], 1, v10
	s_andn2_b64 vcc, exec, s[12:13]
	v_cndmask_b32_e64 v1, v9, v1, s[2:3]
	s_cbranch_vccnz .LBB525_8
; %bb.7:
	global_load_dword v7, v5, s[10:11] offset:256
	s_waitcnt vmcnt(0)
	v_add_f32_e32 v1, v1, v7
.LBB525_8:
	s_waitcnt vmcnt(2)
	v_lshlrev_b32_e32 v2, 16, v2
	v_mul_f32_e32 v7, 0x3fb8aa3b, v2
	v_exp_f32_e32 v7, v7
	s_mov_b32 s14, 0x800000
	v_mov_b32_e32 v9, 0x4f800000
	s_mov_b32 s5, 0x3f317217
	v_add_f32_e32 v7, 1.0, v7
	v_cmp_gt_f32_e32 vcc, s14, v7
	s_mov_b32 s12, 0x7f800000
	s_mov_b32 s4, 0x41a00000
	v_cndmask_b32_e32 v10, 1.0, v9, vcc
	v_mul_f32_e32 v7, v7, v10
	v_log_f32_e32 v7, v7
	s_mov_b32 s13, 0xf800000
	v_mul_f32_e32 v10, 0x3f317217, v7
	v_fma_f32 v10, v7, s5, -v10
	v_fmac_f32_e32 v10, 0x3377d1cf, v7
	v_fmac_f32_e32 v10, 0x3f317217, v7
	v_cmp_lt_f32_e64 s[2:3], |v7|, s12
	s_nop 1
	v_cndmask_b32_e64 v7, v7, v10, s[2:3]
	v_mov_b32_e32 v10, 0x41b17218
	v_cndmask_b32_e32 v11, 0, v10, vcc
	v_sub_f32_e32 v7, v7, v11
	v_cmp_lt_f32_e32 vcc, s4, v2
	s_nop 1
	v_cndmask_b32_e32 v2, v7, v2, vcc
	v_mul_f32_e32 v7, 0x4f800000, v2
	v_cmp_gt_f32_e32 vcc, s13, v2
	s_nop 1
	v_cndmask_b32_e32 v2, v2, v7, vcc
	v_sqrt_f32_e32 v7, v2
	s_nop 0
	v_add_u32_e32 v11, -1, v7
	v_fma_f32 v12, -v11, v7, v2
	v_cmp_ge_f32_e64 s[2:3], 0, v12
	v_add_u32_e32 v12, 1, v7
	s_nop 0
	v_cndmask_b32_e64 v11, v7, v11, s[2:3]
	v_fma_f32 v7, -v12, v7, v2
	v_cmp_lt_f32_e64 s[2:3], 0, v7
	s_nop 1
	v_cndmask_b32_e64 v7, v11, v12, s[2:3]
	v_mul_f32_e32 v11, 0x37800000, v7
	v_cndmask_b32_e32 v11, v7, v11, vcc
	v_mov_b32_e32 v7, 0x260
	v_cmp_class_f32_e64 s[2:3], v2, v7
	s_and_b64 vcc, exec, s[6:7]
	s_nop 0
	v_cndmask_b32_e64 v2, v11, v2, s[2:3]
	s_cbranch_vccnz .LBB525_10
; %bb.9:
	global_load_dword v11, v5, s[10:11] offset:512
	s_waitcnt vmcnt(0)
	v_add_f32_e32 v2, v2, v11
.LBB525_10:
	s_waitcnt vmcnt(1)
	v_lshlrev_b32_e32 v3, 16, v3
	v_mul_f32_e32 v11, 0x3fb8aa3b, v3
	v_exp_f32_e32 v11, v11
	s_nop 0
	v_add_f32_e32 v11, 1.0, v11
	v_cmp_gt_f32_e32 vcc, s14, v11
	s_nop 1
	v_cndmask_b32_e32 v9, 1.0, v9, vcc
	v_mul_f32_e32 v9, v11, v9
	v_log_f32_e32 v9, v9
	v_cndmask_b32_e32 v10, 0, v10, vcc
	v_mul_f32_e32 v11, 0x3f317217, v9
	v_fma_f32 v11, v9, s5, -v11
	v_fmac_f32_e32 v11, 0x3377d1cf, v9
	v_fmac_f32_e32 v11, 0x3f317217, v9
	v_cmp_lt_f32_e64 vcc, |v9|, s12
	s_nop 1
	v_cndmask_b32_e32 v9, v9, v11, vcc
	v_sub_f32_e32 v9, v9, v10
	v_cmp_lt_f32_e32 vcc, s4, v3
	s_nop 1
	v_cndmask_b32_e32 v3, v9, v3, vcc
	v_mul_f32_e32 v9, 0x4f800000, v3
	v_cmp_gt_f32_e32 vcc, s13, v3
	s_nop 1
	v_cndmask_b32_e32 v3, v3, v9, vcc
	v_sqrt_f32_e32 v9, v3
	s_nop 0
	v_add_u32_e32 v10, -1, v9
	v_add_u32_e32 v11, 1, v9
	v_fma_f32 v12, -v10, v9, v3
	v_fma_f32 v13, -v11, v9, v3
	v_cmp_ge_f32_e64 s[2:3], 0, v12
	s_nop 1
	v_cndmask_b32_e64 v9, v9, v10, s[2:3]
	v_cmp_lt_f32_e64 s[2:3], 0, v13
	s_nop 1
	v_cndmask_b32_e64 v9, v9, v11, s[2:3]
	v_mul_f32_e32 v10, 0x37800000, v9
	v_cndmask_b32_e32 v9, v9, v10, vcc
	v_cmp_class_f32_e64 s[2:3], v3, v7
	s_and_b64 vcc, exec, s[6:7]
	s_nop 0
	v_cndmask_b32_e64 v3, v9, v3, s[2:3]
	s_cbranch_vccnz .LBB525_12
; %bb.11:
	global_load_dword v7, v5, s[10:11] offset:768
	s_waitcnt vmcnt(0)
	v_add_f32_e32 v3, v3, v7
.LBB525_12:
	s_waitcnt vmcnt(0)
	v_lshlrev_b32_e32 v4, 16, v4
	v_mul_f32_e32 v7, 0x3fb8aa3b, v4
	v_exp_f32_e32 v7, v7
	s_mov_b32 s2, 0x800000
	v_mov_b32_e32 v9, 0x4f800000
	s_mov_b32 s3, 0x7f800000
	v_add_f32_e32 v7, 1.0, v7
	v_cmp_gt_f32_e32 vcc, s2, v7
	s_mov_b32 s2, 0x3f317217
	s_nop 0
	v_cndmask_b32_e32 v9, 1.0, v9, vcc
	v_mul_f32_e32 v7, v7, v9
	v_log_f32_e32 v7, v7
	s_nop 0
	v_mul_f32_e32 v9, 0x3f317217, v7
	v_fma_f32 v9, v7, s2, -v9
	v_fmamk_f32 v9, v7, 0x3377d1cf, v9
	v_fmac_f32_e32 v9, 0x3f317217, v7
	v_cmp_lt_f32_e64 s[2:3], |v7|, s3
	s_nop 1
	v_cndmask_b32_e64 v7, v7, v9, s[2:3]
	v_mov_b32_e32 v9, 0x41b17218
	v_cndmask_b32_e32 v9, 0, v9, vcc
	v_sub_f32_e32 v7, v7, v9
	v_cmp_lt_f32_e32 vcc, s4, v4
	s_mov_b32 s2, 0xf800000
	s_nop 0
	v_cndmask_b32_e32 v4, v7, v4, vcc
	v_mul_f32_e32 v7, 0x4f800000, v4
	v_cmp_gt_f32_e32 vcc, s2, v4
	s_nop 1
	v_cndmask_b32_e32 v4, v4, v7, vcc
	v_sqrt_f32_e32 v7, v4
	s_nop 0
	v_add_u32_e32 v9, -1, v7
	v_fma_f32 v10, -v9, v7, v4
	v_cmp_ge_f32_e64 s[2:3], 0, v10
	v_add_u32_e32 v10, 1, v7
	s_nop 0
	v_cndmask_b32_e64 v9, v7, v9, s[2:3]
	v_fma_f32 v7, -v10, v7, v4
	v_cmp_lt_f32_e64 s[2:3], 0, v7
	s_nop 1
	v_cndmask_b32_e64 v7, v9, v10, s[2:3]
	v_mul_f32_e32 v9, 0x37800000, v7
	v_cndmask_b32_e32 v7, v7, v9, vcc
	v_mov_b32_e32 v9, 0x260
	v_cmp_class_f32_e64 s[2:3], v4, v9
	s_and_b64 vcc, exec, s[6:7]
	s_nop 0
	v_cndmask_b32_e64 v4, v7, v4, s[2:3]
	s_cbranch_vccnz .LBB525_14
; %bb.13:
	global_load_dword v5, v5, s[10:11] offset:1024
	s_waitcnt vmcnt(0)
	v_add_f32_e32 v4, v4, v5
.LBB525_14:
	s_load_dwordx4 s[12:15], s[0:1], 0x30
	v_cmp_eq_u32_e64 s[4:5], 0, v8
	s_waitcnt lgkmcnt(0)
	s_bitcmp1_b32 s15, 0
	s_cselect_b64 s[2:3], -1, 0
	s_cmp_gt_i32 s12, 0
	s_cselect_b64 s[24:25], -1, 0
	s_and_b64 vcc, exec, s[24:25]
	s_cbranch_vccz .LBB525_45
; %bb.15:
	v_mbcnt_lo_u32_b32 v5, -1, 0
	v_mbcnt_hi_u32_b32 v7, -1, v5
	v_and_b32_e32 v5, 64, v7
	v_add_u32_e32 v10, 64, v5
	v_xor_b32_e32 v11, 32, v7
	v_cmp_lt_i32_e32 vcc, v11, v10
	s_load_dwordx4 s[16:19], s[0:1], 0x20
	s_mov_b32 s15, 0
	v_cndmask_b32_e32 v11, v7, v11, vcc
	v_lshlrev_b32_e32 v15, 2, v11
	v_xor_b32_e32 v11, 16, v7
	v_cmp_lt_i32_e32 vcc, v11, v10
	v_mul_lo_u32 v5, v6, s12
	v_or_b32_e32 v9, 64, v8
	v_cndmask_b32_e32 v11, v7, v11, vcc
	v_lshlrev_b32_e32 v16, 2, v11
	v_xor_b32_e32 v11, 8, v7
	v_cmp_lt_i32_e32 vcc, v11, v10
	v_or_b32_e32 v12, 0x80, v8
	v_or_b32_e32 v13, 0xc0, v8
	v_cndmask_b32_e32 v11, v7, v11, vcc
	v_lshlrev_b32_e32 v17, 2, v11
	v_xor_b32_e32 v11, 4, v7
	v_cmp_lt_i32_e32 vcc, v11, v10
	v_or_b32_e32 v14, 0x100, v8
	v_mov_b32_e32 v21, 0x140
	v_cndmask_b32_e32 v11, v7, v11, vcc
	v_lshlrev_b32_e32 v18, 2, v11
	v_xor_b32_e32 v11, 2, v7
	v_cmp_lt_i32_e32 vcc, v11, v10
	v_mov_b32_e32 v22, 0xc61c4000
	v_mov_b32_e32 v23, v6
	v_cndmask_b32_e32 v11, v7, v11, vcc
	v_lshlrev_b32_e32 v19, 2, v11
	v_xor_b32_e32 v11, 1, v7
	v_cmp_lt_i32_e32 vcc, v11, v10
	s_nop 1
	v_cndmask_b32_e32 v7, v7, v11, vcc
	v_lshlrev_b32_e32 v20, 2, v7
	v_mov_b32_e32 v7, 0
	s_branch .LBB525_18
.LBB525_16:                             ;   in Loop: Header=BB525_18 Depth=1
	v_add_u32_e32 v26, s15, v5
	v_cmp_le_i32_e32 vcc, s13, v10
	v_cmp_gt_i32_e64 s[0:1], s14, v10
	v_ashrrev_i32_e32 v27, 31, v26
	s_and_b64 s[0:1], vcc, s[0:1]
	v_lshlrev_b64 v[28:29], 2, v[26:27]
	v_subrev_u32_e32 v11, s13, v10
	v_lshl_add_u64 v[30:31], s[20:21], 0, v[28:29]
	s_waitcnt lgkmcnt(0)
	v_ashrrev_i32_e32 v25, 31, v11
	s_and_b64 vcc, s[22:23], s[0:1]
	global_store_dword v[30:31], v24, off
	v_cndmask_b32_e32 v31, 0, v25, vcc
	v_cndmask_b32_e32 v30, v21, v11, vcc
	v_lshl_add_u64 v[26:27], v[26:27], 3, s[16:17]
	v_add_f32_e32 v11, v7, v24
	global_store_dwordx2 v[26:27], v[30:31], off
	v_lshl_add_u64 v[26:27], s[18:19], 0, v[28:29]
	v_cndmask_b32_e64 v7, v7, v11, s[2:3]
	global_store_dword v[26:27], v23, off
.LBB525_17:                             ;   in Loop: Header=BB525_18 Depth=1
	s_or_b64 exec, exec, s[26:27]
	v_ashrrev_i32_e32 v11, 31, v10
	v_lshrrev_b32_e32 v11, 26, v11
	v_add_u32_e32 v11, v10, v11
	v_ashrrev_i32_e32 v24, 6, v11
	v_and_b32_e32 v11, 0xffffffc0, v11
	v_sub_u32_e32 v10, v10, v11
	v_cmp_ne_u32_e64 s[0:1], 0, v24
	v_cmp_eq_u32_e32 vcc, v8, v10
	s_add_i32 s15, s15, 1
	v_cndmask_b32_e64 v10, v22, v0, s[0:1]
	v_cmp_ne_u32_e64 s[0:1], 1, v24
	s_cmp_lt_i32 s15, s12
	s_cselect_b64 s[26:27], -1, 0
	v_cndmask_b32_e64 v11, v22, v1, s[0:1]
	v_cmp_ne_u32_e64 s[0:1], 2, v24
	s_and_b64 vcc, s[26:27], vcc
	v_cndmask_b32_e32 v1, v1, v11, vcc
	s_waitcnt lgkmcnt(0)
	v_cndmask_b32_e64 v25, v22, v2, s[0:1]
	v_cmp_ne_u32_e64 s[0:1], 3, v24
	v_cndmask_b32_e32 v2, v2, v25, vcc
	v_cndmask_b32_e32 v0, v0, v10, vcc
	v_cndmask_b32_e64 v26, v22, v3, s[0:1]
	v_cmp_ne_u32_e64 s[0:1], 4, v24
	v_cndmask_b32_e32 v3, v3, v26, vcc
	s_cmp_eq_u32 s12, s15
	v_cndmask_b32_e64 v24, v22, v4, s[0:1]
	v_cndmask_b32_e32 v4, v4, v24, vcc
	v_add_u32_e32 v23, s30, v23
	s_cbranch_scc1 .LBB525_46
.LBB525_18:                             ; =>This Inner Loop Header: Depth=1
	v_cmp_gt_f32_e32 vcc, v1, v0
	s_nop 1
	v_cndmask_b32_e32 v11, v0, v1, vcc
	v_cndmask_b32_e32 v10, v8, v9, vcc
	v_cmp_gt_f32_e32 vcc, v2, v11
	s_nop 1
	v_cndmask_b32_e32 v11, v11, v2, vcc
	v_cndmask_b32_e32 v10, v10, v12, vcc
	;; [unrolled: 4-line block ×4, first 2 shown]
	ds_bpermute_b32 v11, v15, v24
	ds_bpermute_b32 v25, v15, v10
	s_waitcnt lgkmcnt(0)
	v_cmp_lt_f32_e64 s[26:27], v24, v11
	v_cmp_nlt_f32_e32 vcc, v24, v11
	s_and_saveexec_b64 s[28:29], vcc
; %bb.19:                               ;   in Loop: Header=BB525_18 Depth=1
	v_cmp_eq_f32_e32 vcc, v24, v11
	v_cmp_lt_i32_e64 s[0:1], v25, v10
	s_and_b64 s[0:1], vcc, s[0:1]
	s_andn2_b64 s[26:27], s[26:27], exec
	s_and_b64 s[0:1], s[0:1], exec
	s_or_b64 s[26:27], s[26:27], s[0:1]
; %bb.20:                               ;   in Loop: Header=BB525_18 Depth=1
	s_or_b64 exec, exec, s[28:29]
	s_and_saveexec_b64 s[0:1], s[26:27]
; %bb.21:                               ;   in Loop: Header=BB525_18 Depth=1
	v_mov_b32_e32 v24, v11
	v_mov_b32_e32 v10, v25
; %bb.22:                               ;   in Loop: Header=BB525_18 Depth=1
	s_or_b64 exec, exec, s[0:1]
	ds_bpermute_b32 v11, v16, v24
	ds_bpermute_b32 v25, v16, v10
	s_waitcnt lgkmcnt(1)
	v_cmp_lt_f32_e64 s[26:27], v24, v11
	v_cmp_nlt_f32_e32 vcc, v24, v11
	s_and_saveexec_b64 s[28:29], vcc
	s_cbranch_execz .LBB525_24
; %bb.23:                               ;   in Loop: Header=BB525_18 Depth=1
	v_cmp_eq_f32_e32 vcc, v24, v11
	s_waitcnt lgkmcnt(0)
	v_cmp_lt_i32_e64 s[0:1], v25, v10
	s_and_b64 s[0:1], vcc, s[0:1]
	s_andn2_b64 s[26:27], s[26:27], exec
	s_and_b64 s[0:1], s[0:1], exec
	s_or_b64 s[26:27], s[26:27], s[0:1]
.LBB525_24:                             ;   in Loop: Header=BB525_18 Depth=1
	s_or_b64 exec, exec, s[28:29]
	s_and_saveexec_b64 s[0:1], s[26:27]
	s_cbranch_execz .LBB525_26
; %bb.25:                               ;   in Loop: Header=BB525_18 Depth=1
	v_mov_b32_e32 v24, v11
	s_waitcnt lgkmcnt(0)
	v_mov_b32_e32 v10, v25
.LBB525_26:                             ;   in Loop: Header=BB525_18 Depth=1
	s_or_b64 exec, exec, s[0:1]
	ds_bpermute_b32 v11, v17, v24
	s_waitcnt lgkmcnt(1)
	ds_bpermute_b32 v25, v17, v10
	s_waitcnt lgkmcnt(1)
	v_cmp_lt_f32_e64 s[26:27], v24, v11
	v_cmp_nlt_f32_e32 vcc, v24, v11
	s_and_saveexec_b64 s[28:29], vcc
	s_cbranch_execz .LBB525_28
; %bb.27:                               ;   in Loop: Header=BB525_18 Depth=1
	v_cmp_eq_f32_e32 vcc, v24, v11
	s_waitcnt lgkmcnt(0)
	v_cmp_lt_i32_e64 s[0:1], v25, v10
	s_and_b64 s[0:1], vcc, s[0:1]
	s_andn2_b64 s[26:27], s[26:27], exec
	s_and_b64 s[0:1], s[0:1], exec
	s_or_b64 s[26:27], s[26:27], s[0:1]
.LBB525_28:                             ;   in Loop: Header=BB525_18 Depth=1
	s_or_b64 exec, exec, s[28:29]
	s_and_saveexec_b64 s[0:1], s[26:27]
	s_cbranch_execz .LBB525_30
; %bb.29:                               ;   in Loop: Header=BB525_18 Depth=1
	v_mov_b32_e32 v24, v11
	s_waitcnt lgkmcnt(0)
	v_mov_b32_e32 v10, v25
.LBB525_30:                             ;   in Loop: Header=BB525_18 Depth=1
	s_or_b64 exec, exec, s[0:1]
	ds_bpermute_b32 v11, v18, v24
	s_waitcnt lgkmcnt(1)
	;; [unrolled: 26-line block ×4, first 2 shown]
	ds_bpermute_b32 v25, v20, v10
	s_waitcnt lgkmcnt(1)
	v_cmp_lt_f32_e64 s[26:27], v24, v11
	v_cmp_nlt_f32_e32 vcc, v24, v11
	s_and_saveexec_b64 s[28:29], vcc
	s_cbranch_execnz .LBB525_41
; %bb.39:                               ;   in Loop: Header=BB525_18 Depth=1
	s_or_b64 exec, exec, s[28:29]
	s_and_saveexec_b64 s[0:1], s[26:27]
	s_cbranch_execnz .LBB525_42
.LBB525_40:                             ;   in Loop: Header=BB525_18 Depth=1
	s_or_b64 exec, exec, s[0:1]
	s_and_saveexec_b64 s[26:27], s[4:5]
	s_cbranch_execz .LBB525_17
	s_branch .LBB525_43
.LBB525_41:                             ;   in Loop: Header=BB525_18 Depth=1
	v_cmp_eq_f32_e32 vcc, v24, v11
	s_waitcnt lgkmcnt(0)
	v_cmp_lt_i32_e64 s[0:1], v25, v10
	s_and_b64 s[0:1], vcc, s[0:1]
	s_andn2_b64 s[26:27], s[26:27], exec
	s_and_b64 s[0:1], s[0:1], exec
	s_or_b64 s[26:27], s[26:27], s[0:1]
	s_or_b64 exec, exec, s[28:29]
	s_and_saveexec_b64 s[0:1], s[26:27]
	s_cbranch_execz .LBB525_40
.LBB525_42:                             ;   in Loop: Header=BB525_18 Depth=1
	s_waitcnt lgkmcnt(0)
	v_mov_b32_e32 v10, v25
	v_mov_b32_e32 v24, v11
	s_or_b64 exec, exec, s[0:1]
	s_and_saveexec_b64 s[26:27], s[4:5]
	s_cbranch_execz .LBB525_17
.LBB525_43:                             ;   in Loop: Header=BB525_18 Depth=1
	s_and_b64 vcc, exec, s[6:7]
	s_cbranch_vccnz .LBB525_16
; %bb.44:                               ;   in Loop: Header=BB525_18 Depth=1
	v_ashrrev_i32_e32 v11, 31, v10
	v_lshl_add_u64 v[26:27], v[10:11], 2, s[10:11]
	global_load_dword v11, v[26:27], off
	s_waitcnt vmcnt(0)
	v_sub_f32_e32 v24, v24, v11
	s_branch .LBB525_16
.LBB525_45:
	v_mov_b32_e32 v7, 0
.LBB525_46:
	v_cmp_eq_u32_e32 vcc, 0, v8
	s_and_b64 exec, exec, vcc
	s_cbranch_execz .LBB525_59
; %bb.47:
	s_andn2_b64 vcc, exec, s[2:3]
	v_cvt_f32_f64_e32 v0, s[8:9]
	s_cbranch_vccnz .LBB525_49
; %bb.48:
	v_cmp_lt_f32_e32 vcc, 0, v7
	s_nop 1
	v_cndmask_b32_e32 v1, 1.0, v7, vcc
	v_div_scale_f32 v2, s[0:1], v1, v1, v0
	v_rcp_f32_e32 v3, v2
	s_nop 0
	v_fma_f32 v4, -v2, v3, 1.0
	v_fmac_f32_e32 v3, v4, v3
	v_div_scale_f32 v4, vcc, v0, v1, v0
	v_mul_f32_e32 v5, v4, v3
	v_fma_f32 v7, -v2, v5, v4
	v_fmac_f32_e32 v5, v7, v3
	v_fma_f32 v2, -v2, v5, v4
	v_div_fmas_f32 v2, v2, v3, v5
	v_div_fixup_f32 v0, v2, v1, v0
.LBB525_49:
	s_andn2_b64 vcc, exec, s[24:25]
	s_cbranch_vccnz .LBB525_59
; %bb.50:
	v_mul_lo_u32 v2, v6, s12
	s_cmp_gt_u32 s12, 3
	v_ashrrev_i32_e32 v3, 31, v2
	s_cbranch_scc0 .LBB525_54
; %bb.51:
	s_and_b32 s0, s12, 0x7ffffffc
	v_lshl_add_u64 v[4:5], v[2:3], 2, s[20:21]
	v_mov_b32_e32 v1, v0
	v_lshl_add_u64 v[4:5], v[4:5], 0, 8
	s_mov_b32 s1, s0
.LBB525_52:                             ; =>This Inner Loop Header: Depth=1
	global_load_dwordx4 v[6:9], v[4:5], off offset:-8
	s_add_i32 s1, s1, -4
	s_cmp_lg_u32 s1, 0
	s_waitcnt vmcnt(0)
	v_pk_mul_f32 v[6:7], v[0:1], v[6:7]
	v_pk_mul_f32 v[8:9], v[0:1], v[8:9]
	global_store_dwordx4 v[4:5], v[6:9], off offset:-8
	v_lshl_add_u64 v[4:5], v[4:5], 0, 16
	s_cbranch_scc1 .LBB525_52
; %bb.53:
	s_cmp_lg_u32 s0, s12
	s_cselect_b64 s[2:3], -1, 0
	s_branch .LBB525_56
.LBB525_54:
	s_mov_b64 s[2:3], 0
                                        ; implicit-def: $sgpr0
	s_cbranch_execz .LBB525_56
; %bb.55:
	s_mov_b64 s[2:3], -1
	s_mov_b32 s0, 0
.LBB525_56:
	s_andn2_b64 vcc, exec, s[2:3]
	s_cbranch_vccnz .LBB525_59
; %bb.57:
	s_mov_b32 s1, 0
	v_lshl_add_u64 v[2:3], v[2:3], 0, s[0:1]
	s_sub_i32 s2, s12, s0
	v_lshl_add_u64 v[2:3], v[2:3], 2, s[20:21]
.LBB525_58:                             ; =>This Inner Loop Header: Depth=1
	global_load_dword v1, v[2:3], off
	s_add_i32 s2, s2, -1
	s_cmp_lg_u32 s2, 0
	s_waitcnt vmcnt(0)
	v_mul_f32_e32 v1, v0, v1
	global_store_dword v[2:3], v1, off
	v_lshl_add_u64 v[2:3], v[2:3], 0, 4
	s_cbranch_scc1 .LBB525_58
.LBB525_59:
	s_endpgm
	.section	.rodata,"a",@progbits
	.p2align	6, 0x0
	.amdhsa_kernel _ZN4vllm3moe22topkGatingSoftplusSqrtILi5ELi320ELi4ELi2ELi64ELb0El14__hip_bfloat16EEvPKT6_PKbPfiPT5_PiiiibdPKfPKS9_SF_
		.amdhsa_group_segment_fixed_size 0
		.amdhsa_private_segment_fixed_size 0
		.amdhsa_kernarg_size 96
		.amdhsa_user_sgpr_count 2
		.amdhsa_user_sgpr_dispatch_ptr 0
		.amdhsa_user_sgpr_queue_ptr 0
		.amdhsa_user_sgpr_kernarg_segment_ptr 1
		.amdhsa_user_sgpr_dispatch_id 0
		.amdhsa_user_sgpr_kernarg_preload_length 0
		.amdhsa_user_sgpr_kernarg_preload_offset 0
		.amdhsa_user_sgpr_private_segment_size 0
		.amdhsa_uses_dynamic_stack 0
		.amdhsa_enable_private_segment 0
		.amdhsa_system_sgpr_workgroup_id_x 1
		.amdhsa_system_sgpr_workgroup_id_y 0
		.amdhsa_system_sgpr_workgroup_id_z 0
		.amdhsa_system_sgpr_workgroup_info 0
		.amdhsa_system_vgpr_workitem_id 1
		.amdhsa_next_free_vgpr 32
		.amdhsa_next_free_sgpr 31
		.amdhsa_accum_offset 32
		.amdhsa_reserve_vcc 1
		.amdhsa_float_round_mode_32 0
		.amdhsa_float_round_mode_16_64 0
		.amdhsa_float_denorm_mode_32 3
		.amdhsa_float_denorm_mode_16_64 3
		.amdhsa_dx10_clamp 1
		.amdhsa_ieee_mode 1
		.amdhsa_fp16_overflow 0
		.amdhsa_tg_split 0
		.amdhsa_exception_fp_ieee_invalid_op 0
		.amdhsa_exception_fp_denorm_src 0
		.amdhsa_exception_fp_ieee_div_zero 0
		.amdhsa_exception_fp_ieee_overflow 0
		.amdhsa_exception_fp_ieee_underflow 0
		.amdhsa_exception_fp_ieee_inexact 0
		.amdhsa_exception_int_div_zero 0
	.end_amdhsa_kernel
	.section	.text._ZN4vllm3moe22topkGatingSoftplusSqrtILi5ELi320ELi4ELi2ELi64ELb0El14__hip_bfloat16EEvPKT6_PKbPfiPT5_PiiiibdPKfPKS9_SF_,"axG",@progbits,_ZN4vllm3moe22topkGatingSoftplusSqrtILi5ELi320ELi4ELi2ELi64ELb0El14__hip_bfloat16EEvPKT6_PKbPfiPT5_PiiiibdPKfPKS9_SF_,comdat
.Lfunc_end525:
	.size	_ZN4vllm3moe22topkGatingSoftplusSqrtILi5ELi320ELi4ELi2ELi64ELb0El14__hip_bfloat16EEvPKT6_PKbPfiPT5_PiiiibdPKfPKS9_SF_, .Lfunc_end525-_ZN4vllm3moe22topkGatingSoftplusSqrtILi5ELi320ELi4ELi2ELi64ELb0El14__hip_bfloat16EEvPKT6_PKbPfiPT5_PiiiibdPKfPKS9_SF_
                                        ; -- End function
	.section	.AMDGPU.csdata,"",@progbits
; Kernel info:
; codeLenInByte = 3368
; NumSgprs: 37
; NumVgprs: 32
; NumAgprs: 0
; TotalNumVgprs: 32
; ScratchSize: 0
; MemoryBound: 0
; FloatMode: 240
; IeeeMode: 1
; LDSByteSize: 0 bytes/workgroup (compile time only)
; SGPRBlocks: 4
; VGPRBlocks: 3
; NumSGPRsForWavesPerEU: 37
; NumVGPRsForWavesPerEU: 32
; AccumOffset: 32
; Occupancy: 8
; WaveLimiterHint : 1
; COMPUTE_PGM_RSRC2:SCRATCH_EN: 0
; COMPUTE_PGM_RSRC2:USER_SGPR: 2
; COMPUTE_PGM_RSRC2:TRAP_HANDLER: 0
; COMPUTE_PGM_RSRC2:TGID_X_EN: 1
; COMPUTE_PGM_RSRC2:TGID_Y_EN: 0
; COMPUTE_PGM_RSRC2:TGID_Z_EN: 0
; COMPUTE_PGM_RSRC2:TIDIG_COMP_CNT: 1
; COMPUTE_PGM_RSRC3_GFX90A:ACCUM_OFFSET: 7
; COMPUTE_PGM_RSRC3_GFX90A:TG_SPLIT: 0
	.section	.text._ZN4vllm3moe22topkGatingSoftplusSqrtILi10ELi320ELi4ELi2ELi32ELb1El14__hip_bfloat16EEvPKT6_PKbPfiPT5_PiiiibdPKfPKS9_SF_,"axG",@progbits,_ZN4vllm3moe22topkGatingSoftplusSqrtILi10ELi320ELi4ELi2ELi32ELb1El14__hip_bfloat16EEvPKT6_PKbPfiPT5_PiiiibdPKfPKS9_SF_,comdat
	.protected	_ZN4vllm3moe22topkGatingSoftplusSqrtILi10ELi320ELi4ELi2ELi32ELb1El14__hip_bfloat16EEvPKT6_PKbPfiPT5_PiiiibdPKfPKS9_SF_ ; -- Begin function _ZN4vllm3moe22topkGatingSoftplusSqrtILi10ELi320ELi4ELi2ELi32ELb1El14__hip_bfloat16EEvPKT6_PKbPfiPT5_PiiiibdPKfPKS9_SF_
	.globl	_ZN4vllm3moe22topkGatingSoftplusSqrtILi10ELi320ELi4ELi2ELi32ELb1El14__hip_bfloat16EEvPKT6_PKbPfiPT5_PiiiibdPKfPKS9_SF_
	.p2align	8
	.type	_ZN4vllm3moe22topkGatingSoftplusSqrtILi10ELi320ELi4ELi2ELi32ELb1El14__hip_bfloat16EEvPKT6_PKbPfiPT5_PiiiibdPKfPKS9_SF_,@function
_ZN4vllm3moe22topkGatingSoftplusSqrtILi10ELi320ELi4ELi2ELi32ELb1El14__hip_bfloat16EEvPKT6_PKbPfiPT5_PiiiibdPKfPKS9_SF_: ; @_ZN4vllm3moe22topkGatingSoftplusSqrtILi10ELi320ELi4ELi2ELi32ELb1El14__hip_bfloat16EEvPKT6_PKbPfiPT5_PiiiibdPKfPKS9_SF_
; %bb.0:
	s_load_dword s3, s[0:1], 0x18
	v_and_b32_e32 v1, 0x3ff, v0
	s_lshl_b32 s2, s2, 2
	v_lshrrev_b32_e32 v2, 5, v1
	v_bfe_u32 v0, v0, 10, 10
	v_add3_u32 v10, s2, v0, v2
	s_waitcnt lgkmcnt(0)
	v_cmp_gt_i32_e32 vcc, s3, v10
	s_and_saveexec_b64 s[2:3], vcc
	s_cbranch_execz .LBB526_31
; %bb.1:
	s_load_dwordx4 s[8:11], s[0:1], 0x50
	s_load_dwordx2 s[2:3], s[0:1], 0x0
	s_load_dword s16, s[0:1], 0x30
	s_movk_i32 s4, 0x140
	v_mul_lo_u32 v4, v10, s4
	v_ashrrev_i32_e32 v5, 31, v4
	v_and_b32_e32 v22, 31, v1
	s_waitcnt lgkmcnt(0)
	v_mov_b32_e32 v2, s8
	v_mov_b32_e32 v3, s9
	v_lshl_add_u64 v[4:5], v[4:5], 1, s[2:3]
	v_lshlrev_b32_e32 v12, 1, v22
	v_mov_b32_e32 v13, 0
	v_ashrrev_i32_e32 v11, 31, v10
	v_lshl_add_u64 v[0:1], v[10:11], 3, v[2:3]
	v_lshl_add_u64 v[4:5], v[4:5], 0, v[12:13]
	global_load_dwordx2 v[0:1], v[0:1], off
	s_nop 0
	global_load_ushort v2, v[4:5], off offset:64
	global_load_ushort v3, v[4:5], off
	global_load_ushort v6, v[4:5], off offset:192
	global_load_ushort v7, v[4:5], off offset:128
	;; [unrolled: 1-line block ×6, first 2 shown]
	s_ashr_i32 s17, s16, 31
	s_mov_b32 s21, 0x800000
	v_mov_b32_e32 v11, 0x4f800000
	s_mov_b32 s20, 0x3f317217
	s_mov_b32 s19, 0x7f800000
	v_mov_b32_e32 v9, 0x41b17218
	s_mov_b32 s18, 0x41a00000
	s_mov_b32 s13, 0xf800000
	v_mov_b32_e32 v8, 0x260
	v_cmp_lt_i64_e64 s[14:15], s[16:17], 1
	s_mov_b32 s12, 0
	v_cmp_gt_i64_e64 s[8:9], s[16:17], 0
	v_mul_lo_u32 v10, v10, s16
	s_waitcnt vmcnt(7)
	v_lshlrev_b32_e32 v20, 16, v2
	s_waitcnt vmcnt(6)
	v_lshlrev_b32_e32 v21, 16, v3
	v_mul_f32_e32 v2, 0x3fb8aa3b, v21
	v_mul_f32_e32 v3, 0x3fb8aa3b, v20
	s_waitcnt vmcnt(5)
	v_lshlrev_b32_e32 v23, 16, v6
	s_waitcnt vmcnt(4)
	v_lshlrev_b32_e32 v24, 16, v7
	v_exp_f32_e32 v2, v2
	v_exp_f32_e32 v3, v3
	v_mul_f32_e32 v6, 0x3fb8aa3b, v24
	v_mul_f32_e32 v7, 0x3fb8aa3b, v23
	v_exp_f32_e32 v6, v6
	v_exp_f32_e32 v7, v7
	v_mul_lo_u32 v1, v1, s16
	v_mul_lo_u32 v19, v0, s17
	v_mad_u64_u32 v[14:15], s[2:3], v0, s16, 0
	v_add3_u32 v15, v15, v19, v1
	v_pk_add_f32 v[0:1], v[2:3], 1.0 op_sel_hi:[1,0]
	v_pk_add_f32 v[2:3], v[6:7], 1.0 op_sel_hi:[1,0]
	v_cmp_gt_f32_e32 vcc, s21, v1
	v_cmp_gt_f32_e64 s[2:3], s21, v0
	v_cmp_gt_f32_e64 s[4:5], s21, v3
	v_cndmask_b32_e32 v6, 1.0, v11, vcc
	v_cndmask_b32_e64 v7, 1.0, v11, s[2:3]
	v_mul_f32_e32 v1, v1, v6
	v_mul_f32_e32 v0, v0, v7
	v_log_f32_e32 v1, v1
	v_log_f32_e32 v0, v0
	v_cndmask_b32_e64 v19, 1.0, v11, s[4:5]
	v_mul_f32_e32 v3, v3, v19
	v_mul_f32_e32 v19, 0x3f317217, v1
	;; [unrolled: 1-line block ×3, first 2 shown]
	v_fma_f32 v19, v1, s20, -v19
	v_fma_f32 v25, v0, s20, -v25
	v_fmac_f32_e32 v19, 0x3377d1cf, v1
	v_cndmask_b32_e32 v6, 0, v9, vcc
	v_fmac_f32_e32 v25, 0x3377d1cf, v0
	v_fmac_f32_e32 v19, 0x3f317217, v1
	v_cmp_lt_f32_e64 vcc, |v1|, s19
	v_fmac_f32_e32 v25, 0x3f317217, v0
	v_cndmask_b32_e64 v7, 0, v9, s[2:3]
	v_cndmask_b32_e32 v1, v1, v19, vcc
	v_cmp_lt_f32_e64 vcc, |v0|, s19
	v_sub_f32_e32 v1, v1, v6
	v_log_f32_e32 v3, v3
	v_cndmask_b32_e32 v0, v0, v25, vcc
	v_sub_f32_e32 v0, v0, v7
	v_cmp_lt_f32_e32 vcc, s18, v21
	v_mul_f32_e32 v19, 0x3f317217, v3
	s_waitcnt vmcnt(2)
	v_lshlrev_b32_e32 v16, 16, v16
	v_cndmask_b32_e32 v0, v0, v21, vcc
	v_cmp_lt_f32_e32 vcc, s18, v20
	v_mul_f32_e32 v7, 0x4f800000, v0
	v_cmp_gt_f32_e64 s[2:3], s13, v0
	v_cndmask_b32_e32 v1, v1, v20, vcc
	v_mul_f32_e32 v6, 0x4f800000, v1
	v_cmp_gt_f32_e32 vcc, s13, v1
	v_cndmask_b32_e64 v0, v0, v7, s[2:3]
	v_sqrt_f32_e32 v7, v0
	v_cndmask_b32_e32 v1, v1, v6, vcc
	v_sqrt_f32_e32 v6, v1
	v_lshlrev_b32_e32 v12, 16, v12
	v_add_u32_e32 v25, -1, v7
	v_fma_f32 v29, -v25, v7, v0
	v_add_u32_e32 v20, -1, v6
	v_fma_f32 v27, -v20, v6, v1
	v_add_u32_e32 v21, 1, v6
	v_cmp_ge_f32_e64 s[6:7], 0, v27
	v_add_u32_e32 v26, 1, v7
	v_fma_f32 v28, -v21, v6, v1
	v_cndmask_b32_e64 v6, v6, v20, s[6:7]
	v_cmp_ge_f32_e64 s[6:7], 0, v29
	v_fma_f32 v30, -v26, v7, v0
	s_waitcnt vmcnt(0)
	v_lshlrev_b32_e32 v18, 16, v18
	v_cndmask_b32_e64 v7, v7, v25, s[6:7]
	v_cmp_lt_f32_e64 s[6:7], 0, v28
	v_lshlrev_b32_e32 v17, 16, v17
	v_lshl_add_u64 v[14:15], v[14:15], 3, s[10:11]
	v_cndmask_b32_e64 v6, v6, v21, s[6:7]
	v_cmp_lt_f32_e64 s[6:7], 0, v30
	v_mul_f32_e32 v20, 0x37800000, v6
	v_cndmask_b32_e32 v6, v6, v20, vcc
	v_cndmask_b32_e64 v7, v7, v26, s[6:7]
	v_mul_f32_e32 v21, 0x37800000, v7
	v_cmp_class_f32_e32 vcc, v1, v8
	v_cndmask_b32_e64 v7, v7, v21, s[2:3]
	v_cmp_lt_f32_e64 s[2:3], |v3|, s19
	v_cndmask_b32_e32 v1, v6, v1, vcc
	v_cmp_class_f32_e32 vcc, v0, v8
	v_fma_f32 v6, v3, s20, -v19
	v_fmac_f32_e32 v6, 0x3377d1cf, v3
	v_cndmask_b32_e32 v0, v7, v0, vcc
	v_cmp_gt_f32_e32 vcc, s21, v2
	v_fmac_f32_e32 v6, 0x3f317217, v3
	v_cndmask_b32_e64 v3, v3, v6, s[2:3]
	v_cndmask_b32_e32 v7, 1.0, v11, vcc
	v_mul_f32_e32 v2, v2, v7
	v_log_f32_e32 v2, v2
	v_cndmask_b32_e64 v6, 0, v9, s[4:5]
	v_sub_f32_e32 v3, v3, v6
	v_mul_f32_e32 v6, 0x3f317217, v2
	v_fma_f32 v6, v2, s20, -v6
	v_fmac_f32_e32 v6, 0x3377d1cf, v2
	v_fmac_f32_e32 v6, 0x3f317217, v2
	v_cmp_lt_f32_e64 s[2:3], |v2|, s19
	s_nop 1
	v_cndmask_b32_e64 v2, v2, v6, s[2:3]
	v_cndmask_b32_e32 v6, 0, v9, vcc
	v_cmp_lt_f32_e32 vcc, s18, v23
	v_sub_f32_e32 v2, v2, v6
	v_cmp_lt_f32_e64 s[2:3], s18, v24
	v_cndmask_b32_e32 v3, v3, v23, vcc
	v_mul_f32_e32 v7, 0x4f800000, v3
	v_cmp_gt_f32_e32 vcc, s13, v3
	v_cndmask_b32_e64 v2, v2, v24, s[2:3]
	s_nop 0
	v_cndmask_b32_e32 v3, v3, v7, vcc
	v_sqrt_f32_e32 v7, v3
	s_nop 0
	v_add_u32_e32 v6, -1, v7
	v_fma_f32 v19, -v6, v7, v3
	v_cmp_ge_f32_e64 s[2:3], 0, v19
	v_add_u32_e32 v19, 1, v7
	s_nop 0
	v_cndmask_b32_e64 v6, v7, v6, s[2:3]
	v_fma_f32 v7, -v19, v7, v3
	v_cmp_lt_f32_e64 s[2:3], 0, v7
	s_nop 1
	v_cndmask_b32_e64 v6, v6, v19, s[2:3]
	v_mul_f32_e32 v19, 0x4f800000, v2
	v_cmp_gt_f32_e64 s[2:3], s13, v2
	v_mul_f32_e32 v7, 0x37800000, v6
	v_cndmask_b32_e32 v6, v6, v7, vcc
	v_cndmask_b32_e64 v2, v2, v19, s[2:3]
	v_sqrt_f32_e32 v19, v2
	v_cmp_class_f32_e32 vcc, v3, v8
	v_add_u32_e32 v21, 1, v19
	s_nop 0
	v_cndmask_b32_e32 v3, v6, v3, vcc
	v_add_u32_e32 v6, -1, v19
	v_fma_f32 v7, -v6, v19, v2
	v_cmp_ge_f32_e32 vcc, 0, v7
	v_mul_f32_e32 v7, 0x3fb8aa3b, v16
	v_exp_f32_e32 v7, v7
	v_cndmask_b32_e32 v20, v19, v6, vcc
	v_mul_f32_e32 v6, 0x3fb8aa3b, v12
	v_fma_f32 v19, -v21, v19, v2
	v_exp_f32_e32 v6, v6
	v_cmp_lt_f32_e32 vcc, 0, v19
	v_pk_add_f32 v[6:7], v[6:7], 1.0 op_sel_hi:[1,0]
	s_nop 0
	v_cndmask_b32_e32 v19, v20, v21, vcc
	v_mul_f32_e32 v20, 0x37800000, v19
	v_cndmask_b32_e64 v19, v19, v20, s[2:3]
	v_cmp_class_f32_e64 s[2:3], v2, v8
	v_cmp_gt_f32_e32 vcc, s21, v7
	s_nop 0
	v_cndmask_b32_e64 v2, v19, v2, s[2:3]
	v_cmp_gt_f32_e64 s[2:3], s21, v6
	v_cndmask_b32_e32 v21, 1.0, v11, vcc
	v_mul_f32_e32 v7, v7, v21
	v_cndmask_b32_e64 v20, 1.0, v11, s[2:3]
	v_mul_f32_e32 v6, v6, v20
	global_load_ushort v20, v[4:5], off offset:512
	global_load_ushort v21, v[4:5], off offset:576
	v_log_f32_e32 v7, v7
	v_log_f32_e32 v6, v6
	v_mul_f32_e32 v19, 0x3f317217, v7
	v_fma_f32 v19, v7, s20, -v19
	v_fmac_f32_e32 v19, 0x3377d1cf, v7
	v_fmac_f32_e32 v19, 0x3f317217, v7
	v_cmp_lt_f32_e64 s[4:5], |v7|, s19
	s_waitcnt vmcnt(1)
	v_lshlrev_b32_e32 v20, 16, v20
	v_cndmask_b32_e64 v7, v7, v19, s[4:5]
	v_cndmask_b32_e32 v19, 0, v9, vcc
	v_sub_f32_e32 v7, v7, v19
	v_mul_f32_e32 v19, 0x3f317217, v6
	v_fma_f32 v19, v6, s20, -v19
	v_fmac_f32_e32 v19, 0x3377d1cf, v6
	v_fmac_f32_e32 v19, 0x3f317217, v6
	v_cmp_lt_f32_e64 vcc, |v6|, s19
	s_waitcnt vmcnt(0)
	v_lshlrev_b32_e32 v21, 16, v21
	v_cndmask_b32_e32 v6, v6, v19, vcc
	v_cmp_lt_f32_e32 vcc, s18, v16
	v_cndmask_b32_e64 v19, 0, v9, s[2:3]
	v_sub_f32_e32 v6, v6, v19
	v_cndmask_b32_e32 v7, v7, v16, vcc
	v_mul_f32_e32 v16, 0x4f800000, v7
	v_cmp_gt_f32_e32 vcc, s13, v7
	v_cmp_lt_f32_e64 s[2:3], s18, v12
	s_nop 0
	v_cndmask_b32_e32 v7, v7, v16, vcc
	v_sqrt_f32_e32 v16, v7
	v_cndmask_b32_e64 v6, v6, v12, s[2:3]
	v_add_u32_e32 v12, -1, v16
	v_fma_f32 v19, -v12, v16, v7
	v_cmp_ge_f32_e64 s[2:3], 0, v19
	v_add_u32_e32 v19, 1, v16
	s_nop 0
	v_cndmask_b32_e64 v12, v16, v12, s[2:3]
	v_fma_f32 v16, -v19, v16, v7
	v_cmp_lt_f32_e64 s[2:3], 0, v16
	s_nop 1
	v_cndmask_b32_e64 v12, v12, v19, s[2:3]
	v_mul_f32_e32 v19, 0x4f800000, v6
	v_cmp_gt_f32_e64 s[2:3], s13, v6
	v_mul_f32_e32 v16, 0x37800000, v12
	v_cndmask_b32_e32 v5, v12, v16, vcc
	v_cndmask_b32_e64 v4, v6, v19, s[2:3]
	v_sqrt_f32_e32 v6, v4
	v_cmp_class_f32_e32 vcc, v7, v8
	v_add_u32_e32 v16, 1, v6
	s_nop 0
	v_cndmask_b32_e32 v5, v5, v7, vcc
	v_add_u32_e32 v7, -1, v6
	v_fma_f32 v12, -v7, v6, v4
	v_cmp_ge_f32_e32 vcc, 0, v12
	v_fma_f32 v19, -v16, v6, v4
	s_nop 0
	v_cndmask_b32_e32 v12, v6, v7, vcc
	v_mul_f32_e32 v6, 0x3fb8aa3b, v17
	v_mul_f32_e32 v7, 0x3fb8aa3b, v18
	v_exp_f32_e32 v6, v6
	v_exp_f32_e32 v7, v7
	v_cmp_lt_f32_e32 vcc, 0, v19
	v_pk_add_f32 v[6:7], v[6:7], 1.0 op_sel_hi:[1,0]
	s_nop 0
	v_cndmask_b32_e32 v12, v12, v16, vcc
	v_cmp_gt_f32_e32 vcc, s21, v7
	v_mul_f32_e32 v16, 0x37800000, v12
	v_cndmask_b32_e64 v12, v12, v16, s[2:3]
	v_cndmask_b32_e32 v19, 1.0, v11, vcc
	v_mul_f32_e32 v7, v7, v19
	v_log_f32_e32 v7, v7
	v_cmp_class_f32_e64 s[2:3], v4, v8
	v_cmp_lt_f32_e64 s[4:5], |v7|, s19
	s_nop 0
	v_cndmask_b32_e64 v4, v12, v4, s[2:3]
	v_cmp_gt_f32_e64 s[2:3], s21, v6
	v_mul_f32_e32 v12, 0x3f317217, v7
	v_fma_f32 v12, v7, s20, -v12
	v_cndmask_b32_e64 v16, 1.0, v11, s[2:3]
	v_mul_f32_e32 v6, v6, v16
	v_log_f32_e32 v6, v6
	v_fmac_f32_e32 v12, 0x3377d1cf, v7
	v_fmac_f32_e32 v12, 0x3f317217, v7
	v_cndmask_b32_e64 v7, v7, v12, s[4:5]
	v_cndmask_b32_e32 v12, 0, v9, vcc
	v_sub_f32_e32 v7, v7, v12
	v_mul_f32_e32 v12, 0x3f317217, v6
	v_fma_f32 v12, v6, s20, -v12
	v_fmac_f32_e32 v12, 0x3377d1cf, v6
	v_fmac_f32_e32 v12, 0x3f317217, v6
	v_cmp_lt_f32_e64 vcc, |v6|, s19
	s_nop 1
	v_cndmask_b32_e32 v6, v6, v12, vcc
	v_cmp_lt_f32_e32 vcc, s18, v18
	v_cndmask_b32_e64 v12, 0, v9, s[2:3]
	v_sub_f32_e32 v6, v6, v12
	v_cndmask_b32_e32 v7, v7, v18, vcc
	v_mul_f32_e32 v16, 0x4f800000, v7
	v_cmp_gt_f32_e32 vcc, s13, v7
	v_cmp_lt_f32_e64 s[2:3], s18, v17
	s_nop 0
	v_cndmask_b32_e32 v7, v7, v16, vcc
	v_sqrt_f32_e32 v16, v7
	v_cndmask_b32_e64 v6, v6, v17, s[2:3]
	v_add_u32_e32 v12, -1, v16
	v_fma_f32 v17, -v12, v16, v7
	v_cmp_ge_f32_e64 s[2:3], 0, v17
	v_add_u32_e32 v17, 1, v16
	s_nop 0
	v_cndmask_b32_e64 v12, v16, v12, s[2:3]
	v_fma_f32 v16, -v17, v16, v7
	v_cmp_lt_f32_e64 s[2:3], 0, v16
	s_nop 1
	v_cndmask_b32_e64 v12, v12, v17, s[2:3]
	v_mul_f32_e32 v17, 0x4f800000, v6
	v_cmp_gt_f32_e64 s[2:3], s13, v6
	v_mul_f32_e32 v16, 0x37800000, v12
	v_cndmask_b32_e32 v12, v12, v16, vcc
	v_cndmask_b32_e64 v6, v6, v17, s[2:3]
	v_sqrt_f32_e32 v17, v6
	v_cmp_class_f32_e32 vcc, v7, v8
	v_add_u32_e32 v18, 1, v17
	s_nop 0
	v_cndmask_b32_e32 v7, v12, v7, vcc
	v_add_u32_e32 v12, -1, v17
	v_fma_f32 v16, -v12, v17, v6
	v_cmp_ge_f32_e32 vcc, 0, v16
	v_fma_f32 v19, -v18, v17, v6
	v_mul_f32_e32 v16, 0x3fb8aa3b, v20
	v_cndmask_b32_e32 v12, v17, v12, vcc
	v_mul_f32_e32 v17, 0x3fb8aa3b, v21
	v_exp_f32_e32 v16, v16
	v_exp_f32_e32 v17, v17
	v_cmp_lt_f32_e32 vcc, 0, v19
	v_pk_add_f32 v[16:17], v[16:17], 1.0 op_sel_hi:[1,0]
	s_nop 0
	v_cndmask_b32_e32 v12, v12, v18, vcc
	v_cmp_gt_f32_e32 vcc, s21, v17
	v_mul_f32_e32 v18, 0x37800000, v12
	v_cndmask_b32_e64 v12, v12, v18, s[2:3]
	v_cndmask_b32_e32 v19, 1.0, v11, vcc
	v_mul_f32_e32 v17, v17, v19
	v_log_f32_e32 v17, v17
	v_cmp_class_f32_e64 s[2:3], v6, v8
	v_cmp_lt_f32_e64 s[4:5], |v17|, s19
	s_nop 0
	v_cndmask_b32_e64 v6, v12, v6, s[2:3]
	v_cmp_gt_f32_e64 s[2:3], s21, v16
	v_mul_f32_e32 v12, 0x3f317217, v17
	v_fma_f32 v12, v17, s20, -v12
	v_cndmask_b32_e64 v11, 1.0, v11, s[2:3]
	v_mul_f32_e32 v11, v16, v11
	v_log_f32_e32 v11, v11
	v_fmac_f32_e32 v12, 0x3377d1cf, v17
	v_fmac_f32_e32 v12, 0x3f317217, v17
	v_cndmask_b32_e64 v12, v17, v12, s[4:5]
	v_cndmask_b32_e32 v16, 0, v9, vcc
	v_sub_f32_e32 v12, v12, v16
	v_mul_f32_e32 v16, 0x3f317217, v11
	v_fma_f32 v16, v11, s20, -v16
	v_fmac_f32_e32 v16, 0x3377d1cf, v11
	v_fmac_f32_e32 v16, 0x3f317217, v11
	v_cmp_lt_f32_e64 vcc, |v11|, s19
	v_cndmask_b32_e64 v9, 0, v9, s[2:3]
	v_cmp_lt_f32_e64 s[2:3], s18, v20
	v_cndmask_b32_e32 v11, v11, v16, vcc
	v_cmp_lt_f32_e32 vcc, s18, v21
	v_sub_f32_e32 v9, v11, v9
	v_cndmask_b32_e64 v9, v9, v20, s[2:3]
	v_cndmask_b32_e32 v12, v12, v21, vcc
	v_mul_f32_e32 v16, 0x4f800000, v12
	v_cmp_gt_f32_e32 vcc, s13, v12
	s_nop 1
	v_cndmask_b32_e32 v12, v12, v16, vcc
	v_sqrt_f32_e32 v16, v12
	s_nop 0
	v_add_u32_e32 v11, -1, v16
	v_fma_f32 v17, -v11, v16, v12
	v_cmp_ge_f32_e64 s[2:3], 0, v17
	v_add_u32_e32 v17, 1, v16
	s_nop 0
	v_cndmask_b32_e64 v11, v16, v11, s[2:3]
	v_fma_f32 v16, -v17, v16, v12
	v_cmp_lt_f32_e64 s[2:3], 0, v16
	s_nop 1
	v_cndmask_b32_e64 v11, v11, v17, s[2:3]
	v_mul_f32_e32 v17, 0x4f800000, v9
	v_cmp_gt_f32_e64 s[2:3], s13, v9
	v_mul_f32_e32 v16, 0x37800000, v11
	s_nop 0
	v_cndmask_b32_e64 v17, v9, v17, s[2:3]
	v_sqrt_f32_e32 v18, v17
	v_cndmask_b32_e32 v9, v11, v16, vcc
	v_cmp_class_f32_e32 vcc, v12, v8
	v_add_u32_e32 v11, -1, v18
	s_nop 0
	v_cndmask_b32_e32 v9, v9, v12, vcc
	v_fma_f32 v12, -v11, v18, v17
	v_cmp_ge_f32_e32 vcc, 0, v12
	v_add_u32_e32 v12, 1, v18
	v_fma_f32 v16, -v12, v18, v17
	v_cndmask_b32_e32 v11, v18, v11, vcc
	v_cmp_lt_f32_e32 vcc, 0, v16
	s_nop 1
	v_cndmask_b32_e32 v11, v11, v12, vcc
	v_mul_f32_e32 v12, 0x37800000, v11
	v_cndmask_b32_e64 v11, v11, v12, s[2:3]
	v_cmp_class_f32_e32 vcc, v17, v8
	s_nop 1
	v_cndmask_b32_e32 v8, v11, v17, vcc
	s_and_b64 vcc, exec, s[14:15]
	s_cbranch_vccnz .LBB526_28
; %bb.2:
	s_load_dwordx2 s[4:5], s[0:1], 0x20
	s_cmp_lt_u32 s16, 4
	v_sub_u32_e32 v12, 0, v22
	s_cbranch_scc1 .LBB526_21
; %bb.3:
	s_mov_b32 s7, 0
	s_and_b32 s12, s16, 0x7ffffffc
	v_ashrrev_i32_e32 v11, 31, v10
	v_mov_b32_e32 v13, 0
	s_mov_b32 s6, s7
	s_branch .LBB526_5
.LBB526_4:                              ;   in Loop: Header=BB526_5 Depth=1
	s_or_b64 exec, exec, s[10:11]
	s_add_i32 s6, s6, 4
	s_cmp_eq_u32 s6, s12
	s_cbranch_scc1 .LBB526_21
.LBB526_5:                              ; =>This Loop Header: Depth=1
                                        ;     Child Loop BB526_7 Depth 2
                                        ;     Child Loop BB526_11 Depth 2
	;; [unrolled: 1-line block ×4, first 2 shown]
	v_lshl_add_u64 v[16:17], s[6:7], 3, v[14:15]
	global_load_dwordx2 v[18:19], v[16:17], off
	v_add_u32_e32 v20, s6, v10
	v_ashrrev_i32_e32 v21, 31, v20
	s_mov_b64 s[10:11], 0
	s_waitcnt lgkmcnt(0)
	v_lshl_add_u64 v[20:21], v[20:21], 3, s[4:5]
	s_mov_b64 s[14:15], 0
	s_waitcnt vmcnt(0)
	v_ashrrev_i32_e32 v19, 31, v18
	v_add_u32_e32 v23, v12, v18
	s_branch .LBB526_7
.LBB526_6:                              ;   in Loop: Header=BB526_7 Depth=2
	s_or_b64 exec, exec, s[18:19]
	s_cmp_gt_u32 s14, 8
	s_cselect_b64 s[2:3], -1, 0
	s_xor_b64 s[18:19], vcc, -1
	s_or_b64 s[2:3], s[18:19], s[2:3]
	s_add_u32 s14, s14, 1
	s_addc_u32 s15, s15, 0
	s_and_b64 s[2:3], exec, s[2:3]
	s_or_b64 s[10:11], s[2:3], s[10:11]
	v_subrev_u32_e32 v23, 32, v23
	s_andn2_b64 exec, exec, s[10:11]
	s_cbranch_execz .LBB526_9
.LBB526_7:                              ;   Parent Loop BB526_5 Depth=1
                                        ; =>  This Inner Loop Header: Depth=2
	v_cmp_ne_u32_e32 vcc, 0, v23
	v_cmp_eq_u32_e64 s[2:3], 0, v23
	s_and_saveexec_b64 s[18:19], s[2:3]
	s_cbranch_execz .LBB526_6
; %bb.8:                                ;   in Loop: Header=BB526_7 Depth=2
	s_set_gpr_idx_on s14, gpr_idx(SRC0)
	v_mov_b32_e32 v24, v0
	s_set_gpr_idx_off
	v_add_f32_e32 v13, v13, v24
	global_store_dwordx2 v[20:21], v[18:19], off
	s_branch .LBB526_6
.LBB526_9:                              ;   in Loop: Header=BB526_5 Depth=1
	s_or_b64 exec, exec, s[10:11]
	global_load_dwordx2 v[20:21], v[16:17], off offset:8
	s_ashr_i32 s3, s6, 31
	s_mov_b32 s2, s6
	v_lshl_add_u64 v[18:19], s[2:3], 0, v[10:11]
	s_mov_b64 s[10:11], 0
	v_lshl_add_u64 v[18:19], v[18:19], 3, s[4:5]
	s_mov_b64 s[14:15], 0
	s_waitcnt vmcnt(0)
	v_ashrrev_i32_e32 v21, 31, v20
	v_add_u32_e32 v23, v12, v20
	s_branch .LBB526_11
.LBB526_10:                             ;   in Loop: Header=BB526_11 Depth=2
	s_or_b64 exec, exec, s[18:19]
	s_cmp_gt_u32 s14, 8
	s_cselect_b64 s[2:3], -1, 0
	s_xor_b64 s[18:19], vcc, -1
	s_or_b64 s[2:3], s[18:19], s[2:3]
	s_add_u32 s14, s14, 1
	s_addc_u32 s15, s15, 0
	s_and_b64 s[2:3], exec, s[2:3]
	s_or_b64 s[10:11], s[2:3], s[10:11]
	v_subrev_u32_e32 v23, 32, v23
	s_andn2_b64 exec, exec, s[10:11]
	s_cbranch_execz .LBB526_13
.LBB526_11:                             ;   Parent Loop BB526_5 Depth=1
                                        ; =>  This Inner Loop Header: Depth=2
	v_cmp_ne_u32_e32 vcc, 0, v23
	v_cmp_eq_u32_e64 s[2:3], 0, v23
	s_and_saveexec_b64 s[18:19], s[2:3]
	s_cbranch_execz .LBB526_10
; %bb.12:                               ;   in Loop: Header=BB526_11 Depth=2
	s_set_gpr_idx_on s14, gpr_idx(SRC0)
	v_mov_b32_e32 v24, v0
	s_set_gpr_idx_off
	v_add_f32_e32 v13, v13, v24
	global_store_dwordx2 v[18:19], v[20:21], off offset:8
	s_branch .LBB526_10
.LBB526_13:                             ;   in Loop: Header=BB526_5 Depth=1
	s_or_b64 exec, exec, s[10:11]
	global_load_dwordx2 v[20:21], v[16:17], off offset:16
	s_mov_b64 s[10:11], 0
	s_mov_b64 s[14:15], 0
	s_waitcnt vmcnt(0)
	v_ashrrev_i32_e32 v21, 31, v20
	v_add_u32_e32 v23, v12, v20
	s_branch .LBB526_15
.LBB526_14:                             ;   in Loop: Header=BB526_15 Depth=2
	s_or_b64 exec, exec, s[18:19]
	s_cmp_gt_u32 s14, 8
	s_cselect_b64 s[2:3], -1, 0
	s_xor_b64 s[18:19], vcc, -1
	s_or_b64 s[2:3], s[18:19], s[2:3]
	s_add_u32 s14, s14, 1
	s_addc_u32 s15, s15, 0
	s_and_b64 s[2:3], exec, s[2:3]
	s_or_b64 s[10:11], s[2:3], s[10:11]
	v_subrev_u32_e32 v23, 32, v23
	s_andn2_b64 exec, exec, s[10:11]
	s_cbranch_execz .LBB526_17
.LBB526_15:                             ;   Parent Loop BB526_5 Depth=1
                                        ; =>  This Inner Loop Header: Depth=2
	v_cmp_ne_u32_e32 vcc, 0, v23
	v_cmp_eq_u32_e64 s[2:3], 0, v23
	s_and_saveexec_b64 s[18:19], s[2:3]
	s_cbranch_execz .LBB526_14
; %bb.16:                               ;   in Loop: Header=BB526_15 Depth=2
	s_set_gpr_idx_on s14, gpr_idx(SRC0)
	v_mov_b32_e32 v24, v0
	s_set_gpr_idx_off
	v_add_f32_e32 v13, v13, v24
	global_store_dwordx2 v[18:19], v[20:21], off offset:16
	s_branch .LBB526_14
.LBB526_17:                             ;   in Loop: Header=BB526_5 Depth=1
	s_or_b64 exec, exec, s[10:11]
	global_load_dwordx2 v[16:17], v[16:17], off offset:24
	s_mov_b64 s[10:11], 0
	s_mov_b64 s[14:15], 0
	s_waitcnt vmcnt(0)
	v_ashrrev_i32_e32 v17, 31, v16
	v_add_u32_e32 v20, v12, v16
	s_branch .LBB526_19
.LBB526_18:                             ;   in Loop: Header=BB526_19 Depth=2
	s_or_b64 exec, exec, s[18:19]
	s_cmp_gt_u32 s14, 8
	s_cselect_b64 s[2:3], -1, 0
	s_xor_b64 s[18:19], vcc, -1
	s_or_b64 s[2:3], s[18:19], s[2:3]
	s_add_u32 s14, s14, 1
	s_addc_u32 s15, s15, 0
	s_and_b64 s[2:3], exec, s[2:3]
	s_or_b64 s[10:11], s[2:3], s[10:11]
	v_subrev_u32_e32 v20, 32, v20
	s_andn2_b64 exec, exec, s[10:11]
	s_cbranch_execz .LBB526_4
.LBB526_19:                             ;   Parent Loop BB526_5 Depth=1
                                        ; =>  This Inner Loop Header: Depth=2
	v_cmp_ne_u32_e32 vcc, 0, v20
	v_cmp_eq_u32_e64 s[2:3], 0, v20
	s_and_saveexec_b64 s[18:19], s[2:3]
	s_cbranch_execz .LBB526_18
; %bb.20:                               ;   in Loop: Header=BB526_19 Depth=2
	s_set_gpr_idx_on s14, gpr_idx(SRC0)
	v_mov_b32_e32 v21, v0
	s_set_gpr_idx_off
	v_add_f32_e32 v13, v13, v21
	global_store_dwordx2 v[18:19], v[16:17], off offset:24
	s_branch .LBB526_18
.LBB526_21:
	s_and_b32 s17, s16, 3
	s_cmp_eq_u32 s17, 0
	s_mov_b32 s13, 0
	s_cbranch_scc1 .LBB526_28
; %bb.22:
	s_mov_b32 s18, s13
	s_branch .LBB526_24
.LBB526_23:                             ;   in Loop: Header=BB526_24 Depth=1
	s_or_b64 exec, exec, s[6:7]
	s_add_i32 s12, s12, 1
	s_add_i32 s18, s18, 1
	s_cmp_lg_u32 s18, s17
	s_cbranch_scc0 .LBB526_28
.LBB526_24:                             ; =>This Loop Header: Depth=1
                                        ;     Child Loop BB526_26 Depth 2
	v_lshl_add_u64 v[16:17], s[12:13], 3, v[14:15]
	global_load_dwordx2 v[16:17], v[16:17], off
	v_add_u32_e32 v18, s12, v10
	v_ashrrev_i32_e32 v19, 31, v18
	s_mov_b64 s[6:7], 0
	s_waitcnt lgkmcnt(0)
	v_lshl_add_u64 v[18:19], v[18:19], 3, s[4:5]
	s_mov_b64 s[10:11], 0
	s_waitcnt vmcnt(0)
	v_ashrrev_i32_e32 v17, 31, v16
	v_add_u32_e32 v11, v12, v16
	s_branch .LBB526_26
.LBB526_25:                             ;   in Loop: Header=BB526_26 Depth=2
	s_or_b64 exec, exec, s[14:15]
	s_cmp_gt_u32 s10, 8
	s_cselect_b64 s[2:3], -1, 0
	s_xor_b64 s[14:15], vcc, -1
	s_or_b64 s[2:3], s[14:15], s[2:3]
	s_add_u32 s10, s10, 1
	s_addc_u32 s11, s11, 0
	s_and_b64 s[2:3], exec, s[2:3]
	s_or_b64 s[6:7], s[2:3], s[6:7]
	v_subrev_u32_e32 v11, 32, v11
	s_andn2_b64 exec, exec, s[6:7]
	s_cbranch_execz .LBB526_23
.LBB526_26:                             ;   Parent Loop BB526_24 Depth=1
                                        ; =>  This Inner Loop Header: Depth=2
	v_cmp_ne_u32_e32 vcc, 0, v11
	v_cmp_eq_u32_e64 s[2:3], 0, v11
	s_and_saveexec_b64 s[14:15], s[2:3]
	s_cbranch_execz .LBB526_25
; %bb.27:                               ;   in Loop: Header=BB526_26 Depth=2
	s_set_gpr_idx_on s10, gpr_idx(SRC0)
	v_mov_b32_e32 v20, v0
	s_set_gpr_idx_off
	v_add_f32_e32 v13, v13, v20
	global_store_dwordx2 v[18:19], v[16:17], off
	s_branch .LBB526_25
.LBB526_28:
	s_waitcnt lgkmcnt(0)
	s_load_dword s4, s[0:1], 0x3c
	s_waitcnt lgkmcnt(0)
	s_bitcmp1_b32 s4, 0
	s_cselect_b64 s[2:3], -1, 0
	s_bitcmp0_b32 s4, 0
	s_cbranch_scc0 .LBB526_32
; %bb.29:
	s_load_dwordx2 s[4:5], s[0:1], 0x40
	s_andn2_b64 vcc, exec, s[2:3]
	s_waitcnt lgkmcnt(0)
	v_cvt_f32_f64_e32 v20, s[4:5]
	s_cbranch_vccz .LBB526_33
.LBB526_30:
	s_andn2_b64 vcc, exec, s[8:9]
	s_cbranch_vccz .LBB526_34
.LBB526_31:
	s_endpgm
.LBB526_32:
	v_mbcnt_lo_u32_b32 v11, -1, 0
	v_mbcnt_hi_u32_b32 v11, -1, v11
	v_and_b32_e32 v12, 0x60, v11
	v_add_u32_e32 v12, 32, v12
	v_xor_b32_e32 v16, 16, v11
	v_cmp_lt_i32_e32 vcc, v16, v12
	v_xor_b32_e32 v17, 8, v11
	s_nop 0
	v_cndmask_b32_e32 v16, v11, v16, vcc
	v_lshlrev_b32_e32 v16, 2, v16
	ds_bpermute_b32 v16, v16, v13
	v_cmp_lt_i32_e32 vcc, v17, v12
	s_waitcnt lgkmcnt(0)
	v_add_f32_e32 v13, v13, v16
	v_cndmask_b32_e32 v16, v11, v17, vcc
	v_lshlrev_b32_e32 v16, 2, v16
	ds_bpermute_b32 v16, v16, v13
	v_xor_b32_e32 v17, 4, v11
	v_cmp_lt_i32_e32 vcc, v17, v12
	s_waitcnt lgkmcnt(0)
	v_add_f32_e32 v13, v13, v16
	v_cndmask_b32_e32 v16, v11, v17, vcc
	v_lshlrev_b32_e32 v16, 2, v16
	ds_bpermute_b32 v16, v16, v13
	v_xor_b32_e32 v17, 2, v11
	;; [unrolled: 7-line block ×3, first 2 shown]
	v_cmp_lt_i32_e32 vcc, v17, v12
	s_waitcnt lgkmcnt(0)
	v_add_f32_e32 v13, v13, v16
	v_cndmask_b32_e32 v11, v11, v17, vcc
	v_lshlrev_b32_e32 v11, 2, v11
	ds_bpermute_b32 v11, v11, v13
	s_waitcnt lgkmcnt(0)
	v_add_f32_e32 v13, v13, v11
	s_load_dwordx2 s[4:5], s[0:1], 0x40
	s_andn2_b64 vcc, exec, s[2:3]
	s_waitcnt lgkmcnt(0)
	v_cvt_f32_f64_e32 v20, s[4:5]
	s_cbranch_vccnz .LBB526_30
.LBB526_33:
	v_cmp_lt_f32_e32 vcc, 0, v13
	s_nop 1
	v_cndmask_b32_e32 v11, 1.0, v13, vcc
	v_div_scale_f32 v12, s[2:3], v11, v11, v20
	v_rcp_f32_e32 v13, v12
	s_nop 0
	v_fma_f32 v16, -v12, v13, 1.0
	v_fmac_f32_e32 v13, v16, v13
	v_div_scale_f32 v16, vcc, v20, v11, v20
	v_mul_f32_e32 v17, v16, v13
	v_fma_f32 v18, -v12, v17, v16
	v_fmac_f32_e32 v17, v18, v13
	v_fma_f32 v12, -v12, v17, v16
	v_div_fmas_f32 v12, v12, v13, v17
	v_div_fixup_f32 v20, v12, v11, v20
	s_andn2_b64 vcc, exec, s[8:9]
	s_cbranch_vccnz .LBB526_31
.LBB526_34:
	s_load_dwordx2 s[18:19], s[0:1], 0x10
	v_or_b32_e32 v30, 32, v22
	v_or_b32_e32 v29, 64, v22
	;; [unrolled: 1-line block ×9, first 2 shown]
	s_cmp_eq_u32 s16, 1
	s_mov_b32 s20, 0
	s_cbranch_scc1 .LBB526_77
; %bb.35:
	v_ashrrev_i32_e32 v11, 31, v10
	s_waitcnt lgkmcnt(0)
	v_lshl_add_u64 v[12:13], v[10:11], 2, s[18:19]
	s_and_b32 s20, s16, 0x7ffffffe
	v_lshl_add_u64 v[12:13], v[12:13], 0, 4
	v_lshl_add_u64 v[16:17], v[14:15], 0, 8
	s_mov_b32 s17, 0
	s_branch .LBB526_37
.LBB526_36:                             ;   in Loop: Header=BB526_37 Depth=1
	s_or_b64 exec, exec, s[0:1]
	s_add_i32 s17, s17, 2
	v_lshl_add_u64 v[12:13], v[12:13], 0, 8
	s_cmp_lg_u32 s20, s17
	v_lshl_add_u64 v[16:17], v[16:17], 0, 16
	s_cbranch_scc0 .LBB526_77
.LBB526_37:                             ; =>This Inner Loop Header: Depth=1
	global_load_dword v11, v[16:17], off offset:-8
	v_mov_b64_e32 v[18:19], 0
	s_waitcnt vmcnt(0)
	v_cmp_eq_u32_e32 vcc, v22, v11
	v_cmp_ne_u32_e64 s[0:1], v22, v11
	s_and_saveexec_b64 s[22:23], s[0:1]
	s_cbranch_execz .LBB526_55
; %bb.38:                               ;   in Loop: Header=BB526_37 Depth=1
	v_cmp_eq_u32_e64 s[0:1], v30, v11
	v_cmp_ne_u32_e64 s[2:3], v30, v11
	v_mov_b64_e32 v[18:19], 1
	s_and_saveexec_b64 s[24:25], s[2:3]
	s_cbranch_execz .LBB526_54
; %bb.39:                               ;   in Loop: Header=BB526_37 Depth=1
	v_cmp_eq_u32_e64 s[2:3], v29, v11
	v_cmp_ne_u32_e64 s[4:5], v29, v11
	v_mov_b64_e32 v[18:19], 2
	;; [unrolled: 6-line block ×8, first 2 shown]
	s_and_saveexec_b64 s[42:43], s[14:15]
	s_xor_b64 s[42:43], exec, s[42:43]
; %bb.46:                               ;   in Loop: Header=BB526_37 Depth=1
	v_cmp_eq_u32_e64 s[14:15], v21, v11
	s_andn2_b64 s[40:41], s[40:41], exec
	s_and_b64 s[14:15], s[14:15], exec
	v_mov_b64_e32 v[18:19], 9
	s_or_b64 s[40:41], s[40:41], s[14:15]
; %bb.47:                               ;   in Loop: Header=BB526_37 Depth=1
	s_or_b64 exec, exec, s[42:43]
	s_andn2_b64 s[12:13], s[12:13], exec
	s_and_b64 s[14:15], s[40:41], exec
	s_or_b64 s[12:13], s[12:13], s[14:15]
.LBB526_48:                             ;   in Loop: Header=BB526_37 Depth=1
	s_or_b64 exec, exec, s[38:39]
	s_andn2_b64 s[10:11], s[10:11], exec
	s_and_b64 s[12:13], s[12:13], exec
	s_or_b64 s[10:11], s[10:11], s[12:13]
.LBB526_49:                             ;   in Loop: Header=BB526_37 Depth=1
	s_or_b64 exec, exec, s[36:37]
	s_andn2_b64 s[8:9], s[8:9], exec
	s_and_b64 s[10:11], s[10:11], exec
	s_or_b64 s[8:9], s[8:9], s[10:11]
.LBB526_50:                             ;   in Loop: Header=BB526_37 Depth=1
	s_or_b64 exec, exec, s[34:35]
	s_andn2_b64 s[6:7], s[6:7], exec
	s_and_b64 s[8:9], s[8:9], exec
	s_or_b64 s[6:7], s[6:7], s[8:9]
.LBB526_51:                             ;   in Loop: Header=BB526_37 Depth=1
	s_or_b64 exec, exec, s[30:31]
	s_andn2_b64 s[4:5], s[4:5], exec
	s_and_b64 s[6:7], s[6:7], exec
	s_or_b64 s[4:5], s[4:5], s[6:7]
.LBB526_52:                             ;   in Loop: Header=BB526_37 Depth=1
	s_or_b64 exec, exec, s[28:29]
	s_andn2_b64 s[2:3], s[2:3], exec
	s_and_b64 s[4:5], s[4:5], exec
	s_or_b64 s[2:3], s[2:3], s[4:5]
.LBB526_53:                             ;   in Loop: Header=BB526_37 Depth=1
	s_or_b64 exec, exec, s[26:27]
	s_andn2_b64 s[0:1], s[0:1], exec
	s_and_b64 s[2:3], s[2:3], exec
	s_or_b64 s[0:1], s[0:1], s[2:3]
.LBB526_54:                             ;   in Loop: Header=BB526_37 Depth=1
	s_or_b64 exec, exec, s[24:25]
	s_andn2_b64 s[2:3], vcc, exec
	s_and_b64 s[0:1], s[0:1], exec
	s_or_b64 vcc, s[2:3], s[0:1]
.LBB526_55:                             ;   in Loop: Header=BB526_37 Depth=1
	s_or_b64 exec, exec, s[22:23]
	s_and_saveexec_b64 s[0:1], vcc
	s_cbranch_execz .LBB526_57
; %bb.56:                               ;   in Loop: Header=BB526_37 Depth=1
	v_cmp_eq_u32_e32 vcc, 1, v18
	v_add_u32_e32 v32, s17, v10
	v_ashrrev_i32_e32 v33, 31, v32
	v_cndmask_b32_e32 v11, v0, v1, vcc
	v_cmp_eq_u32_e32 vcc, 2, v18
	s_nop 1
	v_cndmask_b32_e32 v11, v11, v2, vcc
	v_cmp_eq_u32_e32 vcc, 3, v18
	s_nop 1
	;; [unrolled: 3-line block ×7, first 2 shown]
	v_cndmask_b32_e32 v11, v11, v8, vcc
	v_cmp_eq_u32_e32 vcc, 9, v18
	v_lshl_add_u64 v[18:19], v[32:33], 2, s[18:19]
	s_nop 0
	v_cndmask_b32_e32 v11, v11, v9, vcc
	v_mul_f32_e32 v11, v20, v11
	global_store_dword v[18:19], v11, off
.LBB526_57:                             ;   in Loop: Header=BB526_37 Depth=1
	s_or_b64 exec, exec, s[0:1]
	global_load_dword v11, v[16:17], off
	v_mov_b64_e32 v[18:19], 0
	s_waitcnt vmcnt(0)
	v_cmp_eq_u32_e64 s[12:13], v22, v11
	v_cmp_ne_u32_e32 vcc, v22, v11
	s_and_saveexec_b64 s[14:15], vcc
	s_cbranch_execz .LBB526_75
; %bb.58:                               ;   in Loop: Header=BB526_37 Depth=1
	v_cmp_eq_u32_e32 vcc, v30, v11
	v_cmp_ne_u32_e64 s[0:1], v30, v11
	v_mov_b64_e32 v[18:19], 1
	s_and_saveexec_b64 s[22:23], s[0:1]
	s_cbranch_execz .LBB526_74
; %bb.59:                               ;   in Loop: Header=BB526_37 Depth=1
	v_cmp_eq_u32_e64 s[0:1], v29, v11
	v_cmp_ne_u32_e64 s[2:3], v29, v11
	v_mov_b64_e32 v[18:19], 2
	s_and_saveexec_b64 s[24:25], s[2:3]
	s_cbranch_execz .LBB526_73
; %bb.60:                               ;   in Loop: Header=BB526_37 Depth=1
	v_cmp_eq_u32_e64 s[2:3], v28, v11
	;; [unrolled: 6-line block ×7, first 2 shown]
	v_cmp_ne_u32_e64 s[10:11], v23, v11
	v_mov_b64_e32 v[18:19], 8
	s_and_saveexec_b64 s[42:43], s[10:11]
; %bb.66:                               ;   in Loop: Header=BB526_37 Depth=1
	v_cmp_eq_u32_e64 s[10:11], v21, v11
	s_andn2_b64 s[40:41], s[40:41], exec
	s_and_b64 s[10:11], s[10:11], exec
	v_mov_b64_e32 v[18:19], 9
	s_or_b64 s[40:41], s[40:41], s[10:11]
; %bb.67:                               ;   in Loop: Header=BB526_37 Depth=1
	s_or_b64 exec, exec, s[42:43]
	s_andn2_b64 s[10:11], s[36:37], exec
	s_and_b64 s[36:37], s[40:41], exec
	s_or_b64 s[36:37], s[10:11], s[36:37]
.LBB526_68:                             ;   in Loop: Header=BB526_37 Depth=1
	s_or_b64 exec, exec, s[38:39]
	s_andn2_b64 s[8:9], s[8:9], exec
	s_and_b64 s[10:11], s[36:37], exec
	s_or_b64 s[8:9], s[8:9], s[10:11]
.LBB526_69:                             ;   in Loop: Header=BB526_37 Depth=1
	s_or_b64 exec, exec, s[34:35]
	s_andn2_b64 s[6:7], s[6:7], exec
	s_and_b64 s[8:9], s[8:9], exec
	s_or_b64 s[6:7], s[6:7], s[8:9]
.LBB526_70:                             ;   in Loop: Header=BB526_37 Depth=1
	s_or_b64 exec, exec, s[30:31]
	s_andn2_b64 s[4:5], s[4:5], exec
	s_and_b64 s[6:7], s[6:7], exec
	s_or_b64 s[4:5], s[4:5], s[6:7]
.LBB526_71:                             ;   in Loop: Header=BB526_37 Depth=1
	s_or_b64 exec, exec, s[28:29]
	s_andn2_b64 s[2:3], s[2:3], exec
	s_and_b64 s[4:5], s[4:5], exec
	s_or_b64 s[2:3], s[2:3], s[4:5]
.LBB526_72:                             ;   in Loop: Header=BB526_37 Depth=1
	s_or_b64 exec, exec, s[26:27]
	s_andn2_b64 s[0:1], s[0:1], exec
	s_and_b64 s[2:3], s[2:3], exec
	s_or_b64 s[0:1], s[0:1], s[2:3]
.LBB526_73:                             ;   in Loop: Header=BB526_37 Depth=1
	s_or_b64 exec, exec, s[24:25]
	s_andn2_b64 s[2:3], vcc, exec
	s_and_b64 s[0:1], s[0:1], exec
	s_or_b64 vcc, s[2:3], s[0:1]
.LBB526_74:                             ;   in Loop: Header=BB526_37 Depth=1
	s_or_b64 exec, exec, s[22:23]
	s_andn2_b64 s[0:1], s[12:13], exec
	s_and_b64 s[2:3], vcc, exec
	s_or_b64 s[12:13], s[0:1], s[2:3]
.LBB526_75:                             ;   in Loop: Header=BB526_37 Depth=1
	s_or_b64 exec, exec, s[14:15]
	s_and_saveexec_b64 s[0:1], s[12:13]
	s_cbranch_execz .LBB526_36
; %bb.76:                               ;   in Loop: Header=BB526_37 Depth=1
	v_cmp_eq_u32_e32 vcc, 1, v18
	s_nop 1
	v_cndmask_b32_e32 v11, v0, v1, vcc
	v_cmp_eq_u32_e32 vcc, 2, v18
	s_nop 1
	v_cndmask_b32_e32 v11, v11, v2, vcc
	;; [unrolled: 3-line block ×9, first 2 shown]
	v_mul_f32_e32 v11, v20, v11
	global_store_dword v[12:13], v11, off
	s_branch .LBB526_36
.LBB526_77:
	s_bitcmp0_b32 s16, 0
	s_mov_b32 s21, 0
	s_cbranch_scc1 .LBB526_31
; %bb.78:
	v_lshl_add_u64 v[12:13], s[20:21], 3, v[14:15]
	global_load_dword v11, v[12:13], off
	v_mov_b64_e32 v[12:13], 0
	s_waitcnt vmcnt(0)
	v_cmp_eq_u32_e64 s[12:13], v22, v11
	v_cmp_ne_u32_e32 vcc, v22, v11
	s_and_saveexec_b64 s[14:15], vcc
	s_cbranch_execz .LBB526_96
; %bb.79:
	v_cmp_eq_u32_e32 vcc, v30, v11
	v_cmp_ne_u32_e64 s[0:1], v30, v11
	v_mov_b64_e32 v[12:13], 1
	s_and_saveexec_b64 s[16:17], s[0:1]
	s_cbranch_execz .LBB526_95
; %bb.80:
	v_cmp_eq_u32_e64 s[0:1], v29, v11
	v_cmp_ne_u32_e64 s[2:3], v29, v11
	v_mov_b64_e32 v[12:13], 2
	s_and_saveexec_b64 s[22:23], s[2:3]
	s_cbranch_execz .LBB526_94
; %bb.81:
	v_cmp_eq_u32_e64 s[2:3], v28, v11
	;; [unrolled: 6-line block ×7, first 2 shown]
	v_cmp_ne_u32_e64 s[10:11], v23, v11
	v_mov_b64_e32 v[12:13], 8
	s_and_saveexec_b64 s[40:41], s[10:11]
; %bb.87:
	v_cmp_eq_u32_e64 s[10:11], v21, v11
	s_andn2_b64 s[38:39], s[38:39], exec
	s_and_b64 s[10:11], s[10:11], exec
	v_mov_b64_e32 v[12:13], 9
	s_or_b64 s[38:39], s[38:39], s[10:11]
; %bb.88:
	s_or_b64 exec, exec, s[40:41]
	s_andn2_b64 s[10:11], s[34:35], exec
	s_and_b64 s[34:35], s[38:39], exec
	s_or_b64 s[34:35], s[10:11], s[34:35]
.LBB526_89:
	s_or_b64 exec, exec, s[36:37]
	s_andn2_b64 s[8:9], s[8:9], exec
	s_and_b64 s[10:11], s[34:35], exec
	s_or_b64 s[8:9], s[8:9], s[10:11]
.LBB526_90:
	s_or_b64 exec, exec, s[30:31]
	s_andn2_b64 s[6:7], s[6:7], exec
	s_and_b64 s[8:9], s[8:9], exec
	s_or_b64 s[6:7], s[6:7], s[8:9]
.LBB526_91:
	s_or_b64 exec, exec, s[28:29]
	s_andn2_b64 s[4:5], s[4:5], exec
	s_and_b64 s[6:7], s[6:7], exec
	s_or_b64 s[4:5], s[4:5], s[6:7]
.LBB526_92:
	s_or_b64 exec, exec, s[26:27]
	s_andn2_b64 s[2:3], s[2:3], exec
	s_and_b64 s[4:5], s[4:5], exec
	s_or_b64 s[2:3], s[2:3], s[4:5]
.LBB526_93:
	s_or_b64 exec, exec, s[24:25]
	s_andn2_b64 s[0:1], s[0:1], exec
	s_and_b64 s[2:3], s[2:3], exec
	s_or_b64 s[0:1], s[0:1], s[2:3]
.LBB526_94:
	s_or_b64 exec, exec, s[22:23]
	s_andn2_b64 s[2:3], vcc, exec
	s_and_b64 s[0:1], s[0:1], exec
	s_or_b64 vcc, s[2:3], s[0:1]
.LBB526_95:
	s_or_b64 exec, exec, s[16:17]
	s_andn2_b64 s[0:1], s[12:13], exec
	s_and_b64 s[2:3], vcc, exec
	s_or_b64 s[12:13], s[0:1], s[2:3]
.LBB526_96:
	s_or_b64 exec, exec, s[14:15]
	s_and_b64 exec, exec, s[12:13]
	s_cbranch_execz .LBB526_31
; %bb.97:
	v_cmp_eq_u32_e32 vcc, 1, v12
	v_add_u32_e32 v10, s20, v10
	v_ashrrev_i32_e32 v11, 31, v10
	v_cndmask_b32_e32 v0, v0, v1, vcc
	v_cmp_eq_u32_e32 vcc, 2, v12
	s_nop 1
	v_cndmask_b32_e32 v0, v0, v2, vcc
	v_cmp_eq_u32_e32 vcc, 3, v12
	s_nop 1
	;; [unrolled: 3-line block ×8, first 2 shown]
	v_cndmask_b32_e32 v0, v0, v9, vcc
	v_mul_f32_e32 v2, v20, v0
	s_waitcnt lgkmcnt(0)
	v_lshl_add_u64 v[0:1], v[10:11], 2, s[18:19]
	global_store_dword v[0:1], v2, off
	s_endpgm
	.section	.rodata,"a",@progbits
	.p2align	6, 0x0
	.amdhsa_kernel _ZN4vllm3moe22topkGatingSoftplusSqrtILi10ELi320ELi4ELi2ELi32ELb1El14__hip_bfloat16EEvPKT6_PKbPfiPT5_PiiiibdPKfPKS9_SF_
		.amdhsa_group_segment_fixed_size 0
		.amdhsa_private_segment_fixed_size 0
		.amdhsa_kernarg_size 96
		.amdhsa_user_sgpr_count 2
		.amdhsa_user_sgpr_dispatch_ptr 0
		.amdhsa_user_sgpr_queue_ptr 0
		.amdhsa_user_sgpr_kernarg_segment_ptr 1
		.amdhsa_user_sgpr_dispatch_id 0
		.amdhsa_user_sgpr_kernarg_preload_length 0
		.amdhsa_user_sgpr_kernarg_preload_offset 0
		.amdhsa_user_sgpr_private_segment_size 0
		.amdhsa_uses_dynamic_stack 0
		.amdhsa_enable_private_segment 0
		.amdhsa_system_sgpr_workgroup_id_x 1
		.amdhsa_system_sgpr_workgroup_id_y 0
		.amdhsa_system_sgpr_workgroup_id_z 0
		.amdhsa_system_sgpr_workgroup_info 0
		.amdhsa_system_vgpr_workitem_id 1
		.amdhsa_next_free_vgpr 34
		.amdhsa_next_free_sgpr 44
		.amdhsa_accum_offset 36
		.amdhsa_reserve_vcc 1
		.amdhsa_float_round_mode_32 0
		.amdhsa_float_round_mode_16_64 0
		.amdhsa_float_denorm_mode_32 3
		.amdhsa_float_denorm_mode_16_64 3
		.amdhsa_dx10_clamp 1
		.amdhsa_ieee_mode 1
		.amdhsa_fp16_overflow 0
		.amdhsa_tg_split 0
		.amdhsa_exception_fp_ieee_invalid_op 0
		.amdhsa_exception_fp_denorm_src 0
		.amdhsa_exception_fp_ieee_div_zero 0
		.amdhsa_exception_fp_ieee_overflow 0
		.amdhsa_exception_fp_ieee_underflow 0
		.amdhsa_exception_fp_ieee_inexact 0
		.amdhsa_exception_int_div_zero 0
	.end_amdhsa_kernel
	.section	.text._ZN4vllm3moe22topkGatingSoftplusSqrtILi10ELi320ELi4ELi2ELi32ELb1El14__hip_bfloat16EEvPKT6_PKbPfiPT5_PiiiibdPKfPKS9_SF_,"axG",@progbits,_ZN4vllm3moe22topkGatingSoftplusSqrtILi10ELi320ELi4ELi2ELi32ELb1El14__hip_bfloat16EEvPKT6_PKbPfiPT5_PiiiibdPKfPKS9_SF_,comdat
.Lfunc_end526:
	.size	_ZN4vllm3moe22topkGatingSoftplusSqrtILi10ELi320ELi4ELi2ELi32ELb1El14__hip_bfloat16EEvPKT6_PKbPfiPT5_PiiiibdPKfPKS9_SF_, .Lfunc_end526-_ZN4vllm3moe22topkGatingSoftplusSqrtILi10ELi320ELi4ELi2ELi32ELb1El14__hip_bfloat16EEvPKT6_PKbPfiPT5_PiiiibdPKfPKS9_SF_
                                        ; -- End function
	.section	.AMDGPU.csdata,"",@progbits
; Kernel info:
; codeLenInByte = 5648
; NumSgprs: 50
; NumVgprs: 34
; NumAgprs: 0
; TotalNumVgprs: 34
; ScratchSize: 0
; MemoryBound: 0
; FloatMode: 240
; IeeeMode: 1
; LDSByteSize: 0 bytes/workgroup (compile time only)
; SGPRBlocks: 6
; VGPRBlocks: 4
; NumSGPRsForWavesPerEU: 50
; NumVGPRsForWavesPerEU: 34
; AccumOffset: 36
; Occupancy: 8
; WaveLimiterHint : 1
; COMPUTE_PGM_RSRC2:SCRATCH_EN: 0
; COMPUTE_PGM_RSRC2:USER_SGPR: 2
; COMPUTE_PGM_RSRC2:TRAP_HANDLER: 0
; COMPUTE_PGM_RSRC2:TGID_X_EN: 1
; COMPUTE_PGM_RSRC2:TGID_Y_EN: 0
; COMPUTE_PGM_RSRC2:TGID_Z_EN: 0
; COMPUTE_PGM_RSRC2:TIDIG_COMP_CNT: 1
; COMPUTE_PGM_RSRC3_GFX90A:ACCUM_OFFSET: 8
; COMPUTE_PGM_RSRC3_GFX90A:TG_SPLIT: 0
	.section	.text._ZN4vllm3moe22topkGatingSoftplusSqrtILi10ELi320ELi4ELi2ELi32ELb0El14__hip_bfloat16EEvPKT6_PKbPfiPT5_PiiiibdPKfPKS9_SF_,"axG",@progbits,_ZN4vllm3moe22topkGatingSoftplusSqrtILi10ELi320ELi4ELi2ELi32ELb0El14__hip_bfloat16EEvPKT6_PKbPfiPT5_PiiiibdPKfPKS9_SF_,comdat
	.protected	_ZN4vllm3moe22topkGatingSoftplusSqrtILi10ELi320ELi4ELi2ELi32ELb0El14__hip_bfloat16EEvPKT6_PKbPfiPT5_PiiiibdPKfPKS9_SF_ ; -- Begin function _ZN4vllm3moe22topkGatingSoftplusSqrtILi10ELi320ELi4ELi2ELi32ELb0El14__hip_bfloat16EEvPKT6_PKbPfiPT5_PiiiibdPKfPKS9_SF_
	.globl	_ZN4vllm3moe22topkGatingSoftplusSqrtILi10ELi320ELi4ELi2ELi32ELb0El14__hip_bfloat16EEvPKT6_PKbPfiPT5_PiiiibdPKfPKS9_SF_
	.p2align	8
	.type	_ZN4vllm3moe22topkGatingSoftplusSqrtILi10ELi320ELi4ELi2ELi32ELb0El14__hip_bfloat16EEvPKT6_PKbPfiPT5_PiiiibdPKfPKS9_SF_,@function
_ZN4vllm3moe22topkGatingSoftplusSqrtILi10ELi320ELi4ELi2ELi32ELb0El14__hip_bfloat16EEvPKT6_PKbPfiPT5_PiiiibdPKfPKS9_SF_: ; @_ZN4vllm3moe22topkGatingSoftplusSqrtILi10ELi320ELi4ELi2ELi32ELb0El14__hip_bfloat16EEvPKT6_PKbPfiPT5_PiiiibdPKfPKS9_SF_
; %bb.0:
	s_load_dword s30, s[0:1], 0x18
	v_and_b32_e32 v1, 0x3ff, v0
	s_lshl_b32 s2, s2, 2
	v_lshrrev_b32_e32 v2, 5, v1
	v_bfe_u32 v0, v0, 10, 10
	v_add3_u32 v10, s2, v0, v2
	s_waitcnt lgkmcnt(0)
	v_cmp_gt_i32_e32 vcc, s30, v10
	s_and_saveexec_b64 s[2:3], vcc
	s_cbranch_execz .LBB527_65
; %bb.1:
	s_load_dwordx4 s[4:7], s[0:1], 0x0
	s_load_dwordx2 s[20:21], s[0:1], 0x10
	s_waitcnt lgkmcnt(0)
	s_cmp_eq_u64 s[6:7], 0
	s_cbranch_scc1 .LBB527_3
; %bb.2:
	v_ashrrev_i32_e32 v11, 31, v10
	v_lshl_add_u64 v[2:3], s[6:7], 0, v[10:11]
	global_load_ubyte v0, v[2:3], off
	s_waitcnt vmcnt(0)
	v_and_b32_e32 v0, 1, v0
	v_cmp_eq_u32_e32 vcc, 1, v0
	s_xor_b64 s[2:3], vcc, -1
	s_orn2_b64 s[22:23], s[2:3], exec
	s_branch .LBB527_4
.LBB527_3:
	s_mov_b64 s[22:23], -1
.LBB527_4:
	s_movk_i32 s2, 0x140
	v_mul_lo_u32 v4, v10, s2
	v_mov_b32_e32 v2, s4
	v_mov_b32_e32 v3, s5
	v_ashrrev_i32_e32 v5, 31, v4
	v_and_b32_e32 v12, 31, v1
	v_lshl_add_u64 v[2:3], v[4:5], 1, v[2:3]
	v_mov_b32_e32 v1, 0
	v_lshlrev_b32_e32 v0, 1, v12
	v_lshl_add_u64 v[14:15], v[2:3], 0, v[0:1]
	global_load_ushort v0, v[14:15], off
	global_load_ushort v1, v[14:15], off offset:64
	global_load_ushort v2, v[14:15], off offset:128
	;; [unrolled: 1-line block ×9, first 2 shown]
	s_mov_b32 s16, 0x800000
	v_mov_b32_e32 v14, 0x4f800000
	s_mov_b32 s13, 0x3f317217
	s_mov_b32 s14, 0x7f800000
	v_mov_b32_e32 v15, 0x41b17218
	s_mov_b32 s12, 0x41a00000
	s_mov_b32 s15, 0xf800000
	s_load_dwordx4 s[8:11], s[0:1], 0x40
	s_waitcnt lgkmcnt(0)
	s_cmp_lg_u64 s[10:11], 0
	s_cselect_b64 s[6:7], -1, 0
	s_and_b64 s[2:3], exec, s[6:7]
	s_waitcnt vmcnt(9)
	v_lshlrev_b32_e32 v0, 16, v0
	v_mul_f32_e32 v11, 0x3fb8aa3b, v0
	v_exp_f32_e32 v11, v11
	s_nop 0
	v_add_f32_e32 v11, 1.0, v11
	v_cmp_gt_f32_e32 vcc, s16, v11
	s_nop 1
	v_cndmask_b32_e32 v13, 1.0, v14, vcc
	v_mul_f32_e32 v11, v11, v13
	v_log_f32_e32 v16, v11
	v_cndmask_b32_e32 v17, 0, v15, vcc
	v_mov_b32_e32 v13, 0x260
	v_lshlrev_b32_e32 v11, 2, v12
	v_mul_f32_e32 v18, 0x3f317217, v16
	v_fma_f32 v18, v16, s13, -v18
	v_fmac_f32_e32 v18, 0x3377d1cf, v16
	v_fmac_f32_e32 v18, 0x3f317217, v16
	v_cmp_lt_f32_e64 vcc, |v16|, s14
	s_nop 1
	v_cndmask_b32_e32 v16, v16, v18, vcc
	v_sub_f32_e32 v16, v16, v17
	v_cmp_lt_f32_e32 vcc, s12, v0
	s_nop 1
	v_cndmask_b32_e32 v0, v16, v0, vcc
	v_mul_f32_e32 v16, 0x4f800000, v0
	v_cmp_gt_f32_e32 vcc, s15, v0
	s_nop 1
	v_cndmask_b32_e32 v0, v0, v16, vcc
	v_sqrt_f32_e32 v16, v0
	s_nop 0
	v_add_u32_e32 v17, -1, v16
	v_add_u32_e32 v18, 1, v16
	v_fma_f32 v19, -v17, v16, v0
	v_fma_f32 v20, -v18, v16, v0
	v_cmp_ge_f32_e64 s[4:5], 0, v19
	s_nop 1
	v_cndmask_b32_e64 v16, v16, v17, s[4:5]
	v_cmp_lt_f32_e64 s[4:5], 0, v20
	s_nop 1
	v_cndmask_b32_e64 v16, v16, v18, s[4:5]
	v_mul_f32_e32 v17, 0x37800000, v16
	v_cndmask_b32_e32 v16, v16, v17, vcc
	v_cmp_class_f32_e32 vcc, v0, v13
	s_nop 1
	v_cndmask_b32_e32 v0, v16, v0, vcc
	s_mov_b64 vcc, s[2:3]
	s_cbranch_vccz .LBB527_6
; %bb.5:
	global_load_dword v16, v11, s[10:11]
	s_waitcnt vmcnt(0)
	v_add_f32_e32 v0, v0, v16
.LBB527_6:
	s_waitcnt vmcnt(8)
	v_lshlrev_b32_e32 v1, 16, v1
	v_mul_f32_e32 v16, 0x3fb8aa3b, v1
	v_exp_f32_e32 v16, v16
	s_nop 0
	v_add_f32_e32 v16, 1.0, v16
	v_cmp_gt_f32_e32 vcc, s16, v16
	s_nop 1
	v_cndmask_b32_e32 v14, 1.0, v14, vcc
	v_mul_f32_e32 v14, v16, v14
	v_log_f32_e32 v14, v14
	v_cndmask_b32_e32 v15, 0, v15, vcc
	v_mul_f32_e32 v16, 0x3f317217, v14
	v_fma_f32 v16, v14, s13, -v16
	v_fmac_f32_e32 v16, 0x3377d1cf, v14
	v_fmac_f32_e32 v16, 0x3f317217, v14
	v_cmp_lt_f32_e64 vcc, |v14|, s14
	s_nop 1
	v_cndmask_b32_e32 v14, v14, v16, vcc
	v_sub_f32_e32 v14, v14, v15
	v_cmp_lt_f32_e32 vcc, s12, v1
	s_nop 1
	v_cndmask_b32_e32 v1, v14, v1, vcc
	v_mul_f32_e32 v14, 0x4f800000, v1
	v_cmp_gt_f32_e32 vcc, s15, v1
	s_nop 1
	v_cndmask_b32_e32 v1, v1, v14, vcc
	v_sqrt_f32_e32 v14, v1
	v_cmp_class_f32_e64 s[4:5], v1, v13
	v_add_u32_e32 v15, -1, v14
	v_add_u32_e32 v16, 1, v14
	v_fma_f32 v17, -v15, v14, v1
	v_fma_f32 v18, -v16, v14, v1
	v_cmp_ge_f32_e64 s[2:3], 0, v17
	s_nop 1
	v_cndmask_b32_e64 v14, v14, v15, s[2:3]
	v_cmp_lt_f32_e64 s[2:3], 0, v18
	s_nop 1
	v_cndmask_b32_e64 v14, v14, v16, s[2:3]
	v_mul_f32_e32 v15, 0x37800000, v14
	v_cndmask_b32_e32 v14, v14, v15, vcc
	v_cndmask_b32_e64 v15, 0, 1, s[6:7]
	v_cmp_ne_u32_e64 s[2:3], 1, v15
	s_andn2_b64 vcc, exec, s[6:7]
	v_cndmask_b32_e64 v1, v14, v1, s[4:5]
	s_cbranch_vccnz .LBB527_8
; %bb.7:
	global_load_dword v13, v11, s[10:11] offset:128
	s_waitcnt vmcnt(0)
	v_add_f32_e32 v1, v1, v13
.LBB527_8:
	s_waitcnt vmcnt(7)
	v_lshlrev_b32_e32 v2, 16, v2
	v_mul_f32_e32 v13, 0x3fb8aa3b, v2
	v_exp_f32_e32 v13, v13
	s_mov_b32 s14, 0x800000
	v_mov_b32_e32 v14, 0x4f800000
	s_mov_b32 s7, 0x3f317217
	v_add_f32_e32 v13, 1.0, v13
	v_cmp_gt_f32_e32 vcc, s14, v13
	s_mov_b32 s12, 0x7f800000
	s_mov_b32 s6, 0x41a00000
	v_cndmask_b32_e32 v15, 1.0, v14, vcc
	v_mul_f32_e32 v13, v13, v15
	v_log_f32_e32 v13, v13
	s_mov_b32 s13, 0xf800000
	v_mul_f32_e32 v15, 0x3f317217, v13
	v_fma_f32 v15, v13, s7, -v15
	v_fmac_f32_e32 v15, 0x3377d1cf, v13
	v_fmac_f32_e32 v15, 0x3f317217, v13
	v_cmp_lt_f32_e64 s[4:5], |v13|, s12
	s_nop 1
	v_cndmask_b32_e64 v13, v13, v15, s[4:5]
	v_mov_b32_e32 v15, 0x41b17218
	v_cndmask_b32_e32 v16, 0, v15, vcc
	v_sub_f32_e32 v13, v13, v16
	v_cmp_lt_f32_e32 vcc, s6, v2
	s_nop 1
	v_cndmask_b32_e32 v2, v13, v2, vcc
	v_mul_f32_e32 v13, 0x4f800000, v2
	v_cmp_gt_f32_e32 vcc, s13, v2
	s_nop 1
	v_cndmask_b32_e32 v2, v2, v13, vcc
	v_sqrt_f32_e32 v13, v2
	s_nop 0
	v_add_u32_e32 v16, -1, v13
	v_fma_f32 v17, -v16, v13, v2
	v_cmp_ge_f32_e64 s[4:5], 0, v17
	v_add_u32_e32 v17, 1, v13
	s_nop 0
	v_cndmask_b32_e64 v16, v13, v16, s[4:5]
	v_fma_f32 v13, -v17, v13, v2
	v_cmp_lt_f32_e64 s[4:5], 0, v13
	s_nop 1
	v_cndmask_b32_e64 v13, v16, v17, s[4:5]
	v_mul_f32_e32 v16, 0x37800000, v13
	v_cndmask_b32_e32 v16, v13, v16, vcc
	v_mov_b32_e32 v13, 0x260
	v_cmp_class_f32_e64 s[4:5], v2, v13
	s_and_b64 vcc, exec, s[2:3]
	s_nop 0
	v_cndmask_b32_e64 v2, v16, v2, s[4:5]
	s_cbranch_vccnz .LBB527_10
; %bb.9:
	global_load_dword v16, v11, s[10:11] offset:256
	s_waitcnt vmcnt(0)
	v_add_f32_e32 v2, v2, v16
.LBB527_10:
	s_waitcnt vmcnt(6)
	v_lshlrev_b32_e32 v3, 16, v3
	v_mul_f32_e32 v16, 0x3fb8aa3b, v3
	v_exp_f32_e32 v16, v16
	s_nop 0
	v_add_f32_e32 v16, 1.0, v16
	v_cmp_gt_f32_e32 vcc, s14, v16
	s_nop 1
	v_cndmask_b32_e32 v14, 1.0, v14, vcc
	v_mul_f32_e32 v14, v16, v14
	v_log_f32_e32 v14, v14
	v_cndmask_b32_e32 v15, 0, v15, vcc
	v_mul_f32_e32 v16, 0x3f317217, v14
	v_fma_f32 v16, v14, s7, -v16
	v_fmac_f32_e32 v16, 0x3377d1cf, v14
	v_fmac_f32_e32 v16, 0x3f317217, v14
	v_cmp_lt_f32_e64 vcc, |v14|, s12
	s_nop 1
	v_cndmask_b32_e32 v14, v14, v16, vcc
	v_sub_f32_e32 v14, v14, v15
	v_cmp_lt_f32_e32 vcc, s6, v3
	s_nop 1
	v_cndmask_b32_e32 v3, v14, v3, vcc
	v_mul_f32_e32 v14, 0x4f800000, v3
	v_cmp_gt_f32_e32 vcc, s13, v3
	s_nop 1
	v_cndmask_b32_e32 v3, v3, v14, vcc
	v_sqrt_f32_e32 v14, v3
	s_nop 0
	v_add_u32_e32 v15, -1, v14
	v_add_u32_e32 v16, 1, v14
	v_fma_f32 v17, -v15, v14, v3
	v_fma_f32 v18, -v16, v14, v3
	v_cmp_ge_f32_e64 s[4:5], 0, v17
	s_nop 1
	v_cndmask_b32_e64 v14, v14, v15, s[4:5]
	v_cmp_lt_f32_e64 s[4:5], 0, v18
	s_nop 1
	v_cndmask_b32_e64 v14, v14, v16, s[4:5]
	v_mul_f32_e32 v15, 0x37800000, v14
	v_cndmask_b32_e32 v14, v14, v15, vcc
	v_cmp_class_f32_e64 s[4:5], v3, v13
	s_and_b64 vcc, exec, s[2:3]
	s_nop 0
	v_cndmask_b32_e64 v3, v14, v3, s[4:5]
	s_cbranch_vccnz .LBB527_12
; %bb.11:
	global_load_dword v13, v11, s[10:11] offset:384
	s_waitcnt vmcnt(0)
	v_add_f32_e32 v3, v3, v13
.LBB527_12:
	s_waitcnt vmcnt(5)
	v_lshlrev_b32_e32 v4, 16, v4
	v_mul_f32_e32 v13, 0x3fb8aa3b, v4
	v_exp_f32_e32 v13, v13
	v_mov_b32_e32 v14, 0x4f800000
	v_add_f32_e32 v13, 1.0, v13
	v_cmp_gt_f32_e32 vcc, s14, v13
	s_nop 1
	v_cndmask_b32_e32 v15, 1.0, v14, vcc
	v_mul_f32_e32 v13, v13, v15
	v_log_f32_e32 v13, v13
	s_nop 0
	v_mul_f32_e32 v15, 0x3f317217, v13
	v_fma_f32 v15, v13, s7, -v15
	v_fmac_f32_e32 v15, 0x3377d1cf, v13
	v_fmac_f32_e32 v15, 0x3f317217, v13
	v_cmp_lt_f32_e64 s[4:5], |v13|, s12
	s_nop 1
	v_cndmask_b32_e64 v13, v13, v15, s[4:5]
	v_mov_b32_e32 v15, 0x41b17218
	v_cndmask_b32_e32 v16, 0, v15, vcc
	v_sub_f32_e32 v13, v13, v16
	v_cmp_lt_f32_e32 vcc, s6, v4
	s_nop 1
	v_cndmask_b32_e32 v4, v13, v4, vcc
	v_mul_f32_e32 v13, 0x4f800000, v4
	v_cmp_gt_f32_e32 vcc, s13, v4
	s_nop 1
	v_cndmask_b32_e32 v4, v4, v13, vcc
	v_sqrt_f32_e32 v13, v4
	s_nop 0
	v_add_u32_e32 v16, -1, v13
	v_fma_f32 v17, -v16, v13, v4
	v_cmp_ge_f32_e64 s[4:5], 0, v17
	v_add_u32_e32 v17, 1, v13
	s_nop 0
	v_cndmask_b32_e64 v16, v13, v16, s[4:5]
	v_fma_f32 v13, -v17, v13, v4
	v_cmp_lt_f32_e64 s[4:5], 0, v13
	s_nop 1
	v_cndmask_b32_e64 v13, v16, v17, s[4:5]
	v_mul_f32_e32 v16, 0x37800000, v13
	v_cndmask_b32_e32 v16, v13, v16, vcc
	v_mov_b32_e32 v13, 0x260
	v_cmp_class_f32_e64 s[4:5], v4, v13
	s_and_b64 vcc, exec, s[2:3]
	s_nop 0
	v_cndmask_b32_e64 v4, v16, v4, s[4:5]
	s_cbranch_vccnz .LBB527_14
; %bb.13:
	global_load_dword v16, v11, s[10:11] offset:512
	s_waitcnt vmcnt(0)
	v_add_f32_e32 v4, v4, v16
.LBB527_14:
	s_waitcnt vmcnt(4)
	v_lshlrev_b32_e32 v5, 16, v5
	v_mul_f32_e32 v16, 0x3fb8aa3b, v5
	v_exp_f32_e32 v16, v16
	s_nop 0
	v_add_f32_e32 v16, 1.0, v16
	v_cmp_gt_f32_e32 vcc, s14, v16
	s_nop 1
	v_cndmask_b32_e32 v14, 1.0, v14, vcc
	v_mul_f32_e32 v14, v16, v14
	v_log_f32_e32 v14, v14
	v_cndmask_b32_e32 v15, 0, v15, vcc
	v_mul_f32_e32 v16, 0x3f317217, v14
	v_fma_f32 v16, v14, s7, -v16
	v_fmac_f32_e32 v16, 0x3377d1cf, v14
	v_fmac_f32_e32 v16, 0x3f317217, v14
	v_cmp_lt_f32_e64 vcc, |v14|, s12
	s_nop 1
	v_cndmask_b32_e32 v14, v14, v16, vcc
	v_sub_f32_e32 v14, v14, v15
	v_cmp_lt_f32_e32 vcc, s6, v5
	s_nop 1
	v_cndmask_b32_e32 v5, v14, v5, vcc
	v_mul_f32_e32 v14, 0x4f800000, v5
	v_cmp_gt_f32_e32 vcc, s13, v5
	s_nop 1
	v_cndmask_b32_e32 v5, v5, v14, vcc
	v_sqrt_f32_e32 v14, v5
	s_nop 0
	v_add_u32_e32 v15, -1, v14
	v_add_u32_e32 v16, 1, v14
	v_fma_f32 v17, -v15, v14, v5
	v_fma_f32 v18, -v16, v14, v5
	v_cmp_ge_f32_e64 s[4:5], 0, v17
	s_nop 1
	v_cndmask_b32_e64 v14, v14, v15, s[4:5]
	v_cmp_lt_f32_e64 s[4:5], 0, v18
	s_nop 1
	v_cndmask_b32_e64 v14, v14, v16, s[4:5]
	v_mul_f32_e32 v15, 0x37800000, v14
	v_cndmask_b32_e32 v14, v14, v15, vcc
	v_cmp_class_f32_e64 s[4:5], v5, v13
	s_and_b64 vcc, exec, s[2:3]
	s_nop 0
	v_cndmask_b32_e64 v5, v14, v5, s[4:5]
	s_cbranch_vccnz .LBB527_16
; %bb.15:
	global_load_dword v13, v11, s[10:11] offset:640
	s_waitcnt vmcnt(0)
	v_add_f32_e32 v5, v5, v13
.LBB527_16:
	s_waitcnt vmcnt(3)
	v_lshlrev_b32_e32 v6, 16, v6
	v_mul_f32_e32 v13, 0x3fb8aa3b, v6
	v_exp_f32_e32 v13, v13
	v_mov_b32_e32 v14, 0x4f800000
	v_add_f32_e32 v13, 1.0, v13
	v_cmp_gt_f32_e32 vcc, s14, v13
	s_nop 1
	v_cndmask_b32_e32 v15, 1.0, v14, vcc
	v_mul_f32_e32 v13, v13, v15
	v_log_f32_e32 v13, v13
	s_nop 0
	v_mul_f32_e32 v15, 0x3f317217, v13
	v_fma_f32 v15, v13, s7, -v15
	v_fmac_f32_e32 v15, 0x3377d1cf, v13
	v_fmac_f32_e32 v15, 0x3f317217, v13
	v_cmp_lt_f32_e64 s[4:5], |v13|, s12
	s_nop 1
	v_cndmask_b32_e64 v13, v13, v15, s[4:5]
	v_mov_b32_e32 v15, 0x41b17218
	v_cndmask_b32_e32 v16, 0, v15, vcc
	v_sub_f32_e32 v13, v13, v16
	v_cmp_lt_f32_e32 vcc, s6, v6
	s_nop 1
	v_cndmask_b32_e32 v6, v13, v6, vcc
	v_mul_f32_e32 v13, 0x4f800000, v6
	v_cmp_gt_f32_e32 vcc, s13, v6
	s_nop 1
	v_cndmask_b32_e32 v6, v6, v13, vcc
	v_sqrt_f32_e32 v13, v6
	s_nop 0
	v_add_u32_e32 v16, -1, v13
	v_fma_f32 v17, -v16, v13, v6
	v_cmp_ge_f32_e64 s[4:5], 0, v17
	v_add_u32_e32 v17, 1, v13
	s_nop 0
	v_cndmask_b32_e64 v16, v13, v16, s[4:5]
	v_fma_f32 v13, -v17, v13, v6
	v_cmp_lt_f32_e64 s[4:5], 0, v13
	s_nop 1
	v_cndmask_b32_e64 v13, v16, v17, s[4:5]
	v_mul_f32_e32 v16, 0x37800000, v13
	v_cndmask_b32_e32 v16, v13, v16, vcc
	v_mov_b32_e32 v13, 0x260
	v_cmp_class_f32_e64 s[4:5], v6, v13
	s_and_b64 vcc, exec, s[2:3]
	s_nop 0
	v_cndmask_b32_e64 v6, v16, v6, s[4:5]
	s_cbranch_vccnz .LBB527_18
; %bb.17:
	global_load_dword v16, v11, s[10:11] offset:768
	s_waitcnt vmcnt(0)
	v_add_f32_e32 v6, v6, v16
.LBB527_18:
	s_waitcnt vmcnt(2)
	v_lshlrev_b32_e32 v7, 16, v7
	v_mul_f32_e32 v16, 0x3fb8aa3b, v7
	v_exp_f32_e32 v16, v16
	s_nop 0
	v_add_f32_e32 v16, 1.0, v16
	v_cmp_gt_f32_e32 vcc, s14, v16
	s_nop 1
	v_cndmask_b32_e32 v14, 1.0, v14, vcc
	v_mul_f32_e32 v14, v16, v14
	v_log_f32_e32 v14, v14
	v_cndmask_b32_e32 v15, 0, v15, vcc
	v_mul_f32_e32 v16, 0x3f317217, v14
	v_fma_f32 v16, v14, s7, -v16
	v_fmac_f32_e32 v16, 0x3377d1cf, v14
	v_fmac_f32_e32 v16, 0x3f317217, v14
	v_cmp_lt_f32_e64 vcc, |v14|, s12
	s_nop 1
	v_cndmask_b32_e32 v14, v14, v16, vcc
	v_sub_f32_e32 v14, v14, v15
	v_cmp_lt_f32_e32 vcc, s6, v7
	s_nop 1
	v_cndmask_b32_e32 v7, v14, v7, vcc
	v_mul_f32_e32 v14, 0x4f800000, v7
	v_cmp_gt_f32_e32 vcc, s13, v7
	s_nop 1
	v_cndmask_b32_e32 v7, v7, v14, vcc
	v_sqrt_f32_e32 v14, v7
	s_nop 0
	v_add_u32_e32 v15, -1, v14
	v_add_u32_e32 v16, 1, v14
	v_fma_f32 v17, -v15, v14, v7
	v_fma_f32 v18, -v16, v14, v7
	v_cmp_ge_f32_e64 s[4:5], 0, v17
	s_nop 1
	v_cndmask_b32_e64 v14, v14, v15, s[4:5]
	v_cmp_lt_f32_e64 s[4:5], 0, v18
	s_nop 1
	v_cndmask_b32_e64 v14, v14, v16, s[4:5]
	v_mul_f32_e32 v15, 0x37800000, v14
	v_cndmask_b32_e32 v14, v14, v15, vcc
	v_cmp_class_f32_e64 s[4:5], v7, v13
	s_and_b64 vcc, exec, s[2:3]
	s_nop 0
	v_cndmask_b32_e64 v7, v14, v7, s[4:5]
	s_cbranch_vccnz .LBB527_20
; %bb.19:
	global_load_dword v13, v11, s[10:11] offset:896
	s_waitcnt vmcnt(0)
	v_add_f32_e32 v7, v7, v13
.LBB527_20:
	s_waitcnt vmcnt(1)
	v_lshlrev_b32_e32 v8, 16, v8
	v_mul_f32_e32 v13, 0x3fb8aa3b, v8
	v_exp_f32_e32 v13, v13
	v_mov_b32_e32 v14, 0x4f800000
	v_add_f32_e32 v13, 1.0, v13
	v_cmp_gt_f32_e32 vcc, s14, v13
	s_nop 1
	v_cndmask_b32_e32 v15, 1.0, v14, vcc
	v_mul_f32_e32 v13, v13, v15
	v_log_f32_e32 v13, v13
	s_nop 0
	v_mul_f32_e32 v15, 0x3f317217, v13
	v_fma_f32 v15, v13, s7, -v15
	v_fmac_f32_e32 v15, 0x3377d1cf, v13
	v_fmac_f32_e32 v15, 0x3f317217, v13
	v_cmp_lt_f32_e64 s[4:5], |v13|, s12
	s_nop 1
	v_cndmask_b32_e64 v13, v13, v15, s[4:5]
	v_mov_b32_e32 v15, 0x41b17218
	v_cndmask_b32_e32 v16, 0, v15, vcc
	v_sub_f32_e32 v13, v13, v16
	v_cmp_lt_f32_e32 vcc, s6, v8
	s_nop 1
	v_cndmask_b32_e32 v8, v13, v8, vcc
	v_mul_f32_e32 v13, 0x4f800000, v8
	v_cmp_gt_f32_e32 vcc, s13, v8
	s_nop 1
	v_cndmask_b32_e32 v8, v8, v13, vcc
	v_sqrt_f32_e32 v13, v8
	s_nop 0
	v_add_u32_e32 v16, -1, v13
	v_fma_f32 v17, -v16, v13, v8
	v_cmp_ge_f32_e64 s[4:5], 0, v17
	v_add_u32_e32 v17, 1, v13
	s_nop 0
	v_cndmask_b32_e64 v16, v13, v16, s[4:5]
	v_fma_f32 v13, -v17, v13, v8
	v_cmp_lt_f32_e64 s[4:5], 0, v13
	s_nop 1
	v_cndmask_b32_e64 v13, v16, v17, s[4:5]
	v_mul_f32_e32 v16, 0x37800000, v13
	v_cndmask_b32_e32 v16, v13, v16, vcc
	v_mov_b32_e32 v13, 0x260
	v_cmp_class_f32_e64 s[4:5], v8, v13
	s_and_b64 vcc, exec, s[2:3]
	s_nop 0
	v_cndmask_b32_e64 v8, v16, v8, s[4:5]
	s_cbranch_vccnz .LBB527_22
; %bb.21:
	global_load_dword v16, v11, s[10:11] offset:1024
	s_waitcnt vmcnt(0)
	v_add_f32_e32 v8, v8, v16
.LBB527_22:
	s_waitcnt vmcnt(0)
	v_lshlrev_b32_e32 v9, 16, v9
	v_mul_f32_e32 v16, 0x3fb8aa3b, v9
	v_exp_f32_e32 v16, v16
	s_nop 0
	v_add_f32_e32 v16, 1.0, v16
	v_cmp_gt_f32_e32 vcc, s14, v16
	s_nop 1
	v_cndmask_b32_e32 v14, 1.0, v14, vcc
	v_mul_f32_e32 v14, v16, v14
	v_log_f32_e32 v14, v14
	v_cndmask_b32_e32 v15, 0, v15, vcc
	v_mul_f32_e32 v16, 0x3f317217, v14
	v_fma_f32 v16, v14, s7, -v16
	v_fmac_f32_e32 v16, 0x3377d1cf, v14
	v_fmac_f32_e32 v16, 0x3f317217, v14
	v_cmp_lt_f32_e64 vcc, |v14|, s12
	s_nop 1
	v_cndmask_b32_e32 v14, v14, v16, vcc
	v_sub_f32_e32 v14, v14, v15
	v_cmp_lt_f32_e32 vcc, s6, v9
	s_nop 1
	v_cndmask_b32_e32 v9, v14, v9, vcc
	v_mul_f32_e32 v14, 0x4f800000, v9
	v_cmp_gt_f32_e32 vcc, s13, v9
	s_nop 1
	v_cndmask_b32_e32 v9, v9, v14, vcc
	v_sqrt_f32_e32 v14, v9
	s_nop 0
	v_add_u32_e32 v15, -1, v14
	v_add_u32_e32 v16, 1, v14
	v_fma_f32 v17, -v15, v14, v9
	v_fma_f32 v18, -v16, v14, v9
	v_cmp_ge_f32_e64 s[4:5], 0, v17
	s_nop 1
	v_cndmask_b32_e64 v14, v14, v15, s[4:5]
	v_cmp_lt_f32_e64 s[4:5], 0, v18
	s_nop 1
	v_cndmask_b32_e64 v14, v14, v16, s[4:5]
	v_mul_f32_e32 v15, 0x37800000, v14
	v_cndmask_b32_e32 v14, v14, v15, vcc
	v_cmp_class_f32_e64 s[4:5], v9, v13
	s_and_b64 vcc, exec, s[2:3]
	s_nop 0
	v_cndmask_b32_e64 v9, v14, v9, s[4:5]
	s_cbranch_vccnz .LBB527_24
; %bb.23:
	global_load_dword v11, v11, s[10:11] offset:1152
	s_waitcnt vmcnt(0)
	v_add_f32_e32 v9, v9, v11
.LBB527_24:
	s_load_dwordx4 s[12:15], s[0:1], 0x30
	s_mov_b32 s31, 0
	v_cmp_eq_u32_e64 s[6:7], 0, v12
	s_waitcnt lgkmcnt(0)
	s_bitcmp1_b32 s15, 0
	s_cselect_b64 s[4:5], -1, 0
	s_cmp_gt_i32 s12, 0
	s_cselect_b64 s[24:25], -1, 0
	s_and_b64 vcc, exec, s[24:25]
	s_cbranch_vccz .LBB527_51
; %bb.25:
	v_mbcnt_lo_u32_b32 v11, -1, 0
	v_mbcnt_hi_u32_b32 v14, -1, v11
	v_and_b32_e32 v11, 0x60, v14
	v_add_u32_e32 v15, 32, v11
	v_xor_b32_e32 v16, 16, v14
	v_cmp_lt_i32_e32 vcc, v16, v15
	s_load_dwordx4 s[16:19], s[0:1], 0x20
	v_mul_lo_u32 v11, v10, s12
	v_cndmask_b32_e32 v16, v14, v16, vcc
	v_lshlrev_b32_e32 v25, 2, v16
	v_xor_b32_e32 v16, 8, v14
	v_cmp_lt_i32_e32 vcc, v16, v15
	v_or_b32_e32 v13, 32, v12
	v_or_b32_e32 v17, 64, v12
	v_cndmask_b32_e32 v16, v14, v16, vcc
	v_lshlrev_b32_e32 v26, 2, v16
	v_xor_b32_e32 v16, 4, v14
	v_cmp_lt_i32_e32 vcc, v16, v15
	v_or_b32_e32 v18, 0x60, v12
	v_or_b32_e32 v19, 0x80, v12
	v_cndmask_b32_e32 v16, v14, v16, vcc
	v_lshlrev_b32_e32 v27, 2, v16
	v_xor_b32_e32 v16, 2, v14
	v_cmp_lt_i32_e32 vcc, v16, v15
	v_or_b32_e32 v20, 0xa0, v12
	v_or_b32_e32 v21, 0xc0, v12
	v_cndmask_b32_e32 v16, v14, v16, vcc
	v_lshlrev_b32_e32 v28, 2, v16
	v_xor_b32_e32 v16, 1, v14
	v_cmp_lt_i32_e32 vcc, v16, v15
	v_or_b32_e32 v22, 0xe0, v12
	v_or_b32_e32 v23, 0x100, v12
	v_cndmask_b32_e32 v14, v14, v16, vcc
	v_or_b32_e32 v24, 0x120, v12
	v_lshlrev_b32_e32 v29, 2, v14
	v_mov_b32_e32 v16, 0
	v_mov_b32_e32 v30, 0x140
	v_mov_b32_e32 v31, 0xc61c4000
	v_mov_b32_e32 v32, v10
	s_branch .LBB527_28
.LBB527_26:                             ;   in Loop: Header=BB527_28 Depth=1
	s_waitcnt lgkmcnt(0)
	v_add_u32_e32 v34, s31, v11
	v_ashrrev_i32_e32 v35, 31, v34
	v_cmp_le_i32_e32 vcc, s13, v14
	v_cmp_gt_i32_e64 s[0:1], s14, v14
	v_lshlrev_b64 v[36:37], 2, v[34:35]
	s_and_b64 s[0:1], vcc, s[0:1]
	v_lshl_add_u64 v[38:39], s[20:21], 0, v[36:37]
	v_subrev_u32_e32 v15, s13, v14
	global_store_dword v[38:39], v33, off
	v_ashrrev_i32_e32 v38, 31, v15
	s_and_b64 vcc, s[22:23], s[0:1]
	v_cndmask_b32_e32 v39, 0, v38, vcc
	v_cndmask_b32_e32 v38, v30, v15, vcc
	v_lshl_add_u64 v[34:35], v[34:35], 3, s[16:17]
	v_add_f32_e32 v15, v16, v33
	global_store_dwordx2 v[34:35], v[38:39], off
	v_lshl_add_u64 v[34:35], s[18:19], 0, v[36:37]
	v_cndmask_b32_e64 v16, v16, v15, s[4:5]
	global_store_dword v[34:35], v32, off
.LBB527_27:                             ;   in Loop: Header=BB527_28 Depth=1
	s_or_b64 exec, exec, s[26:27]
	v_ashrrev_i32_e32 v15, 31, v14
	v_lshrrev_b32_e32 v15, 27, v15
	v_add_u32_e32 v15, v14, v15
	v_and_b32_e32 v33, 0xffffffe0, v15
	v_sub_u32_e32 v14, v14, v33
	s_add_i32 s31, s31, 1
	v_cmp_eq_u32_e32 vcc, v12, v14
	s_cmp_lt_i32 s31, s12
	v_ashrrev_i32_e32 v14, 5, v15
	s_cselect_b64 s[26:27], -1, 0
	v_cmp_ne_u32_e64 s[0:1], 9, v14
	s_and_b64 vcc, s[26:27], vcc
	s_cmp_eq_u32 s12, s31
	v_cndmask_b32_e64 v15, v31, v9, s[0:1]
	v_cmp_ne_u32_e64 s[0:1], 8, v14
	v_cndmask_b32_e32 v9, v9, v15, vcc
	v_add_u32_e32 v32, s30, v32
	v_cndmask_b32_e64 v15, v31, v8, s[0:1]
	v_cmp_ne_u32_e64 s[0:1], 7, v14
	v_cndmask_b32_e32 v8, v8, v15, vcc
	s_nop 0
	v_cndmask_b32_e64 v15, v31, v7, s[0:1]
	v_cmp_ne_u32_e64 s[0:1], 6, v14
	v_cndmask_b32_e32 v7, v7, v15, vcc
	s_nop 0
	;; [unrolled: 4-line block ×8, first 2 shown]
	v_cndmask_b32_e64 v14, v31, v0, s[0:1]
	v_cndmask_b32_e32 v0, v0, v14, vcc
	s_cbranch_scc1 .LBB527_52
.LBB527_28:                             ; =>This Inner Loop Header: Depth=1
	v_cmp_gt_f32_e32 vcc, v1, v0
	s_nop 1
	v_cndmask_b32_e32 v15, v0, v1, vcc
	v_cndmask_b32_e32 v14, v12, v13, vcc
	v_cmp_gt_f32_e32 vcc, v2, v15
	s_nop 1
	v_cndmask_b32_e32 v15, v15, v2, vcc
	v_cndmask_b32_e32 v14, v14, v17, vcc
	;; [unrolled: 4-line block ×9, first 2 shown]
	ds_bpermute_b32 v15, v25, v33
	s_waitcnt lgkmcnt(0)
	ds_bpermute_b32 v34, v25, v14
	s_waitcnt lgkmcnt(0)
	v_cmp_lt_f32_e64 s[26:27], v33, v15
	v_cmp_nlt_f32_e32 vcc, v33, v15
	s_and_saveexec_b64 s[28:29], vcc
; %bb.29:                               ;   in Loop: Header=BB527_28 Depth=1
	v_cmp_eq_f32_e32 vcc, v33, v15
	v_cmp_lt_i32_e64 s[0:1], v34, v14
	s_and_b64 s[0:1], vcc, s[0:1]
	s_andn2_b64 s[26:27], s[26:27], exec
	s_and_b64 s[0:1], s[0:1], exec
	s_or_b64 s[26:27], s[26:27], s[0:1]
; %bb.30:                               ;   in Loop: Header=BB527_28 Depth=1
	s_or_b64 exec, exec, s[28:29]
	s_and_saveexec_b64 s[0:1], s[26:27]
; %bb.31:                               ;   in Loop: Header=BB527_28 Depth=1
	v_mov_b32_e32 v33, v15
	v_mov_b32_e32 v14, v34
; %bb.32:                               ;   in Loop: Header=BB527_28 Depth=1
	s_or_b64 exec, exec, s[0:1]
	ds_bpermute_b32 v15, v26, v33
	ds_bpermute_b32 v34, v26, v14
	s_waitcnt lgkmcnt(1)
	v_cmp_lt_f32_e64 s[26:27], v33, v15
	v_cmp_nlt_f32_e32 vcc, v33, v15
	s_and_saveexec_b64 s[28:29], vcc
	s_cbranch_execz .LBB527_34
; %bb.33:                               ;   in Loop: Header=BB527_28 Depth=1
	v_cmp_eq_f32_e32 vcc, v33, v15
	s_waitcnt lgkmcnt(0)
	v_cmp_lt_i32_e64 s[0:1], v34, v14
	s_and_b64 s[0:1], vcc, s[0:1]
	s_andn2_b64 s[26:27], s[26:27], exec
	s_and_b64 s[0:1], s[0:1], exec
	s_or_b64 s[26:27], s[26:27], s[0:1]
.LBB527_34:                             ;   in Loop: Header=BB527_28 Depth=1
	s_or_b64 exec, exec, s[28:29]
	s_and_saveexec_b64 s[0:1], s[26:27]
	s_cbranch_execz .LBB527_36
; %bb.35:                               ;   in Loop: Header=BB527_28 Depth=1
	v_mov_b32_e32 v33, v15
	s_waitcnt lgkmcnt(0)
	v_mov_b32_e32 v14, v34
.LBB527_36:                             ;   in Loop: Header=BB527_28 Depth=1
	s_or_b64 exec, exec, s[0:1]
	ds_bpermute_b32 v15, v27, v33
	s_waitcnt lgkmcnt(1)
	ds_bpermute_b32 v34, v27, v14
	s_waitcnt lgkmcnt(1)
	v_cmp_lt_f32_e64 s[26:27], v33, v15
	v_cmp_nlt_f32_e32 vcc, v33, v15
	s_and_saveexec_b64 s[28:29], vcc
	s_cbranch_execz .LBB527_38
; %bb.37:                               ;   in Loop: Header=BB527_28 Depth=1
	v_cmp_eq_f32_e32 vcc, v33, v15
	s_waitcnt lgkmcnt(0)
	v_cmp_lt_i32_e64 s[0:1], v34, v14
	s_and_b64 s[0:1], vcc, s[0:1]
	s_andn2_b64 s[26:27], s[26:27], exec
	s_and_b64 s[0:1], s[0:1], exec
	s_or_b64 s[26:27], s[26:27], s[0:1]
.LBB527_38:                             ;   in Loop: Header=BB527_28 Depth=1
	s_or_b64 exec, exec, s[28:29]
	s_and_saveexec_b64 s[0:1], s[26:27]
	s_cbranch_execz .LBB527_40
; %bb.39:                               ;   in Loop: Header=BB527_28 Depth=1
	v_mov_b32_e32 v33, v15
	s_waitcnt lgkmcnt(0)
	v_mov_b32_e32 v14, v34
.LBB527_40:                             ;   in Loop: Header=BB527_28 Depth=1
	s_or_b64 exec, exec, s[0:1]
	ds_bpermute_b32 v15, v28, v33
	s_waitcnt lgkmcnt(1)
	;; [unrolled: 26-line block ×3, first 2 shown]
	ds_bpermute_b32 v34, v29, v14
	s_waitcnt lgkmcnt(1)
	v_cmp_lt_f32_e64 s[26:27], v33, v15
	v_cmp_nlt_f32_e32 vcc, v33, v15
	s_and_saveexec_b64 s[28:29], vcc
	s_cbranch_execnz .LBB527_47
; %bb.45:                               ;   in Loop: Header=BB527_28 Depth=1
	s_or_b64 exec, exec, s[28:29]
	s_and_saveexec_b64 s[0:1], s[26:27]
	s_cbranch_execnz .LBB527_48
.LBB527_46:                             ;   in Loop: Header=BB527_28 Depth=1
	s_or_b64 exec, exec, s[0:1]
	s_and_saveexec_b64 s[26:27], s[6:7]
	s_cbranch_execz .LBB527_27
	s_branch .LBB527_49
.LBB527_47:                             ;   in Loop: Header=BB527_28 Depth=1
	v_cmp_eq_f32_e32 vcc, v33, v15
	s_waitcnt lgkmcnt(0)
	v_cmp_lt_i32_e64 s[0:1], v34, v14
	s_and_b64 s[0:1], vcc, s[0:1]
	s_andn2_b64 s[26:27], s[26:27], exec
	s_and_b64 s[0:1], s[0:1], exec
	s_or_b64 s[26:27], s[26:27], s[0:1]
	s_or_b64 exec, exec, s[28:29]
	s_and_saveexec_b64 s[0:1], s[26:27]
	s_cbranch_execz .LBB527_46
.LBB527_48:                             ;   in Loop: Header=BB527_28 Depth=1
	s_waitcnt lgkmcnt(0)
	v_mov_b32_e32 v14, v34
	v_mov_b32_e32 v33, v15
	s_or_b64 exec, exec, s[0:1]
	s_and_saveexec_b64 s[26:27], s[6:7]
	s_cbranch_execz .LBB527_27
.LBB527_49:                             ;   in Loop: Header=BB527_28 Depth=1
	s_and_b64 vcc, exec, s[2:3]
	s_cbranch_vccnz .LBB527_26
; %bb.50:                               ;   in Loop: Header=BB527_28 Depth=1
	v_ashrrev_i32_e32 v15, 31, v14
	s_waitcnt lgkmcnt(0)
	v_lshl_add_u64 v[34:35], v[14:15], 2, s[10:11]
	global_load_dword v15, v[34:35], off
	s_waitcnt vmcnt(0)
	v_sub_f32_e32 v33, v33, v15
	s_branch .LBB527_26
.LBB527_51:
	v_mov_b32_e32 v16, 0
.LBB527_52:
	v_cmp_eq_u32_e32 vcc, 0, v12
	s_and_b64 exec, exec, vcc
	s_cbranch_execz .LBB527_65
; %bb.53:
	s_andn2_b64 vcc, exec, s[4:5]
	v_cvt_f32_f64_e32 v0, s[8:9]
	s_cbranch_vccnz .LBB527_55
; %bb.54:
	v_cmp_lt_f32_e32 vcc, 0, v16
	s_nop 1
	v_cndmask_b32_e32 v1, 1.0, v16, vcc
	v_div_scale_f32 v2, s[0:1], v1, v1, v0
	v_rcp_f32_e32 v3, v2
	s_nop 0
	v_fma_f32 v4, -v2, v3, 1.0
	v_fmac_f32_e32 v3, v4, v3
	v_div_scale_f32 v4, vcc, v0, v1, v0
	v_mul_f32_e32 v5, v4, v3
	v_fma_f32 v6, -v2, v5, v4
	v_fmac_f32_e32 v5, v6, v3
	v_fma_f32 v2, -v2, v5, v4
	v_div_fmas_f32 v2, v2, v3, v5
	v_div_fixup_f32 v0, v2, v1, v0
.LBB527_55:
	s_andn2_b64 vcc, exec, s[24:25]
	s_cbranch_vccnz .LBB527_65
; %bb.56:
	v_mul_lo_u32 v2, v10, s12
	s_cmp_gt_u32 s12, 3
	v_ashrrev_i32_e32 v3, 31, v2
	s_cbranch_scc0 .LBB527_60
; %bb.57:
	s_and_b32 s0, s12, 0x7ffffffc
	v_lshl_add_u64 v[4:5], v[2:3], 2, s[20:21]
	v_mov_b32_e32 v1, v0
	v_lshl_add_u64 v[4:5], v[4:5], 0, 8
	s_mov_b32 s1, s0
.LBB527_58:                             ; =>This Inner Loop Header: Depth=1
	global_load_dwordx4 v[6:9], v[4:5], off offset:-8
	s_add_i32 s1, s1, -4
	s_cmp_lg_u32 s1, 0
	s_waitcnt vmcnt(0)
	v_pk_mul_f32 v[6:7], v[0:1], v[6:7]
	v_pk_mul_f32 v[8:9], v[0:1], v[8:9]
	global_store_dwordx4 v[4:5], v[6:9], off offset:-8
	v_lshl_add_u64 v[4:5], v[4:5], 0, 16
	s_cbranch_scc1 .LBB527_58
; %bb.59:
	s_cmp_lg_u32 s0, s12
	s_cselect_b64 s[2:3], -1, 0
	s_branch .LBB527_62
.LBB527_60:
	s_mov_b64 s[2:3], 0
                                        ; implicit-def: $sgpr0
	s_cbranch_execz .LBB527_62
; %bb.61:
	s_mov_b64 s[2:3], -1
	s_mov_b32 s0, 0
.LBB527_62:
	s_andn2_b64 vcc, exec, s[2:3]
	s_cbranch_vccnz .LBB527_65
; %bb.63:
	s_mov_b32 s1, 0
	v_lshl_add_u64 v[2:3], v[2:3], 0, s[0:1]
	s_sub_i32 s2, s12, s0
	v_lshl_add_u64 v[2:3], v[2:3], 2, s[20:21]
.LBB527_64:                             ; =>This Inner Loop Header: Depth=1
	global_load_dword v1, v[2:3], off
	s_add_i32 s2, s2, -1
	s_cmp_lg_u32 s2, 0
	s_waitcnt vmcnt(0)
	v_mul_f32_e32 v1, v0, v1
	global_store_dword v[2:3], v1, off
	v_lshl_add_u64 v[2:3], v[2:3], 0, 4
	s_cbranch_scc1 .LBB527_64
.LBB527_65:
	s_endpgm
	.section	.rodata,"a",@progbits
	.p2align	6, 0x0
	.amdhsa_kernel _ZN4vllm3moe22topkGatingSoftplusSqrtILi10ELi320ELi4ELi2ELi32ELb0El14__hip_bfloat16EEvPKT6_PKbPfiPT5_PiiiibdPKfPKS9_SF_
		.amdhsa_group_segment_fixed_size 0
		.amdhsa_private_segment_fixed_size 0
		.amdhsa_kernarg_size 96
		.amdhsa_user_sgpr_count 2
		.amdhsa_user_sgpr_dispatch_ptr 0
		.amdhsa_user_sgpr_queue_ptr 0
		.amdhsa_user_sgpr_kernarg_segment_ptr 1
		.amdhsa_user_sgpr_dispatch_id 0
		.amdhsa_user_sgpr_kernarg_preload_length 0
		.amdhsa_user_sgpr_kernarg_preload_offset 0
		.amdhsa_user_sgpr_private_segment_size 0
		.amdhsa_uses_dynamic_stack 0
		.amdhsa_enable_private_segment 0
		.amdhsa_system_sgpr_workgroup_id_x 1
		.amdhsa_system_sgpr_workgroup_id_y 0
		.amdhsa_system_sgpr_workgroup_id_z 0
		.amdhsa_system_sgpr_workgroup_info 0
		.amdhsa_system_vgpr_workitem_id 1
		.amdhsa_next_free_vgpr 40
		.amdhsa_next_free_sgpr 32
		.amdhsa_accum_offset 40
		.amdhsa_reserve_vcc 1
		.amdhsa_float_round_mode_32 0
		.amdhsa_float_round_mode_16_64 0
		.amdhsa_float_denorm_mode_32 3
		.amdhsa_float_denorm_mode_16_64 3
		.amdhsa_dx10_clamp 1
		.amdhsa_ieee_mode 1
		.amdhsa_fp16_overflow 0
		.amdhsa_tg_split 0
		.amdhsa_exception_fp_ieee_invalid_op 0
		.amdhsa_exception_fp_denorm_src 0
		.amdhsa_exception_fp_ieee_div_zero 0
		.amdhsa_exception_fp_ieee_overflow 0
		.amdhsa_exception_fp_ieee_underflow 0
		.amdhsa_exception_fp_ieee_inexact 0
		.amdhsa_exception_int_div_zero 0
	.end_amdhsa_kernel
	.section	.text._ZN4vllm3moe22topkGatingSoftplusSqrtILi10ELi320ELi4ELi2ELi32ELb0El14__hip_bfloat16EEvPKT6_PKbPfiPT5_PiiiibdPKfPKS9_SF_,"axG",@progbits,_ZN4vllm3moe22topkGatingSoftplusSqrtILi10ELi320ELi4ELi2ELi32ELb0El14__hip_bfloat16EEvPKT6_PKbPfiPT5_PiiiibdPKfPKS9_SF_,comdat
.Lfunc_end527:
	.size	_ZN4vllm3moe22topkGatingSoftplusSqrtILi10ELi320ELi4ELi2ELi32ELb0El14__hip_bfloat16EEvPKT6_PKbPfiPT5_PiiiibdPKfPKS9_SF_, .Lfunc_end527-_ZN4vllm3moe22topkGatingSoftplusSqrtILi10ELi320ELi4ELi2ELi32ELb0El14__hip_bfloat16EEvPKT6_PKbPfiPT5_PiiiibdPKfPKS9_SF_
                                        ; -- End function
	.section	.AMDGPU.csdata,"",@progbits
; Kernel info:
; codeLenInByte = 4880
; NumSgprs: 38
; NumVgprs: 40
; NumAgprs: 0
; TotalNumVgprs: 40
; ScratchSize: 0
; MemoryBound: 0
; FloatMode: 240
; IeeeMode: 1
; LDSByteSize: 0 bytes/workgroup (compile time only)
; SGPRBlocks: 4
; VGPRBlocks: 4
; NumSGPRsForWavesPerEU: 38
; NumVGPRsForWavesPerEU: 40
; AccumOffset: 40
; Occupancy: 8
; WaveLimiterHint : 0
; COMPUTE_PGM_RSRC2:SCRATCH_EN: 0
; COMPUTE_PGM_RSRC2:USER_SGPR: 2
; COMPUTE_PGM_RSRC2:TRAP_HANDLER: 0
; COMPUTE_PGM_RSRC2:TGID_X_EN: 1
; COMPUTE_PGM_RSRC2:TGID_Y_EN: 0
; COMPUTE_PGM_RSRC2:TGID_Z_EN: 0
; COMPUTE_PGM_RSRC2:TIDIG_COMP_CNT: 1
; COMPUTE_PGM_RSRC3_GFX90A:ACCUM_OFFSET: 9
; COMPUTE_PGM_RSRC3_GFX90A:TG_SPLIT: 0
	.section	.text._ZN4vllm3moe22topkGatingSoftplusSqrtILi6ELi384ELi4ELi4ELi64ELb1El14__hip_bfloat16EEvPKT6_PKbPfiPT5_PiiiibdPKfPKS9_SF_,"axG",@progbits,_ZN4vllm3moe22topkGatingSoftplusSqrtILi6ELi384ELi4ELi4ELi64ELb1El14__hip_bfloat16EEvPKT6_PKbPfiPT5_PiiiibdPKfPKS9_SF_,comdat
	.protected	_ZN4vllm3moe22topkGatingSoftplusSqrtILi6ELi384ELi4ELi4ELi64ELb1El14__hip_bfloat16EEvPKT6_PKbPfiPT5_PiiiibdPKfPKS9_SF_ ; -- Begin function _ZN4vllm3moe22topkGatingSoftplusSqrtILi6ELi384ELi4ELi4ELi64ELb1El14__hip_bfloat16EEvPKT6_PKbPfiPT5_PiiiibdPKfPKS9_SF_
	.globl	_ZN4vllm3moe22topkGatingSoftplusSqrtILi6ELi384ELi4ELi4ELi64ELb1El14__hip_bfloat16EEvPKT6_PKbPfiPT5_PiiiibdPKfPKS9_SF_
	.p2align	8
	.type	_ZN4vllm3moe22topkGatingSoftplusSqrtILi6ELi384ELi4ELi4ELi64ELb1El14__hip_bfloat16EEvPKT6_PKbPfiPT5_PiiiibdPKfPKS9_SF_,@function
_ZN4vllm3moe22topkGatingSoftplusSqrtILi6ELi384ELi4ELi4ELi64ELb1El14__hip_bfloat16EEvPKT6_PKbPfiPT5_PiiiibdPKfPKS9_SF_: ; @_ZN4vllm3moe22topkGatingSoftplusSqrtILi6ELi384ELi4ELi4ELi64ELb1El14__hip_bfloat16EEvPKT6_PKbPfiPT5_PiiiibdPKfPKS9_SF_
; %bb.0:
	s_load_dword s3, s[0:1], 0x18
	v_and_b32_e32 v1, 0x3ff, v0
	s_lshl_b32 s2, s2, 2
	v_lshrrev_b32_e32 v2, 6, v1
	v_bfe_u32 v0, v0, 10, 10
	v_add3_u32 v0, s2, v0, v2
	s_waitcnt lgkmcnt(0)
	v_cmp_gt_i32_e32 vcc, s3, v0
	s_and_saveexec_b64 s[2:3], vcc
	s_cbranch_execz .LBB528_31
; %bb.1:
	s_load_dwordx4 s[8:11], s[0:1], 0x50
	s_load_dwordx2 s[2:3], s[0:1], 0x0
	s_load_dword s12, s[0:1], 0x30
	s_movk_i32 s4, 0x180
	v_mul_lo_u32 v2, v0, s4
	v_lshlrev_b32_e32 v1, 1, v1
	v_ashrrev_i32_e32 v3, 31, v2
	v_and_b32_e32 v12, 0x7e, v1
	s_waitcnt lgkmcnt(0)
	v_lshl_add_u64 v[6:7], v[2:3], 1, s[2:3]
	v_lshlrev_b32_e32 v2, 1, v12
	v_mov_b32_e32 v3, 0
	v_lshl_add_u64 v[6:7], v[6:7], 0, v[2:3]
	global_load_dword v2, v[6:7], off
	v_mov_b32_e32 v4, s8
	v_mov_b32_e32 v5, s9
	global_load_dword v8, v[6:7], off offset:256
	global_load_dword v9, v[6:7], off offset:512
	v_ashrrev_i32_e32 v1, 31, v0
	v_lshl_add_u64 v[4:5], v[0:1], 3, v[4:5]
	global_load_dwordx2 v[4:5], v[4:5], off
	s_ashr_i32 s13, s12, 31
	s_mov_b32 s21, 0x800000
	v_mov_b32_e32 v1, 0x4f800000
	s_mov_b32 s19, 0x3f317217
	s_mov_b32 s20, 0x7f800000
	v_mov_b32_e32 v13, 0x41b17218
	s_mov_b32 s15, 0x41a00000
	s_mov_b32 s18, 0xf800000
	v_mov_b32_e32 v14, 0x260
	v_cmp_lt_i64_e64 s[16:17], s[12:13], 1
	s_mov_b32 s14, 0
	v_cmp_gt_i64_e64 s[8:9], s[12:13], 0
	v_mul_lo_u32 v0, v0, s12
	s_waitcnt vmcnt(3)
	v_and_b32_e32 v15, 0xffff0000, v2
	v_lshlrev_b32_e32 v2, 16, v2
	v_mul_f32_e32 v6, 0x3fb8aa3b, v2
	v_mul_f32_e32 v7, 0x3fb8aa3b, v15
	s_waitcnt vmcnt(2)
	v_and_b32_e32 v16, 0xffff0000, v8
	v_lshlrev_b32_e32 v17, 16, v8
	v_exp_f32_e32 v6, v6
	v_exp_f32_e32 v7, v7
	s_waitcnt vmcnt(1)
	v_and_b32_e32 v18, 0xffff0000, v9
	v_lshlrev_b32_e32 v19, 16, v9
	v_mul_f32_e32 v8, 0x3fb8aa3b, v17
	v_mul_f32_e32 v9, 0x3fb8aa3b, v16
	v_exp_f32_e32 v8, v8
	v_exp_f32_e32 v9, v9
	s_waitcnt vmcnt(0)
	v_mul_lo_u32 v5, v5, s12
	v_mul_lo_u32 v20, v4, s13
	v_mad_u64_u32 v[10:11], s[2:3], v4, s12, 0
	v_add3_u32 v11, v11, v20, v5
	v_pk_add_f32 v[4:5], v[6:7], 1.0 op_sel_hi:[1,0]
	v_pk_add_f32 v[6:7], v[8:9], 1.0 op_sel_hi:[1,0]
	v_cmp_gt_f32_e32 vcc, s21, v5
	v_cmp_gt_f32_e64 s[2:3], s21, v4
	v_cmp_gt_f32_e64 s[4:5], s21, v7
	v_cndmask_b32_e32 v8, 1.0, v1, vcc
	v_cndmask_b32_e64 v9, 1.0, v1, s[2:3]
	v_mul_f32_e32 v5, v5, v8
	v_mul_f32_e32 v4, v4, v9
	v_log_f32_e32 v5, v5
	v_log_f32_e32 v4, v4
	v_cndmask_b32_e64 v20, 1.0, v1, s[4:5]
	v_mul_f32_e32 v7, v7, v20
	v_mul_f32_e32 v20, 0x3f317217, v5
	;; [unrolled: 1-line block ×3, first 2 shown]
	v_fma_f32 v20, v5, s19, -v20
	v_fma_f32 v21, v4, s19, -v21
	v_fmac_f32_e32 v20, 0x3377d1cf, v5
	v_cndmask_b32_e32 v8, 0, v13, vcc
	v_fmac_f32_e32 v21, 0x3377d1cf, v4
	v_fmac_f32_e32 v20, 0x3f317217, v5
	v_cmp_lt_f32_e64 vcc, |v5|, s20
	v_fmac_f32_e32 v21, 0x3f317217, v4
	v_cndmask_b32_e64 v9, 0, v13, s[2:3]
	v_cndmask_b32_e32 v5, v5, v20, vcc
	v_cmp_lt_f32_e64 vcc, |v4|, s20
	v_sub_f32_e32 v5, v5, v8
	v_log_f32_e32 v7, v7
	v_cndmask_b32_e32 v4, v4, v21, vcc
	v_sub_f32_e32 v4, v4, v9
	v_cmp_lt_f32_e32 vcc, s15, v2
	v_mul_f32_e32 v22, 0x3f317217, v7
	v_fma_f32 v22, v7, s19, -v22
	v_cndmask_b32_e32 v2, v4, v2, vcc
	v_cmp_lt_f32_e32 vcc, s15, v15
	v_mul_f32_e32 v8, 0x4f800000, v2
	v_cmp_gt_f32_e64 s[2:3], s18, v2
	v_cndmask_b32_e32 v4, v5, v15, vcc
	v_mul_f32_e32 v5, 0x4f800000, v4
	v_cmp_gt_f32_e32 vcc, s18, v4
	v_cndmask_b32_e64 v2, v2, v8, s[2:3]
	v_sqrt_f32_e32 v8, v2
	v_cndmask_b32_e32 v4, v4, v5, vcc
	v_sqrt_f32_e32 v5, v4
	v_fmac_f32_e32 v22, 0x3377d1cf, v7
	v_add_u32_e32 v20, -1, v8
	v_fma_f32 v25, -v20, v8, v2
	v_add_u32_e32 v9, -1, v5
	v_fma_f32 v23, -v9, v5, v4
	v_add_u32_e32 v15, 1, v5
	v_cmp_ge_f32_e64 s[6:7], 0, v23
	v_add_u32_e32 v21, 1, v8
	v_fma_f32 v24, -v15, v5, v4
	v_cndmask_b32_e64 v5, v5, v9, s[6:7]
	v_cmp_ge_f32_e64 s[6:7], 0, v25
	v_fma_f32 v26, -v21, v8, v2
	v_fmac_f32_e32 v22, 0x3f317217, v7
	v_cndmask_b32_e64 v8, v8, v20, s[6:7]
	v_cmp_lt_f32_e64 s[6:7], 0, v24
	s_nop 1
	v_cndmask_b32_e64 v5, v5, v15, s[6:7]
	v_cmp_lt_f32_e64 s[6:7], 0, v26
	v_mul_f32_e32 v9, 0x37800000, v5
	v_cndmask_b32_e32 v5, v5, v9, vcc
	v_cndmask_b32_e64 v8, v8, v21, s[6:7]
	v_mul_f32_e32 v15, 0x37800000, v8
	v_cmp_class_f32_e32 vcc, v4, v14
	v_cndmask_b32_e64 v8, v8, v15, s[2:3]
	v_cmp_lt_f32_e64 s[2:3], |v7|, s20
	v_cndmask_b32_e32 v5, v5, v4, vcc
	v_cmp_class_f32_e32 vcc, v2, v14
	s_nop 1
	v_cndmask_b32_e32 v4, v8, v2, vcc
	v_cmp_gt_f32_e32 vcc, s21, v6
	s_nop 1
	v_cndmask_b32_e32 v2, 1.0, v1, vcc
	v_mul_f32_e32 v2, v6, v2
	v_log_f32_e32 v2, v2
	v_cndmask_b32_e64 v6, v7, v22, s[2:3]
	v_cndmask_b32_e64 v7, 0, v13, s[4:5]
	v_sub_f32_e32 v6, v6, v7
	v_mul_f32_e32 v7, 0x3f317217, v2
	v_fma_f32 v7, v2, s19, -v7
	v_fmac_f32_e32 v7, 0x3377d1cf, v2
	v_fmac_f32_e32 v7, 0x3f317217, v2
	v_cmp_lt_f32_e64 s[2:3], |v2|, s20
	s_nop 1
	v_cndmask_b32_e64 v2, v2, v7, s[2:3]
	v_cndmask_b32_e32 v7, 0, v13, vcc
	v_cmp_lt_f32_e32 vcc, s15, v16
	v_sub_f32_e32 v2, v2, v7
	v_cmp_lt_f32_e64 s[2:3], s15, v17
	v_cndmask_b32_e32 v6, v6, v16, vcc
	v_mul_f32_e32 v8, 0x4f800000, v6
	v_cmp_gt_f32_e32 vcc, s18, v6
	v_cndmask_b32_e64 v2, v2, v17, s[2:3]
	s_nop 0
	v_cndmask_b32_e32 v6, v6, v8, vcc
	v_sqrt_f32_e32 v8, v6
	s_nop 0
	v_add_u32_e32 v7, -1, v8
	v_fma_f32 v9, -v7, v8, v6
	v_cmp_ge_f32_e64 s[2:3], 0, v9
	v_add_u32_e32 v9, 1, v8
	s_nop 0
	v_cndmask_b32_e64 v7, v8, v7, s[2:3]
	v_fma_f32 v8, -v9, v8, v6
	v_cmp_lt_f32_e64 s[2:3], 0, v8
	s_nop 1
	v_cndmask_b32_e64 v7, v7, v9, s[2:3]
	v_mul_f32_e32 v9, 0x4f800000, v2
	v_cmp_gt_f32_e64 s[2:3], s18, v2
	v_mul_f32_e32 v8, 0x37800000, v7
	v_cndmask_b32_e32 v7, v7, v8, vcc
	v_cndmask_b32_e64 v2, v2, v9, s[2:3]
	v_sqrt_f32_e32 v9, v2
	v_cmp_class_f32_e32 vcc, v6, v14
	v_add_u32_e32 v15, 1, v9
	s_nop 0
	v_cndmask_b32_e32 v7, v7, v6, vcc
	v_add_u32_e32 v6, -1, v9
	v_fma_f32 v8, -v6, v9, v2
	v_cmp_ge_f32_e32 vcc, 0, v8
	v_fma_f32 v16, -v15, v9, v2
	v_mul_f32_e32 v8, 0x3fb8aa3b, v19
	v_cndmask_b32_e32 v6, v9, v6, vcc
	v_mul_f32_e32 v9, 0x3fb8aa3b, v18
	v_exp_f32_e32 v8, v8
	v_exp_f32_e32 v9, v9
	v_cmp_lt_f32_e32 vcc, 0, v16
	v_pk_add_f32 v[8:9], v[8:9], 1.0 op_sel_hi:[1,0]
	s_nop 0
	v_cndmask_b32_e32 v6, v6, v15, vcc
	v_mul_f32_e32 v15, 0x37800000, v6
	v_cmp_gt_f32_e32 vcc, s21, v9
	v_cndmask_b32_e64 v6, v6, v15, s[2:3]
	v_cmp_class_f32_e64 s[2:3], v2, v14
	v_cndmask_b32_e32 v15, 1.0, v1, vcc
	v_mul_f32_e32 v9, v9, v15
	v_log_f32_e32 v9, v9
	v_cndmask_b32_e64 v6, v6, v2, s[2:3]
	v_cmp_gt_f32_e64 s[2:3], s21, v8
	scratch_store_dwordx4 off, v[4:7], off
	v_mul_f32_e32 v2, 0x3f317217, v9
	v_cndmask_b32_e64 v1, 1.0, v1, s[2:3]
	v_mul_f32_e32 v1, v8, v1
	v_fma_f32 v2, v9, s19, -v2
	v_log_f32_e32 v1, v1
	v_fmac_f32_e32 v2, 0x3377d1cf, v9
	v_fmac_f32_e32 v2, 0x3f317217, v9
	v_cmp_lt_f32_e64 s[4:5], |v9|, s20
	v_cndmask_b32_e32 v4, 0, v13, vcc
	v_cmp_lt_f32_e64 vcc, |v1|, s20
	v_cndmask_b32_e64 v2, v9, v2, s[4:5]
	v_sub_f32_e32 v2, v2, v4
	v_mul_f32_e32 v4, 0x3f317217, v1
	v_fma_f32 v4, v1, s19, -v4
	v_fmac_f32_e32 v4, 0x3377d1cf, v1
	v_fmac_f32_e32 v4, 0x3f317217, v1
	v_cndmask_b32_e32 v1, v1, v4, vcc
	v_cmp_lt_f32_e32 vcc, s15, v18
	v_cndmask_b32_e64 v4, 0, v13, s[2:3]
	v_sub_f32_e32 v1, v1, v4
	v_cndmask_b32_e32 v2, v2, v18, vcc
	v_mul_f32_e32 v5, 0x4f800000, v2
	v_cmp_gt_f32_e32 vcc, s18, v2
	v_cmp_lt_f32_e64 s[2:3], s15, v19
	s_nop 0
	v_cndmask_b32_e32 v2, v2, v5, vcc
	v_sqrt_f32_e32 v5, v2
	v_cndmask_b32_e64 v1, v1, v19, s[2:3]
	v_add_u32_e32 v4, -1, v5
	v_fma_f32 v6, -v4, v5, v2
	v_cmp_ge_f32_e64 s[2:3], 0, v6
	v_add_u32_e32 v6, 1, v5
	s_nop 0
	v_cndmask_b32_e64 v4, v5, v4, s[2:3]
	v_fma_f32 v5, -v6, v5, v2
	v_cmp_lt_f32_e64 s[2:3], 0, v5
	s_nop 1
	v_cndmask_b32_e64 v4, v4, v6, s[2:3]
	v_mul_f32_e32 v6, 0x4f800000, v1
	v_cmp_gt_f32_e64 s[2:3], s18, v1
	v_mul_f32_e32 v5, 0x37800000, v4
	v_cndmask_b32_e32 v4, v4, v5, vcc
	v_cndmask_b32_e64 v1, v1, v6, s[2:3]
	v_sqrt_f32_e32 v6, v1
	v_cmp_class_f32_e32 vcc, v2, v14
	s_nop 1
	v_cndmask_b32_e32 v5, v4, v2, vcc
	v_add_u32_e32 v2, -1, v6
	v_fma_f32 v4, -v2, v6, v1
	v_cmp_ge_f32_e32 vcc, 0, v4
	v_add_u32_e32 v4, 1, v6
	s_nop 0
	v_cndmask_b32_e32 v2, v6, v2, vcc
	v_fma_f32 v6, -v4, v6, v1
	v_cmp_lt_f32_e32 vcc, 0, v6
	s_nop 1
	v_cndmask_b32_e32 v2, v2, v4, vcc
	v_mul_f32_e32 v4, 0x37800000, v2
	v_cndmask_b32_e64 v2, v2, v4, s[2:3]
	v_cmp_class_f32_e32 vcc, v1, v14
	s_nop 1
	v_cndmask_b32_e32 v4, v2, v1, vcc
	scratch_store_dwordx2 off, v[4:5], off offset:16
	v_lshl_add_u64 v[4:5], v[10:11], 3, s[10:11]
	s_and_b64 vcc, exec, s[16:17]
	s_cbranch_vccnz .LBB528_28
; %bb.2:
	s_load_dwordx2 s[4:5], s[0:1], 0x20
	s_cmp_lt_u32 s12, 4
	s_cbranch_scc1 .LBB528_21
; %bb.3:
	s_mov_b32 s7, 0
	s_and_b32 s14, s12, 0x7ffffffc
	v_ashrrev_i32_e32 v1, 31, v0
	v_mov_b32_e32 v3, 0
	s_mov_b32 s6, s7
	s_branch .LBB528_5
.LBB528_4:                              ;   in Loop: Header=BB528_5 Depth=1
	s_or_b64 exec, exec, s[10:11]
	s_add_i32 s6, s6, 4
	s_cmp_eq_u32 s6, s14
	s_cbranch_scc1 .LBB528_21
.LBB528_5:                              ; =>This Loop Header: Depth=1
                                        ;     Child Loop BB528_7 Depth 2
                                        ;     Child Loop BB528_11 Depth 2
                                        ;     Child Loop BB528_15 Depth 2
                                        ;     Child Loop BB528_19 Depth 2
	v_lshl_add_u64 v[6:7], s[6:7], 3, v[4:5]
	global_load_dwordx2 v[8:9], v[6:7], off
	v_add_u32_e32 v10, s6, v0
	v_ashrrev_i32_e32 v11, 31, v10
	v_mov_b32_e32 v2, 0
	s_mov_b64 s[10:11], 0
	s_mov_b32 s13, 0
	s_waitcnt lgkmcnt(0)
	v_lshl_add_u64 v[10:11], v[10:11], 3, s[4:5]
	s_mov_b32 s15, 0
	s_waitcnt vmcnt(0)
	v_ashrrev_i32_e32 v9, 31, v8
	s_branch .LBB528_7
.LBB528_6:                              ;   in Loop: Header=BB528_7 Depth=2
	s_or_b64 exec, exec, s[16:17]
	s_add_i32 s18, s15, 1
	s_cmp_gt_u32 s15, 4
	s_cselect_b64 s[2:3], -1, 0
	s_xor_b64 s[16:17], vcc, -1
	s_or_b64 s[2:3], s[16:17], s[2:3]
	s_add_i32 s13, s13, 64
	s_and_b64 s[2:3], exec, s[2:3]
	v_add_u32_e32 v2, 4, v2
	s_or_b64 s[10:11], s[2:3], s[10:11]
	s_mov_b32 s15, s18
	s_andn2_b64 exec, exec, s[10:11]
	s_cbranch_execz .LBB528_9
.LBB528_7:                              ;   Parent Loop BB528_5 Depth=1
                                        ; =>  This Inner Loop Header: Depth=2
	s_and_b32 s2, s15, 1
	s_and_b32 s3, s13, 0x180
	s_or_b32 s2, s2, s3
	v_or_b32_e32 v13, s2, v12
	v_cmp_ne_u32_e32 vcc, v13, v8
	v_cmp_eq_u32_e64 s[2:3], v13, v8
	s_and_saveexec_b64 s[16:17], s[2:3]
	s_cbranch_execz .LBB528_6
; %bb.8:                                ;   in Loop: Header=BB528_7 Depth=2
	scratch_load_dword v13, v2, off
	s_waitcnt vmcnt(0)
	v_add_f32_e32 v3, v3, v13
	global_store_dwordx2 v[10:11], v[8:9], off
	s_branch .LBB528_6
.LBB528_9:                              ;   in Loop: Header=BB528_5 Depth=1
	s_or_b64 exec, exec, s[10:11]
	global_load_dwordx2 v[10:11], v[6:7], off offset:8
	s_ashr_i32 s3, s6, 31
	s_mov_b32 s2, s6
	v_lshl_add_u64 v[8:9], s[2:3], 0, v[0:1]
	v_mov_b32_e32 v2, 0
	s_mov_b32 s13, 0
	s_mov_b64 s[10:11], 0
	v_lshl_add_u64 v[8:9], v[8:9], 3, s[4:5]
	s_mov_b32 s15, 0
	s_waitcnt vmcnt(0)
	v_ashrrev_i32_e32 v11, 31, v10
	s_branch .LBB528_11
.LBB528_10:                             ;   in Loop: Header=BB528_11 Depth=2
	s_or_b64 exec, exec, s[16:17]
	s_add_i32 s18, s15, 1
	s_cmp_gt_u32 s15, 4
	s_cselect_b64 s[2:3], -1, 0
	s_xor_b64 s[16:17], vcc, -1
	s_or_b64 s[2:3], s[16:17], s[2:3]
	s_add_i32 s13, s13, 64
	s_and_b64 s[2:3], exec, s[2:3]
	v_add_u32_e32 v2, 4, v2
	s_or_b64 s[10:11], s[2:3], s[10:11]
	s_mov_b32 s15, s18
	s_andn2_b64 exec, exec, s[10:11]
	s_cbranch_execz .LBB528_13
.LBB528_11:                             ;   Parent Loop BB528_5 Depth=1
                                        ; =>  This Inner Loop Header: Depth=2
	s_and_b32 s2, s15, 1
	s_and_b32 s3, s13, 0x180
	s_or_b32 s2, s2, s3
	v_or_b32_e32 v13, s2, v12
	v_cmp_ne_u32_e32 vcc, v13, v10
	v_cmp_eq_u32_e64 s[2:3], v13, v10
	s_and_saveexec_b64 s[16:17], s[2:3]
	s_cbranch_execz .LBB528_10
; %bb.12:                               ;   in Loop: Header=BB528_11 Depth=2
	scratch_load_dword v13, v2, off
	s_waitcnt vmcnt(0)
	v_add_f32_e32 v3, v3, v13
	global_store_dwordx2 v[8:9], v[10:11], off offset:8
	s_branch .LBB528_10
.LBB528_13:                             ;   in Loop: Header=BB528_5 Depth=1
	s_or_b64 exec, exec, s[10:11]
	global_load_dwordx2 v[10:11], v[6:7], off offset:16
	v_mov_b32_e32 v2, 0
	s_mov_b32 s13, 0
	s_mov_b64 s[10:11], 0
	s_mov_b32 s15, 0
	s_waitcnt vmcnt(0)
	v_ashrrev_i32_e32 v11, 31, v10
	s_branch .LBB528_15
.LBB528_14:                             ;   in Loop: Header=BB528_15 Depth=2
	s_or_b64 exec, exec, s[16:17]
	s_add_i32 s18, s15, 1
	s_cmp_gt_u32 s15, 4
	s_cselect_b64 s[2:3], -1, 0
	s_xor_b64 s[16:17], vcc, -1
	s_or_b64 s[2:3], s[16:17], s[2:3]
	s_add_i32 s13, s13, 64
	s_and_b64 s[2:3], exec, s[2:3]
	v_add_u32_e32 v2, 4, v2
	s_or_b64 s[10:11], s[2:3], s[10:11]
	s_mov_b32 s15, s18
	s_andn2_b64 exec, exec, s[10:11]
	s_cbranch_execz .LBB528_17
.LBB528_15:                             ;   Parent Loop BB528_5 Depth=1
                                        ; =>  This Inner Loop Header: Depth=2
	s_and_b32 s2, s15, 1
	s_and_b32 s3, s13, 0x180
	s_or_b32 s2, s2, s3
	v_or_b32_e32 v13, s2, v12
	v_cmp_ne_u32_e32 vcc, v13, v10
	v_cmp_eq_u32_e64 s[2:3], v13, v10
	s_and_saveexec_b64 s[16:17], s[2:3]
	s_cbranch_execz .LBB528_14
; %bb.16:                               ;   in Loop: Header=BB528_15 Depth=2
	scratch_load_dword v13, v2, off
	s_waitcnt vmcnt(0)
	v_add_f32_e32 v3, v3, v13
	global_store_dwordx2 v[8:9], v[10:11], off offset:16
	s_branch .LBB528_14
.LBB528_17:                             ;   in Loop: Header=BB528_5 Depth=1
	s_or_b64 exec, exec, s[10:11]
	global_load_dwordx2 v[6:7], v[6:7], off offset:24
	v_mov_b32_e32 v2, 0
	s_mov_b32 s13, 0
	s_mov_b64 s[10:11], 0
	s_mov_b32 s15, 0
	s_waitcnt vmcnt(0)
	v_ashrrev_i32_e32 v7, 31, v6
	s_branch .LBB528_19
.LBB528_18:                             ;   in Loop: Header=BB528_19 Depth=2
	s_or_b64 exec, exec, s[16:17]
	s_add_i32 s18, s15, 1
	s_cmp_gt_u32 s15, 4
	s_cselect_b64 s[2:3], -1, 0
	s_xor_b64 s[16:17], vcc, -1
	s_or_b64 s[2:3], s[16:17], s[2:3]
	s_add_i32 s13, s13, 64
	s_and_b64 s[2:3], exec, s[2:3]
	v_add_u32_e32 v2, 4, v2
	s_or_b64 s[10:11], s[2:3], s[10:11]
	s_mov_b32 s15, s18
	s_andn2_b64 exec, exec, s[10:11]
	s_cbranch_execz .LBB528_4
.LBB528_19:                             ;   Parent Loop BB528_5 Depth=1
                                        ; =>  This Inner Loop Header: Depth=2
	s_and_b32 s2, s15, 1
	s_and_b32 s3, s13, 0x180
	s_or_b32 s2, s2, s3
	v_or_b32_e32 v10, s2, v12
	v_cmp_ne_u32_e32 vcc, v10, v6
	v_cmp_eq_u32_e64 s[2:3], v10, v6
	s_and_saveexec_b64 s[16:17], s[2:3]
	s_cbranch_execz .LBB528_18
; %bb.20:                               ;   in Loop: Header=BB528_19 Depth=2
	scratch_load_dword v10, v2, off
	s_waitcnt vmcnt(0)
	v_add_f32_e32 v3, v3, v10
	global_store_dwordx2 v[8:9], v[6:7], off offset:24
	s_branch .LBB528_18
.LBB528_21:
	s_and_b32 s13, s12, 3
	s_cmp_eq_u32 s13, 0
	s_mov_b32 s15, 0
	s_cbranch_scc1 .LBB528_28
; %bb.22:
	s_mov_b32 s16, s15
	s_branch .LBB528_24
.LBB528_23:                             ;   in Loop: Header=BB528_24 Depth=1
	s_or_b64 exec, exec, s[6:7]
	s_add_i32 s14, s14, 1
	s_add_i32 s16, s16, 1
	s_cmp_lg_u32 s16, s13
	s_cbranch_scc0 .LBB528_28
.LBB528_24:                             ; =>This Loop Header: Depth=1
                                        ;     Child Loop BB528_26 Depth 2
	v_lshl_add_u64 v[6:7], s[14:15], 3, v[4:5]
	global_load_dwordx2 v[6:7], v[6:7], off
	v_add_u32_e32 v8, s14, v0
	v_ashrrev_i32_e32 v9, 31, v8
	v_mov_b32_e32 v1, 0
	s_mov_b32 s17, 0
	s_mov_b64 s[6:7], 0
	s_waitcnt lgkmcnt(0)
	v_lshl_add_u64 v[8:9], v[8:9], 3, s[4:5]
	s_mov_b32 s18, 0
	s_waitcnt vmcnt(0)
	v_ashrrev_i32_e32 v7, 31, v6
	s_branch .LBB528_26
.LBB528_25:                             ;   in Loop: Header=BB528_26 Depth=2
	s_or_b64 exec, exec, s[10:11]
	s_add_i32 s19, s18, 1
	s_cmp_gt_u32 s18, 4
	s_cselect_b64 s[2:3], -1, 0
	s_xor_b64 s[10:11], vcc, -1
	s_or_b64 s[2:3], s[10:11], s[2:3]
	s_add_i32 s17, s17, 64
	s_and_b64 s[2:3], exec, s[2:3]
	v_add_u32_e32 v1, 4, v1
	s_or_b64 s[6:7], s[2:3], s[6:7]
	s_mov_b32 s18, s19
	s_andn2_b64 exec, exec, s[6:7]
	s_cbranch_execz .LBB528_23
.LBB528_26:                             ;   Parent Loop BB528_24 Depth=1
                                        ; =>  This Inner Loop Header: Depth=2
	s_and_b32 s2, s18, 1
	s_and_b32 s3, s17, 0x180
	s_or_b32 s2, s2, s3
	v_or_b32_e32 v2, s2, v12
	v_cmp_ne_u32_e32 vcc, v2, v6
	v_cmp_eq_u32_e64 s[2:3], v2, v6
	s_and_saveexec_b64 s[10:11], s[2:3]
	s_cbranch_execz .LBB528_25
; %bb.27:                               ;   in Loop: Header=BB528_26 Depth=2
	scratch_load_dword v2, v1, off
	s_waitcnt vmcnt(0)
	v_add_f32_e32 v3, v3, v2
	global_store_dwordx2 v[8:9], v[6:7], off
	s_branch .LBB528_25
.LBB528_28:
	s_waitcnt lgkmcnt(0)
	s_load_dword s4, s[0:1], 0x3c
	s_waitcnt lgkmcnt(0)
	s_bitcmp1_b32 s4, 0
	s_cselect_b64 s[2:3], -1, 0
	s_bitcmp0_b32 s4, 0
	s_cbranch_scc0 .LBB528_32
; %bb.29:
	s_load_dwordx2 s[4:5], s[0:1], 0x40
	s_andn2_b64 vcc, exec, s[2:3]
	s_waitcnt lgkmcnt(0)
	v_cvt_f32_f64_e32 v8, s[4:5]
	s_cbranch_vccz .LBB528_33
.LBB528_30:
	s_andn2_b64 vcc, exec, s[8:9]
	s_cbranch_vccz .LBB528_34
.LBB528_31:
	s_endpgm
.LBB528_32:
	v_mbcnt_lo_u32_b32 v1, -1, 0
	v_mbcnt_hi_u32_b32 v1, -1, v1
	v_and_b32_e32 v2, 64, v1
	v_add_u32_e32 v2, 64, v2
	v_xor_b32_e32 v6, 32, v1
	v_cmp_lt_i32_e32 vcc, v6, v2
	v_xor_b32_e32 v7, 16, v1
	s_nop 0
	v_cndmask_b32_e32 v6, v1, v6, vcc
	v_lshlrev_b32_e32 v6, 2, v6
	ds_bpermute_b32 v6, v6, v3
	v_cmp_lt_i32_e32 vcc, v7, v2
	s_waitcnt lgkmcnt(0)
	v_add_f32_e32 v3, v3, v6
	v_cndmask_b32_e32 v6, v1, v7, vcc
	v_lshlrev_b32_e32 v6, 2, v6
	ds_bpermute_b32 v6, v6, v3
	v_xor_b32_e32 v7, 8, v1
	v_cmp_lt_i32_e32 vcc, v7, v2
	s_waitcnt lgkmcnt(0)
	v_add_f32_e32 v3, v3, v6
	v_cndmask_b32_e32 v6, v1, v7, vcc
	v_lshlrev_b32_e32 v6, 2, v6
	ds_bpermute_b32 v6, v6, v3
	v_xor_b32_e32 v7, 4, v1
	;; [unrolled: 7-line block ×4, first 2 shown]
	v_cmp_lt_i32_e32 vcc, v7, v2
	s_waitcnt lgkmcnt(0)
	v_add_f32_e32 v3, v3, v6
	v_cndmask_b32_e32 v1, v1, v7, vcc
	v_lshlrev_b32_e32 v1, 2, v1
	ds_bpermute_b32 v1, v1, v3
	s_waitcnt lgkmcnt(0)
	v_add_f32_e32 v3, v3, v1
	s_load_dwordx2 s[4:5], s[0:1], 0x40
	s_andn2_b64 vcc, exec, s[2:3]
	s_waitcnt lgkmcnt(0)
	v_cvt_f32_f64_e32 v8, s[4:5]
	s_cbranch_vccnz .LBB528_30
.LBB528_33:
	v_cmp_lt_f32_e32 vcc, 0, v3
	s_nop 1
	v_cndmask_b32_e32 v1, 1.0, v3, vcc
	v_div_scale_f32 v2, s[2:3], v1, v1, v8
	v_rcp_f32_e32 v3, v2
	s_nop 0
	v_fma_f32 v6, -v2, v3, 1.0
	v_fmac_f32_e32 v3, v6, v3
	v_div_scale_f32 v6, vcc, v8, v1, v8
	v_mul_f32_e32 v7, v6, v3
	v_fma_f32 v9, -v2, v7, v6
	v_fmac_f32_e32 v7, v9, v3
	v_fma_f32 v2, -v2, v7, v6
	v_div_fmas_f32 v2, v2, v3, v7
	v_div_fixup_f32 v8, v2, v1, v8
	s_andn2_b64 vcc, exec, s[8:9]
	s_cbranch_vccnz .LBB528_31
.LBB528_34:
	s_load_dwordx2 s[8:9], s[0:1], 0x10
	v_mov_b32_e32 v1, 0
	v_or_b32_e32 v16, 4, v1
	v_or_b32_e32 v14, 8, v1
	;; [unrolled: 1-line block ×3, first 2 shown]
	v_add_u32_e32 v9, 16, v1
	v_add_u32_e32 v10, 20, v1
	v_or_b32_e32 v19, 1, v12
	v_or_b32_e32 v18, 0x80, v12
	;; [unrolled: 1-line block ×5, first 2 shown]
	s_cmp_eq_u32 s12, 1
	s_mov_b32 s10, 0
	s_cbranch_scc1 .LBB528_61
; %bb.35:
	v_ashrrev_i32_e32 v1, 31, v0
	s_waitcnt lgkmcnt(0)
	v_lshl_add_u64 v[2:3], v[0:1], 2, s[8:9]
	s_and_b32 s10, s12, 0x7ffffffe
	v_lshl_add_u64 v[2:3], v[2:3], 0, 4
	v_lshl_add_u64 v[6:7], v[4:5], 0, 8
	s_mov_b32 s11, 0
	s_branch .LBB528_37
.LBB528_36:                             ;   in Loop: Header=BB528_37 Depth=1
	s_or_b64 exec, exec, s[0:1]
	s_add_i32 s11, s11, 2
	v_lshl_add_u64 v[2:3], v[2:3], 0, 8
	s_cmp_eq_u32 s10, s11
	v_lshl_add_u64 v[6:7], v[6:7], 0, 16
	s_cbranch_scc1 .LBB528_61
.LBB528_37:                             ; =>This Inner Loop Header: Depth=1
	global_load_dword v20, v[6:7], off offset:-8
	v_mov_b32_e32 v1, 0
	s_waitcnt vmcnt(0)
	v_cmp_eq_u32_e32 vcc, v12, v20
	v_cmp_ne_u32_e64 s[0:1], v12, v20
	s_and_saveexec_b64 s[14:15], s[0:1]
	s_cbranch_execz .LBB528_47
; %bb.38:                               ;   in Loop: Header=BB528_37 Depth=1
	v_cmp_eq_u32_e64 s[0:1], v19, v20
	v_cmp_ne_u32_e64 s[2:3], v19, v20
	v_mov_b32_e32 v1, v16
	s_and_saveexec_b64 s[16:17], s[2:3]
	s_cbranch_execz .LBB528_46
; %bb.39:                               ;   in Loop: Header=BB528_37 Depth=1
	v_cmp_eq_u32_e64 s[2:3], v18, v20
	v_cmp_ne_u32_e64 s[4:5], v18, v20
	v_mov_b32_e32 v1, v14
	;; [unrolled: 6-line block ×4, first 2 shown]
	s_and_saveexec_b64 s[24:25], s[6:7]
	s_xor_b64 s[24:25], exec, s[24:25]
; %bb.42:                               ;   in Loop: Header=BB528_37 Depth=1
	v_cmp_eq_u32_e64 s[6:7], v13, v20
	s_andn2_b64 s[22:23], s[22:23], exec
	s_and_b64 s[6:7], s[6:7], exec
	s_or_b64 s[22:23], s[22:23], s[6:7]
	v_mov_b32_e32 v1, v10
; %bb.43:                               ;   in Loop: Header=BB528_37 Depth=1
	s_or_b64 exec, exec, s[24:25]
	s_andn2_b64 s[4:5], s[4:5], exec
	s_and_b64 s[6:7], s[22:23], exec
	s_or_b64 s[4:5], s[4:5], s[6:7]
.LBB528_44:                             ;   in Loop: Header=BB528_37 Depth=1
	s_or_b64 exec, exec, s[20:21]
	s_andn2_b64 s[2:3], s[2:3], exec
	s_and_b64 s[4:5], s[4:5], exec
	s_or_b64 s[2:3], s[2:3], s[4:5]
.LBB528_45:                             ;   in Loop: Header=BB528_37 Depth=1
	s_or_b64 exec, exec, s[18:19]
	s_andn2_b64 s[0:1], s[0:1], exec
	s_and_b64 s[2:3], s[2:3], exec
	s_or_b64 s[0:1], s[0:1], s[2:3]
.LBB528_46:                             ;   in Loop: Header=BB528_37 Depth=1
	s_or_b64 exec, exec, s[16:17]
	s_andn2_b64 s[2:3], vcc, exec
	s_and_b64 s[0:1], s[0:1], exec
	s_or_b64 vcc, s[2:3], s[0:1]
.LBB528_47:                             ;   in Loop: Header=BB528_37 Depth=1
	s_or_b64 exec, exec, s[14:15]
	s_and_saveexec_b64 s[0:1], vcc
	s_cbranch_execz .LBB528_49
; %bb.48:                               ;   in Loop: Header=BB528_37 Depth=1
	scratch_load_dword v1, v1, off
	v_add_u32_e32 v20, s11, v0
	v_ashrrev_i32_e32 v21, 31, v20
	v_lshl_add_u64 v[20:21], v[20:21], 2, s[8:9]
	s_waitcnt vmcnt(0)
	v_mul_f32_e32 v1, v8, v1
	global_store_dword v[20:21], v1, off
.LBB528_49:                             ;   in Loop: Header=BB528_37 Depth=1
	s_or_b64 exec, exec, s[0:1]
	global_load_dword v20, v[6:7], off
	v_mov_b32_e32 v1, 0
	s_waitcnt vmcnt(0)
	v_cmp_eq_u32_e64 s[4:5], v12, v20
	v_cmp_ne_u32_e32 vcc, v12, v20
	s_and_saveexec_b64 s[6:7], vcc
	s_cbranch_execz .LBB528_59
; %bb.50:                               ;   in Loop: Header=BB528_37 Depth=1
	v_cmp_eq_u32_e32 vcc, v19, v20
	v_cmp_ne_u32_e64 s[0:1], v19, v20
	v_mov_b32_e32 v1, v16
	s_and_saveexec_b64 s[14:15], s[0:1]
	s_cbranch_execz .LBB528_58
; %bb.51:                               ;   in Loop: Header=BB528_37 Depth=1
	v_cmp_eq_u32_e64 s[0:1], v18, v20
	v_cmp_ne_u32_e64 s[2:3], v18, v20
	v_mov_b32_e32 v1, v14
	s_and_saveexec_b64 s[16:17], s[2:3]
	s_cbranch_execz .LBB528_57
; %bb.52:                               ;   in Loop: Header=BB528_37 Depth=1
	v_cmp_eq_u32_e64 s[18:19], v17, v20
	;; [unrolled: 6-line block ×3, first 2 shown]
	v_cmp_ne_u32_e64 s[2:3], v15, v20
	v_mov_b32_e32 v1, v9
	s_and_saveexec_b64 s[24:25], s[2:3]
; %bb.54:                               ;   in Loop: Header=BB528_37 Depth=1
	v_cmp_eq_u32_e64 s[2:3], v13, v20
	s_andn2_b64 s[22:23], s[22:23], exec
	s_and_b64 s[2:3], s[2:3], exec
	s_or_b64 s[22:23], s[22:23], s[2:3]
	v_mov_b32_e32 v1, v10
; %bb.55:                               ;   in Loop: Header=BB528_37 Depth=1
	s_or_b64 exec, exec, s[24:25]
	s_andn2_b64 s[2:3], s[18:19], exec
	s_and_b64 s[18:19], s[22:23], exec
	s_or_b64 s[18:19], s[2:3], s[18:19]
.LBB528_56:                             ;   in Loop: Header=BB528_37 Depth=1
	s_or_b64 exec, exec, s[20:21]
	s_andn2_b64 s[0:1], s[0:1], exec
	s_and_b64 s[2:3], s[18:19], exec
	s_or_b64 s[0:1], s[0:1], s[2:3]
.LBB528_57:                             ;   in Loop: Header=BB528_37 Depth=1
	s_or_b64 exec, exec, s[16:17]
	s_andn2_b64 s[2:3], vcc, exec
	s_and_b64 s[0:1], s[0:1], exec
	s_or_b64 vcc, s[2:3], s[0:1]
.LBB528_58:                             ;   in Loop: Header=BB528_37 Depth=1
	s_or_b64 exec, exec, s[14:15]
	s_andn2_b64 s[0:1], s[4:5], exec
	s_and_b64 s[2:3], vcc, exec
	s_or_b64 s[4:5], s[0:1], s[2:3]
.LBB528_59:                             ;   in Loop: Header=BB528_37 Depth=1
	s_or_b64 exec, exec, s[6:7]
	s_and_saveexec_b64 s[0:1], s[4:5]
	s_cbranch_execz .LBB528_36
; %bb.60:                               ;   in Loop: Header=BB528_37 Depth=1
	scratch_load_dword v1, v1, off
	s_waitcnt vmcnt(0)
	v_mul_f32_e32 v1, v8, v1
	global_store_dword v[2:3], v1, off
	s_branch .LBB528_36
.LBB528_61:
	s_bitcmp0_b32 s12, 0
	s_mov_b32 s11, 0
	s_cbranch_scc1 .LBB528_31
; %bb.62:
	v_lshl_add_u64 v[2:3], s[10:11], 3, v[4:5]
	global_load_dword v1, v[2:3], off
	v_mov_b32_e32 v2, 0
	s_waitcnt vmcnt(0)
	v_cmp_eq_u32_e64 s[4:5], v12, v1
	v_cmp_ne_u32_e32 vcc, v12, v1
	s_and_saveexec_b64 s[6:7], vcc
	s_cbranch_execz .LBB528_72
; %bb.63:
	v_cmp_eq_u32_e32 vcc, v19, v1
	v_cmp_ne_u32_e64 s[0:1], v19, v1
	s_and_saveexec_b64 s[12:13], s[0:1]
	s_cbranch_execz .LBB528_71
; %bb.64:
	v_cmp_eq_u32_e64 s[0:1], v18, v1
	v_cmp_ne_u32_e64 s[2:3], v18, v1
	s_and_saveexec_b64 s[14:15], s[2:3]
	s_cbranch_execz .LBB528_70
; %bb.65:
	v_cmp_eq_u32_e64 s[16:17], v17, v1
	v_cmp_ne_u32_e64 s[2:3], v17, v1
	s_and_saveexec_b64 s[18:19], s[2:3]
	s_cbranch_execz .LBB528_69
; %bb.66:
	v_cmp_eq_u32_e64 s[20:21], v15, v1
	v_cmp_ne_u32_e64 s[2:3], v15, v1
	s_and_saveexec_b64 s[22:23], s[2:3]
; %bb.67:
	v_cmp_eq_u32_e64 s[2:3], v13, v1
	s_andn2_b64 s[20:21], s[20:21], exec
	s_and_b64 s[2:3], s[2:3], exec
	s_or_b64 s[20:21], s[20:21], s[2:3]
	v_mov_b32_e32 v9, v10
; %bb.68:
	s_or_b64 exec, exec, s[22:23]
	s_andn2_b64 s[2:3], s[16:17], exec
	s_and_b64 s[16:17], s[20:21], exec
	s_or_b64 s[16:17], s[2:3], s[16:17]
	v_mov_b32_e32 v11, v9
.LBB528_69:
	s_or_b64 exec, exec, s[18:19]
	s_andn2_b64 s[0:1], s[0:1], exec
	s_and_b64 s[2:3], s[16:17], exec
	s_or_b64 s[0:1], s[0:1], s[2:3]
	v_mov_b32_e32 v14, v11
.LBB528_70:
	s_or_b64 exec, exec, s[14:15]
	s_andn2_b64 s[2:3], vcc, exec
	s_and_b64 s[0:1], s[0:1], exec
	s_or_b64 vcc, s[2:3], s[0:1]
	v_mov_b32_e32 v16, v14
.LBB528_71:
	s_or_b64 exec, exec, s[12:13]
	s_andn2_b64 s[0:1], s[4:5], exec
	s_and_b64 s[2:3], vcc, exec
	s_or_b64 s[4:5], s[0:1], s[2:3]
	v_mov_b32_e32 v2, v16
.LBB528_72:
	s_or_b64 exec, exec, s[6:7]
	s_and_b64 exec, exec, s[4:5]
	s_cbranch_execz .LBB528_31
; %bb.73:
	scratch_load_dword v2, v2, off
	v_add_u32_e32 v0, s10, v0
	v_ashrrev_i32_e32 v1, 31, v0
	s_waitcnt lgkmcnt(0)
	v_lshl_add_u64 v[0:1], v[0:1], 2, s[8:9]
	s_waitcnt vmcnt(0)
	v_mul_f32_e32 v2, v8, v2
	global_store_dword v[0:1], v2, off
	s_endpgm
	.section	.rodata,"a",@progbits
	.p2align	6, 0x0
	.amdhsa_kernel _ZN4vllm3moe22topkGatingSoftplusSqrtILi6ELi384ELi4ELi4ELi64ELb1El14__hip_bfloat16EEvPKT6_PKbPfiPT5_PiiiibdPKfPKS9_SF_
		.amdhsa_group_segment_fixed_size 0
		.amdhsa_private_segment_fixed_size 32
		.amdhsa_kernarg_size 96
		.amdhsa_user_sgpr_count 2
		.amdhsa_user_sgpr_dispatch_ptr 0
		.amdhsa_user_sgpr_queue_ptr 0
		.amdhsa_user_sgpr_kernarg_segment_ptr 1
		.amdhsa_user_sgpr_dispatch_id 0
		.amdhsa_user_sgpr_kernarg_preload_length 0
		.amdhsa_user_sgpr_kernarg_preload_offset 0
		.amdhsa_user_sgpr_private_segment_size 0
		.amdhsa_uses_dynamic_stack 0
		.amdhsa_enable_private_segment 1
		.amdhsa_system_sgpr_workgroup_id_x 1
		.amdhsa_system_sgpr_workgroup_id_y 0
		.amdhsa_system_sgpr_workgroup_id_z 0
		.amdhsa_system_sgpr_workgroup_info 0
		.amdhsa_system_vgpr_workitem_id 1
		.amdhsa_next_free_vgpr 27
		.amdhsa_next_free_sgpr 26
		.amdhsa_accum_offset 28
		.amdhsa_reserve_vcc 1
		.amdhsa_float_round_mode_32 0
		.amdhsa_float_round_mode_16_64 0
		.amdhsa_float_denorm_mode_32 3
		.amdhsa_float_denorm_mode_16_64 3
		.amdhsa_dx10_clamp 1
		.amdhsa_ieee_mode 1
		.amdhsa_fp16_overflow 0
		.amdhsa_tg_split 0
		.amdhsa_exception_fp_ieee_invalid_op 0
		.amdhsa_exception_fp_denorm_src 0
		.amdhsa_exception_fp_ieee_div_zero 0
		.amdhsa_exception_fp_ieee_overflow 0
		.amdhsa_exception_fp_ieee_underflow 0
		.amdhsa_exception_fp_ieee_inexact 0
		.amdhsa_exception_int_div_zero 0
	.end_amdhsa_kernel
	.section	.text._ZN4vllm3moe22topkGatingSoftplusSqrtILi6ELi384ELi4ELi4ELi64ELb1El14__hip_bfloat16EEvPKT6_PKbPfiPT5_PiiiibdPKfPKS9_SF_,"axG",@progbits,_ZN4vllm3moe22topkGatingSoftplusSqrtILi6ELi384ELi4ELi4ELi64ELb1El14__hip_bfloat16EEvPKT6_PKbPfiPT5_PiiiibdPKfPKS9_SF_,comdat
.Lfunc_end528:
	.size	_ZN4vllm3moe22topkGatingSoftplusSqrtILi6ELi384ELi4ELi4ELi64ELb1El14__hip_bfloat16EEvPKT6_PKbPfiPT5_PiiiibdPKfPKS9_SF_, .Lfunc_end528-_ZN4vllm3moe22topkGatingSoftplusSqrtILi6ELi384ELi4ELi4ELi64ELb1El14__hip_bfloat16EEvPKT6_PKbPfiPT5_PiiiibdPKfPKS9_SF_
                                        ; -- End function
	.section	.AMDGPU.csdata,"",@progbits
; Kernel info:
; codeLenInByte = 4084
; NumSgprs: 32
; NumVgprs: 27
; NumAgprs: 0
; TotalNumVgprs: 27
; ScratchSize: 32
; MemoryBound: 0
; FloatMode: 240
; IeeeMode: 1
; LDSByteSize: 0 bytes/workgroup (compile time only)
; SGPRBlocks: 3
; VGPRBlocks: 3
; NumSGPRsForWavesPerEU: 32
; NumVGPRsForWavesPerEU: 27
; AccumOffset: 28
; Occupancy: 8
; WaveLimiterHint : 1
; COMPUTE_PGM_RSRC2:SCRATCH_EN: 1
; COMPUTE_PGM_RSRC2:USER_SGPR: 2
; COMPUTE_PGM_RSRC2:TRAP_HANDLER: 0
; COMPUTE_PGM_RSRC2:TGID_X_EN: 1
; COMPUTE_PGM_RSRC2:TGID_Y_EN: 0
; COMPUTE_PGM_RSRC2:TGID_Z_EN: 0
; COMPUTE_PGM_RSRC2:TIDIG_COMP_CNT: 1
; COMPUTE_PGM_RSRC3_GFX90A:ACCUM_OFFSET: 6
; COMPUTE_PGM_RSRC3_GFX90A:TG_SPLIT: 0
	.section	.text._ZN4vllm3moe22topkGatingSoftplusSqrtILi6ELi384ELi4ELi4ELi64ELb0El14__hip_bfloat16EEvPKT6_PKbPfiPT5_PiiiibdPKfPKS9_SF_,"axG",@progbits,_ZN4vllm3moe22topkGatingSoftplusSqrtILi6ELi384ELi4ELi4ELi64ELb0El14__hip_bfloat16EEvPKT6_PKbPfiPT5_PiiiibdPKfPKS9_SF_,comdat
	.protected	_ZN4vllm3moe22topkGatingSoftplusSqrtILi6ELi384ELi4ELi4ELi64ELb0El14__hip_bfloat16EEvPKT6_PKbPfiPT5_PiiiibdPKfPKS9_SF_ ; -- Begin function _ZN4vllm3moe22topkGatingSoftplusSqrtILi6ELi384ELi4ELi4ELi64ELb0El14__hip_bfloat16EEvPKT6_PKbPfiPT5_PiiiibdPKfPKS9_SF_
	.globl	_ZN4vllm3moe22topkGatingSoftplusSqrtILi6ELi384ELi4ELi4ELi64ELb0El14__hip_bfloat16EEvPKT6_PKbPfiPT5_PiiiibdPKfPKS9_SF_
	.p2align	8
	.type	_ZN4vllm3moe22topkGatingSoftplusSqrtILi6ELi384ELi4ELi4ELi64ELb0El14__hip_bfloat16EEvPKT6_PKbPfiPT5_PiiiibdPKfPKS9_SF_,@function
_ZN4vllm3moe22topkGatingSoftplusSqrtILi6ELi384ELi4ELi4ELi64ELb0El14__hip_bfloat16EEvPKT6_PKbPfiPT5_PiiiibdPKfPKS9_SF_: ; @_ZN4vllm3moe22topkGatingSoftplusSqrtILi6ELi384ELi4ELi4ELi64ELb0El14__hip_bfloat16EEvPKT6_PKbPfiPT5_PiiiibdPKfPKS9_SF_
; %bb.0:
	s_load_dword s30, s[0:1], 0x18
	v_and_b32_e32 v1, 0x3ff, v0
	s_lshl_b32 s2, s2, 2
	v_lshrrev_b32_e32 v2, 6, v1
	v_bfe_u32 v0, v0, 10, 10
	v_add3_u32 v6, s2, v0, v2
	s_waitcnt lgkmcnt(0)
	v_cmp_gt_i32_e32 vcc, s30, v6
	s_and_saveexec_b64 s[2:3], vcc
	s_cbranch_execz .LBB529_65
; %bb.1:
	s_load_dwordx4 s[4:7], s[0:1], 0x0
	s_load_dwordx2 s[20:21], s[0:1], 0x10
	s_waitcnt lgkmcnt(0)
	s_cmp_eq_u64 s[6:7], 0
	s_cbranch_scc1 .LBB529_3
; %bb.2:
	v_ashrrev_i32_e32 v7, 31, v6
	v_lshl_add_u64 v[2:3], s[6:7], 0, v[6:7]
	global_load_ubyte v0, v[2:3], off
	s_waitcnt vmcnt(0)
	v_and_b32_e32 v0, 1, v0
	v_cmp_eq_u32_e32 vcc, 1, v0
	s_xor_b64 s[2:3], vcc, -1
	s_orn2_b64 s[22:23], s[2:3], exec
	s_branch .LBB529_4
.LBB529_3:
	s_mov_b64 s[22:23], -1
.LBB529_4:
	s_movk_i32 s2, 0x180
	v_mul_lo_u32 v4, v6, s2
	v_mov_b32_e32 v2, s4
	v_mov_b32_e32 v3, s5
	v_ashrrev_i32_e32 v5, 31, v4
	v_and_b32_e32 v7, 63, v1
	v_lshl_add_u64 v[2:3], v[4:5], 1, v[2:3]
	v_mov_b32_e32 v1, 0
	v_lshlrev_b32_e32 v0, 2, v7
	v_lshl_add_u64 v[0:1], v[2:3], 0, v[0:1]
	global_load_dword v2, v[0:1], off
	global_load_dword v3, v[0:1], off offset:256
	global_load_dword v5, v[0:1], off offset:512
	s_mov_b32 s16, 0x800000
	v_mov_b32_e32 v4, 0x4f800000
	s_mov_b32 s13, 0x3f317217
	s_mov_b32 s14, 0x7f800000
	v_mov_b32_e32 v9, 0x41b17218
	s_mov_b32 s12, 0x41a00000
	s_mov_b32 s15, 0xf800000
	s_load_dwordx4 s[8:11], s[0:1], 0x40
	s_waitcnt lgkmcnt(0)
	s_cmp_lg_u64 s[10:11], 0
	s_cselect_b64 s[6:7], -1, 0
	s_and_b64 s[2:3], exec, s[6:7]
	s_waitcnt vmcnt(2)
	v_lshlrev_b32_e32 v0, 16, v2
	v_mul_f32_e32 v1, 0x3fb8aa3b, v0
	v_exp_f32_e32 v8, v1
	v_mov_b32_e32 v1, 0x260
	v_add_f32_e32 v8, 1.0, v8
	v_cmp_gt_f32_e32 vcc, s16, v8
	s_nop 1
	v_cndmask_b32_e32 v10, 1.0, v4, vcc
	v_mul_f32_e32 v8, v8, v10
	v_log_f32_e32 v11, v8
	v_cndmask_b32_e32 v12, 0, v9, vcc
	v_lshlrev_b32_e32 v10, 1, v7
	v_lshlrev_b32_e32 v8, 2, v10
	v_mul_f32_e32 v13, 0x3f317217, v11
	v_fma_f32 v13, v11, s13, -v13
	v_fmac_f32_e32 v13, 0x3377d1cf, v11
	v_fmac_f32_e32 v13, 0x3f317217, v11
	v_cmp_lt_f32_e64 vcc, |v11|, s14
	s_nop 1
	v_cndmask_b32_e32 v11, v11, v13, vcc
	v_sub_f32_e32 v11, v11, v12
	v_cmp_lt_f32_e32 vcc, s12, v0
	s_nop 1
	v_cndmask_b32_e32 v0, v11, v0, vcc
	v_mul_f32_e32 v11, 0x4f800000, v0
	v_cmp_gt_f32_e32 vcc, s15, v0
	s_nop 1
	v_cndmask_b32_e32 v0, v0, v11, vcc
	v_sqrt_f32_e32 v11, v0
	s_nop 0
	v_add_u32_e32 v12, -1, v11
	v_add_u32_e32 v13, 1, v11
	v_fma_f32 v14, -v12, v11, v0
	v_fma_f32 v15, -v13, v11, v0
	v_cmp_ge_f32_e64 s[4:5], 0, v14
	s_nop 1
	v_cndmask_b32_e64 v11, v11, v12, s[4:5]
	v_cmp_lt_f32_e64 s[4:5], 0, v15
	s_nop 1
	v_cndmask_b32_e64 v11, v11, v13, s[4:5]
	v_mul_f32_e32 v12, 0x37800000, v11
	v_cndmask_b32_e32 v11, v11, v12, vcc
	v_cmp_class_f32_e32 vcc, v0, v1
	s_nop 1
	v_cndmask_b32_e32 v0, v11, v0, vcc
	s_mov_b64 vcc, s[2:3]
	s_cbranch_vccz .LBB529_6
; %bb.5:
	global_load_dword v11, v8, s[10:11]
	s_waitcnt vmcnt(0)
	v_add_f32_e32 v0, v0, v11
.LBB529_6:
	v_and_b32_e32 v2, 0xffff0000, v2
	v_mul_f32_e32 v11, 0x3fb8aa3b, v2
	v_exp_f32_e32 v11, v11
	s_nop 0
	v_add_f32_e32 v11, 1.0, v11
	v_cmp_gt_f32_e32 vcc, s16, v11
	s_nop 1
	v_cndmask_b32_e32 v4, 1.0, v4, vcc
	v_mul_f32_e32 v4, v11, v4
	v_log_f32_e32 v4, v4
	v_cndmask_b32_e32 v9, 0, v9, vcc
	v_mul_f32_e32 v11, 0x3f317217, v4
	v_fma_f32 v11, v4, s13, -v11
	v_fmac_f32_e32 v11, 0x3377d1cf, v4
	v_fmac_f32_e32 v11, 0x3f317217, v4
	v_cmp_lt_f32_e64 vcc, |v4|, s14
	s_nop 1
	v_cndmask_b32_e32 v4, v4, v11, vcc
	v_sub_f32_e32 v4, v4, v9
	v_cmp_lt_f32_e32 vcc, s12, v2
	s_nop 1
	v_cndmask_b32_e32 v2, v4, v2, vcc
	v_mul_f32_e32 v4, 0x4f800000, v2
	v_cmp_gt_f32_e32 vcc, s15, v2
	s_nop 1
	v_cndmask_b32_e32 v2, v2, v4, vcc
	v_sqrt_f32_e32 v4, v2
	v_cmp_class_f32_e64 s[4:5], v2, v1
	v_add_u32_e32 v9, -1, v4
	v_add_u32_e32 v11, 1, v4
	v_fma_f32 v12, -v9, v4, v2
	v_fma_f32 v13, -v11, v4, v2
	v_cmp_ge_f32_e64 s[2:3], 0, v12
	s_nop 1
	v_cndmask_b32_e64 v4, v4, v9, s[2:3]
	v_cmp_lt_f32_e64 s[2:3], 0, v13
	s_nop 1
	v_cndmask_b32_e64 v4, v4, v11, s[2:3]
	v_mul_f32_e32 v9, 0x37800000, v4
	v_cndmask_b32_e32 v4, v4, v9, vcc
	v_cndmask_b32_e64 v9, 0, 1, s[6:7]
	v_cmp_ne_u32_e64 s[2:3], 1, v9
	s_andn2_b64 vcc, exec, s[6:7]
	v_cndmask_b32_e64 v1, v4, v2, s[4:5]
	s_cbranch_vccnz .LBB529_8
; %bb.7:
	global_load_dword v2, v8, s[10:11] offset:4
	s_waitcnt vmcnt(0)
	v_add_f32_e32 v1, v1, v2
.LBB529_8:
	s_waitcnt vmcnt(1)
	v_lshlrev_b32_e32 v2, 16, v3
	v_mul_f32_e32 v4, 0x3fb8aa3b, v2
	v_exp_f32_e32 v4, v4
	s_mov_b32 s14, 0x800000
	v_mov_b32_e32 v9, 0x4f800000
	s_mov_b32 s7, 0x3f317217
	v_add_f32_e32 v4, 1.0, v4
	v_cmp_gt_f32_e32 vcc, s14, v4
	s_mov_b32 s12, 0x7f800000
	s_mov_b32 s6, 0x41a00000
	v_cndmask_b32_e32 v11, 1.0, v9, vcc
	v_mul_f32_e32 v4, v4, v11
	v_log_f32_e32 v4, v4
	s_mov_b32 s13, 0xf800000
	v_mul_f32_e32 v11, 0x3f317217, v4
	v_fma_f32 v11, v4, s7, -v11
	v_fmac_f32_e32 v11, 0x3377d1cf, v4
	v_fmac_f32_e32 v11, 0x3f317217, v4
	v_cmp_lt_f32_e64 s[4:5], |v4|, s12
	s_nop 1
	v_cndmask_b32_e64 v4, v4, v11, s[4:5]
	v_mov_b32_e32 v11, 0x41b17218
	v_cndmask_b32_e32 v12, 0, v11, vcc
	v_sub_f32_e32 v4, v4, v12
	v_cmp_lt_f32_e32 vcc, s6, v2
	s_nop 1
	v_cndmask_b32_e32 v2, v4, v2, vcc
	v_mul_f32_e32 v4, 0x4f800000, v2
	v_cmp_gt_f32_e32 vcc, s13, v2
	s_nop 1
	v_cndmask_b32_e32 v2, v2, v4, vcc
	v_sqrt_f32_e32 v4, v2
	s_nop 0
	v_add_u32_e32 v12, -1, v4
	v_fma_f32 v13, -v12, v4, v2
	v_cmp_ge_f32_e64 s[4:5], 0, v13
	v_add_u32_e32 v13, 1, v4
	s_nop 0
	v_cndmask_b32_e64 v12, v4, v12, s[4:5]
	v_fma_f32 v4, -v13, v4, v2
	v_cmp_lt_f32_e64 s[4:5], 0, v4
	s_nop 1
	v_cndmask_b32_e64 v4, v12, v13, s[4:5]
	v_mul_f32_e32 v12, 0x37800000, v4
	v_cndmask_b32_e32 v12, v4, v12, vcc
	v_mov_b32_e32 v4, 0x260
	v_cmp_class_f32_e64 s[4:5], v2, v4
	s_and_b64 vcc, exec, s[2:3]
	s_nop 0
	v_cndmask_b32_e64 v2, v12, v2, s[4:5]
	s_cbranch_vccnz .LBB529_10
; %bb.9:
	global_load_dword v12, v8, s[10:11] offset:512
	s_waitcnt vmcnt(0)
	v_add_f32_e32 v2, v2, v12
.LBB529_10:
	v_and_b32_e32 v3, 0xffff0000, v3
	v_mul_f32_e32 v12, 0x3fb8aa3b, v3
	v_exp_f32_e32 v12, v12
	s_nop 0
	v_add_f32_e32 v12, 1.0, v12
	v_cmp_gt_f32_e32 vcc, s14, v12
	s_nop 1
	v_cndmask_b32_e32 v9, 1.0, v9, vcc
	v_mul_f32_e32 v9, v12, v9
	v_log_f32_e32 v9, v9
	v_cndmask_b32_e32 v11, 0, v11, vcc
	v_mul_f32_e32 v12, 0x3f317217, v9
	v_fma_f32 v12, v9, s7, -v12
	v_fmac_f32_e32 v12, 0x3377d1cf, v9
	v_fmac_f32_e32 v12, 0x3f317217, v9
	v_cmp_lt_f32_e64 vcc, |v9|, s12
	s_nop 1
	v_cndmask_b32_e32 v9, v9, v12, vcc
	v_sub_f32_e32 v9, v9, v11
	v_cmp_lt_f32_e32 vcc, s6, v3
	s_nop 1
	v_cndmask_b32_e32 v3, v9, v3, vcc
	v_mul_f32_e32 v9, 0x4f800000, v3
	v_cmp_gt_f32_e32 vcc, s13, v3
	s_nop 1
	v_cndmask_b32_e32 v3, v3, v9, vcc
	v_sqrt_f32_e32 v9, v3
	s_nop 0
	v_add_u32_e32 v11, -1, v9
	v_add_u32_e32 v12, 1, v9
	v_fma_f32 v13, -v11, v9, v3
	v_fma_f32 v14, -v12, v9, v3
	v_cmp_ge_f32_e64 s[4:5], 0, v13
	s_nop 1
	v_cndmask_b32_e64 v9, v9, v11, s[4:5]
	v_cmp_lt_f32_e64 s[4:5], 0, v14
	s_nop 1
	v_cndmask_b32_e64 v9, v9, v12, s[4:5]
	v_mul_f32_e32 v11, 0x37800000, v9
	v_cndmask_b32_e32 v9, v9, v11, vcc
	v_cmp_class_f32_e64 s[4:5], v3, v4
	s_and_b64 vcc, exec, s[2:3]
	s_nop 0
	v_cndmask_b32_e64 v3, v9, v3, s[4:5]
	s_cbranch_vccnz .LBB529_12
; %bb.11:
	global_load_dword v4, v8, s[10:11] offset:516
	s_waitcnt vmcnt(0)
	v_add_f32_e32 v3, v3, v4
.LBB529_12:
	s_waitcnt vmcnt(0)
	v_lshlrev_b32_e32 v4, 16, v5
	v_mul_f32_e32 v9, 0x3fb8aa3b, v4
	v_exp_f32_e32 v9, v9
	v_mov_b32_e32 v11, 0x4f800000
	v_add_f32_e32 v9, 1.0, v9
	v_cmp_gt_f32_e32 vcc, s14, v9
	s_nop 1
	v_cndmask_b32_e32 v12, 1.0, v11, vcc
	v_mul_f32_e32 v9, v9, v12
	v_log_f32_e32 v9, v9
	s_nop 0
	v_mul_f32_e32 v12, 0x3f317217, v9
	v_fma_f32 v12, v9, s7, -v12
	v_fmac_f32_e32 v12, 0x3377d1cf, v9
	v_fmac_f32_e32 v12, 0x3f317217, v9
	v_cmp_lt_f32_e64 s[4:5], |v9|, s12
	s_nop 1
	v_cndmask_b32_e64 v9, v9, v12, s[4:5]
	v_mov_b32_e32 v12, 0x41b17218
	v_cndmask_b32_e32 v13, 0, v12, vcc
	v_sub_f32_e32 v9, v9, v13
	v_cmp_lt_f32_e32 vcc, s6, v4
	s_nop 1
	v_cndmask_b32_e32 v4, v9, v4, vcc
	v_mul_f32_e32 v9, 0x4f800000, v4
	v_cmp_gt_f32_e32 vcc, s13, v4
	s_nop 1
	v_cndmask_b32_e32 v4, v4, v9, vcc
	v_sqrt_f32_e32 v9, v4
	s_nop 0
	v_add_u32_e32 v13, -1, v9
	v_fma_f32 v14, -v13, v9, v4
	v_cmp_ge_f32_e64 s[4:5], 0, v14
	v_add_u32_e32 v14, 1, v9
	s_nop 0
	v_cndmask_b32_e64 v13, v9, v13, s[4:5]
	v_fma_f32 v9, -v14, v9, v4
	v_cmp_lt_f32_e64 s[4:5], 0, v9
	s_nop 1
	v_cndmask_b32_e64 v9, v13, v14, s[4:5]
	v_mul_f32_e32 v13, 0x37800000, v9
	v_cndmask_b32_e32 v13, v9, v13, vcc
	v_mov_b32_e32 v9, 0x260
	v_cmp_class_f32_e64 s[4:5], v4, v9
	s_and_b64 vcc, exec, s[2:3]
	s_nop 0
	v_cndmask_b32_e64 v4, v13, v4, s[4:5]
	s_cbranch_vccnz .LBB529_14
; %bb.13:
	global_load_dword v13, v8, s[10:11] offset:1024
	s_waitcnt vmcnt(0)
	v_add_f32_e32 v4, v4, v13
.LBB529_14:
	v_and_b32_e32 v5, 0xffff0000, v5
	v_mul_f32_e32 v13, 0x3fb8aa3b, v5
	v_exp_f32_e32 v13, v13
	s_nop 0
	v_add_f32_e32 v13, 1.0, v13
	v_cmp_gt_f32_e32 vcc, s14, v13
	s_nop 1
	v_cndmask_b32_e32 v11, 1.0, v11, vcc
	v_mul_f32_e32 v11, v13, v11
	v_log_f32_e32 v11, v11
	v_cndmask_b32_e32 v12, 0, v12, vcc
	v_mul_f32_e32 v13, 0x3f317217, v11
	v_fma_f32 v13, v11, s7, -v13
	v_fmac_f32_e32 v13, 0x3377d1cf, v11
	v_fmac_f32_e32 v13, 0x3f317217, v11
	v_cmp_lt_f32_e64 vcc, |v11|, s12
	s_nop 1
	v_cndmask_b32_e32 v11, v11, v13, vcc
	v_sub_f32_e32 v11, v11, v12
	v_cmp_lt_f32_e32 vcc, s6, v5
	s_nop 1
	v_cndmask_b32_e32 v5, v11, v5, vcc
	v_mul_f32_e32 v11, 0x4f800000, v5
	v_cmp_gt_f32_e32 vcc, s13, v5
	s_nop 1
	v_cndmask_b32_e32 v5, v5, v11, vcc
	v_sqrt_f32_e32 v11, v5
	s_nop 0
	v_add_u32_e32 v12, -1, v11
	v_add_u32_e32 v13, 1, v11
	v_fma_f32 v14, -v12, v11, v5
	v_fma_f32 v15, -v13, v11, v5
	v_cmp_ge_f32_e64 s[4:5], 0, v14
	s_nop 1
	v_cndmask_b32_e64 v11, v11, v12, s[4:5]
	v_cmp_lt_f32_e64 s[4:5], 0, v15
	s_nop 1
	v_cndmask_b32_e64 v11, v11, v13, s[4:5]
	v_mul_f32_e32 v12, 0x37800000, v11
	v_cndmask_b32_e32 v11, v11, v12, vcc
	v_cmp_class_f32_e64 s[4:5], v5, v9
	s_and_b64 vcc, exec, s[2:3]
	s_nop 0
	v_cndmask_b32_e64 v5, v11, v5, s[4:5]
	s_cbranch_vccnz .LBB529_16
; %bb.15:
	global_load_dword v8, v8, s[10:11] offset:1028
	s_waitcnt vmcnt(0)
	v_add_f32_e32 v5, v5, v8
.LBB529_16:
	s_load_dwordx4 s[12:15], s[0:1], 0x30
	s_mov_b32 s31, 0
	v_cmp_eq_u32_e64 s[6:7], 0, v7
	s_waitcnt lgkmcnt(0)
	s_bitcmp1_b32 s15, 0
	s_cselect_b64 s[4:5], -1, 0
	s_cmp_gt_i32 s12, 0
	s_cselect_b64 s[24:25], -1, 0
	s_and_b64 vcc, exec, s[24:25]
	s_cbranch_vccz .LBB529_51
; %bb.17:
	v_mbcnt_lo_u32_b32 v8, -1, 0
	v_mbcnt_hi_u32_b32 v8, -1, v8
	v_and_b32_e32 v9, 64, v8
	v_add_u32_e32 v9, 64, v9
	v_xor_b32_e32 v11, 32, v8
	v_cmp_lt_i32_e32 vcc, v11, v9
	s_load_dwordx4 s[16:19], s[0:1], 0x20
	v_mul_lo_u32 v12, v6, s12
	v_cndmask_b32_e32 v11, v8, v11, vcc
	v_lshlrev_b32_e32 v13, 2, v11
	v_xor_b32_e32 v11, 16, v8
	v_cmp_lt_i32_e32 vcc, v11, v9
	v_mov_b32_e32 v19, 0x80
	v_mov_b32_e32 v20, 0x81
	v_cndmask_b32_e32 v11, v8, v11, vcc
	v_lshlrev_b32_e32 v14, 2, v11
	v_xor_b32_e32 v11, 8, v8
	v_cmp_lt_i32_e32 vcc, v11, v9
	v_mov_b32_e32 v21, 0x100
	v_mov_b32_e32 v22, 0x101
	;; [unrolled: 6-line block ×3, first 2 shown]
	v_cndmask_b32_e32 v11, v8, v11, vcc
	v_lshlrev_b32_e32 v16, 2, v11
	v_xor_b32_e32 v11, 2, v8
	v_cmp_lt_i32_e32 vcc, v11, v9
	v_mov_b32_e32 v25, v6
	s_nop 0
	v_cndmask_b32_e32 v11, v8, v11, vcc
	v_lshlrev_b32_e32 v17, 2, v11
	v_xor_b32_e32 v11, 1, v8
	v_cmp_lt_i32_e32 vcc, v11, v9
	s_nop 1
	v_cndmask_b32_e32 v8, v8, v11, vcc
	v_lshlrev_b32_e32 v18, 2, v8
	v_mov_b32_e32 v11, 0
	s_branch .LBB529_20
.LBB529_18:                             ;   in Loop: Header=BB529_20 Depth=1
	s_or_b64 exec, exec, s[0:1]
.LBB529_19:                             ;   in Loop: Header=BB529_20 Depth=1
	s_cmp_eq_u32 s12, s31
	v_add_u32_e32 v25, s30, v25
	s_cbranch_scc1 .LBB529_52
.LBB529_20:                             ; =>This Inner Loop Header: Depth=1
	v_cmp_gt_f32_e32 vcc, v1, v0
	s_nop 1
	v_cndmask_b32_e32 v9, v0, v1, vcc
	v_cndmask_b32_e64 v8, 0, 1, vcc
	v_cmp_gt_f32_e32 vcc, v2, v9
	s_nop 1
	v_cndmask_b32_e32 v9, v9, v2, vcc
	v_cndmask_b32_e32 v8, v8, v19, vcc
	v_cmp_gt_f32_e32 vcc, v3, v9
	s_nop 1
	v_cndmask_b32_e32 v9, v9, v3, vcc
	v_cndmask_b32_e32 v8, v8, v20, vcc
	;; [unrolled: 4-line block ×4, first 2 shown]
	ds_bpermute_b32 v9, v13, v26
	v_or_b32_e32 v8, v10, v8
	s_waitcnt lgkmcnt(0)
	ds_bpermute_b32 v27, v13, v8
	s_waitcnt lgkmcnt(0)
	v_cmp_lt_f32_e64 s[26:27], v26, v9
	v_cmp_nlt_f32_e32 vcc, v26, v9
	s_and_saveexec_b64 s[28:29], vcc
; %bb.21:                               ;   in Loop: Header=BB529_20 Depth=1
	v_cmp_eq_f32_e32 vcc, v26, v9
	v_cmp_lt_i32_e64 s[0:1], v27, v8
	s_and_b64 s[0:1], vcc, s[0:1]
	s_andn2_b64 s[26:27], s[26:27], exec
	s_and_b64 s[0:1], s[0:1], exec
	s_or_b64 s[26:27], s[26:27], s[0:1]
; %bb.22:                               ;   in Loop: Header=BB529_20 Depth=1
	s_or_b64 exec, exec, s[28:29]
	s_and_saveexec_b64 s[0:1], s[26:27]
; %bb.23:                               ;   in Loop: Header=BB529_20 Depth=1
	v_mov_b32_e32 v26, v9
	v_mov_b32_e32 v8, v27
; %bb.24:                               ;   in Loop: Header=BB529_20 Depth=1
	s_or_b64 exec, exec, s[0:1]
	ds_bpermute_b32 v9, v14, v26
	ds_bpermute_b32 v27, v14, v8
	s_waitcnt lgkmcnt(1)
	v_cmp_lt_f32_e64 s[26:27], v26, v9
	v_cmp_nlt_f32_e32 vcc, v26, v9
	s_and_saveexec_b64 s[28:29], vcc
	s_cbranch_execz .LBB529_26
; %bb.25:                               ;   in Loop: Header=BB529_20 Depth=1
	v_cmp_eq_f32_e32 vcc, v26, v9
	s_waitcnt lgkmcnt(0)
	v_cmp_lt_i32_e64 s[0:1], v27, v8
	s_and_b64 s[0:1], vcc, s[0:1]
	s_andn2_b64 s[26:27], s[26:27], exec
	s_and_b64 s[0:1], s[0:1], exec
	s_or_b64 s[26:27], s[26:27], s[0:1]
.LBB529_26:                             ;   in Loop: Header=BB529_20 Depth=1
	s_or_b64 exec, exec, s[28:29]
	s_and_saveexec_b64 s[0:1], s[26:27]
	s_cbranch_execz .LBB529_28
; %bb.27:                               ;   in Loop: Header=BB529_20 Depth=1
	v_mov_b32_e32 v26, v9
	s_waitcnt lgkmcnt(0)
	v_mov_b32_e32 v8, v27
.LBB529_28:                             ;   in Loop: Header=BB529_20 Depth=1
	s_or_b64 exec, exec, s[0:1]
	ds_bpermute_b32 v9, v15, v26
	s_waitcnt lgkmcnt(1)
	ds_bpermute_b32 v27, v15, v8
	s_waitcnt lgkmcnt(1)
	v_cmp_lt_f32_e64 s[26:27], v26, v9
	v_cmp_nlt_f32_e32 vcc, v26, v9
	s_and_saveexec_b64 s[28:29], vcc
	s_cbranch_execz .LBB529_30
; %bb.29:                               ;   in Loop: Header=BB529_20 Depth=1
	v_cmp_eq_f32_e32 vcc, v26, v9
	s_waitcnt lgkmcnt(0)
	v_cmp_lt_i32_e64 s[0:1], v27, v8
	s_and_b64 s[0:1], vcc, s[0:1]
	s_andn2_b64 s[26:27], s[26:27], exec
	s_and_b64 s[0:1], s[0:1], exec
	s_or_b64 s[26:27], s[26:27], s[0:1]
.LBB529_30:                             ;   in Loop: Header=BB529_20 Depth=1
	s_or_b64 exec, exec, s[28:29]
	s_and_saveexec_b64 s[0:1], s[26:27]
	s_cbranch_execz .LBB529_32
; %bb.31:                               ;   in Loop: Header=BB529_20 Depth=1
	v_mov_b32_e32 v26, v9
	s_waitcnt lgkmcnt(0)
	v_mov_b32_e32 v8, v27
.LBB529_32:                             ;   in Loop: Header=BB529_20 Depth=1
	s_or_b64 exec, exec, s[0:1]
	ds_bpermute_b32 v9, v16, v26
	s_waitcnt lgkmcnt(1)
	;; [unrolled: 26-line block ×4, first 2 shown]
	ds_bpermute_b32 v27, v18, v8
	s_waitcnt lgkmcnt(1)
	v_cmp_lt_f32_e64 s[26:27], v26, v9
	v_cmp_nlt_f32_e32 vcc, v26, v9
	s_and_saveexec_b64 s[28:29], vcc
	s_cbranch_execnz .LBB529_44
; %bb.41:                               ;   in Loop: Header=BB529_20 Depth=1
	s_or_b64 exec, exec, s[28:29]
	s_and_saveexec_b64 s[0:1], s[26:27]
	s_cbranch_execnz .LBB529_45
.LBB529_42:                             ;   in Loop: Header=BB529_20 Depth=1
	s_or_b64 exec, exec, s[0:1]
	s_and_saveexec_b64 s[26:27], s[6:7]
	s_cbranch_execnz .LBB529_46
.LBB529_43:                             ;   in Loop: Header=BB529_20 Depth=1
	s_or_b64 exec, exec, s[26:27]
	s_add_i32 s31, s31, 1
	s_cmp_ge_i32 s31, s12
	s_cbranch_scc1 .LBB529_19
	s_branch .LBB529_49
.LBB529_44:                             ;   in Loop: Header=BB529_20 Depth=1
	v_cmp_eq_f32_e32 vcc, v26, v9
	s_waitcnt lgkmcnt(0)
	v_cmp_lt_i32_e64 s[0:1], v27, v8
	s_and_b64 s[0:1], vcc, s[0:1]
	s_andn2_b64 s[26:27], s[26:27], exec
	s_and_b64 s[0:1], s[0:1], exec
	s_or_b64 s[26:27], s[26:27], s[0:1]
	s_or_b64 exec, exec, s[28:29]
	s_and_saveexec_b64 s[0:1], s[26:27]
	s_cbranch_execz .LBB529_42
.LBB529_45:                             ;   in Loop: Header=BB529_20 Depth=1
	s_waitcnt lgkmcnt(0)
	v_mov_b32_e32 v8, v27
	v_mov_b32_e32 v26, v9
	s_or_b64 exec, exec, s[0:1]
	s_and_saveexec_b64 s[26:27], s[6:7]
	s_cbranch_execz .LBB529_43
.LBB529_46:                             ;   in Loop: Header=BB529_20 Depth=1
	s_and_b64 vcc, exec, s[2:3]
	s_cbranch_vccnz .LBB529_48
; %bb.47:                               ;   in Loop: Header=BB529_20 Depth=1
	v_ashrrev_i32_e32 v9, 31, v8
	v_lshl_add_u64 v[28:29], v[8:9], 2, s[10:11]
	global_load_dword v9, v[28:29], off
	s_waitcnt vmcnt(0)
	v_sub_f32_e32 v26, v26, v9
.LBB529_48:                             ;   in Loop: Header=BB529_20 Depth=1
	v_add_u32_e32 v28, s31, v12
	v_cmp_le_i32_e32 vcc, s13, v8
	v_cmp_gt_i32_e64 s[0:1], s14, v8
	v_ashrrev_i32_e32 v29, 31, v28
	s_and_b64 s[0:1], vcc, s[0:1]
	v_lshlrev_b64 v[30:31], 2, v[28:29]
	v_subrev_u32_e32 v9, s13, v8
	v_lshl_add_u64 v[32:33], s[20:21], 0, v[30:31]
	s_waitcnt lgkmcnt(0)
	v_ashrrev_i32_e32 v27, 31, v9
	s_and_b64 vcc, s[22:23], s[0:1]
	global_store_dword v[32:33], v26, off
	v_cndmask_b32_e32 v33, 0, v27, vcc
	v_cndmask_b32_e32 v32, v23, v9, vcc
	v_lshl_add_u64 v[28:29], v[28:29], 3, s[16:17]
	v_add_f32_e32 v9, v11, v26
	global_store_dwordx2 v[28:29], v[32:33], off
	v_lshl_add_u64 v[28:29], s[18:19], 0, v[30:31]
	v_cndmask_b32_e64 v11, v11, v9, s[4:5]
	global_store_dword v[28:29], v25, off
	s_or_b64 exec, exec, s[26:27]
	s_add_i32 s31, s31, 1
	s_cmp_ge_i32 s31, s12
	s_cbranch_scc1 .LBB529_19
.LBB529_49:                             ;   in Loop: Header=BB529_20 Depth=1
	v_lshrrev_b32_e32 v9, 31, v8
	v_add_u32_e32 v26, v8, v9
	v_ashrrev_i32_e32 v9, 1, v26
	v_ashrrev_i32_e32 v26, 31, v26
	v_lshrrev_b32_e32 v26, 26, v26
	v_add_u32_e32 v26, v9, v26
	v_and_b32_e32 v26, 0xffffffc0, v26
	v_sub_u32_e32 v26, v9, v26
	v_cmp_eq_u32_e32 vcc, v7, v26
	s_and_saveexec_b64 s[0:1], vcc
	s_cbranch_execz .LBB529_18
; %bb.50:                               ;   in Loop: Header=BB529_20 Depth=1
	v_ashrrev_i32_e32 v26, 31, v8
	v_lshrrev_b32_e32 v26, 25, v26
	v_add_u32_e32 v26, v8, v26
	v_lshlrev_b32_e32 v9, 1, v9
	v_ashrrev_i32_e32 v26, 7, v26
	v_sub_u32_e32 v8, v8, v9
	v_lshl_add_u32 v8, v26, 1, v8
	v_cmp_ne_u32_e32 vcc, 5, v8
	s_nop 1
	v_cndmask_b32_e32 v5, v24, v5, vcc
	v_cmp_ne_u32_e32 vcc, 4, v8
	s_nop 1
	v_cndmask_b32_e32 v4, v24, v4, vcc
	;; [unrolled: 3-line block ×6, first 2 shown]
	s_branch .LBB529_18
.LBB529_51:
	v_mov_b32_e32 v11, 0
.LBB529_52:
	v_cmp_eq_u32_e32 vcc, 0, v7
	s_and_b64 exec, exec, vcc
	s_cbranch_execz .LBB529_65
; %bb.53:
	s_andn2_b64 vcc, exec, s[4:5]
	v_cvt_f32_f64_e32 v0, s[8:9]
	s_cbranch_vccnz .LBB529_55
; %bb.54:
	v_cmp_lt_f32_e32 vcc, 0, v11
	s_nop 1
	v_cndmask_b32_e32 v1, 1.0, v11, vcc
	v_div_scale_f32 v2, s[0:1], v1, v1, v0
	v_rcp_f32_e32 v3, v2
	s_nop 0
	v_fma_f32 v4, -v2, v3, 1.0
	v_fmac_f32_e32 v3, v4, v3
	v_div_scale_f32 v4, vcc, v0, v1, v0
	v_mul_f32_e32 v5, v4, v3
	v_fma_f32 v7, -v2, v5, v4
	v_fmac_f32_e32 v5, v7, v3
	v_fma_f32 v2, -v2, v5, v4
	v_div_fmas_f32 v2, v2, v3, v5
	v_div_fixup_f32 v0, v2, v1, v0
.LBB529_55:
	s_andn2_b64 vcc, exec, s[24:25]
	s_cbranch_vccnz .LBB529_65
; %bb.56:
	v_mul_lo_u32 v2, v6, s12
	s_cmp_gt_u32 s12, 3
	v_ashrrev_i32_e32 v3, 31, v2
	s_cbranch_scc0 .LBB529_60
; %bb.57:
	s_and_b32 s0, s12, 0x7ffffffc
	v_lshl_add_u64 v[4:5], v[2:3], 2, s[20:21]
	v_mov_b32_e32 v1, v0
	v_lshl_add_u64 v[4:5], v[4:5], 0, 8
	s_mov_b32 s1, s0
.LBB529_58:                             ; =>This Inner Loop Header: Depth=1
	global_load_dwordx4 v[6:9], v[4:5], off offset:-8
	s_add_i32 s1, s1, -4
	s_cmp_lg_u32 s1, 0
	s_waitcnt vmcnt(0)
	v_pk_mul_f32 v[6:7], v[0:1], v[6:7]
	v_pk_mul_f32 v[8:9], v[0:1], v[8:9]
	global_store_dwordx4 v[4:5], v[6:9], off offset:-8
	v_lshl_add_u64 v[4:5], v[4:5], 0, 16
	s_cbranch_scc1 .LBB529_58
; %bb.59:
	s_cmp_lg_u32 s0, s12
	s_cselect_b64 s[2:3], -1, 0
	s_branch .LBB529_62
.LBB529_60:
	s_mov_b64 s[2:3], 0
                                        ; implicit-def: $sgpr0
	s_cbranch_execz .LBB529_62
; %bb.61:
	s_mov_b64 s[2:3], -1
	s_mov_b32 s0, 0
.LBB529_62:
	s_andn2_b64 vcc, exec, s[2:3]
	s_cbranch_vccnz .LBB529_65
; %bb.63:
	s_mov_b32 s1, 0
	v_lshl_add_u64 v[2:3], v[2:3], 0, s[0:1]
	s_sub_i32 s2, s12, s0
	v_lshl_add_u64 v[2:3], v[2:3], 2, s[20:21]
.LBB529_64:                             ; =>This Inner Loop Header: Depth=1
	global_load_dword v1, v[2:3], off
	s_add_i32 s2, s2, -1
	s_cmp_lg_u32 s2, 0
	s_waitcnt vmcnt(0)
	v_mul_f32_e32 v1, v0, v1
	global_store_dword v[2:3], v1, off
	v_lshl_add_u64 v[2:3], v[2:3], 0, 4
	s_cbranch_scc1 .LBB529_64
.LBB529_65:
	s_endpgm
	.section	.rodata,"a",@progbits
	.p2align	6, 0x0
	.amdhsa_kernel _ZN4vllm3moe22topkGatingSoftplusSqrtILi6ELi384ELi4ELi4ELi64ELb0El14__hip_bfloat16EEvPKT6_PKbPfiPT5_PiiiibdPKfPKS9_SF_
		.amdhsa_group_segment_fixed_size 0
		.amdhsa_private_segment_fixed_size 0
		.amdhsa_kernarg_size 96
		.amdhsa_user_sgpr_count 2
		.amdhsa_user_sgpr_dispatch_ptr 0
		.amdhsa_user_sgpr_queue_ptr 0
		.amdhsa_user_sgpr_kernarg_segment_ptr 1
		.amdhsa_user_sgpr_dispatch_id 0
		.amdhsa_user_sgpr_kernarg_preload_length 0
		.amdhsa_user_sgpr_kernarg_preload_offset 0
		.amdhsa_user_sgpr_private_segment_size 0
		.amdhsa_uses_dynamic_stack 0
		.amdhsa_enable_private_segment 0
		.amdhsa_system_sgpr_workgroup_id_x 1
		.amdhsa_system_sgpr_workgroup_id_y 0
		.amdhsa_system_sgpr_workgroup_id_z 0
		.amdhsa_system_sgpr_workgroup_info 0
		.amdhsa_system_vgpr_workitem_id 1
		.amdhsa_next_free_vgpr 34
		.amdhsa_next_free_sgpr 32
		.amdhsa_accum_offset 36
		.amdhsa_reserve_vcc 1
		.amdhsa_float_round_mode_32 0
		.amdhsa_float_round_mode_16_64 0
		.amdhsa_float_denorm_mode_32 3
		.amdhsa_float_denorm_mode_16_64 3
		.amdhsa_dx10_clamp 1
		.amdhsa_ieee_mode 1
		.amdhsa_fp16_overflow 0
		.amdhsa_tg_split 0
		.amdhsa_exception_fp_ieee_invalid_op 0
		.amdhsa_exception_fp_denorm_src 0
		.amdhsa_exception_fp_ieee_div_zero 0
		.amdhsa_exception_fp_ieee_overflow 0
		.amdhsa_exception_fp_ieee_underflow 0
		.amdhsa_exception_fp_ieee_inexact 0
		.amdhsa_exception_int_div_zero 0
	.end_amdhsa_kernel
	.section	.text._ZN4vllm3moe22topkGatingSoftplusSqrtILi6ELi384ELi4ELi4ELi64ELb0El14__hip_bfloat16EEvPKT6_PKbPfiPT5_PiiiibdPKfPKS9_SF_,"axG",@progbits,_ZN4vllm3moe22topkGatingSoftplusSqrtILi6ELi384ELi4ELi4ELi64ELb0El14__hip_bfloat16EEvPKT6_PKbPfiPT5_PiiiibdPKfPKS9_SF_,comdat
.Lfunc_end529:
	.size	_ZN4vllm3moe22topkGatingSoftplusSqrtILi6ELi384ELi4ELi4ELi64ELb0El14__hip_bfloat16EEvPKT6_PKbPfiPT5_PiiiibdPKfPKS9_SF_, .Lfunc_end529-_ZN4vllm3moe22topkGatingSoftplusSqrtILi6ELi384ELi4ELi4ELi64ELb0El14__hip_bfloat16EEvPKT6_PKbPfiPT5_PiiiibdPKfPKS9_SF_
                                        ; -- End function
	.section	.AMDGPU.csdata,"",@progbits
; Kernel info:
; codeLenInByte = 3648
; NumSgprs: 38
; NumVgprs: 34
; NumAgprs: 0
; TotalNumVgprs: 34
; ScratchSize: 0
; MemoryBound: 0
; FloatMode: 240
; IeeeMode: 1
; LDSByteSize: 0 bytes/workgroup (compile time only)
; SGPRBlocks: 4
; VGPRBlocks: 4
; NumSGPRsForWavesPerEU: 38
; NumVGPRsForWavesPerEU: 34
; AccumOffset: 36
; Occupancy: 8
; WaveLimiterHint : 1
; COMPUTE_PGM_RSRC2:SCRATCH_EN: 0
; COMPUTE_PGM_RSRC2:USER_SGPR: 2
; COMPUTE_PGM_RSRC2:TRAP_HANDLER: 0
; COMPUTE_PGM_RSRC2:TGID_X_EN: 1
; COMPUTE_PGM_RSRC2:TGID_Y_EN: 0
; COMPUTE_PGM_RSRC2:TGID_Z_EN: 0
; COMPUTE_PGM_RSRC2:TIDIG_COMP_CNT: 1
; COMPUTE_PGM_RSRC3_GFX90A:ACCUM_OFFSET: 8
; COMPUTE_PGM_RSRC3_GFX90A:TG_SPLIT: 0
	.section	.text._ZN4vllm3moe22topkGatingSoftplusSqrtILi12ELi384ELi4ELi4ELi32ELb1El14__hip_bfloat16EEvPKT6_PKbPfiPT5_PiiiibdPKfPKS9_SF_,"axG",@progbits,_ZN4vllm3moe22topkGatingSoftplusSqrtILi12ELi384ELi4ELi4ELi32ELb1El14__hip_bfloat16EEvPKT6_PKbPfiPT5_PiiiibdPKfPKS9_SF_,comdat
	.protected	_ZN4vllm3moe22topkGatingSoftplusSqrtILi12ELi384ELi4ELi4ELi32ELb1El14__hip_bfloat16EEvPKT6_PKbPfiPT5_PiiiibdPKfPKS9_SF_ ; -- Begin function _ZN4vllm3moe22topkGatingSoftplusSqrtILi12ELi384ELi4ELi4ELi32ELb1El14__hip_bfloat16EEvPKT6_PKbPfiPT5_PiiiibdPKfPKS9_SF_
	.globl	_ZN4vllm3moe22topkGatingSoftplusSqrtILi12ELi384ELi4ELi4ELi32ELb1El14__hip_bfloat16EEvPKT6_PKbPfiPT5_PiiiibdPKfPKS9_SF_
	.p2align	8
	.type	_ZN4vllm3moe22topkGatingSoftplusSqrtILi12ELi384ELi4ELi4ELi32ELb1El14__hip_bfloat16EEvPKT6_PKbPfiPT5_PiiiibdPKfPKS9_SF_,@function
_ZN4vllm3moe22topkGatingSoftplusSqrtILi12ELi384ELi4ELi4ELi32ELb1El14__hip_bfloat16EEvPKT6_PKbPfiPT5_PiiiibdPKfPKS9_SF_: ; @_ZN4vllm3moe22topkGatingSoftplusSqrtILi12ELi384ELi4ELi4ELi32ELb1El14__hip_bfloat16EEvPKT6_PKbPfiPT5_PiiiibdPKfPKS9_SF_
; %bb.0:
	s_load_dword s3, s[0:1], 0x18
	v_and_b32_e32 v1, 0x3ff, v0
	s_lshl_b32 s2, s2, 2
	v_lshrrev_b32_e32 v2, 5, v1
	v_bfe_u32 v0, v0, 10, 10
	v_add3_u32 v4, s2, v0, v2
	s_waitcnt lgkmcnt(0)
	v_cmp_gt_i32_e32 vcc, s3, v4
	s_and_saveexec_b64 s[2:3], vcc
	s_cbranch_execz .LBB530_59
; %bb.1:
	s_load_dwordx2 s[2:3], s[0:1], 0x0
	s_load_dword s20, s[0:1], 0x30
	s_load_dwordx4 s[4:7], s[0:1], 0x50
	s_movk_i32 s8, 0x180
	v_mul_lo_u32 v2, v4, s8
	v_lshlrev_b32_e32 v0, 1, v1
	v_ashrrev_i32_e32 v3, 31, v2
	v_and_b32_e32 v12, 62, v0
	s_waitcnt lgkmcnt(0)
	v_lshl_add_u64 v[2:3], v[2:3], 1, s[2:3]
	v_lshlrev_b32_e32 v0, 1, v12
	v_mov_b32_e32 v1, 0
	v_lshl_add_u64 v[2:3], v[2:3], 0, v[0:1]
	v_mov_b32_e32 v6, s4
	v_mov_b32_e32 v7, s5
	v_ashrrev_i32_e32 v5, 31, v4
	global_load_dword v9, v[2:3], off
	global_load_dword v10, v[2:3], off offset:128
	global_load_dword v11, v[2:3], off offset:256
	;; [unrolled: 1-line block ×5, first 2 shown]
	v_lshl_add_u64 v[2:3], v[4:5], 3, v[6:7]
	global_load_dwordx2 v[6:7], v[2:3], off
	s_ashr_i32 s21, s20, 31
	s_mov_b32 s15, 0x800000
	v_mov_b32_e32 v5, 0x4f800000
	s_mov_b32 s13, 0x3f317217
	s_mov_b32 s14, 0x7f800000
	v_mov_b32_e32 v8, 0x41b17218
	s_mov_b32 s9, 0x41a00000
	s_mov_b32 s12, 0xf800000
	v_mov_b32_e32 v0, 0x260
	v_mov_b32_e32 v2, s6
	;; [unrolled: 1-line block ×3, first 2 shown]
	v_cmp_lt_i64_e64 s[10:11], s[20:21], 1
	s_mov_b32 s8, 0
	v_cmp_gt_i64_e64 s[6:7], s[20:21], 0
	s_waitcnt vmcnt(6)
	v_and_b32_e32 v17, 0xffff0000, v9
	v_lshlrev_b32_e32 v9, 16, v9
	s_waitcnt vmcnt(5)
	v_and_b32_e32 v18, 0xffff0000, v10
	v_lshlrev_b32_e32 v19, 16, v10
	;; [unrolled: 3-line block ×3, first 2 shown]
	s_waitcnt vmcnt(0)
	v_mul_lo_u32 v10, v7, s20
	v_mul_lo_u32 v11, v6, s21
	v_mad_u64_u32 v[6:7], s[2:3], v6, s20, 0
	v_add3_u32 v7, v7, v11, v10
	v_mul_f32_e32 v10, 0x3fb8aa3b, v9
	v_mul_f32_e32 v11, 0x3fb8aa3b, v17
	v_exp_f32_e32 v10, v10
	v_exp_f32_e32 v11, v11
	v_and_b32_e32 v23, 0xffff0000, v14
	v_lshlrev_b32_e32 v24, 16, v14
	v_mul_f32_e32 v14, 0x3fb8aa3b, v19
	v_pk_add_f32 v[10:11], v[10:11], 1.0 op_sel_hi:[1,0]
	v_exp_f32_e32 v16, v14
	v_cmp_gt_f32_e32 vcc, s15, v11
	v_cmp_gt_f32_e64 s[2:3], s15, v10
	v_and_b32_e32 v25, 0xffff0000, v15
	v_cndmask_b32_e32 v14, 1.0, v5, vcc
	v_cndmask_b32_e64 v27, 1.0, v5, s[2:3]
	v_mul_f32_e32 v11, v11, v14
	v_mul_f32_e32 v10, v10, v27
	v_log_f32_e32 v11, v11
	v_log_f32_e32 v10, v10
	v_cndmask_b32_e32 v14, 0, v8, vcc
	v_cndmask_b32_e64 v27, 0, v8, s[2:3]
	v_mul_f32_e32 v28, 0x3f317217, v11
	v_mul_f32_e32 v29, 0x3f317217, v10
	v_fma_f32 v28, v11, s13, -v28
	v_fma_f32 v29, v10, s13, -v29
	v_fmac_f32_e32 v28, 0x3377d1cf, v11
	v_fmac_f32_e32 v29, 0x3377d1cf, v10
	;; [unrolled: 1-line block ×3, first 2 shown]
	v_cmp_lt_f32_e64 vcc, |v11|, s14
	v_fmac_f32_e32 v29, 0x3f317217, v10
	v_lshlrev_b32_e32 v26, 16, v15
	v_cndmask_b32_e32 v11, v11, v28, vcc
	v_cmp_lt_f32_e64 vcc, |v10|, s14
	v_sub_f32_e32 v11, v11, v14
	v_mul_f32_e32 v15, 0x3fb8aa3b, v18
	v_cndmask_b32_e32 v10, v10, v29, vcc
	v_sub_f32_e32 v10, v10, v27
	v_cmp_lt_f32_e32 vcc, s9, v9
	v_and_b32_e32 v22, 0xffff0000, v13
	v_lshlrev_b32_e32 v13, 16, v13
	v_cndmask_b32_e32 v9, v10, v9, vcc
	v_cmp_lt_f32_e32 vcc, s9, v17
	v_mul_f32_e32 v14, 0x4f800000, v9
	v_cmp_gt_f32_e64 s[2:3], s12, v9
	v_cndmask_b32_e32 v10, v11, v17, vcc
	v_mul_f32_e32 v11, 0x4f800000, v10
	v_cmp_gt_f32_e32 vcc, s12, v10
	v_cndmask_b32_e64 v9, v9, v14, s[2:3]
	v_sqrt_f32_e32 v14, v9
	v_cndmask_b32_e32 v10, v10, v11, vcc
	v_sqrt_f32_e32 v11, v10
	v_exp_f32_e32 v17, v15
	v_add_u32_e32 v28, -1, v14
	v_fma_f32 v32, -v28, v14, v9
	v_add_u32_e32 v15, -1, v11
	v_fma_f32 v30, -v15, v11, v10
	v_add_u32_e32 v27, 1, v11
	v_cmp_ge_f32_e64 s[4:5], 0, v30
	v_add_u32_e32 v29, 1, v14
	v_fma_f32 v31, -v27, v11, v10
	v_cndmask_b32_e64 v11, v11, v15, s[4:5]
	v_cmp_ge_f32_e64 s[4:5], 0, v32
	v_fma_f32 v33, -v29, v14, v9
	v_lshl_add_u64 v[2:3], v[6:7], 3, v[2:3]
	v_cndmask_b32_e64 v14, v14, v28, s[4:5]
	v_cmp_lt_f32_e64 s[4:5], 0, v31
	s_nop 1
	v_cndmask_b32_e64 v11, v11, v27, s[4:5]
	v_mul_f32_e32 v15, 0x37800000, v11
	v_cndmask_b32_e32 v11, v11, v15, vcc
	v_cmp_class_f32_e32 vcc, v10, v0
	v_cmp_lt_f32_e64 s[4:5], 0, v33
	s_nop 0
	v_cndmask_b32_e32 v15, v11, v10, vcc
	v_pk_add_f32 v[10:11], v[16:17], 1.0 op_sel_hi:[1,0]
	v_cndmask_b32_e64 v14, v14, v29, s[4:5]
	v_cmp_gt_f32_e32 vcc, s15, v11
	v_mul_f32_e32 v27, 0x37800000, v14
	v_cndmask_b32_e64 v14, v14, v27, s[2:3]
	v_cndmask_b32_e32 v16, 1.0, v5, vcc
	v_mul_f32_e32 v11, v11, v16
	v_log_f32_e32 v11, v11
	v_cmp_class_f32_e64 s[2:3], v9, v0
	v_cmp_lt_f32_e64 s[4:5], |v11|, s14
	s_nop 0
	v_cndmask_b32_e64 v14, v14, v9, s[2:3]
	v_cmp_gt_f32_e64 s[2:3], s15, v10
	v_mul_f32_e32 v9, 0x3f317217, v11
	v_fma_f32 v9, v11, s13, -v9
	v_cndmask_b32_e64 v16, 1.0, v5, s[2:3]
	v_mul_f32_e32 v10, v10, v16
	v_log_f32_e32 v10, v10
	v_fmac_f32_e32 v9, 0x3377d1cf, v11
	v_fmac_f32_e32 v9, 0x3f317217, v11
	v_cndmask_b32_e64 v9, v11, v9, s[4:5]
	v_cndmask_b32_e32 v11, 0, v8, vcc
	v_sub_f32_e32 v9, v9, v11
	v_mul_f32_e32 v11, 0x3f317217, v10
	v_fma_f32 v11, v10, s13, -v11
	v_fmac_f32_e32 v11, 0x3377d1cf, v10
	v_fmac_f32_e32 v11, 0x3f317217, v10
	v_cmp_lt_f32_e64 vcc, |v10|, s14
	s_nop 1
	v_cndmask_b32_e32 v10, v10, v11, vcc
	v_cmp_lt_f32_e32 vcc, s9, v18
	v_cndmask_b32_e64 v11, 0, v8, s[2:3]
	v_sub_f32_e32 v10, v10, v11
	v_cndmask_b32_e32 v9, v9, v18, vcc
	v_mul_f32_e32 v16, 0x4f800000, v9
	v_cmp_gt_f32_e32 vcc, s12, v9
	v_cmp_lt_f32_e64 s[2:3], s9, v19
	s_nop 0
	v_cndmask_b32_e32 v9, v9, v16, vcc
	v_sqrt_f32_e32 v16, v9
	v_cndmask_b32_e64 v10, v10, v19, s[2:3]
	v_add_u32_e32 v11, -1, v16
	v_fma_f32 v17, -v11, v16, v9
	v_cmp_ge_f32_e64 s[2:3], 0, v17
	v_add_u32_e32 v17, 1, v16
	s_nop 0
	v_cndmask_b32_e64 v11, v16, v11, s[2:3]
	v_fma_f32 v16, -v17, v16, v9
	v_cmp_lt_f32_e64 s[2:3], 0, v16
	s_nop 1
	v_cndmask_b32_e64 v11, v11, v17, s[2:3]
	v_mul_f32_e32 v17, 0x4f800000, v10
	v_cmp_gt_f32_e64 s[2:3], s12, v10
	v_mul_f32_e32 v16, 0x37800000, v11
	v_cndmask_b32_e32 v11, v11, v16, vcc
	v_cndmask_b32_e64 v18, v10, v17, s[2:3]
	v_sqrt_f32_e32 v10, v18
	v_cmp_class_f32_e32 vcc, v9, v0
	v_add_u32_e32 v16, 1, v10
	s_nop 0
	v_cndmask_b32_e32 v17, v11, v9, vcc
	v_add_u32_e32 v9, -1, v10
	v_fma_f32 v11, -v9, v10, v18
	v_cmp_ge_f32_e32 vcc, 0, v11
	v_fma_f32 v19, -v16, v10, v18
	v_mul_f32_e32 v11, 0x3fb8aa3b, v20
	v_cndmask_b32_e32 v9, v10, v9, vcc
	v_mul_f32_e32 v10, 0x3fb8aa3b, v21
	v_exp_f32_e32 v10, v10
	v_exp_f32_e32 v11, v11
	v_cmp_lt_f32_e32 vcc, 0, v19
	v_pk_add_f32 v[10:11], v[10:11], 1.0 op_sel_hi:[1,0]
	s_nop 0
	v_cndmask_b32_e32 v9, v9, v16, vcc
	v_mul_f32_e32 v16, 0x37800000, v9
	v_cmp_gt_f32_e32 vcc, s15, v11
	v_cndmask_b32_e64 v9, v9, v16, s[2:3]
	v_cmp_class_f32_e64 s[2:3], v18, v0
	v_cndmask_b32_e32 v16, 1.0, v5, vcc
	v_mul_f32_e32 v11, v11, v16
	v_log_f32_e32 v11, v11
	v_cndmask_b32_e64 v16, v9, v18, s[2:3]
	v_cmp_gt_f32_e64 s[2:3], s15, v10
	scratch_store_dwordx4 off, v[14:17], off
	v_mul_f32_e32 v9, 0x3f317217, v11
	v_fma_f32 v9, v11, s13, -v9
	v_cndmask_b32_e64 v14, 1.0, v5, s[2:3]
	v_mul_f32_e32 v10, v10, v14
	v_log_f32_e32 v10, v10
	v_fmac_f32_e32 v9, 0x3377d1cf, v11
	v_fmac_f32_e32 v9, 0x3f317217, v11
	v_cmp_lt_f32_e64 s[4:5], |v11|, s14
	s_nop 1
	v_cndmask_b32_e64 v9, v11, v9, s[4:5]
	v_cndmask_b32_e32 v11, 0, v8, vcc
	v_sub_f32_e32 v9, v9, v11
	v_mul_f32_e32 v11, 0x3f317217, v10
	v_fma_f32 v11, v10, s13, -v11
	v_fmac_f32_e32 v11, 0x3377d1cf, v10
	v_fmac_f32_e32 v11, 0x3f317217, v10
	v_cmp_lt_f32_e64 vcc, |v10|, s14
	s_nop 1
	v_cndmask_b32_e32 v10, v10, v11, vcc
	v_cmp_lt_f32_e32 vcc, s9, v20
	v_cndmask_b32_e64 v11, 0, v8, s[2:3]
	v_sub_f32_e32 v10, v10, v11
	v_cndmask_b32_e32 v9, v9, v20, vcc
	v_mul_f32_e32 v14, 0x4f800000, v9
	v_cmp_gt_f32_e32 vcc, s12, v9
	v_cmp_lt_f32_e64 s[2:3], s9, v21
	s_nop 0
	v_cndmask_b32_e32 v9, v9, v14, vcc
	v_sqrt_f32_e32 v14, v9
	v_cndmask_b32_e64 v10, v10, v21, s[2:3]
	v_add_u32_e32 v11, -1, v14
	v_fma_f32 v15, -v11, v14, v9
	v_cmp_ge_f32_e64 s[2:3], 0, v15
	v_add_u32_e32 v15, 1, v14
	s_nop 0
	v_cndmask_b32_e64 v11, v14, v11, s[2:3]
	v_fma_f32 v14, -v15, v14, v9
	v_cmp_lt_f32_e64 s[2:3], 0, v14
	s_nop 1
	v_cndmask_b32_e64 v11, v11, v15, s[2:3]
	v_mul_f32_e32 v15, 0x4f800000, v10
	v_cmp_gt_f32_e64 s[2:3], s12, v10
	v_mul_f32_e32 v14, 0x37800000, v11
	v_cndmask_b32_e32 v11, v11, v14, vcc
	v_cndmask_b32_e64 v16, v10, v15, s[2:3]
	v_sqrt_f32_e32 v10, v16
	v_cmp_class_f32_e32 vcc, v9, v0
	v_add_u32_e32 v14, 1, v10
	s_nop 0
	v_cndmask_b32_e32 v15, v11, v9, vcc
	v_add_u32_e32 v9, -1, v10
	v_fma_f32 v11, -v9, v10, v16
	v_cmp_ge_f32_e32 vcc, 0, v11
	v_fma_f32 v17, -v14, v10, v16
	v_mul_f32_e32 v11, 0x3fb8aa3b, v22
	v_cndmask_b32_e32 v9, v10, v9, vcc
	v_mul_f32_e32 v10, 0x3fb8aa3b, v13
	v_exp_f32_e32 v10, v10
	v_exp_f32_e32 v11, v11
	v_cmp_lt_f32_e32 vcc, 0, v17
	v_pk_add_f32 v[10:11], v[10:11], 1.0 op_sel_hi:[1,0]
	s_nop 0
	v_cndmask_b32_e32 v9, v9, v14, vcc
	v_cmp_gt_f32_e32 vcc, s15, v11
	v_mul_f32_e32 v14, 0x37800000, v9
	v_cndmask_b32_e64 v9, v9, v14, s[2:3]
	v_cndmask_b32_e32 v17, 1.0, v5, vcc
	v_mul_f32_e32 v11, v11, v17
	v_log_f32_e32 v11, v11
	v_cmp_class_f32_e64 s[2:3], v16, v0
	v_cmp_lt_f32_e64 s[4:5], |v11|, s14
	s_nop 0
	v_cndmask_b32_e64 v14, v9, v16, s[2:3]
	v_cmp_gt_f32_e64 s[2:3], s15, v10
	v_mul_f32_e32 v9, 0x3f317217, v11
	v_fma_f32 v9, v11, s13, -v9
	v_cndmask_b32_e64 v16, 1.0, v5, s[2:3]
	v_mul_f32_e32 v10, v10, v16
	v_log_f32_e32 v10, v10
	v_fmac_f32_e32 v9, 0x3377d1cf, v11
	v_fmac_f32_e32 v9, 0x3f317217, v11
	v_cndmask_b32_e64 v9, v11, v9, s[4:5]
	v_cndmask_b32_e32 v11, 0, v8, vcc
	v_sub_f32_e32 v9, v9, v11
	v_mul_f32_e32 v11, 0x3f317217, v10
	v_fma_f32 v11, v10, s13, -v11
	v_fmac_f32_e32 v11, 0x3377d1cf, v10
	v_fmac_f32_e32 v11, 0x3f317217, v10
	v_cmp_lt_f32_e64 vcc, |v10|, s14
	s_nop 1
	v_cndmask_b32_e32 v10, v10, v11, vcc
	v_cmp_lt_f32_e32 vcc, s9, v22
	v_cndmask_b32_e64 v11, 0, v8, s[2:3]
	v_sub_f32_e32 v10, v10, v11
	v_cndmask_b32_e32 v9, v9, v22, vcc
	v_mul_f32_e32 v16, 0x4f800000, v9
	v_cmp_gt_f32_e32 vcc, s12, v9
	v_cmp_lt_f32_e64 s[2:3], s9, v13
	s_nop 0
	v_cndmask_b32_e32 v9, v9, v16, vcc
	v_sqrt_f32_e32 v16, v9
	v_cndmask_b32_e64 v10, v10, v13, s[2:3]
	v_add_u32_e32 v11, -1, v16
	v_fma_f32 v13, -v11, v16, v9
	v_cmp_ge_f32_e64 s[2:3], 0, v13
	v_add_u32_e32 v13, 1, v16
	s_nop 0
	v_cndmask_b32_e64 v11, v16, v11, s[2:3]
	v_fma_f32 v16, -v13, v16, v9
	v_cmp_lt_f32_e64 s[2:3], 0, v16
	v_mul_f32_e32 v16, 0x4f800000, v10
	s_nop 0
	v_cndmask_b32_e64 v11, v11, v13, s[2:3]
	v_cmp_gt_f32_e64 s[2:3], s12, v10
	v_mul_f32_e32 v13, 0x37800000, v11
	v_cndmask_b32_e32 v11, v11, v13, vcc
	v_cndmask_b32_e64 v16, v10, v16, s[2:3]
	v_sqrt_f32_e32 v10, v16
	v_cmp_class_f32_e32 vcc, v9, v0
	v_add_u32_e32 v13, 1, v10
	s_nop 0
	v_cndmask_b32_e32 v17, v11, v9, vcc
	v_add_u32_e32 v9, -1, v10
	v_fma_f32 v11, -v9, v10, v16
	v_cmp_ge_f32_e32 vcc, 0, v11
	v_fma_f32 v18, -v13, v10, v16
	v_mul_f32_e32 v11, 0x3fb8aa3b, v23
	v_cndmask_b32_e32 v9, v10, v9, vcc
	v_mul_f32_e32 v10, 0x3fb8aa3b, v24
	v_exp_f32_e32 v10, v10
	v_exp_f32_e32 v11, v11
	v_cmp_lt_f32_e32 vcc, 0, v18
	v_pk_add_f32 v[10:11], v[10:11], 1.0 op_sel_hi:[1,0]
	s_nop 0
	v_cndmask_b32_e32 v9, v9, v13, vcc
	v_mul_f32_e32 v13, 0x37800000, v9
	v_cmp_gt_f32_e32 vcc, s15, v11
	v_cndmask_b32_e64 v9, v9, v13, s[2:3]
	v_cmp_class_f32_e64 s[2:3], v16, v0
	v_cndmask_b32_e32 v13, 1.0, v5, vcc
	v_mul_f32_e32 v11, v11, v13
	v_log_f32_e32 v11, v11
	v_cndmask_b32_e64 v16, v9, v16, s[2:3]
	v_cmp_gt_f32_e64 s[2:3], s15, v10
	scratch_store_dwordx4 off, v[14:17], off offset:16
	v_mul_f32_e32 v9, 0x3f317217, v11
	v_cndmask_b32_e64 v13, 1.0, v5, s[2:3]
	v_mul_f32_e32 v10, v10, v13
	v_fma_f32 v9, v11, s13, -v9
	v_log_f32_e32 v10, v10
	v_fmac_f32_e32 v9, 0x3377d1cf, v11
	v_fmac_f32_e32 v9, 0x3f317217, v11
	v_cmp_lt_f32_e64 s[4:5], |v11|, s14
	s_nop 1
	v_cndmask_b32_e64 v9, v11, v9, s[4:5]
	v_cndmask_b32_e32 v11, 0, v8, vcc
	v_sub_f32_e32 v9, v9, v11
	v_mul_f32_e32 v11, 0x3f317217, v10
	v_fma_f32 v11, v10, s13, -v11
	v_fmac_f32_e32 v11, 0x3377d1cf, v10
	v_fmac_f32_e32 v11, 0x3f317217, v10
	v_cmp_lt_f32_e64 vcc, |v10|, s14
	s_nop 1
	v_cndmask_b32_e32 v10, v10, v11, vcc
	v_cmp_lt_f32_e32 vcc, s9, v23
	v_cndmask_b32_e64 v11, 0, v8, s[2:3]
	v_sub_f32_e32 v10, v10, v11
	v_cndmask_b32_e32 v9, v9, v23, vcc
	v_mul_f32_e32 v13, 0x4f800000, v9
	v_cmp_gt_f32_e32 vcc, s12, v9
	v_cmp_lt_f32_e64 s[2:3], s9, v24
	s_nop 0
	v_cndmask_b32_e32 v9, v9, v13, vcc
	v_sqrt_f32_e32 v13, v9
	v_cndmask_b32_e64 v10, v10, v24, s[2:3]
	v_add_u32_e32 v11, -1, v13
	v_fma_f32 v14, -v11, v13, v9
	v_cmp_ge_f32_e64 s[2:3], 0, v14
	v_add_u32_e32 v14, 1, v13
	s_nop 0
	v_cndmask_b32_e64 v11, v13, v11, s[2:3]
	v_fma_f32 v13, -v14, v13, v9
	v_cmp_lt_f32_e64 s[2:3], 0, v13
	s_nop 1
	v_cndmask_b32_e64 v11, v11, v14, s[2:3]
	v_mul_f32_e32 v14, 0x4f800000, v10
	v_cmp_gt_f32_e64 s[2:3], s12, v10
	v_mul_f32_e32 v13, 0x37800000, v11
	v_cndmask_b32_e32 v11, v11, v13, vcc
	v_cndmask_b32_e64 v14, v10, v14, s[2:3]
	v_sqrt_f32_e32 v10, v14
	v_cmp_class_f32_e32 vcc, v9, v0
	v_add_u32_e32 v13, 1, v10
	s_nop 0
	v_cndmask_b32_e32 v15, v11, v9, vcc
	v_add_u32_e32 v9, -1, v10
	v_fma_f32 v11, -v9, v10, v14
	v_cmp_ge_f32_e32 vcc, 0, v11
	v_fma_f32 v16, -v13, v10, v14
	v_mul_f32_e32 v11, 0x3fb8aa3b, v25
	v_cndmask_b32_e32 v9, v10, v9, vcc
	v_mul_f32_e32 v10, 0x3fb8aa3b, v26
	v_exp_f32_e32 v10, v10
	v_exp_f32_e32 v11, v11
	v_cmp_lt_f32_e32 vcc, 0, v16
	v_pk_add_f32 v[10:11], v[10:11], 1.0 op_sel_hi:[1,0]
	s_nop 0
	v_cndmask_b32_e32 v9, v9, v13, vcc
	v_cmp_gt_f32_e32 vcc, s15, v11
	v_mul_f32_e32 v13, 0x37800000, v9
	v_cndmask_b32_e64 v9, v9, v13, s[2:3]
	v_cndmask_b32_e32 v16, 1.0, v5, vcc
	v_mul_f32_e32 v11, v11, v16
	v_log_f32_e32 v11, v11
	v_cmp_class_f32_e64 s[2:3], v14, v0
	v_cmp_lt_f32_e64 s[4:5], |v11|, s14
	s_nop 0
	v_cndmask_b32_e64 v14, v9, v14, s[2:3]
	v_cmp_gt_f32_e64 s[2:3], s15, v10
	v_mul_f32_e32 v9, 0x3f317217, v11
	v_fma_f32 v9, v11, s13, -v9
	v_cndmask_b32_e64 v5, 1.0, v5, s[2:3]
	v_mul_f32_e32 v5, v10, v5
	v_log_f32_e32 v5, v5
	v_fmac_f32_e32 v9, 0x3377d1cf, v11
	v_fmac_f32_e32 v9, 0x3f317217, v11
	v_cndmask_b32_e64 v9, v11, v9, s[4:5]
	v_cndmask_b32_e32 v10, 0, v8, vcc
	v_sub_f32_e32 v9, v9, v10
	v_mul_f32_e32 v10, 0x3f317217, v5
	v_fma_f32 v10, v5, s13, -v10
	v_fmac_f32_e32 v10, 0x3377d1cf, v5
	v_fmac_f32_e32 v10, 0x3f317217, v5
	v_cmp_lt_f32_e64 vcc, |v5|, s14
	v_cndmask_b32_e64 v8, 0, v8, s[2:3]
	v_cmp_lt_f32_e64 s[2:3], s9, v26
	v_cndmask_b32_e32 v5, v5, v10, vcc
	v_cmp_lt_f32_e32 vcc, s9, v25
	v_sub_f32_e32 v5, v5, v8
	v_cndmask_b32_e64 v5, v5, v26, s[2:3]
	v_cndmask_b32_e32 v9, v9, v25, vcc
	v_mul_f32_e32 v10, 0x4f800000, v9
	v_cmp_gt_f32_e32 vcc, s12, v9
	s_nop 1
	v_cndmask_b32_e32 v9, v9, v10, vcc
	v_sqrt_f32_e32 v10, v9
	s_nop 0
	v_add_u32_e32 v8, -1, v10
	v_fma_f32 v11, -v8, v10, v9
	v_cmp_ge_f32_e64 s[2:3], 0, v11
	v_add_u32_e32 v11, 1, v10
	s_nop 0
	v_cndmask_b32_e64 v8, v10, v8, s[2:3]
	v_fma_f32 v10, -v11, v10, v9
	v_cmp_lt_f32_e64 s[2:3], 0, v10
	s_nop 1
	v_cndmask_b32_e64 v8, v8, v11, s[2:3]
	v_mul_f32_e32 v11, 0x4f800000, v5
	v_cmp_gt_f32_e64 s[2:3], s12, v5
	v_mul_f32_e32 v10, 0x37800000, v8
	v_cndmask_b32_e32 v8, v8, v10, vcc
	v_cndmask_b32_e64 v5, v5, v11, s[2:3]
	v_sqrt_f32_e32 v11, v5
	v_cmp_class_f32_e32 vcc, v9, v0
	s_nop 1
	v_cndmask_b32_e32 v17, v8, v9, vcc
	v_add_u32_e32 v8, -1, v11
	v_fma_f32 v9, -v8, v11, v5
	v_cmp_ge_f32_e32 vcc, 0, v9
	v_add_u32_e32 v9, 1, v11
	v_fma_f32 v10, -v9, v11, v5
	v_cndmask_b32_e32 v8, v11, v8, vcc
	v_cmp_lt_f32_e32 vcc, 0, v10
	s_nop 1
	v_cndmask_b32_e32 v8, v8, v9, vcc
	v_mul_f32_e32 v9, 0x37800000, v8
	v_cndmask_b32_e64 v8, v8, v9, s[2:3]
	v_cmp_class_f32_e32 vcc, v5, v0
	v_mul_lo_u32 v0, v4, s20
	s_nop 0
	v_cndmask_b32_e32 v16, v8, v5, vcc
	s_and_b64 vcc, exec, s[10:11]
	scratch_store_dwordx4 off, v[14:17], off offset:32
	s_cbranch_vccnz .LBB530_28
; %bb.2:
	s_load_dwordx2 s[4:5], s[0:1], 0x20
	s_cmp_lt_u32 s20, 4
	v_mul_lo_u32 v4, v4, s20
	s_cbranch_scc1 .LBB530_21
; %bb.3:
	s_mov_b32 s11, 0
	s_and_b32 s8, s20, 0x7ffffffc
	v_ashrrev_i32_e32 v5, 31, v4
	v_mov_b32_e32 v1, 0
	s_mov_b32 s10, s11
	s_branch .LBB530_5
.LBB530_4:                              ;   in Loop: Header=BB530_5 Depth=1
	s_or_b64 exec, exec, s[12:13]
	s_add_i32 s10, s10, 4
	s_cmp_eq_u32 s10, s8
	s_cbranch_scc1 .LBB530_21
.LBB530_5:                              ; =>This Loop Header: Depth=1
                                        ;     Child Loop BB530_7 Depth 2
                                        ;     Child Loop BB530_11 Depth 2
	;; [unrolled: 1-line block ×4, first 2 shown]
	v_lshl_add_u64 v[6:7], s[10:11], 3, v[2:3]
	global_load_dwordx2 v[8:9], v[6:7], off
	v_add_u32_e32 v10, s10, v4
	v_ashrrev_i32_e32 v11, 31, v10
	v_mov_b32_e32 v13, 0
	s_mov_b64 s[12:13], 0
	s_mov_b32 s9, 0
	s_waitcnt lgkmcnt(0)
	v_lshl_add_u64 v[10:11], v[10:11], 3, s[4:5]
	s_mov_b32 s16, 0
	s_waitcnt vmcnt(0)
	v_ashrrev_i32_e32 v9, 31, v8
	s_branch .LBB530_7
.LBB530_6:                              ;   in Loop: Header=BB530_7 Depth=2
	s_or_b64 exec, exec, s[14:15]
	s_add_i32 s17, s16, 1
	s_cmp_gt_u32 s16, 10
	s_cselect_b64 s[2:3], -1, 0
	s_xor_b64 s[14:15], vcc, -1
	s_or_b64 s[2:3], s[14:15], s[2:3]
	s_add_i32 s9, s9, 32
	s_and_b64 s[2:3], exec, s[2:3]
	v_add_u32_e32 v13, 4, v13
	s_or_b64 s[12:13], s[2:3], s[12:13]
	s_mov_b32 s16, s17
	s_andn2_b64 exec, exec, s[12:13]
	s_cbranch_execz .LBB530_9
.LBB530_7:                              ;   Parent Loop BB530_5 Depth=1
                                        ; =>  This Inner Loop Header: Depth=2
	s_and_b32 s2, s16, 1
	s_and_b32 s3, s9, 0x1c0
	s_or_b32 s2, s2, s3
	v_or_b32_e32 v14, s2, v12
	v_cmp_ne_u32_e32 vcc, v14, v8
	v_cmp_eq_u32_e64 s[2:3], v14, v8
	s_and_saveexec_b64 s[14:15], s[2:3]
	s_cbranch_execz .LBB530_6
; %bb.8:                                ;   in Loop: Header=BB530_7 Depth=2
	scratch_load_dword v14, v13, off
	s_waitcnt vmcnt(0)
	v_add_f32_e32 v1, v1, v14
	global_store_dwordx2 v[10:11], v[8:9], off
	s_branch .LBB530_6
.LBB530_9:                              ;   in Loop: Header=BB530_5 Depth=1
	s_or_b64 exec, exec, s[12:13]
	global_load_dwordx2 v[10:11], v[6:7], off offset:8
	s_ashr_i32 s3, s10, 31
	s_mov_b32 s2, s10
	v_lshl_add_u64 v[8:9], s[2:3], 0, v[4:5]
	v_mov_b32_e32 v13, 0
	s_mov_b32 s9, 0
	s_mov_b64 s[12:13], 0
	v_lshl_add_u64 v[8:9], v[8:9], 3, s[4:5]
	s_mov_b32 s16, 0
	s_waitcnt vmcnt(0)
	v_ashrrev_i32_e32 v11, 31, v10
	s_branch .LBB530_11
.LBB530_10:                             ;   in Loop: Header=BB530_11 Depth=2
	s_or_b64 exec, exec, s[14:15]
	s_add_i32 s17, s16, 1
	s_cmp_gt_u32 s16, 10
	s_cselect_b64 s[2:3], -1, 0
	s_xor_b64 s[14:15], vcc, -1
	s_or_b64 s[2:3], s[14:15], s[2:3]
	s_add_i32 s9, s9, 32
	s_and_b64 s[2:3], exec, s[2:3]
	v_add_u32_e32 v13, 4, v13
	s_or_b64 s[12:13], s[2:3], s[12:13]
	s_mov_b32 s16, s17
	s_andn2_b64 exec, exec, s[12:13]
	s_cbranch_execz .LBB530_13
.LBB530_11:                             ;   Parent Loop BB530_5 Depth=1
                                        ; =>  This Inner Loop Header: Depth=2
	s_and_b32 s2, s16, 1
	s_and_b32 s3, s9, 0x1c0
	s_or_b32 s2, s2, s3
	v_or_b32_e32 v14, s2, v12
	v_cmp_ne_u32_e32 vcc, v14, v10
	v_cmp_eq_u32_e64 s[2:3], v14, v10
	s_and_saveexec_b64 s[14:15], s[2:3]
	s_cbranch_execz .LBB530_10
; %bb.12:                               ;   in Loop: Header=BB530_11 Depth=2
	scratch_load_dword v14, v13, off
	s_waitcnt vmcnt(0)
	v_add_f32_e32 v1, v1, v14
	global_store_dwordx2 v[8:9], v[10:11], off offset:8
	s_branch .LBB530_10
.LBB530_13:                             ;   in Loop: Header=BB530_5 Depth=1
	s_or_b64 exec, exec, s[12:13]
	global_load_dwordx2 v[10:11], v[6:7], off offset:16
	v_mov_b32_e32 v13, 0
	s_mov_b32 s9, 0
	s_mov_b64 s[12:13], 0
	s_mov_b32 s16, 0
	s_waitcnt vmcnt(0)
	v_ashrrev_i32_e32 v11, 31, v10
	s_branch .LBB530_15
.LBB530_14:                             ;   in Loop: Header=BB530_15 Depth=2
	s_or_b64 exec, exec, s[14:15]
	s_add_i32 s17, s16, 1
	s_cmp_gt_u32 s16, 10
	s_cselect_b64 s[2:3], -1, 0
	s_xor_b64 s[14:15], vcc, -1
	s_or_b64 s[2:3], s[14:15], s[2:3]
	s_add_i32 s9, s9, 32
	s_and_b64 s[2:3], exec, s[2:3]
	v_add_u32_e32 v13, 4, v13
	s_or_b64 s[12:13], s[2:3], s[12:13]
	s_mov_b32 s16, s17
	s_andn2_b64 exec, exec, s[12:13]
	s_cbranch_execz .LBB530_17
.LBB530_15:                             ;   Parent Loop BB530_5 Depth=1
                                        ; =>  This Inner Loop Header: Depth=2
	s_and_b32 s2, s16, 1
	s_and_b32 s3, s9, 0x1c0
	s_or_b32 s2, s2, s3
	v_or_b32_e32 v14, s2, v12
	v_cmp_ne_u32_e32 vcc, v14, v10
	v_cmp_eq_u32_e64 s[2:3], v14, v10
	s_and_saveexec_b64 s[14:15], s[2:3]
	s_cbranch_execz .LBB530_14
; %bb.16:                               ;   in Loop: Header=BB530_15 Depth=2
	scratch_load_dword v14, v13, off
	s_waitcnt vmcnt(0)
	v_add_f32_e32 v1, v1, v14
	global_store_dwordx2 v[8:9], v[10:11], off offset:16
	s_branch .LBB530_14
.LBB530_17:                             ;   in Loop: Header=BB530_5 Depth=1
	s_or_b64 exec, exec, s[12:13]
	global_load_dwordx2 v[6:7], v[6:7], off offset:24
	v_mov_b32_e32 v10, 0
	s_mov_b32 s9, 0
	s_mov_b64 s[12:13], 0
	s_mov_b32 s16, 0
	s_waitcnt vmcnt(0)
	v_ashrrev_i32_e32 v7, 31, v6
	s_branch .LBB530_19
.LBB530_18:                             ;   in Loop: Header=BB530_19 Depth=2
	s_or_b64 exec, exec, s[14:15]
	s_add_i32 s17, s16, 1
	s_cmp_gt_u32 s16, 10
	s_cselect_b64 s[2:3], -1, 0
	s_xor_b64 s[14:15], vcc, -1
	s_or_b64 s[2:3], s[14:15], s[2:3]
	s_add_i32 s9, s9, 32
	s_and_b64 s[2:3], exec, s[2:3]
	v_add_u32_e32 v10, 4, v10
	s_or_b64 s[12:13], s[2:3], s[12:13]
	s_mov_b32 s16, s17
	s_andn2_b64 exec, exec, s[12:13]
	s_cbranch_execz .LBB530_4
.LBB530_19:                             ;   Parent Loop BB530_5 Depth=1
                                        ; =>  This Inner Loop Header: Depth=2
	s_and_b32 s2, s16, 1
	s_and_b32 s3, s9, 0x1c0
	s_or_b32 s2, s2, s3
	v_or_b32_e32 v11, s2, v12
	v_cmp_ne_u32_e32 vcc, v11, v6
	v_cmp_eq_u32_e64 s[2:3], v11, v6
	s_and_saveexec_b64 s[14:15], s[2:3]
	s_cbranch_execz .LBB530_18
; %bb.20:                               ;   in Loop: Header=BB530_19 Depth=2
	scratch_load_dword v11, v10, off
	s_waitcnt vmcnt(0)
	v_add_f32_e32 v1, v1, v11
	global_store_dwordx2 v[8:9], v[6:7], off offset:24
	s_branch .LBB530_18
.LBB530_21:
	s_and_b32 s14, s20, 3
	s_cmp_eq_u32 s14, 0
	s_mov_b32 s9, 0
	s_cbranch_scc1 .LBB530_28
; %bb.22:
	s_mov_b32 s15, s9
	s_branch .LBB530_24
.LBB530_23:                             ;   in Loop: Header=BB530_24 Depth=1
	s_or_b64 exec, exec, s[10:11]
	s_add_i32 s8, s8, 1
	s_add_i32 s15, s15, 1
	s_cmp_lg_u32 s15, s14
	s_cbranch_scc0 .LBB530_28
.LBB530_24:                             ; =>This Loop Header: Depth=1
                                        ;     Child Loop BB530_26 Depth 2
	v_lshl_add_u64 v[6:7], s[8:9], 3, v[2:3]
	global_load_dwordx2 v[6:7], v[6:7], off
	v_add_u32_e32 v8, s8, v4
	v_ashrrev_i32_e32 v9, 31, v8
	v_mov_b32_e32 v5, 0
	s_mov_b32 s16, 0
	s_mov_b64 s[10:11], 0
	s_waitcnt lgkmcnt(0)
	v_lshl_add_u64 v[8:9], v[8:9], 3, s[4:5]
	s_mov_b32 s17, 0
	s_waitcnt vmcnt(0)
	v_ashrrev_i32_e32 v7, 31, v6
	s_branch .LBB530_26
.LBB530_25:                             ;   in Loop: Header=BB530_26 Depth=2
	s_or_b64 exec, exec, s[12:13]
	s_add_i32 s18, s17, 1
	s_cmp_gt_u32 s17, 10
	s_cselect_b64 s[2:3], -1, 0
	s_xor_b64 s[12:13], vcc, -1
	s_or_b64 s[2:3], s[12:13], s[2:3]
	s_add_i32 s16, s16, 32
	s_and_b64 s[2:3], exec, s[2:3]
	v_add_u32_e32 v5, 4, v5
	s_or_b64 s[10:11], s[2:3], s[10:11]
	s_mov_b32 s17, s18
	s_andn2_b64 exec, exec, s[10:11]
	s_cbranch_execz .LBB530_23
.LBB530_26:                             ;   Parent Loop BB530_24 Depth=1
                                        ; =>  This Inner Loop Header: Depth=2
	s_and_b32 s2, s17, 1
	s_and_b32 s3, s16, 0x1c0
	s_or_b32 s2, s2, s3
	v_or_b32_e32 v10, s2, v12
	v_cmp_ne_u32_e32 vcc, v10, v6
	v_cmp_eq_u32_e64 s[2:3], v10, v6
	s_and_saveexec_b64 s[12:13], s[2:3]
	s_cbranch_execz .LBB530_25
; %bb.27:                               ;   in Loop: Header=BB530_26 Depth=2
	scratch_load_dword v10, v5, off
	s_waitcnt vmcnt(0)
	v_add_f32_e32 v1, v1, v10
	global_store_dwordx2 v[8:9], v[6:7], off
	s_branch .LBB530_25
.LBB530_28:
	s_waitcnt lgkmcnt(0)
	s_load_dword s4, s[0:1], 0x3c
	s_waitcnt lgkmcnt(0)
	s_bitcmp1_b32 s4, 0
	s_cselect_b64 s[2:3], -1, 0
	s_bitcmp0_b32 s4, 0
	s_cbranch_scc0 .LBB530_31
; %bb.29:
	s_load_dwordx2 s[4:5], s[0:1], 0x40
	s_andn2_b64 vcc, exec, s[2:3]
	s_waitcnt lgkmcnt(0)
	v_cvt_f32_f64_e32 v4, s[4:5]
	s_cbranch_vccz .LBB530_32
.LBB530_30:
	s_andn2_b64 vcc, exec, s[6:7]
	s_cbranch_vccz .LBB530_33
	s_branch .LBB530_59
.LBB530_31:
	v_mbcnt_lo_u32_b32 v4, -1, 0
	v_mbcnt_hi_u32_b32 v4, -1, v4
	v_and_b32_e32 v5, 0x60, v4
	v_add_u32_e32 v5, 32, v5
	v_xor_b32_e32 v6, 16, v4
	v_cmp_lt_i32_e32 vcc, v6, v5
	v_xor_b32_e32 v7, 8, v4
	s_nop 0
	v_cndmask_b32_e32 v6, v4, v6, vcc
	v_lshlrev_b32_e32 v6, 2, v6
	ds_bpermute_b32 v6, v6, v1
	v_cmp_lt_i32_e32 vcc, v7, v5
	s_waitcnt lgkmcnt(0)
	v_add_f32_e32 v1, v1, v6
	v_cndmask_b32_e32 v6, v4, v7, vcc
	v_lshlrev_b32_e32 v6, 2, v6
	ds_bpermute_b32 v6, v6, v1
	v_xor_b32_e32 v7, 4, v4
	v_cmp_lt_i32_e32 vcc, v7, v5
	s_waitcnt lgkmcnt(0)
	v_add_f32_e32 v1, v1, v6
	v_cndmask_b32_e32 v6, v4, v7, vcc
	v_lshlrev_b32_e32 v6, 2, v6
	ds_bpermute_b32 v6, v6, v1
	v_xor_b32_e32 v7, 2, v4
	;; [unrolled: 7-line block ×3, first 2 shown]
	v_cmp_lt_i32_e32 vcc, v7, v5
	s_waitcnt lgkmcnt(0)
	v_add_f32_e32 v1, v1, v6
	v_cndmask_b32_e32 v4, v4, v7, vcc
	v_lshlrev_b32_e32 v4, 2, v4
	ds_bpermute_b32 v4, v4, v1
	s_waitcnt lgkmcnt(0)
	v_add_f32_e32 v1, v1, v4
	s_load_dwordx2 s[4:5], s[0:1], 0x40
	s_andn2_b64 vcc, exec, s[2:3]
	s_waitcnt lgkmcnt(0)
	v_cvt_f32_f64_e32 v4, s[4:5]
	s_cbranch_vccnz .LBB530_30
.LBB530_32:
	v_cmp_lt_f32_e32 vcc, 0, v1
	s_nop 1
	v_cndmask_b32_e32 v1, 1.0, v1, vcc
	v_div_scale_f32 v5, s[2:3], v1, v1, v4
	v_rcp_f32_e32 v6, v5
	s_nop 0
	v_fma_f32 v7, -v5, v6, 1.0
	v_fmac_f32_e32 v6, v7, v6
	v_div_scale_f32 v7, vcc, v4, v1, v4
	v_mul_f32_e32 v8, v7, v6
	v_fma_f32 v9, -v5, v8, v7
	v_fmac_f32_e32 v8, v9, v6
	v_fma_f32 v5, -v5, v8, v7
	v_div_fmas_f32 v5, v5, v6, v8
	v_div_fixup_f32 v4, v5, v1, v4
	s_andn2_b64 vcc, exec, s[6:7]
	s_cbranch_vccnz .LBB530_59
.LBB530_33:
	s_load_dwordx2 s[22:23], s[0:1], 0x10
	v_mov_b32_e32 v1, 0
	v_or_b32_e32 v5, 4, v1
	v_or_b32_e32 v6, 8, v1
	;; [unrolled: 1-line block ×3, first 2 shown]
	v_add_u32_e32 v8, 16, v1
	v_add_u32_e32 v9, 20, v1
	;; [unrolled: 1-line block ×8, first 2 shown]
	v_or_b32_e32 v17, 1, v12
	v_or_b32_e32 v18, 64, v12
	v_or_b32_e32 v19, 0x41, v12
	v_or_b32_e32 v20, 0x80, v12
	v_or_b32_e32 v21, 0x81, v12
	v_or_b32_e32 v22, 0xc0, v12
	v_or_b32_e32 v23, 0xc1, v12
	v_or_b32_e32 v24, 0x100, v12
	v_or_b32_e32 v25, 0x101, v12
	v_or_b32_e32 v26, 0x140, v12
	v_or_b32_e32 v27, 0x141, v12
	s_branch .LBB530_35
.LBB530_34:                             ;   in Loop: Header=BB530_35 Depth=1
	s_or_b64 exec, exec, s[0:1]
	s_add_i32 s20, s20, -1
	v_add_u32_e32 v0, 1, v0
	s_cmp_eq_u32 s20, 0
	v_lshl_add_u64 v[2:3], v[2:3], 0, 8
	s_cbranch_scc1 .LBB530_59
.LBB530_35:                             ; =>This Inner Loop Header: Depth=1
	global_load_dword v28, v[2:3], off
	v_mov_b32_e32 v1, 0
	s_waitcnt vmcnt(0)
	v_cmp_eq_u32_e32 vcc, v12, v28
	v_cmp_ne_u32_e64 s[0:1], v12, v28
	s_and_saveexec_b64 s[24:25], s[0:1]
	s_cbranch_execz .LBB530_57
; %bb.36:                               ;   in Loop: Header=BB530_35 Depth=1
	v_cmp_eq_u32_e64 s[0:1], v17, v28
	v_cmp_ne_u32_e64 s[2:3], v17, v28
	v_mov_b32_e32 v1, v5
	s_and_saveexec_b64 s[26:27], s[2:3]
	s_cbranch_execz .LBB530_56
; %bb.37:                               ;   in Loop: Header=BB530_35 Depth=1
	v_cmp_eq_u32_e64 s[2:3], v18, v28
	v_cmp_ne_u32_e64 s[4:5], v18, v28
	v_mov_b32_e32 v1, v6
	;; [unrolled: 6-line block ×10, first 2 shown]
	s_and_saveexec_b64 s[48:49], s[18:19]
	s_xor_b64 s[48:49], exec, s[48:49]
; %bb.46:                               ;   in Loop: Header=BB530_35 Depth=1
	v_cmp_eq_u32_e64 s[18:19], v27, v28
	s_andn2_b64 s[46:47], s[46:47], exec
	s_and_b64 s[18:19], s[18:19], exec
	s_or_b64 s[46:47], s[46:47], s[18:19]
	v_mov_b32_e32 v1, v16
; %bb.47:                               ;   in Loop: Header=BB530_35 Depth=1
	s_or_b64 exec, exec, s[48:49]
	s_andn2_b64 s[16:17], s[16:17], exec
	s_and_b64 s[18:19], s[46:47], exec
	s_or_b64 s[16:17], s[16:17], s[18:19]
.LBB530_48:                             ;   in Loop: Header=BB530_35 Depth=1
	s_or_b64 exec, exec, s[44:45]
	s_andn2_b64 s[14:15], s[14:15], exec
	s_and_b64 s[16:17], s[16:17], exec
	s_or_b64 s[14:15], s[14:15], s[16:17]
.LBB530_49:                             ;   in Loop: Header=BB530_35 Depth=1
	s_or_b64 exec, exec, s[42:43]
	s_andn2_b64 s[12:13], s[12:13], exec
	s_and_b64 s[14:15], s[14:15], exec
	s_or_b64 s[12:13], s[12:13], s[14:15]
.LBB530_50:                             ;   in Loop: Header=BB530_35 Depth=1
	s_or_b64 exec, exec, s[40:41]
	s_andn2_b64 s[10:11], s[10:11], exec
	s_and_b64 s[12:13], s[12:13], exec
	s_or_b64 s[10:11], s[10:11], s[12:13]
.LBB530_51:                             ;   in Loop: Header=BB530_35 Depth=1
	s_or_b64 exec, exec, s[38:39]
	s_andn2_b64 s[8:9], s[8:9], exec
	s_and_b64 s[10:11], s[10:11], exec
	s_or_b64 s[8:9], s[8:9], s[10:11]
.LBB530_52:                             ;   in Loop: Header=BB530_35 Depth=1
	s_or_b64 exec, exec, s[36:37]
	s_andn2_b64 s[6:7], s[6:7], exec
	s_and_b64 s[8:9], s[8:9], exec
	s_or_b64 s[6:7], s[6:7], s[8:9]
.LBB530_53:                             ;   in Loop: Header=BB530_35 Depth=1
	s_or_b64 exec, exec, s[34:35]
	s_andn2_b64 s[4:5], s[4:5], exec
	s_and_b64 s[6:7], s[6:7], exec
	s_or_b64 s[4:5], s[4:5], s[6:7]
.LBB530_54:                             ;   in Loop: Header=BB530_35 Depth=1
	s_or_b64 exec, exec, s[30:31]
	s_andn2_b64 s[2:3], s[2:3], exec
	s_and_b64 s[4:5], s[4:5], exec
	s_or_b64 s[2:3], s[2:3], s[4:5]
.LBB530_55:                             ;   in Loop: Header=BB530_35 Depth=1
	s_or_b64 exec, exec, s[28:29]
	s_andn2_b64 s[0:1], s[0:1], exec
	s_and_b64 s[2:3], s[2:3], exec
	s_or_b64 s[0:1], s[0:1], s[2:3]
.LBB530_56:                             ;   in Loop: Header=BB530_35 Depth=1
	s_or_b64 exec, exec, s[26:27]
	s_andn2_b64 s[2:3], vcc, exec
	s_and_b64 s[0:1], s[0:1], exec
	s_or_b64 vcc, s[2:3], s[0:1]
.LBB530_57:                             ;   in Loop: Header=BB530_35 Depth=1
	s_or_b64 exec, exec, s[24:25]
	s_and_saveexec_b64 s[0:1], vcc
	s_cbranch_execz .LBB530_34
; %bb.58:                               ;   in Loop: Header=BB530_35 Depth=1
	scratch_load_dword v28, v1, off
	v_ashrrev_i32_e32 v1, 31, v0
	s_waitcnt vmcnt(0)
	v_mul_f32_e32 v30, v4, v28
	s_waitcnt lgkmcnt(0)
	v_lshl_add_u64 v[28:29], v[0:1], 2, s[22:23]
	global_store_dword v[28:29], v30, off
	s_branch .LBB530_34
.LBB530_59:
	s_endpgm
	.section	.rodata,"a",@progbits
	.p2align	6, 0x0
	.amdhsa_kernel _ZN4vllm3moe22topkGatingSoftplusSqrtILi12ELi384ELi4ELi4ELi32ELb1El14__hip_bfloat16EEvPKT6_PKbPfiPT5_PiiiibdPKfPKS9_SF_
		.amdhsa_group_segment_fixed_size 0
		.amdhsa_private_segment_fixed_size 64
		.amdhsa_kernarg_size 96
		.amdhsa_user_sgpr_count 2
		.amdhsa_user_sgpr_dispatch_ptr 0
		.amdhsa_user_sgpr_queue_ptr 0
		.amdhsa_user_sgpr_kernarg_segment_ptr 1
		.amdhsa_user_sgpr_dispatch_id 0
		.amdhsa_user_sgpr_kernarg_preload_length 0
		.amdhsa_user_sgpr_kernarg_preload_offset 0
		.amdhsa_user_sgpr_private_segment_size 0
		.amdhsa_uses_dynamic_stack 0
		.amdhsa_enable_private_segment 1
		.amdhsa_system_sgpr_workgroup_id_x 1
		.amdhsa_system_sgpr_workgroup_id_y 0
		.amdhsa_system_sgpr_workgroup_id_z 0
		.amdhsa_system_sgpr_workgroup_info 0
		.amdhsa_system_vgpr_workitem_id 1
		.amdhsa_next_free_vgpr 34
		.amdhsa_next_free_sgpr 50
		.amdhsa_accum_offset 36
		.amdhsa_reserve_vcc 1
		.amdhsa_float_round_mode_32 0
		.amdhsa_float_round_mode_16_64 0
		.amdhsa_float_denorm_mode_32 3
		.amdhsa_float_denorm_mode_16_64 3
		.amdhsa_dx10_clamp 1
		.amdhsa_ieee_mode 1
		.amdhsa_fp16_overflow 0
		.amdhsa_tg_split 0
		.amdhsa_exception_fp_ieee_invalid_op 0
		.amdhsa_exception_fp_denorm_src 0
		.amdhsa_exception_fp_ieee_div_zero 0
		.amdhsa_exception_fp_ieee_overflow 0
		.amdhsa_exception_fp_ieee_underflow 0
		.amdhsa_exception_fp_ieee_inexact 0
		.amdhsa_exception_int_div_zero 0
	.end_amdhsa_kernel
	.section	.text._ZN4vllm3moe22topkGatingSoftplusSqrtILi12ELi384ELi4ELi4ELi32ELb1El14__hip_bfloat16EEvPKT6_PKbPfiPT5_PiiiibdPKfPKS9_SF_,"axG",@progbits,_ZN4vllm3moe22topkGatingSoftplusSqrtILi12ELi384ELi4ELi4ELi32ELb1El14__hip_bfloat16EEvPKT6_PKbPfiPT5_PiiiibdPKfPKS9_SF_,comdat
.Lfunc_end530:
	.size	_ZN4vllm3moe22topkGatingSoftplusSqrtILi12ELi384ELi4ELi4ELi32ELb1El14__hip_bfloat16EEvPKT6_PKbPfiPT5_PiiiibdPKfPKS9_SF_, .Lfunc_end530-_ZN4vllm3moe22topkGatingSoftplusSqrtILi12ELi384ELi4ELi4ELi32ELb1El14__hip_bfloat16EEvPKT6_PKbPfiPT5_PiiiibdPKfPKS9_SF_
                                        ; -- End function
	.section	.AMDGPU.csdata,"",@progbits
; Kernel info:
; codeLenInByte = 5136
; NumSgprs: 56
; NumVgprs: 34
; NumAgprs: 0
; TotalNumVgprs: 34
; ScratchSize: 64
; MemoryBound: 0
; FloatMode: 240
; IeeeMode: 1
; LDSByteSize: 0 bytes/workgroup (compile time only)
; SGPRBlocks: 6
; VGPRBlocks: 4
; NumSGPRsForWavesPerEU: 56
; NumVGPRsForWavesPerEU: 34
; AccumOffset: 36
; Occupancy: 8
; WaveLimiterHint : 1
; COMPUTE_PGM_RSRC2:SCRATCH_EN: 1
; COMPUTE_PGM_RSRC2:USER_SGPR: 2
; COMPUTE_PGM_RSRC2:TRAP_HANDLER: 0
; COMPUTE_PGM_RSRC2:TGID_X_EN: 1
; COMPUTE_PGM_RSRC2:TGID_Y_EN: 0
; COMPUTE_PGM_RSRC2:TGID_Z_EN: 0
; COMPUTE_PGM_RSRC2:TIDIG_COMP_CNT: 1
; COMPUTE_PGM_RSRC3_GFX90A:ACCUM_OFFSET: 8
; COMPUTE_PGM_RSRC3_GFX90A:TG_SPLIT: 0
	.section	.text._ZN4vllm3moe22topkGatingSoftplusSqrtILi12ELi384ELi4ELi4ELi32ELb0El14__hip_bfloat16EEvPKT6_PKbPfiPT5_PiiiibdPKfPKS9_SF_,"axG",@progbits,_ZN4vllm3moe22topkGatingSoftplusSqrtILi12ELi384ELi4ELi4ELi32ELb0El14__hip_bfloat16EEvPKT6_PKbPfiPT5_PiiiibdPKfPKS9_SF_,comdat
	.protected	_ZN4vllm3moe22topkGatingSoftplusSqrtILi12ELi384ELi4ELi4ELi32ELb0El14__hip_bfloat16EEvPKT6_PKbPfiPT5_PiiiibdPKfPKS9_SF_ ; -- Begin function _ZN4vllm3moe22topkGatingSoftplusSqrtILi12ELi384ELi4ELi4ELi32ELb0El14__hip_bfloat16EEvPKT6_PKbPfiPT5_PiiiibdPKfPKS9_SF_
	.globl	_ZN4vllm3moe22topkGatingSoftplusSqrtILi12ELi384ELi4ELi4ELi32ELb0El14__hip_bfloat16EEvPKT6_PKbPfiPT5_PiiiibdPKfPKS9_SF_
	.p2align	8
	.type	_ZN4vllm3moe22topkGatingSoftplusSqrtILi12ELi384ELi4ELi4ELi32ELb0El14__hip_bfloat16EEvPKT6_PKbPfiPT5_PiiiibdPKfPKS9_SF_,@function
_ZN4vllm3moe22topkGatingSoftplusSqrtILi12ELi384ELi4ELi4ELi32ELb0El14__hip_bfloat16EEvPKT6_PKbPfiPT5_PiiiibdPKfPKS9_SF_: ; @_ZN4vllm3moe22topkGatingSoftplusSqrtILi12ELi384ELi4ELi4ELi32ELb0El14__hip_bfloat16EEvPKT6_PKbPfiPT5_PiiiibdPKfPKS9_SF_
; %bb.0:
	s_load_dword s33, s[0:1], 0x18
	v_and_b32_e32 v1, 0x3ff, v0
	s_lshl_b32 s2, s2, 2
	v_lshrrev_b32_e32 v2, 5, v1
	v_bfe_u32 v0, v0, 10, 10
	v_add3_u32 v12, s2, v0, v2
	s_waitcnt lgkmcnt(0)
	v_cmp_gt_i32_e32 vcc, s33, v12
	s_and_saveexec_b64 s[2:3], vcc
	s_cbranch_execz .LBB531_73
; %bb.1:
	s_load_dwordx4 s[4:7], s[0:1], 0x0
	s_load_dwordx2 s[34:35], s[0:1], 0x10
	s_waitcnt lgkmcnt(0)
	s_cmp_eq_u64 s[6:7], 0
	s_cbranch_scc1 .LBB531_3
; %bb.2:
	v_ashrrev_i32_e32 v13, 31, v12
	v_lshl_add_u64 v[2:3], s[6:7], 0, v[12:13]
	global_load_ubyte v0, v[2:3], off
	s_waitcnt vmcnt(0)
	v_and_b32_e32 v0, 1, v0
	v_cmp_eq_u32_e32 vcc, 1, v0
	s_xor_b64 s[2:3], vcc, -1
	s_orn2_b64 s[44:45], s[2:3], exec
	s_branch .LBB531_4
.LBB531_3:
	s_mov_b64 s[44:45], -1
.LBB531_4:
	s_movk_i32 s2, 0x180
	v_mul_lo_u32 v4, v12, s2
	v_mov_b32_e32 v2, s4
	v_mov_b32_e32 v3, s5
	v_ashrrev_i32_e32 v5, 31, v4
	v_and_b32_e32 v13, 31, v1
	v_lshl_add_u64 v[2:3], v[4:5], 1, v[2:3]
	v_mov_b32_e32 v1, 0
	v_lshlrev_b32_e32 v0, 2, v13
	v_lshl_add_u64 v[0:1], v[2:3], 0, v[0:1]
	global_load_dword v2, v[0:1], off
	global_load_dword v3, v[0:1], off offset:128
	global_load_dword v5, v[0:1], off offset:256
	;; [unrolled: 1-line block ×5, first 2 shown]
	s_mov_b32 s12, 0x800000
	v_mov_b32_e32 v4, 0x4f800000
	s_mov_b32 s9, 0x3f317217
	s_mov_b32 s10, 0x7f800000
	v_mov_b32_e32 v6, 0x41b17218
	s_mov_b32 s8, 0x41a00000
	s_mov_b32 s11, 0xf800000
	s_load_dwordx4 s[28:31], s[0:1], 0x40
	v_lshlrev_b32_e32 v16, 1, v13
	v_lshlrev_b32_e32 v14, 2, v16
	s_waitcnt lgkmcnt(0)
	s_cmp_lg_u64 s[30:31], 0
	s_cselect_b64 s[6:7], -1, 0
	s_and_b64 s[2:3], exec, s[6:7]
	s_waitcnt vmcnt(5)
	v_lshlrev_b32_e32 v0, 16, v2
	v_mul_f32_e32 v1, 0x3fb8aa3b, v0
	v_exp_f32_e32 v8, v1
	v_mov_b32_e32 v1, 0x260
	v_add_f32_e32 v8, 1.0, v8
	v_cmp_gt_f32_e32 vcc, s12, v8
	s_nop 1
	v_cndmask_b32_e32 v10, 1.0, v4, vcc
	v_mul_f32_e32 v8, v8, v10
	v_log_f32_e32 v8, v8
	v_cndmask_b32_e32 v10, 0, v6, vcc
	v_mul_f32_e32 v15, 0x3f317217, v8
	v_fma_f32 v15, v8, s9, -v15
	v_fmac_f32_e32 v15, 0x3377d1cf, v8
	v_fmac_f32_e32 v15, 0x3f317217, v8
	v_cmp_lt_f32_e64 vcc, |v8|, s10
	s_nop 1
	v_cndmask_b32_e32 v8, v8, v15, vcc
	v_sub_f32_e32 v8, v8, v10
	v_cmp_lt_f32_e32 vcc, s8, v0
	s_nop 1
	v_cndmask_b32_e32 v0, v8, v0, vcc
	v_mul_f32_e32 v8, 0x4f800000, v0
	v_cmp_gt_f32_e32 vcc, s11, v0
	s_nop 1
	v_cndmask_b32_e32 v0, v0, v8, vcc
	v_sqrt_f32_e32 v8, v0
	s_nop 0
	v_add_u32_e32 v10, -1, v8
	v_add_u32_e32 v15, 1, v8
	v_fma_f32 v17, -v10, v8, v0
	v_fma_f32 v18, -v15, v8, v0
	v_cmp_ge_f32_e64 s[4:5], 0, v17
	s_nop 1
	v_cndmask_b32_e64 v8, v8, v10, s[4:5]
	v_cmp_lt_f32_e64 s[4:5], 0, v18
	s_nop 1
	v_cndmask_b32_e64 v8, v8, v15, s[4:5]
	v_mul_f32_e32 v10, 0x37800000, v8
	v_cndmask_b32_e32 v8, v8, v10, vcc
	v_cmp_class_f32_e32 vcc, v0, v1
	s_nop 1
	v_cndmask_b32_e32 v0, v8, v0, vcc
	s_mov_b64 vcc, s[2:3]
	s_cbranch_vccz .LBB531_6
; %bb.5:
	global_load_dword v8, v14, s[30:31]
	s_waitcnt vmcnt(0)
	v_add_f32_e32 v0, v0, v8
.LBB531_6:
	v_and_b32_e32 v2, 0xffff0000, v2
	v_mul_f32_e32 v8, 0x3fb8aa3b, v2
	v_exp_f32_e32 v8, v8
	s_nop 0
	v_add_f32_e32 v8, 1.0, v8
	v_cmp_gt_f32_e32 vcc, s12, v8
	s_nop 1
	v_cndmask_b32_e32 v4, 1.0, v4, vcc
	v_mul_f32_e32 v4, v8, v4
	v_log_f32_e32 v4, v4
	v_cndmask_b32_e32 v6, 0, v6, vcc
	v_mul_f32_e32 v8, 0x3f317217, v4
	v_fma_f32 v8, v4, s9, -v8
	v_fmac_f32_e32 v8, 0x3377d1cf, v4
	v_fmac_f32_e32 v8, 0x3f317217, v4
	v_cmp_lt_f32_e64 vcc, |v4|, s10
	s_nop 1
	v_cndmask_b32_e32 v4, v4, v8, vcc
	v_sub_f32_e32 v4, v4, v6
	v_cmp_lt_f32_e32 vcc, s8, v2
	s_nop 1
	v_cndmask_b32_e32 v2, v4, v2, vcc
	v_mul_f32_e32 v4, 0x4f800000, v2
	v_cmp_gt_f32_e32 vcc, s11, v2
	s_nop 1
	v_cndmask_b32_e32 v2, v2, v4, vcc
	v_sqrt_f32_e32 v4, v2
	v_cmp_class_f32_e64 s[4:5], v2, v1
	v_add_u32_e32 v6, -1, v4
	v_add_u32_e32 v8, 1, v4
	v_fma_f32 v10, -v6, v4, v2
	v_fma_f32 v15, -v8, v4, v2
	v_cmp_ge_f32_e64 s[2:3], 0, v10
	s_nop 1
	v_cndmask_b32_e64 v4, v4, v6, s[2:3]
	v_cmp_lt_f32_e64 s[2:3], 0, v15
	s_nop 1
	v_cndmask_b32_e64 v4, v4, v8, s[2:3]
	v_mul_f32_e32 v6, 0x37800000, v4
	v_cndmask_b32_e32 v4, v4, v6, vcc
	v_cndmask_b32_e64 v6, 0, 1, s[6:7]
	v_cmp_ne_u32_e64 s[2:3], 1, v6
	s_andn2_b64 vcc, exec, s[6:7]
	v_cndmask_b32_e64 v1, v4, v2, s[4:5]
	s_cbranch_vccnz .LBB531_8
; %bb.7:
	global_load_dword v2, v14, s[30:31] offset:4
	s_waitcnt vmcnt(0)
	v_add_f32_e32 v1, v1, v2
.LBB531_8:
	s_waitcnt vmcnt(4)
	v_lshlrev_b32_e32 v2, 16, v3
	v_mul_f32_e32 v4, 0x3fb8aa3b, v2
	v_exp_f32_e32 v4, v4
	s_mov_b32 s10, 0x800000
	v_mov_b32_e32 v6, 0x4f800000
	s_mov_b32 s7, 0x3f317217
	v_add_f32_e32 v4, 1.0, v4
	v_cmp_gt_f32_e32 vcc, s10, v4
	s_mov_b32 s8, 0x7f800000
	s_mov_b32 s6, 0x41a00000
	v_cndmask_b32_e32 v8, 1.0, v6, vcc
	v_mul_f32_e32 v4, v4, v8
	v_log_f32_e32 v4, v4
	s_mov_b32 s9, 0xf800000
	v_mul_f32_e32 v8, 0x3f317217, v4
	v_fma_f32 v8, v4, s7, -v8
	v_fmac_f32_e32 v8, 0x3377d1cf, v4
	v_fmac_f32_e32 v8, 0x3f317217, v4
	v_cmp_lt_f32_e64 s[4:5], |v4|, s8
	s_nop 1
	v_cndmask_b32_e64 v4, v4, v8, s[4:5]
	v_mov_b32_e32 v8, 0x41b17218
	v_cndmask_b32_e32 v10, 0, v8, vcc
	v_sub_f32_e32 v4, v4, v10
	v_cmp_lt_f32_e32 vcc, s6, v2
	s_nop 1
	v_cndmask_b32_e32 v2, v4, v2, vcc
	v_mul_f32_e32 v4, 0x4f800000, v2
	v_cmp_gt_f32_e32 vcc, s9, v2
	s_nop 1
	v_cndmask_b32_e32 v2, v2, v4, vcc
	v_sqrt_f32_e32 v4, v2
	s_nop 0
	v_add_u32_e32 v10, -1, v4
	v_fma_f32 v15, -v10, v4, v2
	v_cmp_ge_f32_e64 s[4:5], 0, v15
	v_add_u32_e32 v15, 1, v4
	s_nop 0
	v_cndmask_b32_e64 v10, v4, v10, s[4:5]
	v_fma_f32 v4, -v15, v4, v2
	v_cmp_lt_f32_e64 s[4:5], 0, v4
	s_nop 1
	v_cndmask_b32_e64 v4, v10, v15, s[4:5]
	v_mul_f32_e32 v10, 0x37800000, v4
	v_cndmask_b32_e32 v10, v4, v10, vcc
	v_mov_b32_e32 v4, 0x260
	v_cmp_class_f32_e64 s[4:5], v2, v4
	s_and_b64 vcc, exec, s[2:3]
	s_nop 0
	v_cndmask_b32_e64 v2, v10, v2, s[4:5]
	s_cbranch_vccnz .LBB531_10
; %bb.9:
	global_load_dword v10, v14, s[30:31] offset:256
	s_waitcnt vmcnt(0)
	v_add_f32_e32 v2, v2, v10
.LBB531_10:
	v_and_b32_e32 v3, 0xffff0000, v3
	v_mul_f32_e32 v10, 0x3fb8aa3b, v3
	v_exp_f32_e32 v10, v10
	s_nop 0
	v_add_f32_e32 v10, 1.0, v10
	v_cmp_gt_f32_e32 vcc, s10, v10
	s_nop 1
	v_cndmask_b32_e32 v6, 1.0, v6, vcc
	v_mul_f32_e32 v6, v10, v6
	v_log_f32_e32 v6, v6
	v_cndmask_b32_e32 v8, 0, v8, vcc
	v_mul_f32_e32 v10, 0x3f317217, v6
	v_fma_f32 v10, v6, s7, -v10
	v_fmac_f32_e32 v10, 0x3377d1cf, v6
	v_fmac_f32_e32 v10, 0x3f317217, v6
	v_cmp_lt_f32_e64 vcc, |v6|, s8
	s_nop 1
	v_cndmask_b32_e32 v6, v6, v10, vcc
	v_sub_f32_e32 v6, v6, v8
	v_cmp_lt_f32_e32 vcc, s6, v3
	s_nop 1
	v_cndmask_b32_e32 v3, v6, v3, vcc
	v_mul_f32_e32 v6, 0x4f800000, v3
	v_cmp_gt_f32_e32 vcc, s9, v3
	s_nop 1
	v_cndmask_b32_e32 v3, v3, v6, vcc
	v_sqrt_f32_e32 v6, v3
	s_nop 0
	v_add_u32_e32 v8, -1, v6
	v_add_u32_e32 v10, 1, v6
	v_fma_f32 v15, -v8, v6, v3
	v_fma_f32 v17, -v10, v6, v3
	v_cmp_ge_f32_e64 s[4:5], 0, v15
	s_nop 1
	v_cndmask_b32_e64 v6, v6, v8, s[4:5]
	v_cmp_lt_f32_e64 s[4:5], 0, v17
	s_nop 1
	v_cndmask_b32_e64 v6, v6, v10, s[4:5]
	v_mul_f32_e32 v8, 0x37800000, v6
	v_cndmask_b32_e32 v6, v6, v8, vcc
	v_cmp_class_f32_e64 s[4:5], v3, v4
	s_and_b64 vcc, exec, s[2:3]
	s_nop 0
	v_cndmask_b32_e64 v3, v6, v3, s[4:5]
	s_cbranch_vccnz .LBB531_12
; %bb.11:
	global_load_dword v4, v14, s[30:31] offset:260
	s_waitcnt vmcnt(0)
	v_add_f32_e32 v3, v3, v4
.LBB531_12:
	s_waitcnt vmcnt(3)
	v_lshlrev_b32_e32 v4, 16, v5
	v_mul_f32_e32 v6, 0x3fb8aa3b, v4
	v_exp_f32_e32 v6, v6
	v_mov_b32_e32 v8, 0x4f800000
	v_add_f32_e32 v6, 1.0, v6
	v_cmp_gt_f32_e32 vcc, s10, v6
	s_nop 1
	v_cndmask_b32_e32 v10, 1.0, v8, vcc
	v_mul_f32_e32 v6, v6, v10
	v_log_f32_e32 v6, v6
	s_nop 0
	v_mul_f32_e32 v10, 0x3f317217, v6
	v_fma_f32 v10, v6, s7, -v10
	v_fmac_f32_e32 v10, 0x3377d1cf, v6
	v_fmac_f32_e32 v10, 0x3f317217, v6
	v_cmp_lt_f32_e64 s[4:5], |v6|, s8
	s_nop 1
	v_cndmask_b32_e64 v6, v6, v10, s[4:5]
	v_mov_b32_e32 v10, 0x41b17218
	v_cndmask_b32_e32 v15, 0, v10, vcc
	v_sub_f32_e32 v6, v6, v15
	v_cmp_lt_f32_e32 vcc, s6, v4
	s_nop 1
	v_cndmask_b32_e32 v4, v6, v4, vcc
	v_mul_f32_e32 v6, 0x4f800000, v4
	v_cmp_gt_f32_e32 vcc, s9, v4
	s_nop 1
	v_cndmask_b32_e32 v4, v4, v6, vcc
	v_sqrt_f32_e32 v6, v4
	s_nop 0
	v_add_u32_e32 v15, -1, v6
	v_fma_f32 v17, -v15, v6, v4
	v_cmp_ge_f32_e64 s[4:5], 0, v17
	v_add_u32_e32 v17, 1, v6
	s_nop 0
	v_cndmask_b32_e64 v15, v6, v15, s[4:5]
	v_fma_f32 v6, -v17, v6, v4
	v_cmp_lt_f32_e64 s[4:5], 0, v6
	s_nop 1
	v_cndmask_b32_e64 v6, v15, v17, s[4:5]
	v_mul_f32_e32 v15, 0x37800000, v6
	v_cndmask_b32_e32 v15, v6, v15, vcc
	v_mov_b32_e32 v6, 0x260
	v_cmp_class_f32_e64 s[4:5], v4, v6
	s_and_b64 vcc, exec, s[2:3]
	s_nop 0
	v_cndmask_b32_e64 v4, v15, v4, s[4:5]
	s_cbranch_vccnz .LBB531_14
; %bb.13:
	global_load_dword v15, v14, s[30:31] offset:512
	s_waitcnt vmcnt(0)
	v_add_f32_e32 v4, v4, v15
.LBB531_14:
	v_and_b32_e32 v5, 0xffff0000, v5
	v_mul_f32_e32 v15, 0x3fb8aa3b, v5
	v_exp_f32_e32 v15, v15
	s_nop 0
	v_add_f32_e32 v15, 1.0, v15
	v_cmp_gt_f32_e32 vcc, s10, v15
	s_nop 1
	v_cndmask_b32_e32 v8, 1.0, v8, vcc
	v_mul_f32_e32 v8, v15, v8
	v_log_f32_e32 v8, v8
	v_cndmask_b32_e32 v10, 0, v10, vcc
	v_mul_f32_e32 v15, 0x3f317217, v8
	v_fma_f32 v15, v8, s7, -v15
	v_fmac_f32_e32 v15, 0x3377d1cf, v8
	v_fmac_f32_e32 v15, 0x3f317217, v8
	v_cmp_lt_f32_e64 vcc, |v8|, s8
	s_nop 1
	v_cndmask_b32_e32 v8, v8, v15, vcc
	v_sub_f32_e32 v8, v8, v10
	v_cmp_lt_f32_e32 vcc, s6, v5
	s_nop 1
	v_cndmask_b32_e32 v5, v8, v5, vcc
	v_mul_f32_e32 v8, 0x4f800000, v5
	v_cmp_gt_f32_e32 vcc, s9, v5
	s_nop 1
	v_cndmask_b32_e32 v5, v5, v8, vcc
	v_sqrt_f32_e32 v8, v5
	s_nop 0
	v_add_u32_e32 v10, -1, v8
	v_add_u32_e32 v15, 1, v8
	v_fma_f32 v17, -v10, v8, v5
	v_fma_f32 v18, -v15, v8, v5
	v_cmp_ge_f32_e64 s[4:5], 0, v17
	s_nop 1
	v_cndmask_b32_e64 v8, v8, v10, s[4:5]
	v_cmp_lt_f32_e64 s[4:5], 0, v18
	s_nop 1
	v_cndmask_b32_e64 v8, v8, v15, s[4:5]
	v_mul_f32_e32 v10, 0x37800000, v8
	v_cndmask_b32_e32 v8, v8, v10, vcc
	v_cmp_class_f32_e64 s[4:5], v5, v6
	s_and_b64 vcc, exec, s[2:3]
	s_nop 0
	v_cndmask_b32_e64 v5, v8, v5, s[4:5]
	s_cbranch_vccnz .LBB531_16
; %bb.15:
	global_load_dword v6, v14, s[30:31] offset:516
	s_waitcnt vmcnt(0)
	v_add_f32_e32 v5, v5, v6
.LBB531_16:
	s_waitcnt vmcnt(2)
	v_lshlrev_b32_e32 v6, 16, v7
	v_mul_f32_e32 v8, 0x3fb8aa3b, v6
	v_exp_f32_e32 v8, v8
	v_mov_b32_e32 v10, 0x4f800000
	v_add_f32_e32 v8, 1.0, v8
	v_cmp_gt_f32_e32 vcc, s10, v8
	s_nop 1
	v_cndmask_b32_e32 v15, 1.0, v10, vcc
	v_mul_f32_e32 v8, v8, v15
	v_log_f32_e32 v8, v8
	s_nop 0
	v_mul_f32_e32 v15, 0x3f317217, v8
	v_fma_f32 v15, v8, s7, -v15
	v_fmac_f32_e32 v15, 0x3377d1cf, v8
	v_fmac_f32_e32 v15, 0x3f317217, v8
	v_cmp_lt_f32_e64 s[4:5], |v8|, s8
	s_nop 1
	v_cndmask_b32_e64 v8, v8, v15, s[4:5]
	v_mov_b32_e32 v15, 0x41b17218
	v_cndmask_b32_e32 v17, 0, v15, vcc
	v_sub_f32_e32 v8, v8, v17
	v_cmp_lt_f32_e32 vcc, s6, v6
	s_nop 1
	v_cndmask_b32_e32 v6, v8, v6, vcc
	v_mul_f32_e32 v8, 0x4f800000, v6
	v_cmp_gt_f32_e32 vcc, s9, v6
	s_nop 1
	v_cndmask_b32_e32 v6, v6, v8, vcc
	v_sqrt_f32_e32 v8, v6
	s_nop 0
	v_add_u32_e32 v17, -1, v8
	v_fma_f32 v18, -v17, v8, v6
	v_cmp_ge_f32_e64 s[4:5], 0, v18
	v_add_u32_e32 v18, 1, v8
	s_nop 0
	v_cndmask_b32_e64 v17, v8, v17, s[4:5]
	v_fma_f32 v8, -v18, v8, v6
	v_cmp_lt_f32_e64 s[4:5], 0, v8
	s_nop 1
	v_cndmask_b32_e64 v8, v17, v18, s[4:5]
	v_mul_f32_e32 v17, 0x37800000, v8
	v_cndmask_b32_e32 v17, v8, v17, vcc
	v_mov_b32_e32 v8, 0x260
	v_cmp_class_f32_e64 s[4:5], v6, v8
	s_and_b64 vcc, exec, s[2:3]
	s_nop 0
	v_cndmask_b32_e64 v6, v17, v6, s[4:5]
	s_cbranch_vccnz .LBB531_18
; %bb.17:
	global_load_dword v17, v14, s[30:31] offset:768
	s_waitcnt vmcnt(0)
	v_add_f32_e32 v6, v6, v17
.LBB531_18:
	v_and_b32_e32 v7, 0xffff0000, v7
	v_mul_f32_e32 v17, 0x3fb8aa3b, v7
	v_exp_f32_e32 v17, v17
	s_nop 0
	v_add_f32_e32 v17, 1.0, v17
	v_cmp_gt_f32_e32 vcc, s10, v17
	s_nop 1
	v_cndmask_b32_e32 v10, 1.0, v10, vcc
	v_mul_f32_e32 v10, v17, v10
	v_log_f32_e32 v10, v10
	v_cndmask_b32_e32 v15, 0, v15, vcc
	v_mul_f32_e32 v17, 0x3f317217, v10
	v_fma_f32 v17, v10, s7, -v17
	v_fmac_f32_e32 v17, 0x3377d1cf, v10
	v_fmac_f32_e32 v17, 0x3f317217, v10
	v_cmp_lt_f32_e64 vcc, |v10|, s8
	s_nop 1
	v_cndmask_b32_e32 v10, v10, v17, vcc
	v_sub_f32_e32 v10, v10, v15
	v_cmp_lt_f32_e32 vcc, s6, v7
	s_nop 1
	v_cndmask_b32_e32 v7, v10, v7, vcc
	v_mul_f32_e32 v10, 0x4f800000, v7
	v_cmp_gt_f32_e32 vcc, s9, v7
	s_nop 1
	v_cndmask_b32_e32 v7, v7, v10, vcc
	v_sqrt_f32_e32 v10, v7
	s_nop 0
	v_add_u32_e32 v15, -1, v10
	v_add_u32_e32 v17, 1, v10
	v_fma_f32 v18, -v15, v10, v7
	v_fma_f32 v19, -v17, v10, v7
	v_cmp_ge_f32_e64 s[4:5], 0, v18
	s_nop 1
	v_cndmask_b32_e64 v10, v10, v15, s[4:5]
	v_cmp_lt_f32_e64 s[4:5], 0, v19
	s_nop 1
	v_cndmask_b32_e64 v10, v10, v17, s[4:5]
	v_mul_f32_e32 v15, 0x37800000, v10
	v_cndmask_b32_e32 v10, v10, v15, vcc
	v_cmp_class_f32_e64 s[4:5], v7, v8
	s_and_b64 vcc, exec, s[2:3]
	s_nop 0
	v_cndmask_b32_e64 v7, v10, v7, s[4:5]
	s_cbranch_vccnz .LBB531_20
; %bb.19:
	global_load_dword v8, v14, s[30:31] offset:772
	s_waitcnt vmcnt(0)
	v_add_f32_e32 v7, v7, v8
.LBB531_20:
	s_waitcnt vmcnt(1)
	v_lshlrev_b32_e32 v8, 16, v9
	v_mul_f32_e32 v10, 0x3fb8aa3b, v8
	v_exp_f32_e32 v10, v10
	v_mov_b32_e32 v15, 0x4f800000
	v_add_f32_e32 v10, 1.0, v10
	v_cmp_gt_f32_e32 vcc, s10, v10
	s_nop 1
	v_cndmask_b32_e32 v17, 1.0, v15, vcc
	v_mul_f32_e32 v10, v10, v17
	v_log_f32_e32 v10, v10
	s_nop 0
	v_mul_f32_e32 v17, 0x3f317217, v10
	v_fma_f32 v17, v10, s7, -v17
	v_fmac_f32_e32 v17, 0x3377d1cf, v10
	v_fmac_f32_e32 v17, 0x3f317217, v10
	v_cmp_lt_f32_e64 s[4:5], |v10|, s8
	s_nop 1
	v_cndmask_b32_e64 v10, v10, v17, s[4:5]
	v_mov_b32_e32 v17, 0x41b17218
	v_cndmask_b32_e32 v18, 0, v17, vcc
	v_sub_f32_e32 v10, v10, v18
	v_cmp_lt_f32_e32 vcc, s6, v8
	s_nop 1
	v_cndmask_b32_e32 v8, v10, v8, vcc
	v_mul_f32_e32 v10, 0x4f800000, v8
	v_cmp_gt_f32_e32 vcc, s9, v8
	s_nop 1
	v_cndmask_b32_e32 v8, v8, v10, vcc
	v_sqrt_f32_e32 v10, v8
	s_nop 0
	v_add_u32_e32 v18, -1, v10
	v_fma_f32 v19, -v18, v10, v8
	v_cmp_ge_f32_e64 s[4:5], 0, v19
	v_add_u32_e32 v19, 1, v10
	s_nop 0
	v_cndmask_b32_e64 v18, v10, v18, s[4:5]
	v_fma_f32 v10, -v19, v10, v8
	v_cmp_lt_f32_e64 s[4:5], 0, v10
	s_nop 1
	v_cndmask_b32_e64 v10, v18, v19, s[4:5]
	v_mul_f32_e32 v18, 0x37800000, v10
	v_cndmask_b32_e32 v18, v10, v18, vcc
	v_mov_b32_e32 v10, 0x260
	v_cmp_class_f32_e64 s[4:5], v8, v10
	s_and_b64 vcc, exec, s[2:3]
	s_nop 0
	v_cndmask_b32_e64 v8, v18, v8, s[4:5]
	s_cbranch_vccnz .LBB531_22
; %bb.21:
	global_load_dword v18, v14, s[30:31] offset:1024
	s_waitcnt vmcnt(0)
	v_add_f32_e32 v8, v8, v18
.LBB531_22:
	v_and_b32_e32 v9, 0xffff0000, v9
	v_mul_f32_e32 v18, 0x3fb8aa3b, v9
	v_exp_f32_e32 v18, v18
	s_nop 0
	v_add_f32_e32 v18, 1.0, v18
	v_cmp_gt_f32_e32 vcc, s10, v18
	s_nop 1
	v_cndmask_b32_e32 v15, 1.0, v15, vcc
	v_mul_f32_e32 v15, v18, v15
	v_log_f32_e32 v15, v15
	v_cndmask_b32_e32 v17, 0, v17, vcc
	v_mul_f32_e32 v18, 0x3f317217, v15
	v_fma_f32 v18, v15, s7, -v18
	v_fmac_f32_e32 v18, 0x3377d1cf, v15
	v_fmac_f32_e32 v18, 0x3f317217, v15
	v_cmp_lt_f32_e64 vcc, |v15|, s8
	s_nop 1
	v_cndmask_b32_e32 v15, v15, v18, vcc
	v_sub_f32_e32 v15, v15, v17
	v_cmp_lt_f32_e32 vcc, s6, v9
	s_nop 1
	v_cndmask_b32_e32 v9, v15, v9, vcc
	v_mul_f32_e32 v15, 0x4f800000, v9
	v_cmp_gt_f32_e32 vcc, s9, v9
	s_nop 1
	v_cndmask_b32_e32 v9, v9, v15, vcc
	v_sqrt_f32_e32 v15, v9
	s_nop 0
	v_add_u32_e32 v17, -1, v15
	v_add_u32_e32 v18, 1, v15
	v_fma_f32 v19, -v17, v15, v9
	v_fma_f32 v20, -v18, v15, v9
	v_cmp_ge_f32_e64 s[4:5], 0, v19
	s_nop 1
	v_cndmask_b32_e64 v15, v15, v17, s[4:5]
	v_cmp_lt_f32_e64 s[4:5], 0, v20
	s_nop 1
	v_cndmask_b32_e64 v15, v15, v18, s[4:5]
	v_mul_f32_e32 v17, 0x37800000, v15
	v_cndmask_b32_e32 v15, v15, v17, vcc
	v_cmp_class_f32_e64 s[4:5], v9, v10
	s_and_b64 vcc, exec, s[2:3]
	s_nop 0
	v_cndmask_b32_e64 v9, v15, v9, s[4:5]
	s_cbranch_vccnz .LBB531_24
; %bb.23:
	global_load_dword v10, v14, s[30:31] offset:1028
	s_waitcnt vmcnt(0)
	v_add_f32_e32 v9, v9, v10
.LBB531_24:
	s_waitcnt vmcnt(0)
	v_lshlrev_b32_e32 v10, 16, v11
	v_mul_f32_e32 v15, 0x3fb8aa3b, v10
	v_exp_f32_e32 v15, v15
	v_mov_b32_e32 v17, 0x4f800000
	v_add_f32_e32 v15, 1.0, v15
	v_cmp_gt_f32_e32 vcc, s10, v15
	s_nop 1
	v_cndmask_b32_e32 v18, 1.0, v17, vcc
	v_mul_f32_e32 v15, v15, v18
	v_log_f32_e32 v15, v15
	s_nop 0
	v_mul_f32_e32 v18, 0x3f317217, v15
	v_fma_f32 v18, v15, s7, -v18
	v_fmac_f32_e32 v18, 0x3377d1cf, v15
	v_fmac_f32_e32 v18, 0x3f317217, v15
	v_cmp_lt_f32_e64 s[4:5], |v15|, s8
	s_nop 1
	v_cndmask_b32_e64 v15, v15, v18, s[4:5]
	v_mov_b32_e32 v18, 0x41b17218
	v_cndmask_b32_e32 v19, 0, v18, vcc
	v_sub_f32_e32 v15, v15, v19
	v_cmp_lt_f32_e32 vcc, s6, v10
	s_nop 1
	v_cndmask_b32_e32 v10, v15, v10, vcc
	v_mul_f32_e32 v15, 0x4f800000, v10
	v_cmp_gt_f32_e32 vcc, s9, v10
	s_nop 1
	v_cndmask_b32_e32 v10, v10, v15, vcc
	v_sqrt_f32_e32 v15, v10
	s_nop 0
	v_add_u32_e32 v19, -1, v15
	v_fma_f32 v20, -v19, v15, v10
	v_cmp_ge_f32_e64 s[4:5], 0, v20
	v_add_u32_e32 v20, 1, v15
	s_nop 0
	v_cndmask_b32_e64 v19, v15, v19, s[4:5]
	v_fma_f32 v15, -v20, v15, v10
	v_cmp_lt_f32_e64 s[4:5], 0, v15
	s_nop 1
	v_cndmask_b32_e64 v15, v19, v20, s[4:5]
	v_mul_f32_e32 v19, 0x37800000, v15
	v_cndmask_b32_e32 v19, v15, v19, vcc
	v_mov_b32_e32 v15, 0x260
	v_cmp_class_f32_e64 s[4:5], v10, v15
	s_and_b64 vcc, exec, s[2:3]
	s_nop 0
	v_cndmask_b32_e64 v10, v19, v10, s[4:5]
	s_cbranch_vccnz .LBB531_26
; %bb.25:
	global_load_dword v19, v14, s[30:31] offset:1280
	s_waitcnt vmcnt(0)
	v_add_f32_e32 v10, v10, v19
.LBB531_26:
	v_and_b32_e32 v11, 0xffff0000, v11
	v_mul_f32_e32 v19, 0x3fb8aa3b, v11
	v_exp_f32_e32 v19, v19
	s_nop 0
	v_add_f32_e32 v19, 1.0, v19
	v_cmp_gt_f32_e32 vcc, s10, v19
	s_nop 1
	v_cndmask_b32_e32 v17, 1.0, v17, vcc
	v_mul_f32_e32 v17, v19, v17
	v_log_f32_e32 v17, v17
	v_cndmask_b32_e32 v18, 0, v18, vcc
	v_mul_f32_e32 v19, 0x3f317217, v17
	v_fma_f32 v19, v17, s7, -v19
	v_fmac_f32_e32 v19, 0x3377d1cf, v17
	v_fmac_f32_e32 v19, 0x3f317217, v17
	v_cmp_lt_f32_e64 vcc, |v17|, s8
	s_nop 1
	v_cndmask_b32_e32 v17, v17, v19, vcc
	v_sub_f32_e32 v17, v17, v18
	v_cmp_lt_f32_e32 vcc, s6, v11
	s_nop 1
	v_cndmask_b32_e32 v11, v17, v11, vcc
	v_mul_f32_e32 v17, 0x4f800000, v11
	v_cmp_gt_f32_e32 vcc, s9, v11
	s_nop 1
	v_cndmask_b32_e32 v11, v11, v17, vcc
	v_sqrt_f32_e32 v17, v11
	s_nop 0
	v_add_u32_e32 v18, -1, v17
	v_add_u32_e32 v19, 1, v17
	v_fma_f32 v20, -v18, v17, v11
	v_fma_f32 v21, -v19, v17, v11
	v_cmp_ge_f32_e64 s[4:5], 0, v20
	s_nop 1
	v_cndmask_b32_e64 v17, v17, v18, s[4:5]
	v_cmp_lt_f32_e64 s[4:5], 0, v21
	s_nop 1
	v_cndmask_b32_e64 v17, v17, v19, s[4:5]
	v_mul_f32_e32 v18, 0x37800000, v17
	v_cndmask_b32_e32 v17, v17, v18, vcc
	v_cmp_class_f32_e64 s[4:5], v11, v15
	s_and_b64 vcc, exec, s[2:3]
	s_nop 0
	v_cndmask_b32_e64 v11, v17, v11, s[4:5]
	s_cbranch_vccnz .LBB531_28
; %bb.27:
	global_load_dword v14, v14, s[30:31] offset:1284
	s_waitcnt vmcnt(0)
	v_add_f32_e32 v11, v11, v14
.LBB531_28:
	s_load_dwordx4 s[36:39], s[0:1], 0x30
	s_mov_b32 s50, 0
	v_cmp_eq_u32_e64 s[6:7], 0, v13
	s_waitcnt lgkmcnt(0)
	s_bitcmp1_b32 s39, 0
	s_cselect_b64 s[4:5], -1, 0
	s_cmp_gt_i32 s36, 0
	s_cselect_b64 s[46:47], -1, 0
	s_and_b64 vcc, exec, s[46:47]
	s_cbranch_vccz .LBB531_59
; %bb.29:
	v_mbcnt_lo_u32_b32 v14, -1, 0
	v_mbcnt_hi_u32_b32 v14, -1, v14
	v_and_b32_e32 v15, 0x60, v14
	v_add_u32_e32 v15, 32, v15
	v_xor_b32_e32 v17, 16, v14
	v_cmp_lt_i32_e32 vcc, v17, v15
	s_load_dwordx4 s[40:43], s[0:1], 0x20
	v_mul_lo_u32 v18, v12, s36
	v_cndmask_b32_e32 v17, v14, v17, vcc
	v_lshlrev_b32_e32 v19, 2, v17
	v_xor_b32_e32 v17, 8, v14
	v_cmp_lt_i32_e32 vcc, v17, v15
	v_mov_b32_e32 v24, 0x41
	v_mov_b32_e32 v25, 0x80
	v_cndmask_b32_e32 v17, v14, v17, vcc
	v_lshlrev_b32_e32 v20, 2, v17
	v_xor_b32_e32 v17, 4, v14
	v_cmp_lt_i32_e32 vcc, v17, v15
	v_mov_b32_e32 v26, 0x81
	v_mov_b32_e32 v27, 0xc0
	;; [unrolled: 6-line block ×4, first 2 shown]
	v_cndmask_b32_e32 v14, v14, v17, vcc
	v_lshlrev_b32_e32 v23, 2, v14
	v_mov_b32_e32 v17, 0
	v_mov_b32_e32 v32, 0x141
	;; [unrolled: 1-line block ×5, first 2 shown]
	s_branch .LBB531_32
.LBB531_30:                             ;   in Loop: Header=BB531_32 Depth=1
	s_or_b64 exec, exec, s[48:49]
.LBB531_31:                             ;   in Loop: Header=BB531_32 Depth=1
	s_cmp_eq_u32 s36, s50
	v_add_u32_e32 v35, s33, v35
	s_cbranch_scc1 .LBB531_60
.LBB531_32:                             ; =>This Inner Loop Header: Depth=1
	v_cmp_gt_f32_e32 vcc, v1, v0
	s_nop 1
	v_cndmask_b32_e32 v15, v0, v1, vcc
	v_cndmask_b32_e64 v14, 0, 1, vcc
	v_cmp_gt_f32_e32 vcc, v2, v15
	s_nop 1
	v_cndmask_b32_e32 v15, v15, v2, vcc
	v_cndmask_b32_e64 v14, v14, 64, vcc
	v_cmp_gt_f32_e32 vcc, v3, v15
	s_nop 1
	v_cndmask_b32_e32 v15, v15, v3, vcc
	v_cndmask_b32_e32 v14, v14, v24, vcc
	v_cmp_gt_f32_e32 vcc, v4, v15
	s_nop 1
	v_cndmask_b32_e32 v15, v15, v4, vcc
	v_cndmask_b32_e32 v14, v14, v25, vcc
	;; [unrolled: 4-line block ×9, first 2 shown]
	ds_bpermute_b32 v15, v19, v36
	v_or_b32_e32 v14, v16, v14
	s_waitcnt lgkmcnt(0)
	ds_bpermute_b32 v37, v19, v14
	s_waitcnt lgkmcnt(0)
	v_cmp_lt_f32_e64 s[8:9], v36, v15
	v_cmp_nlt_f32_e32 vcc, v36, v15
	s_and_saveexec_b64 s[10:11], vcc
; %bb.33:                               ;   in Loop: Header=BB531_32 Depth=1
	v_cmp_eq_f32_e32 vcc, v36, v15
	v_cmp_lt_i32_e64 s[0:1], v37, v14
	s_and_b64 s[0:1], vcc, s[0:1]
	s_andn2_b64 s[8:9], s[8:9], exec
	s_and_b64 s[0:1], s[0:1], exec
	s_or_b64 s[8:9], s[8:9], s[0:1]
; %bb.34:                               ;   in Loop: Header=BB531_32 Depth=1
	s_or_b64 exec, exec, s[10:11]
	s_and_saveexec_b64 s[0:1], s[8:9]
; %bb.35:                               ;   in Loop: Header=BB531_32 Depth=1
	v_mov_b32_e32 v36, v15
	v_mov_b32_e32 v14, v37
; %bb.36:                               ;   in Loop: Header=BB531_32 Depth=1
	s_or_b64 exec, exec, s[0:1]
	ds_bpermute_b32 v15, v20, v36
	ds_bpermute_b32 v37, v20, v14
	s_waitcnt lgkmcnt(1)
	v_cmp_lt_f32_e64 s[8:9], v36, v15
	v_cmp_nlt_f32_e32 vcc, v36, v15
	s_and_saveexec_b64 s[10:11], vcc
	s_cbranch_execz .LBB531_38
; %bb.37:                               ;   in Loop: Header=BB531_32 Depth=1
	v_cmp_eq_f32_e32 vcc, v36, v15
	s_waitcnt lgkmcnt(0)
	v_cmp_lt_i32_e64 s[0:1], v37, v14
	s_and_b64 s[0:1], vcc, s[0:1]
	s_andn2_b64 s[8:9], s[8:9], exec
	s_and_b64 s[0:1], s[0:1], exec
	s_or_b64 s[8:9], s[8:9], s[0:1]
.LBB531_38:                             ;   in Loop: Header=BB531_32 Depth=1
	s_or_b64 exec, exec, s[10:11]
	s_and_saveexec_b64 s[0:1], s[8:9]
	s_cbranch_execz .LBB531_40
; %bb.39:                               ;   in Loop: Header=BB531_32 Depth=1
	v_mov_b32_e32 v36, v15
	s_waitcnt lgkmcnt(0)
	v_mov_b32_e32 v14, v37
.LBB531_40:                             ;   in Loop: Header=BB531_32 Depth=1
	s_or_b64 exec, exec, s[0:1]
	ds_bpermute_b32 v15, v21, v36
	s_waitcnt lgkmcnt(1)
	ds_bpermute_b32 v37, v21, v14
	s_waitcnt lgkmcnt(1)
	v_cmp_lt_f32_e64 s[8:9], v36, v15
	v_cmp_nlt_f32_e32 vcc, v36, v15
	s_and_saveexec_b64 s[10:11], vcc
	s_cbranch_execz .LBB531_42
; %bb.41:                               ;   in Loop: Header=BB531_32 Depth=1
	v_cmp_eq_f32_e32 vcc, v36, v15
	s_waitcnt lgkmcnt(0)
	v_cmp_lt_i32_e64 s[0:1], v37, v14
	s_and_b64 s[0:1], vcc, s[0:1]
	s_andn2_b64 s[8:9], s[8:9], exec
	s_and_b64 s[0:1], s[0:1], exec
	s_or_b64 s[8:9], s[8:9], s[0:1]
.LBB531_42:                             ;   in Loop: Header=BB531_32 Depth=1
	s_or_b64 exec, exec, s[10:11]
	s_and_saveexec_b64 s[0:1], s[8:9]
	s_cbranch_execz .LBB531_44
; %bb.43:                               ;   in Loop: Header=BB531_32 Depth=1
	v_mov_b32_e32 v36, v15
	s_waitcnt lgkmcnt(0)
	v_mov_b32_e32 v14, v37
.LBB531_44:                             ;   in Loop: Header=BB531_32 Depth=1
	s_or_b64 exec, exec, s[0:1]
	ds_bpermute_b32 v15, v22, v36
	s_waitcnt lgkmcnt(1)
	;; [unrolled: 26-line block ×3, first 2 shown]
	ds_bpermute_b32 v37, v23, v14
	s_waitcnt lgkmcnt(1)
	v_cmp_lt_f32_e64 s[8:9], v36, v15
	v_cmp_nlt_f32_e32 vcc, v36, v15
	s_and_saveexec_b64 s[10:11], vcc
	s_cbranch_execnz .LBB531_52
; %bb.49:                               ;   in Loop: Header=BB531_32 Depth=1
	s_or_b64 exec, exec, s[10:11]
	s_and_saveexec_b64 s[0:1], s[8:9]
	s_cbranch_execnz .LBB531_53
.LBB531_50:                             ;   in Loop: Header=BB531_32 Depth=1
	s_or_b64 exec, exec, s[0:1]
	s_and_saveexec_b64 s[8:9], s[6:7]
	s_cbranch_execnz .LBB531_54
.LBB531_51:                             ;   in Loop: Header=BB531_32 Depth=1
	s_or_b64 exec, exec, s[8:9]
	s_add_i32 s50, s50, 1
	s_cmp_ge_i32 s50, s36
	s_cbranch_scc1 .LBB531_31
	s_branch .LBB531_57
.LBB531_52:                             ;   in Loop: Header=BB531_32 Depth=1
	v_cmp_eq_f32_e32 vcc, v36, v15
	s_waitcnt lgkmcnt(0)
	v_cmp_lt_i32_e64 s[0:1], v37, v14
	s_and_b64 s[0:1], vcc, s[0:1]
	s_andn2_b64 s[8:9], s[8:9], exec
	s_and_b64 s[0:1], s[0:1], exec
	s_or_b64 s[8:9], s[8:9], s[0:1]
	s_or_b64 exec, exec, s[10:11]
	s_and_saveexec_b64 s[0:1], s[8:9]
	s_cbranch_execz .LBB531_50
.LBB531_53:                             ;   in Loop: Header=BB531_32 Depth=1
	s_waitcnt lgkmcnt(0)
	v_mov_b32_e32 v14, v37
	v_mov_b32_e32 v36, v15
	s_or_b64 exec, exec, s[0:1]
	s_and_saveexec_b64 s[8:9], s[6:7]
	s_cbranch_execz .LBB531_51
.LBB531_54:                             ;   in Loop: Header=BB531_32 Depth=1
	s_and_b64 vcc, exec, s[2:3]
	s_cbranch_vccnz .LBB531_56
; %bb.55:                               ;   in Loop: Header=BB531_32 Depth=1
	v_ashrrev_i32_e32 v15, 31, v14
	v_lshl_add_u64 v[38:39], v[14:15], 2, s[30:31]
	global_load_dword v15, v[38:39], off
	s_waitcnt vmcnt(0)
	v_sub_f32_e32 v36, v36, v15
.LBB531_56:                             ;   in Loop: Header=BB531_32 Depth=1
	v_add_u32_e32 v38, s50, v18
	v_cmp_le_i32_e32 vcc, s37, v14
	v_cmp_gt_i32_e64 s[0:1], s38, v14
	v_ashrrev_i32_e32 v39, 31, v38
	s_and_b64 s[0:1], vcc, s[0:1]
	v_lshlrev_b64 v[40:41], 2, v[38:39]
	v_subrev_u32_e32 v15, s37, v14
	v_lshl_add_u64 v[42:43], s[34:35], 0, v[40:41]
	s_waitcnt lgkmcnt(0)
	v_ashrrev_i32_e32 v37, 31, v15
	s_and_b64 vcc, s[44:45], s[0:1]
	global_store_dword v[42:43], v36, off
	v_cndmask_b32_e32 v43, 0, v37, vcc
	v_cndmask_b32_e32 v42, v33, v15, vcc
	v_lshl_add_u64 v[38:39], v[38:39], 3, s[40:41]
	v_add_f32_e32 v15, v17, v36
	global_store_dwordx2 v[38:39], v[42:43], off
	v_lshl_add_u64 v[38:39], s[42:43], 0, v[40:41]
	v_cndmask_b32_e64 v17, v17, v15, s[4:5]
	global_store_dword v[38:39], v35, off
	s_or_b64 exec, exec, s[8:9]
	s_add_i32 s50, s50, 1
	s_cmp_ge_i32 s50, s36
	s_cbranch_scc1 .LBB531_31
.LBB531_57:                             ;   in Loop: Header=BB531_32 Depth=1
	v_lshrrev_b32_e32 v15, 31, v14
	v_add_u32_e32 v36, v14, v15
	v_ashrrev_i32_e32 v15, 1, v36
	v_ashrrev_i32_e32 v36, 31, v36
	v_lshrrev_b32_e32 v36, 27, v36
	v_add_u32_e32 v36, v15, v36
	v_and_b32_e32 v36, 0xffffffe0, v36
	v_sub_u32_e32 v36, v15, v36
	v_cmp_eq_u32_e32 vcc, v13, v36
	s_and_saveexec_b64 s[48:49], vcc
	s_cbranch_execz .LBB531_30
; %bb.58:                               ;   in Loop: Header=BB531_32 Depth=1
	v_ashrrev_i32_e32 v36, 31, v14
	v_lshrrev_b32_e32 v36, 26, v36
	v_add_u32_e32 v36, v14, v36
	v_lshlrev_b32_e32 v15, 1, v15
	v_sub_u32_e32 v14, v14, v15
	v_ashrrev_i32_e32 v15, 6, v36
	v_lshl_add_u32 v14, v15, 1, v14
	v_cmp_ne_u32_e32 vcc, 10, v14
	v_cmp_ne_u32_e64 s[0:1], 9, v14
	v_cmp_ne_u32_e64 s[8:9], 8, v14
	;; [unrolled: 1-line block ×11, first 2 shown]
	v_cndmask_b32_e32 v10, v34, v10, vcc
	v_cndmask_b32_e64 v9, v34, v9, s[0:1]
	v_cndmask_b32_e64 v11, v34, v11, s[26:27]
	;; [unrolled: 1-line block ×11, first 2 shown]
	s_branch .LBB531_30
.LBB531_59:
	v_mov_b32_e32 v17, 0
.LBB531_60:
	v_cmp_eq_u32_e32 vcc, 0, v13
	s_and_b64 exec, exec, vcc
	s_cbranch_execz .LBB531_73
; %bb.61:
	s_andn2_b64 vcc, exec, s[4:5]
	v_cvt_f32_f64_e32 v0, s[28:29]
	s_cbranch_vccnz .LBB531_63
; %bb.62:
	v_cmp_lt_f32_e32 vcc, 0, v17
	s_nop 1
	v_cndmask_b32_e32 v1, 1.0, v17, vcc
	v_div_scale_f32 v2, s[0:1], v1, v1, v0
	v_rcp_f32_e32 v3, v2
	s_nop 0
	v_fma_f32 v4, -v2, v3, 1.0
	v_fmac_f32_e32 v3, v4, v3
	v_div_scale_f32 v4, vcc, v0, v1, v0
	v_mul_f32_e32 v5, v4, v3
	v_fma_f32 v6, -v2, v5, v4
	v_fmac_f32_e32 v5, v6, v3
	v_fma_f32 v2, -v2, v5, v4
	v_div_fmas_f32 v2, v2, v3, v5
	v_div_fixup_f32 v0, v2, v1, v0
.LBB531_63:
	s_andn2_b64 vcc, exec, s[46:47]
	s_cbranch_vccnz .LBB531_73
; %bb.64:
	v_mul_lo_u32 v2, v12, s36
	s_cmp_gt_u32 s36, 3
	v_ashrrev_i32_e32 v3, 31, v2
	s_cbranch_scc0 .LBB531_68
; %bb.65:
	s_and_b32 s0, s36, 0x7ffffffc
	v_lshl_add_u64 v[4:5], v[2:3], 2, s[34:35]
	v_mov_b32_e32 v1, v0
	v_lshl_add_u64 v[4:5], v[4:5], 0, 8
	s_mov_b32 s1, s0
.LBB531_66:                             ; =>This Inner Loop Header: Depth=1
	global_load_dwordx4 v[6:9], v[4:5], off offset:-8
	s_add_i32 s1, s1, -4
	s_cmp_lg_u32 s1, 0
	s_waitcnt vmcnt(0)
	v_pk_mul_f32 v[6:7], v[0:1], v[6:7]
	v_pk_mul_f32 v[8:9], v[0:1], v[8:9]
	global_store_dwordx4 v[4:5], v[6:9], off offset:-8
	v_lshl_add_u64 v[4:5], v[4:5], 0, 16
	s_cbranch_scc1 .LBB531_66
; %bb.67:
	s_cmp_lg_u32 s0, s36
	s_cselect_b64 s[2:3], -1, 0
	s_branch .LBB531_70
.LBB531_68:
	s_mov_b64 s[2:3], 0
                                        ; implicit-def: $sgpr0
	s_cbranch_execz .LBB531_70
; %bb.69:
	s_mov_b64 s[2:3], -1
	s_mov_b32 s0, 0
.LBB531_70:
	s_andn2_b64 vcc, exec, s[2:3]
	s_cbranch_vccnz .LBB531_73
; %bb.71:
	s_mov_b32 s1, 0
	v_lshl_add_u64 v[2:3], v[2:3], 0, s[0:1]
	s_sub_i32 s2, s36, s0
	v_lshl_add_u64 v[2:3], v[2:3], 2, s[34:35]
.LBB531_72:                             ; =>This Inner Loop Header: Depth=1
	global_load_dword v1, v[2:3], off
	s_add_i32 s2, s2, -1
	s_cmp_lg_u32 s2, 0
	s_waitcnt vmcnt(0)
	v_mul_f32_e32 v1, v0, v1
	global_store_dword v[2:3], v1, off
	v_lshl_add_u64 v[2:3], v[2:3], 0, 4
	s_cbranch_scc1 .LBB531_72
.LBB531_73:
	s_endpgm
	.section	.rodata,"a",@progbits
	.p2align	6, 0x0
	.amdhsa_kernel _ZN4vllm3moe22topkGatingSoftplusSqrtILi12ELi384ELi4ELi4ELi32ELb0El14__hip_bfloat16EEvPKT6_PKbPfiPT5_PiiiibdPKfPKS9_SF_
		.amdhsa_group_segment_fixed_size 0
		.amdhsa_private_segment_fixed_size 0
		.amdhsa_kernarg_size 96
		.amdhsa_user_sgpr_count 2
		.amdhsa_user_sgpr_dispatch_ptr 0
		.amdhsa_user_sgpr_queue_ptr 0
		.amdhsa_user_sgpr_kernarg_segment_ptr 1
		.amdhsa_user_sgpr_dispatch_id 0
		.amdhsa_user_sgpr_kernarg_preload_length 0
		.amdhsa_user_sgpr_kernarg_preload_offset 0
		.amdhsa_user_sgpr_private_segment_size 0
		.amdhsa_uses_dynamic_stack 0
		.amdhsa_enable_private_segment 0
		.amdhsa_system_sgpr_workgroup_id_x 1
		.amdhsa_system_sgpr_workgroup_id_y 0
		.amdhsa_system_sgpr_workgroup_id_z 0
		.amdhsa_system_sgpr_workgroup_info 0
		.amdhsa_system_vgpr_workitem_id 1
		.amdhsa_next_free_vgpr 44
		.amdhsa_next_free_sgpr 51
		.amdhsa_accum_offset 44
		.amdhsa_reserve_vcc 1
		.amdhsa_float_round_mode_32 0
		.amdhsa_float_round_mode_16_64 0
		.amdhsa_float_denorm_mode_32 3
		.amdhsa_float_denorm_mode_16_64 3
		.amdhsa_dx10_clamp 1
		.amdhsa_ieee_mode 1
		.amdhsa_fp16_overflow 0
		.amdhsa_tg_split 0
		.amdhsa_exception_fp_ieee_invalid_op 0
		.amdhsa_exception_fp_denorm_src 0
		.amdhsa_exception_fp_ieee_div_zero 0
		.amdhsa_exception_fp_ieee_overflow 0
		.amdhsa_exception_fp_ieee_underflow 0
		.amdhsa_exception_fp_ieee_inexact 0
		.amdhsa_exception_int_div_zero 0
	.end_amdhsa_kernel
	.section	.text._ZN4vllm3moe22topkGatingSoftplusSqrtILi12ELi384ELi4ELi4ELi32ELb0El14__hip_bfloat16EEvPKT6_PKbPfiPT5_PiiiibdPKfPKS9_SF_,"axG",@progbits,_ZN4vllm3moe22topkGatingSoftplusSqrtILi12ELi384ELi4ELi4ELi32ELb0El14__hip_bfloat16EEvPKT6_PKbPfiPT5_PiiiibdPKfPKS9_SF_,comdat
.Lfunc_end531:
	.size	_ZN4vllm3moe22topkGatingSoftplusSqrtILi12ELi384ELi4ELi4ELi32ELb0El14__hip_bfloat16EEvPKT6_PKbPfiPT5_PiiiibdPKfPKS9_SF_, .Lfunc_end531-_ZN4vllm3moe22topkGatingSoftplusSqrtILi12ELi384ELi4ELi4ELi32ELb0El14__hip_bfloat16EEvPKT6_PKbPfiPT5_PiiiibdPKfPKS9_SF_
                                        ; -- End function
	.section	.AMDGPU.csdata,"",@progbits
; Kernel info:
; codeLenInByte = 5468
; NumSgprs: 57
; NumVgprs: 44
; NumAgprs: 0
; TotalNumVgprs: 44
; ScratchSize: 0
; MemoryBound: 0
; FloatMode: 240
; IeeeMode: 1
; LDSByteSize: 0 bytes/workgroup (compile time only)
; SGPRBlocks: 7
; VGPRBlocks: 5
; NumSGPRsForWavesPerEU: 57
; NumVGPRsForWavesPerEU: 44
; AccumOffset: 44
; Occupancy: 8
; WaveLimiterHint : 1
; COMPUTE_PGM_RSRC2:SCRATCH_EN: 0
; COMPUTE_PGM_RSRC2:USER_SGPR: 2
; COMPUTE_PGM_RSRC2:TRAP_HANDLER: 0
; COMPUTE_PGM_RSRC2:TGID_X_EN: 1
; COMPUTE_PGM_RSRC2:TGID_Y_EN: 0
; COMPUTE_PGM_RSRC2:TGID_Z_EN: 0
; COMPUTE_PGM_RSRC2:TIDIG_COMP_CNT: 1
; COMPUTE_PGM_RSRC3_GFX90A:ACCUM_OFFSET: 10
; COMPUTE_PGM_RSRC3_GFX90A:TG_SPLIT: 0
	.section	.text._ZN4vllm3moe22topkGatingSoftplusSqrtILi7ELi448ELi4ELi2ELi64ELb1El14__hip_bfloat16EEvPKT6_PKbPfiPT5_PiiiibdPKfPKS9_SF_,"axG",@progbits,_ZN4vllm3moe22topkGatingSoftplusSqrtILi7ELi448ELi4ELi2ELi64ELb1El14__hip_bfloat16EEvPKT6_PKbPfiPT5_PiiiibdPKfPKS9_SF_,comdat
	.protected	_ZN4vllm3moe22topkGatingSoftplusSqrtILi7ELi448ELi4ELi2ELi64ELb1El14__hip_bfloat16EEvPKT6_PKbPfiPT5_PiiiibdPKfPKS9_SF_ ; -- Begin function _ZN4vllm3moe22topkGatingSoftplusSqrtILi7ELi448ELi4ELi2ELi64ELb1El14__hip_bfloat16EEvPKT6_PKbPfiPT5_PiiiibdPKfPKS9_SF_
	.globl	_ZN4vllm3moe22topkGatingSoftplusSqrtILi7ELi448ELi4ELi2ELi64ELb1El14__hip_bfloat16EEvPKT6_PKbPfiPT5_PiiiibdPKfPKS9_SF_
	.p2align	8
	.type	_ZN4vllm3moe22topkGatingSoftplusSqrtILi7ELi448ELi4ELi2ELi64ELb1El14__hip_bfloat16EEvPKT6_PKbPfiPT5_PiiiibdPKfPKS9_SF_,@function
_ZN4vllm3moe22topkGatingSoftplusSqrtILi7ELi448ELi4ELi2ELi64ELb1El14__hip_bfloat16EEvPKT6_PKbPfiPT5_PiiiibdPKfPKS9_SF_: ; @_ZN4vllm3moe22topkGatingSoftplusSqrtILi7ELi448ELi4ELi2ELi64ELb1El14__hip_bfloat16EEvPKT6_PKbPfiPT5_PiiiibdPKfPKS9_SF_
; %bb.0:
	s_load_dword s3, s[0:1], 0x18
	v_and_b32_e32 v1, 0x3ff, v0
	s_lshl_b32 s2, s2, 2
	v_lshrrev_b32_e32 v2, 6, v1
	v_bfe_u32 v0, v0, 10, 10
	v_add3_u32 v0, s2, v0, v2
	s_waitcnt lgkmcnt(0)
	v_cmp_gt_i32_e32 vcc, s3, v0
	s_and_saveexec_b64 s[2:3], vcc
	s_cbranch_execz .LBB532_31
; %bb.1:
	s_load_dwordx4 s[8:11], s[0:1], 0x50
	s_load_dwordx2 s[2:3], s[0:1], 0x0
	s_load_dword s12, s[0:1], 0x30
	s_movk_i32 s4, 0x1c0
	v_mul_lo_u32 v2, v0, s4
	v_ashrrev_i32_e32 v3, 31, v2
	v_and_b32_e32 v12, 63, v1
	s_waitcnt lgkmcnt(0)
	v_mov_b32_e32 v4, s8
	v_mov_b32_e32 v5, s9
	v_lshl_add_u64 v[6:7], v[2:3], 1, s[2:3]
	v_lshlrev_b32_e32 v2, 1, v12
	v_mov_b32_e32 v3, 0
	v_ashrrev_i32_e32 v1, 31, v0
	v_lshl_add_u64 v[6:7], v[6:7], 0, v[2:3]
	v_lshl_add_u64 v[4:5], v[0:1], 3, v[4:5]
	global_load_ushort v2, v[6:7], off offset:768
	global_load_dwordx2 v[8:9], v[4:5], off
	global_load_ushort v1, v[6:7], off offset:128
	global_load_ushort v10, v[6:7], off
	global_load_ushort v11, v[6:7], off offset:384
	global_load_ushort v13, v[6:7], off offset:256
	;; [unrolled: 1-line block ×4, first 2 shown]
	s_mov_b32 s21, 0x800000
	s_ashr_i32 s13, s12, 31
	v_mov_b32_e32 v18, 0x4f800000
	s_mov_b32 s20, 0x3f317217
	s_mov_b32 s19, 0x7f800000
	v_mov_b32_e32 v19, 0x41b17218
	s_mov_b32 s15, 0x41a00000
	s_mov_b32 s18, 0xf800000
	v_mov_b32_e32 v20, 0x260
	v_cmp_lt_i64_e64 s[16:17], s[12:13], 1
	s_mov_b32 s14, 0
	v_cmp_gt_i64_e64 s[8:9], s[12:13], 0
	v_mul_lo_u32 v0, v0, s12
	s_waitcnt vmcnt(6)
	v_mul_lo_u32 v9, v9, s12
	s_waitcnt vmcnt(5)
	v_lshlrev_b32_e32 v1, 16, v1
	s_waitcnt vmcnt(4)
	v_lshlrev_b32_e32 v15, 16, v10
	v_mul_f32_e32 v4, 0x3fb8aa3b, v15
	v_mul_f32_e32 v5, 0x3fb8aa3b, v1
	s_waitcnt vmcnt(3)
	v_lshlrev_b32_e32 v21, 16, v11
	s_waitcnt vmcnt(2)
	v_lshlrev_b32_e32 v22, 16, v13
	v_exp_f32_e32 v6, v4
	v_exp_f32_e32 v7, v5
	v_mul_f32_e32 v10, 0x3fb8aa3b, v22
	v_mul_f32_e32 v11, 0x3fb8aa3b, v21
	v_exp_f32_e32 v10, v10
	v_exp_f32_e32 v11, v11
	v_pk_add_f32 v[6:7], v[6:7], 1.0 op_sel_hi:[1,0]
	v_mul_lo_u32 v14, v8, s13
	v_mad_u64_u32 v[4:5], s[2:3], v8, s12, 0
	v_cmp_gt_f32_e32 vcc, s21, v7
	v_add3_u32 v5, v5, v14, v9
	v_pk_add_f32 v[8:9], v[10:11], 1.0 op_sel_hi:[1,0]
	v_cndmask_b32_e32 v10, 1.0, v18, vcc
	v_cmp_gt_f32_e64 s[2:3], s21, v6
	v_mul_f32_e32 v7, v7, v10
	v_log_f32_e32 v7, v7
	v_cndmask_b32_e64 v11, 1.0, v18, s[2:3]
	v_mul_f32_e32 v6, v6, v11
	v_log_f32_e32 v6, v6
	v_cmp_gt_f32_e64 s[4:5], s21, v9
	v_cndmask_b32_e32 v10, 0, v19, vcc
	v_cmp_lt_f32_e64 vcc, |v7|, s19
	v_cndmask_b32_e64 v13, 1.0, v18, s[4:5]
	v_mul_f32_e32 v9, v9, v13
	v_mul_f32_e32 v13, 0x3f317217, v7
	;; [unrolled: 1-line block ×3, first 2 shown]
	v_fma_f32 v13, v7, s20, -v13
	v_fma_f32 v14, v6, s20, -v14
	v_fmac_f32_e32 v13, 0x3377d1cf, v7
	v_fmac_f32_e32 v14, 0x3377d1cf, v6
	v_fmac_f32_e32 v13, 0x3f317217, v7
	v_fmac_f32_e32 v14, 0x3f317217, v6
	v_cndmask_b32_e32 v7, v7, v13, vcc
	v_cmp_lt_f32_e64 vcc, |v6|, s19
	v_cndmask_b32_e64 v11, 0, v19, s[2:3]
	v_sub_f32_e32 v7, v7, v10
	v_cndmask_b32_e32 v6, v6, v14, vcc
	v_sub_f32_e32 v6, v6, v11
	v_cmp_lt_f32_e32 vcc, s15, v15
	v_log_f32_e32 v9, v9
	v_lshlrev_b32_e32 v2, 16, v2
	v_cndmask_b32_e32 v6, v6, v15, vcc
	v_cmp_lt_f32_e32 vcc, s15, v1
	v_mul_f32_e32 v10, 0x4f800000, v6
	v_cmp_gt_f32_e64 s[2:3], s18, v6
	v_cndmask_b32_e32 v1, v7, v1, vcc
	v_mul_f32_e32 v7, 0x4f800000, v1
	v_cmp_gt_f32_e32 vcc, s18, v1
	v_cndmask_b32_e64 v6, v6, v10, s[2:3]
	v_sqrt_f32_e32 v10, v6
	v_cndmask_b32_e32 v1, v1, v7, vcc
	v_sqrt_f32_e32 v7, v1
	v_mul_f32_e32 v11, 0x3f317217, v9
	v_add_u32_e32 v15, -1, v10
	v_fma_f32 v26, -v15, v10, v6
	v_add_u32_e32 v13, -1, v7
	v_fma_f32 v24, -v13, v7, v1
	v_add_u32_e32 v14, 1, v7
	v_cmp_ge_f32_e64 s[6:7], 0, v24
	v_add_u32_e32 v23, 1, v10
	v_fma_f32 v25, -v14, v7, v1
	v_cndmask_b32_e64 v7, v7, v13, s[6:7]
	v_cmp_ge_f32_e64 s[6:7], 0, v26
	v_fma_f32 v27, -v23, v10, v6
	v_lshl_add_u64 v[4:5], v[4:5], 3, s[10:11]
	v_cndmask_b32_e64 v10, v10, v15, s[6:7]
	v_cmp_lt_f32_e64 s[6:7], 0, v25
	s_nop 1
	v_cndmask_b32_e64 v7, v7, v14, s[6:7]
	v_cmp_lt_f32_e64 s[6:7], 0, v27
	v_mul_f32_e32 v13, 0x37800000, v7
	v_cndmask_b32_e32 v7, v7, v13, vcc
	v_cndmask_b32_e64 v10, v10, v23, s[6:7]
	v_mul_f32_e32 v14, 0x37800000, v10
	v_cmp_class_f32_e32 vcc, v1, v20
	v_cndmask_b32_e64 v10, v10, v14, s[2:3]
	v_cmp_lt_f32_e64 s[2:3], |v9|, s19
	v_cndmask_b32_e32 v13, v7, v1, vcc
	v_cmp_class_f32_e32 vcc, v6, v20
	v_fma_f32 v1, v9, s20, -v11
	v_fmac_f32_e32 v1, 0x3377d1cf, v9
	v_cndmask_b32_e32 v14, v10, v6, vcc
	v_cmp_gt_f32_e32 vcc, s21, v8
	v_fmac_f32_e32 v1, 0x3f317217, v9
	v_cndmask_b32_e64 v1, v9, v1, s[2:3]
	v_cndmask_b32_e32 v6, 1.0, v18, vcc
	v_mul_f32_e32 v6, v8, v6
	v_log_f32_e32 v6, v6
	v_cndmask_b32_e64 v7, 0, v19, s[4:5]
	v_sub_f32_e32 v1, v1, v7
	s_waitcnt vmcnt(0)
	v_lshlrev_b32_e32 v11, 16, v17
	v_mul_f32_e32 v7, 0x3f317217, v6
	v_fma_f32 v7, v6, s20, -v7
	v_fmac_f32_e32 v7, 0x3377d1cf, v6
	v_fmac_f32_e32 v7, 0x3f317217, v6
	v_cmp_lt_f32_e64 s[2:3], |v6|, s19
	v_lshlrev_b32_e32 v17, 16, v16
	s_nop 0
	v_cndmask_b32_e64 v6, v6, v7, s[2:3]
	v_cndmask_b32_e32 v7, 0, v19, vcc
	v_cmp_lt_f32_e32 vcc, s15, v21
	v_sub_f32_e32 v6, v6, v7
	v_cmp_lt_f32_e64 s[2:3], s15, v22
	v_cndmask_b32_e32 v1, v1, v21, vcc
	v_mul_f32_e32 v8, 0x4f800000, v1
	v_cmp_gt_f32_e32 vcc, s18, v1
	v_cndmask_b32_e64 v6, v6, v22, s[2:3]
	s_nop 0
	v_cndmask_b32_e32 v1, v1, v8, vcc
	v_sqrt_f32_e32 v8, v1
	s_nop 0
	v_add_u32_e32 v7, -1, v8
	v_fma_f32 v9, -v7, v8, v1
	v_cmp_ge_f32_e64 s[2:3], 0, v9
	v_add_u32_e32 v9, 1, v8
	s_nop 0
	v_cndmask_b32_e64 v7, v8, v7, s[2:3]
	v_fma_f32 v8, -v9, v8, v1
	v_cmp_lt_f32_e64 s[2:3], 0, v8
	s_nop 1
	v_cndmask_b32_e64 v7, v7, v9, s[2:3]
	v_mul_f32_e32 v9, 0x4f800000, v6
	v_cmp_gt_f32_e64 s[2:3], s18, v6
	v_mul_f32_e32 v8, 0x37800000, v7
	v_cndmask_b32_e32 v7, v7, v8, vcc
	v_cndmask_b32_e64 v9, v6, v9, s[2:3]
	v_sqrt_f32_e32 v6, v9
	v_cmp_class_f32_e32 vcc, v1, v20
	v_add_u32_e32 v8, 1, v6
	s_nop 0
	v_cndmask_b32_e32 v15, v7, v1, vcc
	v_add_u32_e32 v1, -1, v6
	v_fma_f32 v7, -v1, v6, v9
	v_cmp_ge_f32_e32 vcc, 0, v7
	v_fma_f32 v10, -v8, v6, v9
	v_mul_f32_e32 v7, 0x3fb8aa3b, v11
	v_cndmask_b32_e32 v1, v6, v1, vcc
	v_mul_f32_e32 v6, 0x3fb8aa3b, v17
	v_exp_f32_e32 v6, v6
	v_exp_f32_e32 v7, v7
	v_cmp_lt_f32_e32 vcc, 0, v10
	v_pk_add_f32 v[6:7], v[6:7], 1.0 op_sel_hi:[1,0]
	s_nop 0
	v_cndmask_b32_e32 v1, v1, v8, vcc
	v_cmp_gt_f32_e32 vcc, s21, v7
	v_mul_f32_e32 v8, 0x37800000, v1
	v_cndmask_b32_e64 v1, v1, v8, s[2:3]
	v_cndmask_b32_e32 v10, 1.0, v18, vcc
	v_mul_f32_e32 v7, v7, v10
	v_log_f32_e32 v7, v7
	v_cmp_class_f32_e64 s[2:3], v9, v20
	v_cmp_lt_f32_e64 s[4:5], |v7|, s19
	s_nop 0
	v_cndmask_b32_e64 v16, v1, v9, s[2:3]
	v_cmp_gt_f32_e64 s[2:3], s21, v6
	v_mul_f32_e32 v1, 0x3f317217, v7
	v_fma_f32 v1, v7, s20, -v1
	v_cndmask_b32_e64 v8, 1.0, v18, s[2:3]
	v_mul_f32_e32 v6, v6, v8
	v_log_f32_e32 v6, v6
	v_fmac_f32_e32 v1, 0x3377d1cf, v7
	v_fmac_f32_e32 v1, 0x3f317217, v7
	v_cndmask_b32_e64 v1, v7, v1, s[4:5]
	v_cndmask_b32_e32 v7, 0, v19, vcc
	v_sub_f32_e32 v1, v1, v7
	v_mul_f32_e32 v7, 0x3f317217, v6
	v_fma_f32 v7, v6, s20, -v7
	v_fmac_f32_e32 v7, 0x3377d1cf, v6
	v_fmac_f32_e32 v7, 0x3f317217, v6
	v_cmp_lt_f32_e64 vcc, |v6|, s19
	s_nop 1
	v_cndmask_b32_e32 v6, v6, v7, vcc
	v_cmp_lt_f32_e32 vcc, s15, v11
	v_cndmask_b32_e64 v7, 0, v19, s[2:3]
	v_sub_f32_e32 v6, v6, v7
	v_cndmask_b32_e32 v1, v1, v11, vcc
	v_mul_f32_e32 v8, 0x4f800000, v1
	v_cmp_gt_f32_e32 vcc, s18, v1
	v_cmp_lt_f32_e64 s[2:3], s15, v17
	s_nop 0
	v_cndmask_b32_e32 v1, v1, v8, vcc
	v_sqrt_f32_e32 v8, v1
	v_cndmask_b32_e64 v6, v6, v17, s[2:3]
	v_add_u32_e32 v7, -1, v8
	v_fma_f32 v9, -v7, v8, v1
	v_cmp_ge_f32_e64 s[2:3], 0, v9
	v_add_u32_e32 v9, 1, v8
	s_nop 0
	v_cndmask_b32_e64 v7, v8, v7, s[2:3]
	v_fma_f32 v8, -v9, v8, v1
	v_cmp_lt_f32_e64 s[2:3], 0, v8
	s_nop 1
	v_cndmask_b32_e64 v7, v7, v9, s[2:3]
	v_mul_f32_e32 v9, 0x4f800000, v6
	v_cmp_gt_f32_e64 s[2:3], s18, v6
	v_mul_f32_e32 v8, 0x37800000, v7
	v_cndmask_b32_e32 v7, v7, v8, vcc
	v_cndmask_b32_e64 v6, v6, v9, s[2:3]
	v_sqrt_f32_e32 v9, v6
	v_mul_f32_e32 v8, 0x3fb8aa3b, v2
	v_exp_f32_e32 v8, v8
	v_cmp_class_f32_e32 vcc, v1, v20
	v_add_f32_e32 v8, 1.0, v8
	s_nop 0
	v_cndmask_b32_e32 v17, v7, v1, vcc
	v_add_u32_e32 v1, -1, v9
	v_fma_f32 v7, -v1, v9, v6
	v_cmp_ge_f32_e32 vcc, 0, v7
	v_add_u32_e32 v7, 1, v9
	s_nop 0
	v_cndmask_b32_e32 v1, v9, v1, vcc
	v_cmp_gt_f32_e32 vcc, s21, v8
	v_fma_f32 v9, -v7, v9, v6
	v_cmp_lt_f32_e64 s[4:5], 0, v9
	v_cndmask_b32_e32 v10, 1.0, v18, vcc
	v_mul_f32_e32 v8, v8, v10
	v_log_f32_e32 v8, v8
	v_cndmask_b32_e64 v1, v1, v7, s[4:5]
	v_mul_f32_e32 v7, 0x37800000, v1
	v_cndmask_b32_e64 v1, v1, v7, s[2:3]
	v_mul_f32_e32 v9, 0x3f317217, v8
	v_fma_f32 v9, v8, s20, -v9
	v_fmac_f32_e32 v9, 0x3377d1cf, v8
	v_fmac_f32_e32 v9, 0x3f317217, v8
	v_cmp_lt_f32_e64 s[4:5], |v8|, s19
	v_cmp_class_f32_e64 s[2:3], v6, v20
	s_nop 0
	v_cndmask_b32_e64 v8, v8, v9, s[4:5]
	v_cndmask_b32_e32 v9, 0, v19, vcc
	v_sub_f32_e32 v8, v8, v9
	v_cmp_lt_f32_e32 vcc, s15, v2
	v_cndmask_b32_e64 v18, v1, v6, s[2:3]
	s_nop 0
	v_cndmask_b32_e32 v2, v8, v2, vcc
	v_mul_f32_e32 v8, 0x4f800000, v2
	v_cmp_gt_f32_e32 vcc, s18, v2
	s_nop 1
	v_cndmask_b32_e32 v2, v2, v8, vcc
	v_sqrt_f32_e32 v8, v2
	s_nop 0
	v_add_u32_e32 v1, -1, v8
	v_fma_f32 v6, -v1, v8, v2
	v_cmp_ge_f32_e64 s[2:3], 0, v6
	v_add_u32_e32 v6, 1, v8
	v_fma_f32 v7, -v6, v8, v2
	v_cndmask_b32_e64 v1, v8, v1, s[2:3]
	v_cmp_lt_f32_e64 s[2:3], 0, v7
	s_nop 1
	v_cndmask_b32_e64 v1, v1, v6, s[2:3]
	v_mul_f32_e32 v6, 0x37800000, v1
	v_cndmask_b32_e32 v1, v1, v6, vcc
	v_cmp_class_f32_e32 vcc, v2, v20
	s_nop 1
	v_cndmask_b32_e32 v19, v1, v2, vcc
	s_and_b64 vcc, exec, s[16:17]
	s_cbranch_vccnz .LBB532_28
; %bb.2:
	s_load_dwordx2 s[4:5], s[0:1], 0x20
	s_cmp_lt_u32 s12, 4
	v_sub_u32_e32 v2, 0, v12
	s_cbranch_scc1 .LBB532_21
; %bb.3:
	s_mov_b32 s7, 0
	s_and_b32 s14, s12, 0x7ffffffc
	v_ashrrev_i32_e32 v1, 31, v0
	v_mov_b32_e32 v3, 0
	s_mov_b32 s6, s7
	s_branch .LBB532_5
.LBB532_4:                              ;   in Loop: Header=BB532_5 Depth=1
	s_or_b64 exec, exec, s[10:11]
	s_add_i32 s6, s6, 4
	s_cmp_eq_u32 s6, s14
	s_cbranch_scc1 .LBB532_21
.LBB532_5:                              ; =>This Loop Header: Depth=1
                                        ;     Child Loop BB532_7 Depth 2
                                        ;     Child Loop BB532_11 Depth 2
	;; [unrolled: 1-line block ×4, first 2 shown]
	v_lshl_add_u64 v[6:7], s[6:7], 3, v[4:5]
	global_load_dwordx2 v[8:9], v[6:7], off
	v_add_u32_e32 v10, s6, v0
	v_ashrrev_i32_e32 v11, 31, v10
	s_mov_b64 s[10:11], 0
	s_waitcnt lgkmcnt(0)
	v_lshl_add_u64 v[10:11], v[10:11], 3, s[4:5]
	s_mov_b64 s[16:17], 0
	s_waitcnt vmcnt(0)
	v_ashrrev_i32_e32 v9, 31, v8
	v_add_u32_e32 v20, v2, v8
	s_branch .LBB532_7
.LBB532_6:                              ;   in Loop: Header=BB532_7 Depth=2
	s_or_b64 exec, exec, s[18:19]
	s_cmp_gt_u32 s16, 5
	s_cselect_b64 s[2:3], -1, 0
	s_xor_b64 s[18:19], vcc, -1
	s_or_b64 s[2:3], s[18:19], s[2:3]
	s_add_u32 s16, s16, 1
	s_addc_u32 s17, s17, 0
	s_and_b64 s[2:3], exec, s[2:3]
	s_or_b64 s[10:11], s[2:3], s[10:11]
	v_subrev_u32_e32 v20, 64, v20
	s_andn2_b64 exec, exec, s[10:11]
	s_cbranch_execz .LBB532_9
.LBB532_7:                              ;   Parent Loop BB532_5 Depth=1
                                        ; =>  This Inner Loop Header: Depth=2
	v_cmp_ne_u32_e32 vcc, 0, v20
	v_cmp_eq_u32_e64 s[2:3], 0, v20
	s_and_saveexec_b64 s[18:19], s[2:3]
	s_cbranch_execz .LBB532_6
; %bb.8:                                ;   in Loop: Header=BB532_7 Depth=2
	s_cmp_eq_u32 s16, 1
	s_cselect_b64 s[2:3], -1, 0
	s_cmp_eq_u32 s16, 2
	v_cndmask_b32_e64 v21, v14, v13, s[2:3]
	s_cselect_b64 s[2:3], -1, 0
	s_cmp_eq_u32 s16, 3
	v_cndmask_b32_e64 v21, v21, v16, s[2:3]
	;; [unrolled: 3-line block ×5, first 2 shown]
	s_cselect_b64 s[2:3], -1, 0
	v_cndmask_b32_e64 v21, v21, v19, s[2:3]
	v_add_f32_e32 v3, v3, v21
	global_store_dwordx2 v[10:11], v[8:9], off
	s_branch .LBB532_6
.LBB532_9:                              ;   in Loop: Header=BB532_5 Depth=1
	s_or_b64 exec, exec, s[10:11]
	global_load_dwordx2 v[10:11], v[6:7], off offset:8
	s_ashr_i32 s3, s6, 31
	s_mov_b32 s2, s6
	v_lshl_add_u64 v[8:9], s[2:3], 0, v[0:1]
	s_mov_b64 s[10:11], 0
	v_lshl_add_u64 v[8:9], v[8:9], 3, s[4:5]
	s_mov_b64 s[16:17], 0
	s_waitcnt vmcnt(0)
	v_ashrrev_i32_e32 v11, 31, v10
	v_add_u32_e32 v20, v2, v10
	s_branch .LBB532_11
.LBB532_10:                             ;   in Loop: Header=BB532_11 Depth=2
	s_or_b64 exec, exec, s[18:19]
	s_cmp_gt_u32 s16, 5
	s_cselect_b64 s[2:3], -1, 0
	s_xor_b64 s[18:19], vcc, -1
	s_or_b64 s[2:3], s[18:19], s[2:3]
	s_add_u32 s16, s16, 1
	s_addc_u32 s17, s17, 0
	s_and_b64 s[2:3], exec, s[2:3]
	s_or_b64 s[10:11], s[2:3], s[10:11]
	v_subrev_u32_e32 v20, 64, v20
	s_andn2_b64 exec, exec, s[10:11]
	s_cbranch_execz .LBB532_13
.LBB532_11:                             ;   Parent Loop BB532_5 Depth=1
                                        ; =>  This Inner Loop Header: Depth=2
	v_cmp_ne_u32_e32 vcc, 0, v20
	v_cmp_eq_u32_e64 s[2:3], 0, v20
	s_and_saveexec_b64 s[18:19], s[2:3]
	s_cbranch_execz .LBB532_10
; %bb.12:                               ;   in Loop: Header=BB532_11 Depth=2
	s_cmp_eq_u32 s16, 1
	s_cselect_b64 s[2:3], -1, 0
	s_cmp_eq_u32 s16, 2
	v_cndmask_b32_e64 v21, v14, v13, s[2:3]
	s_cselect_b64 s[2:3], -1, 0
	s_cmp_eq_u32 s16, 3
	v_cndmask_b32_e64 v21, v21, v16, s[2:3]
	;; [unrolled: 3-line block ×5, first 2 shown]
	s_cselect_b64 s[2:3], -1, 0
	v_cndmask_b32_e64 v21, v21, v19, s[2:3]
	v_add_f32_e32 v3, v3, v21
	global_store_dwordx2 v[8:9], v[10:11], off offset:8
	s_branch .LBB532_10
.LBB532_13:                             ;   in Loop: Header=BB532_5 Depth=1
	s_or_b64 exec, exec, s[10:11]
	global_load_dwordx2 v[10:11], v[6:7], off offset:16
	s_mov_b64 s[10:11], 0
	s_mov_b64 s[16:17], 0
	s_waitcnt vmcnt(0)
	v_ashrrev_i32_e32 v11, 31, v10
	v_add_u32_e32 v20, v2, v10
	s_branch .LBB532_15
.LBB532_14:                             ;   in Loop: Header=BB532_15 Depth=2
	s_or_b64 exec, exec, s[18:19]
	s_cmp_gt_u32 s16, 5
	s_cselect_b64 s[2:3], -1, 0
	s_xor_b64 s[18:19], vcc, -1
	s_or_b64 s[2:3], s[18:19], s[2:3]
	s_add_u32 s16, s16, 1
	s_addc_u32 s17, s17, 0
	s_and_b64 s[2:3], exec, s[2:3]
	s_or_b64 s[10:11], s[2:3], s[10:11]
	v_subrev_u32_e32 v20, 64, v20
	s_andn2_b64 exec, exec, s[10:11]
	s_cbranch_execz .LBB532_17
.LBB532_15:                             ;   Parent Loop BB532_5 Depth=1
                                        ; =>  This Inner Loop Header: Depth=2
	v_cmp_ne_u32_e32 vcc, 0, v20
	v_cmp_eq_u32_e64 s[2:3], 0, v20
	s_and_saveexec_b64 s[18:19], s[2:3]
	s_cbranch_execz .LBB532_14
; %bb.16:                               ;   in Loop: Header=BB532_15 Depth=2
	s_cmp_eq_u32 s16, 1
	s_cselect_b64 s[2:3], -1, 0
	s_cmp_eq_u32 s16, 2
	v_cndmask_b32_e64 v21, v14, v13, s[2:3]
	s_cselect_b64 s[2:3], -1, 0
	s_cmp_eq_u32 s16, 3
	v_cndmask_b32_e64 v21, v21, v16, s[2:3]
	;; [unrolled: 3-line block ×5, first 2 shown]
	s_cselect_b64 s[2:3], -1, 0
	v_cndmask_b32_e64 v21, v21, v19, s[2:3]
	v_add_f32_e32 v3, v3, v21
	global_store_dwordx2 v[8:9], v[10:11], off offset:16
	s_branch .LBB532_14
.LBB532_17:                             ;   in Loop: Header=BB532_5 Depth=1
	s_or_b64 exec, exec, s[10:11]
	global_load_dwordx2 v[6:7], v[6:7], off offset:24
	s_mov_b64 s[10:11], 0
	s_mov_b64 s[16:17], 0
	s_waitcnt vmcnt(0)
	v_ashrrev_i32_e32 v7, 31, v6
	v_add_u32_e32 v10, v2, v6
	s_branch .LBB532_19
.LBB532_18:                             ;   in Loop: Header=BB532_19 Depth=2
	s_or_b64 exec, exec, s[18:19]
	s_cmp_gt_u32 s16, 5
	s_cselect_b64 s[2:3], -1, 0
	s_xor_b64 s[18:19], vcc, -1
	s_or_b64 s[2:3], s[18:19], s[2:3]
	s_add_u32 s16, s16, 1
	s_addc_u32 s17, s17, 0
	s_and_b64 s[2:3], exec, s[2:3]
	s_or_b64 s[10:11], s[2:3], s[10:11]
	v_subrev_u32_e32 v10, 64, v10
	s_andn2_b64 exec, exec, s[10:11]
	s_cbranch_execz .LBB532_4
.LBB532_19:                             ;   Parent Loop BB532_5 Depth=1
                                        ; =>  This Inner Loop Header: Depth=2
	v_cmp_ne_u32_e32 vcc, 0, v10
	v_cmp_eq_u32_e64 s[2:3], 0, v10
	s_and_saveexec_b64 s[18:19], s[2:3]
	s_cbranch_execz .LBB532_18
; %bb.20:                               ;   in Loop: Header=BB532_19 Depth=2
	s_cmp_eq_u32 s16, 1
	s_cselect_b64 s[2:3], -1, 0
	s_cmp_eq_u32 s16, 2
	v_cndmask_b32_e64 v11, v14, v13, s[2:3]
	s_cselect_b64 s[2:3], -1, 0
	s_cmp_eq_u32 s16, 3
	v_cndmask_b32_e64 v11, v11, v16, s[2:3]
	s_cselect_b64 s[2:3], -1, 0
	s_cmp_eq_u32 s16, 4
	v_cndmask_b32_e64 v11, v11, v15, s[2:3]
	s_cselect_b64 s[2:3], -1, 0
	s_cmp_eq_u32 s16, 5
	v_cndmask_b32_e64 v11, v11, v18, s[2:3]
	s_cselect_b64 s[2:3], -1, 0
	s_cmp_eq_u32 s16, 6
	v_cndmask_b32_e64 v11, v11, v17, s[2:3]
	s_cselect_b64 s[2:3], -1, 0
	v_cndmask_b32_e64 v11, v11, v19, s[2:3]
	v_add_f32_e32 v3, v3, v11
	global_store_dwordx2 v[8:9], v[6:7], off offset:24
	s_branch .LBB532_18
.LBB532_21:
	s_and_b32 s13, s12, 3
	s_cmp_eq_u32 s13, 0
	s_mov_b32 s15, 0
	s_cbranch_scc1 .LBB532_28
; %bb.22:
	s_mov_b32 s18, s15
	s_branch .LBB532_24
.LBB532_23:                             ;   in Loop: Header=BB532_24 Depth=1
	s_or_b64 exec, exec, s[6:7]
	s_add_i32 s14, s14, 1
	s_add_i32 s18, s18, 1
	s_cmp_lg_u32 s18, s13
	s_cbranch_scc0 .LBB532_28
.LBB532_24:                             ; =>This Loop Header: Depth=1
                                        ;     Child Loop BB532_26 Depth 2
	v_lshl_add_u64 v[6:7], s[14:15], 3, v[4:5]
	global_load_dwordx2 v[6:7], v[6:7], off
	v_add_u32_e32 v8, s14, v0
	v_ashrrev_i32_e32 v9, 31, v8
	s_mov_b64 s[6:7], 0
	s_waitcnt lgkmcnt(0)
	v_lshl_add_u64 v[8:9], v[8:9], 3, s[4:5]
	s_mov_b64 s[10:11], 0
	s_waitcnt vmcnt(0)
	v_ashrrev_i32_e32 v7, 31, v6
	v_add_u32_e32 v1, v2, v6
	s_branch .LBB532_26
.LBB532_25:                             ;   in Loop: Header=BB532_26 Depth=2
	s_or_b64 exec, exec, s[16:17]
	s_cmp_gt_u32 s10, 5
	s_cselect_b64 s[2:3], -1, 0
	s_xor_b64 s[16:17], vcc, -1
	s_or_b64 s[2:3], s[16:17], s[2:3]
	s_add_u32 s10, s10, 1
	s_addc_u32 s11, s11, 0
	s_and_b64 s[2:3], exec, s[2:3]
	s_or_b64 s[6:7], s[2:3], s[6:7]
	v_subrev_u32_e32 v1, 64, v1
	s_andn2_b64 exec, exec, s[6:7]
	s_cbranch_execz .LBB532_23
.LBB532_26:                             ;   Parent Loop BB532_24 Depth=1
                                        ; =>  This Inner Loop Header: Depth=2
	v_cmp_ne_u32_e32 vcc, 0, v1
	v_cmp_eq_u32_e64 s[2:3], 0, v1
	s_and_saveexec_b64 s[16:17], s[2:3]
	s_cbranch_execz .LBB532_25
; %bb.27:                               ;   in Loop: Header=BB532_26 Depth=2
	s_cmp_eq_u32 s10, 1
	s_cselect_b64 s[2:3], -1, 0
	s_cmp_eq_u32 s10, 2
	v_cndmask_b32_e64 v10, v14, v13, s[2:3]
	s_cselect_b64 s[2:3], -1, 0
	s_cmp_eq_u32 s10, 3
	v_cndmask_b32_e64 v10, v10, v16, s[2:3]
	;; [unrolled: 3-line block ×5, first 2 shown]
	s_cselect_b64 s[2:3], -1, 0
	v_cndmask_b32_e64 v10, v10, v19, s[2:3]
	v_add_f32_e32 v3, v3, v10
	global_store_dwordx2 v[8:9], v[6:7], off
	s_branch .LBB532_25
.LBB532_28:
	s_waitcnt lgkmcnt(0)
	s_load_dword s4, s[0:1], 0x3c
	s_waitcnt lgkmcnt(0)
	s_bitcmp1_b32 s4, 0
	s_cselect_b64 s[2:3], -1, 0
	s_bitcmp0_b32 s4, 0
	s_cbranch_scc0 .LBB532_32
; %bb.29:
	s_load_dwordx2 s[4:5], s[0:1], 0x40
	s_andn2_b64 vcc, exec, s[2:3]
	s_waitcnt lgkmcnt(0)
	v_cvt_f32_f64_e32 v10, s[4:5]
	s_cbranch_vccz .LBB532_33
.LBB532_30:
	s_andn2_b64 vcc, exec, s[8:9]
	s_cbranch_vccz .LBB532_34
.LBB532_31:
	s_endpgm
.LBB532_32:
	v_mbcnt_lo_u32_b32 v1, -1, 0
	v_mbcnt_hi_u32_b32 v1, -1, v1
	v_and_b32_e32 v2, 64, v1
	v_add_u32_e32 v2, 64, v2
	v_xor_b32_e32 v6, 32, v1
	v_cmp_lt_i32_e32 vcc, v6, v2
	v_xor_b32_e32 v7, 16, v1
	s_nop 0
	v_cndmask_b32_e32 v6, v1, v6, vcc
	v_lshlrev_b32_e32 v6, 2, v6
	ds_bpermute_b32 v6, v6, v3
	v_cmp_lt_i32_e32 vcc, v7, v2
	s_waitcnt lgkmcnt(0)
	v_add_f32_e32 v3, v3, v6
	v_cndmask_b32_e32 v6, v1, v7, vcc
	v_lshlrev_b32_e32 v6, 2, v6
	ds_bpermute_b32 v6, v6, v3
	v_xor_b32_e32 v7, 8, v1
	v_cmp_lt_i32_e32 vcc, v7, v2
	s_waitcnt lgkmcnt(0)
	v_add_f32_e32 v3, v3, v6
	v_cndmask_b32_e32 v6, v1, v7, vcc
	v_lshlrev_b32_e32 v6, 2, v6
	ds_bpermute_b32 v6, v6, v3
	v_xor_b32_e32 v7, 4, v1
	;; [unrolled: 7-line block ×4, first 2 shown]
	v_cmp_lt_i32_e32 vcc, v7, v2
	s_waitcnt lgkmcnt(0)
	v_add_f32_e32 v3, v3, v6
	v_cndmask_b32_e32 v1, v1, v7, vcc
	v_lshlrev_b32_e32 v1, 2, v1
	ds_bpermute_b32 v1, v1, v3
	s_waitcnt lgkmcnt(0)
	v_add_f32_e32 v3, v3, v1
	s_load_dwordx2 s[4:5], s[0:1], 0x40
	s_andn2_b64 vcc, exec, s[2:3]
	s_waitcnt lgkmcnt(0)
	v_cvt_f32_f64_e32 v10, s[4:5]
	s_cbranch_vccnz .LBB532_30
.LBB532_33:
	v_cmp_lt_f32_e32 vcc, 0, v3
	s_nop 1
	v_cndmask_b32_e32 v1, 1.0, v3, vcc
	v_div_scale_f32 v2, s[2:3], v1, v1, v10
	v_rcp_f32_e32 v3, v2
	s_nop 0
	v_fma_f32 v6, -v2, v3, 1.0
	v_fmac_f32_e32 v3, v6, v3
	v_div_scale_f32 v6, vcc, v10, v1, v10
	v_mul_f32_e32 v7, v6, v3
	v_fma_f32 v8, -v2, v7, v6
	v_fmac_f32_e32 v7, v8, v3
	v_fma_f32 v2, -v2, v7, v6
	v_div_fmas_f32 v2, v2, v3, v7
	v_div_fixup_f32 v10, v2, v1, v10
	s_andn2_b64 vcc, exec, s[8:9]
	s_cbranch_vccnz .LBB532_31
.LBB532_34:
	s_load_dwordx2 s[10:11], s[0:1], 0x10
	v_or_b32_e32 v24, 64, v12
	v_or_b32_e32 v23, 0x80, v12
	;; [unrolled: 1-line block ×6, first 2 shown]
	s_cmp_eq_u32 s12, 1
	s_mov_b32 s14, 0
	s_cbranch_scc1 .LBB532_65
; %bb.35:
	v_ashrrev_i32_e32 v1, 31, v0
	s_waitcnt lgkmcnt(0)
	v_lshl_add_u64 v[2:3], v[0:1], 2, s[10:11]
	s_and_b32 s14, s12, 0x7ffffffe
	v_lshl_add_u64 v[2:3], v[2:3], 0, 4
	v_lshl_add_u64 v[6:7], v[4:5], 0, 8
	s_mov_b32 s13, 0
	s_branch .LBB532_37
.LBB532_36:                             ;   in Loop: Header=BB532_37 Depth=1
	s_or_b64 exec, exec, s[0:1]
	s_add_i32 s13, s13, 2
	v_lshl_add_u64 v[2:3], v[2:3], 0, 8
	s_cmp_lg_u32 s14, s13
	v_lshl_add_u64 v[6:7], v[6:7], 0, 16
	s_cbranch_scc0 .LBB532_65
.LBB532_37:                             ; =>This Inner Loop Header: Depth=1
	global_load_dword v1, v[6:7], off offset:-8
	v_mov_b64_e32 v[8:9], 0
	s_waitcnt vmcnt(0)
	v_cmp_eq_u32_e32 vcc, v12, v1
	v_cmp_ne_u32_e64 s[0:1], v12, v1
	s_and_saveexec_b64 s[16:17], s[0:1]
	s_cbranch_execz .LBB532_49
; %bb.38:                               ;   in Loop: Header=BB532_37 Depth=1
	v_cmp_eq_u32_e64 s[0:1], v24, v1
	v_cmp_ne_u32_e64 s[2:3], v24, v1
	v_mov_b64_e32 v[8:9], 1
	s_and_saveexec_b64 s[18:19], s[2:3]
	s_cbranch_execz .LBB532_48
; %bb.39:                               ;   in Loop: Header=BB532_37 Depth=1
	v_cmp_eq_u32_e64 s[2:3], v23, v1
	v_cmp_ne_u32_e64 s[4:5], v23, v1
	v_mov_b64_e32 v[8:9], 2
	;; [unrolled: 6-line block ×5, first 2 shown]
	s_and_saveexec_b64 s[28:29], s[8:9]
	s_xor_b64 s[28:29], exec, s[28:29]
; %bb.43:                               ;   in Loop: Header=BB532_37 Depth=1
	v_cmp_eq_u32_e64 s[8:9], v11, v1
	s_andn2_b64 s[26:27], s[26:27], exec
	s_and_b64 s[8:9], s[8:9], exec
	v_mov_b64_e32 v[8:9], 6
	s_or_b64 s[26:27], s[26:27], s[8:9]
; %bb.44:                               ;   in Loop: Header=BB532_37 Depth=1
	s_or_b64 exec, exec, s[28:29]
	s_andn2_b64 s[6:7], s[6:7], exec
	s_and_b64 s[8:9], s[26:27], exec
	s_or_b64 s[6:7], s[6:7], s[8:9]
.LBB532_45:                             ;   in Loop: Header=BB532_37 Depth=1
	s_or_b64 exec, exec, s[24:25]
	s_andn2_b64 s[4:5], s[4:5], exec
	s_and_b64 s[6:7], s[6:7], exec
	s_or_b64 s[4:5], s[4:5], s[6:7]
.LBB532_46:                             ;   in Loop: Header=BB532_37 Depth=1
	s_or_b64 exec, exec, s[22:23]
	s_andn2_b64 s[2:3], s[2:3], exec
	s_and_b64 s[4:5], s[4:5], exec
	s_or_b64 s[2:3], s[2:3], s[4:5]
.LBB532_47:                             ;   in Loop: Header=BB532_37 Depth=1
	s_or_b64 exec, exec, s[20:21]
	s_andn2_b64 s[0:1], s[0:1], exec
	s_and_b64 s[2:3], s[2:3], exec
	s_or_b64 s[0:1], s[0:1], s[2:3]
.LBB532_48:                             ;   in Loop: Header=BB532_37 Depth=1
	s_or_b64 exec, exec, s[18:19]
	s_andn2_b64 s[2:3], vcc, exec
	s_and_b64 s[0:1], s[0:1], exec
	s_or_b64 vcc, s[2:3], s[0:1]
.LBB532_49:                             ;   in Loop: Header=BB532_37 Depth=1
	s_or_b64 exec, exec, s[16:17]
	s_and_saveexec_b64 s[0:1], vcc
	s_cbranch_execz .LBB532_51
; %bb.50:                               ;   in Loop: Header=BB532_37 Depth=1
	v_cmp_eq_u32_e32 vcc, 1, v8
	v_add_u32_e32 v26, s13, v0
	v_ashrrev_i32_e32 v27, 31, v26
	v_cndmask_b32_e32 v1, v14, v13, vcc
	v_cmp_eq_u32_e32 vcc, 2, v8
	s_nop 1
	v_cndmask_b32_e32 v1, v1, v16, vcc
	v_cmp_eq_u32_e32 vcc, 3, v8
	s_nop 1
	;; [unrolled: 3-line block ×4, first 2 shown]
	v_cndmask_b32_e32 v1, v1, v17, vcc
	v_cmp_eq_u32_e32 vcc, 6, v8
	v_lshl_add_u64 v[8:9], v[26:27], 2, s[10:11]
	s_nop 0
	v_cndmask_b32_e32 v1, v1, v19, vcc
	v_mul_f32_e32 v1, v10, v1
	global_store_dword v[8:9], v1, off
.LBB532_51:                             ;   in Loop: Header=BB532_37 Depth=1
	s_or_b64 exec, exec, s[0:1]
	global_load_dword v1, v[6:7], off
	v_mov_b64_e32 v[8:9], 0
	s_waitcnt vmcnt(0)
	v_cmp_eq_u32_e64 s[6:7], v12, v1
	v_cmp_ne_u32_e32 vcc, v12, v1
	s_and_saveexec_b64 s[8:9], vcc
	s_cbranch_execz .LBB532_63
; %bb.52:                               ;   in Loop: Header=BB532_37 Depth=1
	v_cmp_eq_u32_e32 vcc, v24, v1
	v_cmp_ne_u32_e64 s[0:1], v24, v1
	v_mov_b64_e32 v[8:9], 1
	s_and_saveexec_b64 s[16:17], s[0:1]
	s_cbranch_execz .LBB532_62
; %bb.53:                               ;   in Loop: Header=BB532_37 Depth=1
	v_cmp_eq_u32_e64 s[0:1], v23, v1
	v_cmp_ne_u32_e64 s[2:3], v23, v1
	v_mov_b64_e32 v[8:9], 2
	s_and_saveexec_b64 s[18:19], s[2:3]
	s_cbranch_execz .LBB532_61
; %bb.54:                               ;   in Loop: Header=BB532_37 Depth=1
	v_cmp_eq_u32_e64 s[2:3], v22, v1
	;; [unrolled: 6-line block ×4, first 2 shown]
	v_cmp_ne_u32_e64 s[4:5], v20, v1
	v_mov_b64_e32 v[8:9], 5
	s_and_saveexec_b64 s[28:29], s[4:5]
; %bb.57:                               ;   in Loop: Header=BB532_37 Depth=1
	v_cmp_eq_u32_e64 s[4:5], v11, v1
	s_andn2_b64 s[26:27], s[26:27], exec
	s_and_b64 s[4:5], s[4:5], exec
	v_mov_b64_e32 v[8:9], 6
	s_or_b64 s[26:27], s[26:27], s[4:5]
; %bb.58:                               ;   in Loop: Header=BB532_37 Depth=1
	s_or_b64 exec, exec, s[28:29]
	s_andn2_b64 s[4:5], s[22:23], exec
	s_and_b64 s[22:23], s[26:27], exec
	s_or_b64 s[22:23], s[4:5], s[22:23]
.LBB532_59:                             ;   in Loop: Header=BB532_37 Depth=1
	s_or_b64 exec, exec, s[24:25]
	s_andn2_b64 s[2:3], s[2:3], exec
	s_and_b64 s[4:5], s[22:23], exec
	s_or_b64 s[2:3], s[2:3], s[4:5]
.LBB532_60:                             ;   in Loop: Header=BB532_37 Depth=1
	s_or_b64 exec, exec, s[20:21]
	s_andn2_b64 s[0:1], s[0:1], exec
	s_and_b64 s[2:3], s[2:3], exec
	s_or_b64 s[0:1], s[0:1], s[2:3]
.LBB532_61:                             ;   in Loop: Header=BB532_37 Depth=1
	s_or_b64 exec, exec, s[18:19]
	s_andn2_b64 s[2:3], vcc, exec
	s_and_b64 s[0:1], s[0:1], exec
	s_or_b64 vcc, s[2:3], s[0:1]
.LBB532_62:                             ;   in Loop: Header=BB532_37 Depth=1
	s_or_b64 exec, exec, s[16:17]
	s_andn2_b64 s[0:1], s[6:7], exec
	s_and_b64 s[2:3], vcc, exec
	s_or_b64 s[6:7], s[0:1], s[2:3]
.LBB532_63:                             ;   in Loop: Header=BB532_37 Depth=1
	s_or_b64 exec, exec, s[8:9]
	s_and_saveexec_b64 s[0:1], s[6:7]
	s_cbranch_execz .LBB532_36
; %bb.64:                               ;   in Loop: Header=BB532_37 Depth=1
	v_cmp_eq_u32_e32 vcc, 1, v8
	s_nop 1
	v_cndmask_b32_e32 v1, v14, v13, vcc
	v_cmp_eq_u32_e32 vcc, 2, v8
	s_nop 1
	v_cndmask_b32_e32 v1, v1, v16, vcc
	;; [unrolled: 3-line block ×6, first 2 shown]
	v_mul_f32_e32 v1, v10, v1
	global_store_dword v[2:3], v1, off
	s_branch .LBB532_36
.LBB532_65:
	s_bitcmp0_b32 s12, 0
	s_mov_b32 s15, 0
	s_cbranch_scc1 .LBB532_31
; %bb.66:
	v_lshl_add_u64 v[2:3], s[14:15], 3, v[4:5]
	global_load_dword v1, v[2:3], off
	v_mov_b64_e32 v[2:3], 0
	s_waitcnt vmcnt(0)
	v_cmp_eq_u32_e64 s[6:7], v12, v1
	v_cmp_ne_u32_e32 vcc, v12, v1
	s_and_saveexec_b64 s[8:9], vcc
	s_cbranch_execz .LBB532_78
; %bb.67:
	v_cmp_eq_u32_e32 vcc, v24, v1
	v_cmp_ne_u32_e64 s[0:1], v24, v1
	v_mov_b64_e32 v[2:3], 1
	s_and_saveexec_b64 s[12:13], s[0:1]
	s_cbranch_execz .LBB532_77
; %bb.68:
	v_cmp_eq_u32_e64 s[0:1], v23, v1
	v_cmp_ne_u32_e64 s[2:3], v23, v1
	v_mov_b64_e32 v[2:3], 2
	s_and_saveexec_b64 s[16:17], s[2:3]
	s_cbranch_execz .LBB532_76
; %bb.69:
	v_cmp_eq_u32_e64 s[2:3], v22, v1
	;; [unrolled: 6-line block ×4, first 2 shown]
	v_cmp_ne_u32_e64 s[4:5], v20, v1
	v_mov_b64_e32 v[2:3], 5
	s_and_saveexec_b64 s[26:27], s[4:5]
; %bb.72:
	v_cmp_eq_u32_e64 s[4:5], v11, v1
	s_andn2_b64 s[24:25], s[24:25], exec
	s_and_b64 s[4:5], s[4:5], exec
	v_mov_b64_e32 v[2:3], 6
	s_or_b64 s[24:25], s[24:25], s[4:5]
; %bb.73:
	s_or_b64 exec, exec, s[26:27]
	s_andn2_b64 s[4:5], s[20:21], exec
	s_and_b64 s[20:21], s[24:25], exec
	s_or_b64 s[20:21], s[4:5], s[20:21]
.LBB532_74:
	s_or_b64 exec, exec, s[22:23]
	s_andn2_b64 s[2:3], s[2:3], exec
	s_and_b64 s[4:5], s[20:21], exec
	s_or_b64 s[2:3], s[2:3], s[4:5]
.LBB532_75:
	s_or_b64 exec, exec, s[18:19]
	s_andn2_b64 s[0:1], s[0:1], exec
	s_and_b64 s[2:3], s[2:3], exec
	s_or_b64 s[0:1], s[0:1], s[2:3]
.LBB532_76:
	s_or_b64 exec, exec, s[16:17]
	s_andn2_b64 s[2:3], vcc, exec
	s_and_b64 s[0:1], s[0:1], exec
	s_or_b64 vcc, s[2:3], s[0:1]
.LBB532_77:
	s_or_b64 exec, exec, s[12:13]
	s_andn2_b64 s[0:1], s[6:7], exec
	s_and_b64 s[2:3], vcc, exec
	s_or_b64 s[6:7], s[0:1], s[2:3]
.LBB532_78:
	s_or_b64 exec, exec, s[8:9]
	s_and_b64 exec, exec, s[6:7]
	s_cbranch_execz .LBB532_31
; %bb.79:
	v_cmp_eq_u32_e32 vcc, 1, v2
	v_add_u32_e32 v0, s14, v0
	s_nop 0
	v_cndmask_b32_e32 v1, v14, v13, vcc
	v_cmp_eq_u32_e32 vcc, 2, v2
	s_nop 1
	v_cndmask_b32_e32 v1, v1, v16, vcc
	v_cmp_eq_u32_e32 vcc, 3, v2
	;; [unrolled: 3-line block ×5, first 2 shown]
	s_nop 1
	v_cndmask_b32_e32 v1, v1, v19, vcc
	v_mul_f32_e32 v2, v10, v1
	v_ashrrev_i32_e32 v1, 31, v0
	s_waitcnt lgkmcnt(0)
	v_lshl_add_u64 v[0:1], v[0:1], 2, s[10:11]
	global_store_dword v[0:1], v2, off
	s_endpgm
	.section	.rodata,"a",@progbits
	.p2align	6, 0x0
	.amdhsa_kernel _ZN4vllm3moe22topkGatingSoftplusSqrtILi7ELi448ELi4ELi2ELi64ELb1El14__hip_bfloat16EEvPKT6_PKbPfiPT5_PiiiibdPKfPKS9_SF_
		.amdhsa_group_segment_fixed_size 0
		.amdhsa_private_segment_fixed_size 0
		.amdhsa_kernarg_size 96
		.amdhsa_user_sgpr_count 2
		.amdhsa_user_sgpr_dispatch_ptr 0
		.amdhsa_user_sgpr_queue_ptr 0
		.amdhsa_user_sgpr_kernarg_segment_ptr 1
		.amdhsa_user_sgpr_dispatch_id 0
		.amdhsa_user_sgpr_kernarg_preload_length 0
		.amdhsa_user_sgpr_kernarg_preload_offset 0
		.amdhsa_user_sgpr_private_segment_size 0
		.amdhsa_uses_dynamic_stack 0
		.amdhsa_enable_private_segment 0
		.amdhsa_system_sgpr_workgroup_id_x 1
		.amdhsa_system_sgpr_workgroup_id_y 0
		.amdhsa_system_sgpr_workgroup_id_z 0
		.amdhsa_system_sgpr_workgroup_info 0
		.amdhsa_system_vgpr_workitem_id 1
		.amdhsa_next_free_vgpr 28
		.amdhsa_next_free_sgpr 30
		.amdhsa_accum_offset 28
		.amdhsa_reserve_vcc 1
		.amdhsa_float_round_mode_32 0
		.amdhsa_float_round_mode_16_64 0
		.amdhsa_float_denorm_mode_32 3
		.amdhsa_float_denorm_mode_16_64 3
		.amdhsa_dx10_clamp 1
		.amdhsa_ieee_mode 1
		.amdhsa_fp16_overflow 0
		.amdhsa_tg_split 0
		.amdhsa_exception_fp_ieee_invalid_op 0
		.amdhsa_exception_fp_denorm_src 0
		.amdhsa_exception_fp_ieee_div_zero 0
		.amdhsa_exception_fp_ieee_overflow 0
		.amdhsa_exception_fp_ieee_underflow 0
		.amdhsa_exception_fp_ieee_inexact 0
		.amdhsa_exception_int_div_zero 0
	.end_amdhsa_kernel
	.section	.text._ZN4vllm3moe22topkGatingSoftplusSqrtILi7ELi448ELi4ELi2ELi64ELb1El14__hip_bfloat16EEvPKT6_PKbPfiPT5_PiiiibdPKfPKS9_SF_,"axG",@progbits,_ZN4vllm3moe22topkGatingSoftplusSqrtILi7ELi448ELi4ELi2ELi64ELb1El14__hip_bfloat16EEvPKT6_PKbPfiPT5_PiiiibdPKfPKS9_SF_,comdat
.Lfunc_end532:
	.size	_ZN4vllm3moe22topkGatingSoftplusSqrtILi7ELi448ELi4ELi2ELi64ELb1El14__hip_bfloat16EEvPKT6_PKbPfiPT5_PiiiibdPKfPKS9_SF_, .Lfunc_end532-_ZN4vllm3moe22topkGatingSoftplusSqrtILi7ELi448ELi4ELi2ELi64ELb1El14__hip_bfloat16EEvPKT6_PKbPfiPT5_PiiiibdPKfPKS9_SF_
                                        ; -- End function
	.section	.AMDGPU.csdata,"",@progbits
; Kernel info:
; codeLenInByte = 4892
; NumSgprs: 36
; NumVgprs: 28
; NumAgprs: 0
; TotalNumVgprs: 28
; ScratchSize: 0
; MemoryBound: 0
; FloatMode: 240
; IeeeMode: 1
; LDSByteSize: 0 bytes/workgroup (compile time only)
; SGPRBlocks: 4
; VGPRBlocks: 3
; NumSGPRsForWavesPerEU: 36
; NumVGPRsForWavesPerEU: 28
; AccumOffset: 28
; Occupancy: 8
; WaveLimiterHint : 1
; COMPUTE_PGM_RSRC2:SCRATCH_EN: 0
; COMPUTE_PGM_RSRC2:USER_SGPR: 2
; COMPUTE_PGM_RSRC2:TRAP_HANDLER: 0
; COMPUTE_PGM_RSRC2:TGID_X_EN: 1
; COMPUTE_PGM_RSRC2:TGID_Y_EN: 0
; COMPUTE_PGM_RSRC2:TGID_Z_EN: 0
; COMPUTE_PGM_RSRC2:TIDIG_COMP_CNT: 1
; COMPUTE_PGM_RSRC3_GFX90A:ACCUM_OFFSET: 6
; COMPUTE_PGM_RSRC3_GFX90A:TG_SPLIT: 0
	.section	.text._ZN4vllm3moe22topkGatingSoftplusSqrtILi7ELi448ELi4ELi2ELi64ELb0El14__hip_bfloat16EEvPKT6_PKbPfiPT5_PiiiibdPKfPKS9_SF_,"axG",@progbits,_ZN4vllm3moe22topkGatingSoftplusSqrtILi7ELi448ELi4ELi2ELi64ELb0El14__hip_bfloat16EEvPKT6_PKbPfiPT5_PiiiibdPKfPKS9_SF_,comdat
	.protected	_ZN4vllm3moe22topkGatingSoftplusSqrtILi7ELi448ELi4ELi2ELi64ELb0El14__hip_bfloat16EEvPKT6_PKbPfiPT5_PiiiibdPKfPKS9_SF_ ; -- Begin function _ZN4vllm3moe22topkGatingSoftplusSqrtILi7ELi448ELi4ELi2ELi64ELb0El14__hip_bfloat16EEvPKT6_PKbPfiPT5_PiiiibdPKfPKS9_SF_
	.globl	_ZN4vllm3moe22topkGatingSoftplusSqrtILi7ELi448ELi4ELi2ELi64ELb0El14__hip_bfloat16EEvPKT6_PKbPfiPT5_PiiiibdPKfPKS9_SF_
	.p2align	8
	.type	_ZN4vllm3moe22topkGatingSoftplusSqrtILi7ELi448ELi4ELi2ELi64ELb0El14__hip_bfloat16EEvPKT6_PKbPfiPT5_PiiiibdPKfPKS9_SF_,@function
_ZN4vllm3moe22topkGatingSoftplusSqrtILi7ELi448ELi4ELi2ELi64ELb0El14__hip_bfloat16EEvPKT6_PKbPfiPT5_PiiiibdPKfPKS9_SF_: ; @_ZN4vllm3moe22topkGatingSoftplusSqrtILi7ELi448ELi4ELi2ELi64ELb0El14__hip_bfloat16EEvPKT6_PKbPfiPT5_PiiiibdPKfPKS9_SF_
; %bb.0:
	s_load_dword s30, s[0:1], 0x18
	v_and_b32_e32 v1, 0x3ff, v0
	s_lshl_b32 s2, s2, 2
	v_lshrrev_b32_e32 v2, 6, v1
	v_bfe_u32 v0, v0, 10, 10
	v_add3_u32 v8, s2, v0, v2
	s_waitcnt lgkmcnt(0)
	v_cmp_gt_i32_e32 vcc, s30, v8
	s_and_saveexec_b64 s[2:3], vcc
	s_cbranch_execz .LBB533_63
; %bb.1:
	s_load_dwordx4 s[4:7], s[0:1], 0x0
	s_load_dwordx2 s[20:21], s[0:1], 0x10
	s_waitcnt lgkmcnt(0)
	s_cmp_eq_u64 s[6:7], 0
	s_cbranch_scc1 .LBB533_3
; %bb.2:
	v_ashrrev_i32_e32 v9, 31, v8
	v_lshl_add_u64 v[2:3], s[6:7], 0, v[8:9]
	global_load_ubyte v0, v[2:3], off
	s_waitcnt vmcnt(0)
	v_and_b32_e32 v0, 1, v0
	v_cmp_eq_u32_e32 vcc, 1, v0
	s_xor_b64 s[2:3], vcc, -1
	s_orn2_b64 s[22:23], s[2:3], exec
	s_branch .LBB533_4
.LBB533_3:
	s_mov_b64 s[22:23], -1
.LBB533_4:
	s_movk_i32 s2, 0x1c0
	v_mul_lo_u32 v4, v8, s2
	v_mov_b32_e32 v2, s4
	v_mov_b32_e32 v3, s5
	v_ashrrev_i32_e32 v5, 31, v4
	v_and_b32_e32 v10, 63, v1
	v_lshl_add_u64 v[2:3], v[4:5], 1, v[2:3]
	v_mov_b32_e32 v1, 0
	v_lshlrev_b32_e32 v0, 1, v10
	v_lshl_add_u64 v[12:13], v[2:3], 0, v[0:1]
	global_load_ushort v0, v[12:13], off
	global_load_ushort v1, v[12:13], off offset:128
	global_load_ushort v2, v[12:13], off offset:256
	;; [unrolled: 1-line block ×6, first 2 shown]
	s_mov_b32 s16, 0x800000
	v_mov_b32_e32 v11, 0x4f800000
	s_mov_b32 s13, 0x3f317217
	s_mov_b32 s14, 0x7f800000
	v_mov_b32_e32 v12, 0x41b17218
	s_mov_b32 s12, 0x41a00000
	s_mov_b32 s15, 0xf800000
	s_load_dwordx4 s[8:11], s[0:1], 0x40
	s_waitcnt lgkmcnt(0)
	s_cmp_lg_u64 s[10:11], 0
	s_cselect_b64 s[6:7], -1, 0
	s_and_b64 s[2:3], exec, s[6:7]
	s_waitcnt vmcnt(6)
	v_lshlrev_b32_e32 v0, 16, v0
	v_mul_f32_e32 v7, 0x3fb8aa3b, v0
	v_exp_f32_e32 v7, v7
	s_nop 0
	v_add_f32_e32 v7, 1.0, v7
	v_cmp_gt_f32_e32 vcc, s16, v7
	s_nop 1
	v_cndmask_b32_e32 v9, 1.0, v11, vcc
	v_mul_f32_e32 v7, v7, v9
	v_log_f32_e32 v13, v7
	v_cndmask_b32_e32 v14, 0, v12, vcc
	v_mov_b32_e32 v9, 0x260
	v_lshlrev_b32_e32 v7, 2, v10
	v_mul_f32_e32 v15, 0x3f317217, v13
	v_fma_f32 v15, v13, s13, -v15
	v_fmac_f32_e32 v15, 0x3377d1cf, v13
	v_fmac_f32_e32 v15, 0x3f317217, v13
	v_cmp_lt_f32_e64 vcc, |v13|, s14
	s_nop 1
	v_cndmask_b32_e32 v13, v13, v15, vcc
	v_sub_f32_e32 v13, v13, v14
	v_cmp_lt_f32_e32 vcc, s12, v0
	s_nop 1
	v_cndmask_b32_e32 v0, v13, v0, vcc
	v_mul_f32_e32 v13, 0x4f800000, v0
	v_cmp_gt_f32_e32 vcc, s15, v0
	s_nop 1
	v_cndmask_b32_e32 v0, v0, v13, vcc
	v_sqrt_f32_e32 v13, v0
	s_nop 0
	v_add_u32_e32 v14, -1, v13
	v_add_u32_e32 v15, 1, v13
	v_fma_f32 v16, -v14, v13, v0
	v_fma_f32 v17, -v15, v13, v0
	v_cmp_ge_f32_e64 s[4:5], 0, v16
	s_nop 1
	v_cndmask_b32_e64 v13, v13, v14, s[4:5]
	v_cmp_lt_f32_e64 s[4:5], 0, v17
	s_nop 1
	v_cndmask_b32_e64 v13, v13, v15, s[4:5]
	v_mul_f32_e32 v14, 0x37800000, v13
	v_cndmask_b32_e32 v13, v13, v14, vcc
	v_cmp_class_f32_e32 vcc, v0, v9
	s_nop 1
	v_cndmask_b32_e32 v0, v13, v0, vcc
	s_mov_b64 vcc, s[2:3]
	s_cbranch_vccz .LBB533_6
; %bb.5:
	global_load_dword v13, v7, s[10:11]
	s_waitcnt vmcnt(0)
	v_add_f32_e32 v0, v0, v13
.LBB533_6:
	s_waitcnt vmcnt(5)
	v_lshlrev_b32_e32 v1, 16, v1
	v_mul_f32_e32 v13, 0x3fb8aa3b, v1
	v_exp_f32_e32 v13, v13
	s_nop 0
	v_add_f32_e32 v13, 1.0, v13
	v_cmp_gt_f32_e32 vcc, s16, v13
	s_nop 1
	v_cndmask_b32_e32 v11, 1.0, v11, vcc
	v_mul_f32_e32 v11, v13, v11
	v_log_f32_e32 v11, v11
	v_cndmask_b32_e32 v12, 0, v12, vcc
	v_mul_f32_e32 v13, 0x3f317217, v11
	v_fma_f32 v13, v11, s13, -v13
	v_fmac_f32_e32 v13, 0x3377d1cf, v11
	v_fmac_f32_e32 v13, 0x3f317217, v11
	v_cmp_lt_f32_e64 vcc, |v11|, s14
	s_nop 1
	v_cndmask_b32_e32 v11, v11, v13, vcc
	v_sub_f32_e32 v11, v11, v12
	v_cmp_lt_f32_e32 vcc, s12, v1
	s_nop 1
	v_cndmask_b32_e32 v1, v11, v1, vcc
	v_mul_f32_e32 v11, 0x4f800000, v1
	v_cmp_gt_f32_e32 vcc, s15, v1
	s_nop 1
	v_cndmask_b32_e32 v1, v1, v11, vcc
	v_sqrt_f32_e32 v11, v1
	v_cmp_class_f32_e64 s[4:5], v1, v9
	v_add_u32_e32 v12, -1, v11
	v_add_u32_e32 v13, 1, v11
	v_fma_f32 v14, -v12, v11, v1
	v_fma_f32 v15, -v13, v11, v1
	v_cmp_ge_f32_e64 s[2:3], 0, v14
	s_nop 1
	v_cndmask_b32_e64 v11, v11, v12, s[2:3]
	v_cmp_lt_f32_e64 s[2:3], 0, v15
	s_nop 1
	v_cndmask_b32_e64 v11, v11, v13, s[2:3]
	v_mul_f32_e32 v12, 0x37800000, v11
	v_cndmask_b32_e32 v11, v11, v12, vcc
	v_cndmask_b32_e64 v12, 0, 1, s[6:7]
	v_cmp_ne_u32_e64 s[2:3], 1, v12
	s_andn2_b64 vcc, exec, s[6:7]
	v_cndmask_b32_e64 v1, v11, v1, s[4:5]
	s_cbranch_vccnz .LBB533_8
; %bb.7:
	global_load_dword v9, v7, s[10:11] offset:256
	s_waitcnt vmcnt(0)
	v_add_f32_e32 v1, v1, v9
.LBB533_8:
	s_waitcnt vmcnt(4)
	v_lshlrev_b32_e32 v2, 16, v2
	v_mul_f32_e32 v9, 0x3fb8aa3b, v2
	v_exp_f32_e32 v9, v9
	s_mov_b32 s14, 0x800000
	v_mov_b32_e32 v11, 0x4f800000
	s_mov_b32 s7, 0x3f317217
	v_add_f32_e32 v9, 1.0, v9
	v_cmp_gt_f32_e32 vcc, s14, v9
	s_mov_b32 s12, 0x7f800000
	s_mov_b32 s6, 0x41a00000
	v_cndmask_b32_e32 v12, 1.0, v11, vcc
	v_mul_f32_e32 v9, v9, v12
	v_log_f32_e32 v9, v9
	s_mov_b32 s13, 0xf800000
	v_mul_f32_e32 v12, 0x3f317217, v9
	v_fma_f32 v12, v9, s7, -v12
	v_fmac_f32_e32 v12, 0x3377d1cf, v9
	v_fmac_f32_e32 v12, 0x3f317217, v9
	v_cmp_lt_f32_e64 s[4:5], |v9|, s12
	s_nop 1
	v_cndmask_b32_e64 v9, v9, v12, s[4:5]
	v_mov_b32_e32 v12, 0x41b17218
	v_cndmask_b32_e32 v13, 0, v12, vcc
	v_sub_f32_e32 v9, v9, v13
	v_cmp_lt_f32_e32 vcc, s6, v2
	s_nop 1
	v_cndmask_b32_e32 v2, v9, v2, vcc
	v_mul_f32_e32 v9, 0x4f800000, v2
	v_cmp_gt_f32_e32 vcc, s13, v2
	s_nop 1
	v_cndmask_b32_e32 v2, v2, v9, vcc
	v_sqrt_f32_e32 v9, v2
	s_nop 0
	v_add_u32_e32 v13, -1, v9
	v_fma_f32 v14, -v13, v9, v2
	v_cmp_ge_f32_e64 s[4:5], 0, v14
	v_add_u32_e32 v14, 1, v9
	s_nop 0
	v_cndmask_b32_e64 v13, v9, v13, s[4:5]
	v_fma_f32 v9, -v14, v9, v2
	v_cmp_lt_f32_e64 s[4:5], 0, v9
	s_nop 1
	v_cndmask_b32_e64 v9, v13, v14, s[4:5]
	v_mul_f32_e32 v13, 0x37800000, v9
	v_cndmask_b32_e32 v13, v9, v13, vcc
	v_mov_b32_e32 v9, 0x260
	v_cmp_class_f32_e64 s[4:5], v2, v9
	s_and_b64 vcc, exec, s[2:3]
	s_nop 0
	v_cndmask_b32_e64 v2, v13, v2, s[4:5]
	s_cbranch_vccnz .LBB533_10
; %bb.9:
	global_load_dword v13, v7, s[10:11] offset:512
	s_waitcnt vmcnt(0)
	v_add_f32_e32 v2, v2, v13
.LBB533_10:
	s_waitcnt vmcnt(3)
	v_lshlrev_b32_e32 v3, 16, v3
	v_mul_f32_e32 v13, 0x3fb8aa3b, v3
	v_exp_f32_e32 v13, v13
	s_nop 0
	v_add_f32_e32 v13, 1.0, v13
	v_cmp_gt_f32_e32 vcc, s14, v13
	s_nop 1
	v_cndmask_b32_e32 v11, 1.0, v11, vcc
	v_mul_f32_e32 v11, v13, v11
	v_log_f32_e32 v11, v11
	v_cndmask_b32_e32 v12, 0, v12, vcc
	v_mul_f32_e32 v13, 0x3f317217, v11
	v_fma_f32 v13, v11, s7, -v13
	v_fmac_f32_e32 v13, 0x3377d1cf, v11
	v_fmac_f32_e32 v13, 0x3f317217, v11
	v_cmp_lt_f32_e64 vcc, |v11|, s12
	s_nop 1
	v_cndmask_b32_e32 v11, v11, v13, vcc
	v_sub_f32_e32 v11, v11, v12
	v_cmp_lt_f32_e32 vcc, s6, v3
	s_nop 1
	v_cndmask_b32_e32 v3, v11, v3, vcc
	v_mul_f32_e32 v11, 0x4f800000, v3
	v_cmp_gt_f32_e32 vcc, s13, v3
	s_nop 1
	v_cndmask_b32_e32 v3, v3, v11, vcc
	v_sqrt_f32_e32 v11, v3
	s_nop 0
	v_add_u32_e32 v12, -1, v11
	v_add_u32_e32 v13, 1, v11
	v_fma_f32 v14, -v12, v11, v3
	v_fma_f32 v15, -v13, v11, v3
	v_cmp_ge_f32_e64 s[4:5], 0, v14
	s_nop 1
	v_cndmask_b32_e64 v11, v11, v12, s[4:5]
	v_cmp_lt_f32_e64 s[4:5], 0, v15
	s_nop 1
	v_cndmask_b32_e64 v11, v11, v13, s[4:5]
	v_mul_f32_e32 v12, 0x37800000, v11
	v_cndmask_b32_e32 v11, v11, v12, vcc
	v_cmp_class_f32_e64 s[4:5], v3, v9
	s_and_b64 vcc, exec, s[2:3]
	s_nop 0
	v_cndmask_b32_e64 v3, v11, v3, s[4:5]
	s_cbranch_vccnz .LBB533_12
; %bb.11:
	global_load_dword v9, v7, s[10:11] offset:768
	s_waitcnt vmcnt(0)
	v_add_f32_e32 v3, v3, v9
.LBB533_12:
	s_waitcnt vmcnt(2)
	v_lshlrev_b32_e32 v4, 16, v4
	v_mul_f32_e32 v9, 0x3fb8aa3b, v4
	v_exp_f32_e32 v9, v9
	v_mov_b32_e32 v11, 0x4f800000
	v_add_f32_e32 v9, 1.0, v9
	v_cmp_gt_f32_e32 vcc, s14, v9
	s_nop 1
	v_cndmask_b32_e32 v12, 1.0, v11, vcc
	v_mul_f32_e32 v9, v9, v12
	v_log_f32_e32 v9, v9
	s_nop 0
	v_mul_f32_e32 v12, 0x3f317217, v9
	v_fma_f32 v12, v9, s7, -v12
	v_fmac_f32_e32 v12, 0x3377d1cf, v9
	v_fmac_f32_e32 v12, 0x3f317217, v9
	v_cmp_lt_f32_e64 s[4:5], |v9|, s12
	s_nop 1
	v_cndmask_b32_e64 v9, v9, v12, s[4:5]
	v_mov_b32_e32 v12, 0x41b17218
	v_cndmask_b32_e32 v13, 0, v12, vcc
	v_sub_f32_e32 v9, v9, v13
	v_cmp_lt_f32_e32 vcc, s6, v4
	s_nop 1
	v_cndmask_b32_e32 v4, v9, v4, vcc
	v_mul_f32_e32 v9, 0x4f800000, v4
	v_cmp_gt_f32_e32 vcc, s13, v4
	s_nop 1
	v_cndmask_b32_e32 v4, v4, v9, vcc
	v_sqrt_f32_e32 v9, v4
	s_nop 0
	v_add_u32_e32 v13, -1, v9
	v_fma_f32 v14, -v13, v9, v4
	v_cmp_ge_f32_e64 s[4:5], 0, v14
	v_add_u32_e32 v14, 1, v9
	s_nop 0
	v_cndmask_b32_e64 v13, v9, v13, s[4:5]
	v_fma_f32 v9, -v14, v9, v4
	v_cmp_lt_f32_e64 s[4:5], 0, v9
	s_nop 1
	v_cndmask_b32_e64 v9, v13, v14, s[4:5]
	v_mul_f32_e32 v13, 0x37800000, v9
	v_cndmask_b32_e32 v13, v9, v13, vcc
	v_mov_b32_e32 v9, 0x260
	v_cmp_class_f32_e64 s[4:5], v4, v9
	s_and_b64 vcc, exec, s[2:3]
	s_nop 0
	v_cndmask_b32_e64 v4, v13, v4, s[4:5]
	s_cbranch_vccnz .LBB533_14
; %bb.13:
	global_load_dword v13, v7, s[10:11] offset:1024
	s_waitcnt vmcnt(0)
	v_add_f32_e32 v4, v4, v13
.LBB533_14:
	s_waitcnt vmcnt(1)
	v_lshlrev_b32_e32 v5, 16, v5
	v_mul_f32_e32 v13, 0x3fb8aa3b, v5
	v_exp_f32_e32 v13, v13
	s_nop 0
	v_add_f32_e32 v13, 1.0, v13
	v_cmp_gt_f32_e32 vcc, s14, v13
	s_nop 1
	v_cndmask_b32_e32 v11, 1.0, v11, vcc
	v_mul_f32_e32 v11, v13, v11
	v_log_f32_e32 v11, v11
	v_cndmask_b32_e32 v12, 0, v12, vcc
	v_mul_f32_e32 v13, 0x3f317217, v11
	v_fma_f32 v13, v11, s7, -v13
	v_fmac_f32_e32 v13, 0x3377d1cf, v11
	v_fmac_f32_e32 v13, 0x3f317217, v11
	v_cmp_lt_f32_e64 vcc, |v11|, s12
	s_nop 1
	v_cndmask_b32_e32 v11, v11, v13, vcc
	v_sub_f32_e32 v11, v11, v12
	v_cmp_lt_f32_e32 vcc, s6, v5
	s_nop 1
	v_cndmask_b32_e32 v5, v11, v5, vcc
	v_mul_f32_e32 v11, 0x4f800000, v5
	v_cmp_gt_f32_e32 vcc, s13, v5
	s_nop 1
	v_cndmask_b32_e32 v5, v5, v11, vcc
	v_sqrt_f32_e32 v11, v5
	s_nop 0
	v_add_u32_e32 v12, -1, v11
	v_add_u32_e32 v13, 1, v11
	v_fma_f32 v14, -v12, v11, v5
	v_fma_f32 v15, -v13, v11, v5
	v_cmp_ge_f32_e64 s[4:5], 0, v14
	s_nop 1
	v_cndmask_b32_e64 v11, v11, v12, s[4:5]
	v_cmp_lt_f32_e64 s[4:5], 0, v15
	s_nop 1
	v_cndmask_b32_e64 v11, v11, v13, s[4:5]
	v_mul_f32_e32 v12, 0x37800000, v11
	v_cndmask_b32_e32 v11, v11, v12, vcc
	v_cmp_class_f32_e64 s[4:5], v5, v9
	s_and_b64 vcc, exec, s[2:3]
	s_nop 0
	v_cndmask_b32_e64 v5, v11, v5, s[4:5]
	s_cbranch_vccnz .LBB533_16
; %bb.15:
	global_load_dword v9, v7, s[10:11] offset:1280
	s_waitcnt vmcnt(0)
	v_add_f32_e32 v5, v5, v9
.LBB533_16:
	s_waitcnt vmcnt(0)
	v_lshlrev_b32_e32 v6, 16, v6
	v_mul_f32_e32 v9, 0x3fb8aa3b, v6
	v_exp_f32_e32 v9, v9
	s_mov_b32 s4, 0x800000
	v_mov_b32_e32 v11, 0x4f800000
	s_mov_b32 s5, 0x7f800000
	v_add_f32_e32 v9, 1.0, v9
	v_cmp_gt_f32_e32 vcc, s4, v9
	s_mov_b32 s4, 0x3f317217
	s_nop 0
	v_cndmask_b32_e32 v11, 1.0, v11, vcc
	v_mul_f32_e32 v9, v9, v11
	v_log_f32_e32 v9, v9
	s_nop 0
	v_mul_f32_e32 v11, 0x3f317217, v9
	v_fma_f32 v11, v9, s4, -v11
	v_fmamk_f32 v11, v9, 0x3377d1cf, v11
	v_fmac_f32_e32 v11, 0x3f317217, v9
	v_cmp_lt_f32_e64 s[4:5], |v9|, s5
	s_nop 1
	v_cndmask_b32_e64 v9, v9, v11, s[4:5]
	v_mov_b32_e32 v11, 0x41b17218
	v_cndmask_b32_e32 v11, 0, v11, vcc
	v_sub_f32_e32 v9, v9, v11
	v_cmp_lt_f32_e32 vcc, s6, v6
	s_mov_b32 s4, 0xf800000
	s_nop 0
	v_cndmask_b32_e32 v6, v9, v6, vcc
	v_mul_f32_e32 v9, 0x4f800000, v6
	v_cmp_gt_f32_e32 vcc, s4, v6
	s_nop 1
	v_cndmask_b32_e32 v6, v6, v9, vcc
	v_sqrt_f32_e32 v9, v6
	s_nop 0
	v_add_u32_e32 v11, -1, v9
	v_fma_f32 v12, -v11, v9, v6
	v_cmp_ge_f32_e64 s[4:5], 0, v12
	v_add_u32_e32 v12, 1, v9
	s_nop 0
	v_cndmask_b32_e64 v11, v9, v11, s[4:5]
	v_fma_f32 v9, -v12, v9, v6
	v_cmp_lt_f32_e64 s[4:5], 0, v9
	s_nop 1
	v_cndmask_b32_e64 v9, v11, v12, s[4:5]
	v_mul_f32_e32 v11, 0x37800000, v9
	v_cndmask_b32_e32 v9, v9, v11, vcc
	v_mov_b32_e32 v11, 0x260
	v_cmp_class_f32_e64 s[4:5], v6, v11
	s_and_b64 vcc, exec, s[2:3]
	s_nop 0
	v_cndmask_b32_e64 v6, v9, v6, s[4:5]
	s_cbranch_vccnz .LBB533_18
; %bb.17:
	global_load_dword v7, v7, s[10:11] offset:1536
	s_waitcnt vmcnt(0)
	v_add_f32_e32 v6, v6, v7
.LBB533_18:
	s_load_dwordx4 s[12:15], s[0:1], 0x30
	v_cmp_eq_u32_e64 s[6:7], 0, v10
	s_waitcnt lgkmcnt(0)
	s_bitcmp1_b32 s15, 0
	s_cselect_b64 s[4:5], -1, 0
	s_cmp_gt_i32 s12, 0
	s_cselect_b64 s[24:25], -1, 0
	s_and_b64 vcc, exec, s[24:25]
	s_cbranch_vccz .LBB533_49
; %bb.19:
	v_mbcnt_lo_u32_b32 v7, -1, 0
	v_mbcnt_hi_u32_b32 v12, -1, v7
	v_and_b32_e32 v7, 64, v12
	v_add_u32_e32 v13, 64, v7
	v_xor_b32_e32 v14, 32, v12
	v_cmp_lt_i32_e32 vcc, v14, v13
	s_load_dwordx4 s[16:19], s[0:1], 0x20
	s_mov_b32 s15, 0
	v_cndmask_b32_e32 v14, v12, v14, vcc
	v_lshlrev_b32_e32 v19, 2, v14
	v_xor_b32_e32 v14, 16, v12
	v_cmp_lt_i32_e32 vcc, v14, v13
	v_mul_lo_u32 v7, v8, s12
	v_or_b32_e32 v9, 64, v10
	v_cndmask_b32_e32 v14, v12, v14, vcc
	v_lshlrev_b32_e32 v20, 2, v14
	v_xor_b32_e32 v14, 8, v12
	v_cmp_lt_i32_e32 vcc, v14, v13
	v_or_b32_e32 v11, 0x80, v10
	v_or_b32_e32 v15, 0xc0, v10
	v_cndmask_b32_e32 v14, v12, v14, vcc
	v_lshlrev_b32_e32 v21, 2, v14
	v_xor_b32_e32 v14, 4, v12
	v_cmp_lt_i32_e32 vcc, v14, v13
	v_or_b32_e32 v16, 0x100, v10
	;; [unrolled: 6-line block ×3, first 2 shown]
	v_mov_b32_e32 v25, 0x1c0
	v_cndmask_b32_e32 v14, v12, v14, vcc
	v_lshlrev_b32_e32 v23, 2, v14
	v_xor_b32_e32 v14, 1, v12
	v_cmp_lt_i32_e32 vcc, v14, v13
	v_mov_b32_e32 v26, 0xc61c4000
	v_mov_b32_e32 v27, v8
	v_cndmask_b32_e32 v12, v12, v14, vcc
	v_lshlrev_b32_e32 v24, 2, v12
	v_mov_b32_e32 v14, 0
	s_branch .LBB533_22
.LBB533_20:                             ;   in Loop: Header=BB533_22 Depth=1
	v_add_u32_e32 v30, s15, v7
	v_cmp_le_i32_e32 vcc, s13, v12
	v_cmp_gt_i32_e64 s[0:1], s14, v12
	v_ashrrev_i32_e32 v31, 31, v30
	s_and_b64 s[0:1], vcc, s[0:1]
	v_lshlrev_b64 v[32:33], 2, v[30:31]
	v_subrev_u32_e32 v13, s13, v12
	v_lshl_add_u64 v[34:35], s[20:21], 0, v[32:33]
	s_waitcnt lgkmcnt(0)
	v_ashrrev_i32_e32 v29, 31, v13
	s_and_b64 vcc, s[22:23], s[0:1]
	global_store_dword v[34:35], v28, off
	v_cndmask_b32_e32 v35, 0, v29, vcc
	v_cndmask_b32_e32 v34, v25, v13, vcc
	v_lshl_add_u64 v[30:31], v[30:31], 3, s[16:17]
	v_add_f32_e32 v13, v14, v28
	global_store_dwordx2 v[30:31], v[34:35], off
	v_lshl_add_u64 v[30:31], s[18:19], 0, v[32:33]
	v_cndmask_b32_e64 v14, v14, v13, s[4:5]
	global_store_dword v[30:31], v27, off
.LBB533_21:                             ;   in Loop: Header=BB533_22 Depth=1
	s_or_b64 exec, exec, s[26:27]
	v_ashrrev_i32_e32 v13, 31, v12
	v_lshrrev_b32_e32 v13, 26, v13
	v_add_u32_e32 v13, v12, v13
	v_ashrrev_i32_e32 v28, 6, v13
	v_and_b32_e32 v13, 0xffffffc0, v13
	v_sub_u32_e32 v12, v12, v13
	v_cmp_ne_u32_e64 s[0:1], 0, v28
	v_cmp_eq_u32_e32 vcc, v10, v12
	s_add_i32 s15, s15, 1
	v_cndmask_b32_e64 v12, v26, v0, s[0:1]
	v_cmp_ne_u32_e64 s[0:1], 1, v28
	s_cmp_lt_i32 s15, s12
	s_cselect_b64 s[26:27], -1, 0
	v_cndmask_b32_e64 v13, v26, v1, s[0:1]
	v_cmp_ne_u32_e64 s[0:1], 2, v28
	s_and_b64 vcc, s[26:27], vcc
	v_cndmask_b32_e32 v1, v1, v13, vcc
	s_waitcnt lgkmcnt(0)
	v_cndmask_b32_e64 v29, v26, v2, s[0:1]
	v_cmp_ne_u32_e64 s[0:1], 3, v28
	v_cndmask_b32_e32 v2, v2, v29, vcc
	v_cndmask_b32_e32 v0, v0, v12, vcc
	v_cndmask_b32_e64 v30, v26, v3, s[0:1]
	v_cmp_ne_u32_e64 s[0:1], 4, v28
	v_cndmask_b32_e32 v3, v3, v30, vcc
	s_cmp_eq_u32 s12, s15
	v_cndmask_b32_e64 v31, v26, v4, s[0:1]
	v_cmp_ne_u32_e64 s[0:1], 5, v28
	v_cndmask_b32_e32 v4, v4, v31, vcc
	v_add_u32_e32 v27, s30, v27
	v_cndmask_b32_e64 v32, v26, v5, s[0:1]
	v_cmp_ne_u32_e64 s[0:1], 6, v28
	v_cndmask_b32_e32 v5, v5, v32, vcc
	s_nop 0
	v_cndmask_b32_e64 v28, v26, v6, s[0:1]
	v_cndmask_b32_e32 v6, v6, v28, vcc
	s_cbranch_scc1 .LBB533_50
.LBB533_22:                             ; =>This Inner Loop Header: Depth=1
	v_cmp_gt_f32_e32 vcc, v1, v0
	s_nop 1
	v_cndmask_b32_e32 v13, v0, v1, vcc
	v_cndmask_b32_e32 v12, v10, v9, vcc
	v_cmp_gt_f32_e32 vcc, v2, v13
	s_nop 1
	v_cndmask_b32_e32 v13, v13, v2, vcc
	v_cndmask_b32_e32 v12, v12, v11, vcc
	;; [unrolled: 4-line block ×6, first 2 shown]
	ds_bpermute_b32 v13, v19, v28
	ds_bpermute_b32 v29, v19, v12
	s_waitcnt lgkmcnt(0)
	v_cmp_lt_f32_e64 s[26:27], v28, v13
	v_cmp_nlt_f32_e32 vcc, v28, v13
	s_and_saveexec_b64 s[28:29], vcc
; %bb.23:                               ;   in Loop: Header=BB533_22 Depth=1
	v_cmp_eq_f32_e32 vcc, v28, v13
	v_cmp_lt_i32_e64 s[0:1], v29, v12
	s_and_b64 s[0:1], vcc, s[0:1]
	s_andn2_b64 s[26:27], s[26:27], exec
	s_and_b64 s[0:1], s[0:1], exec
	s_or_b64 s[26:27], s[26:27], s[0:1]
; %bb.24:                               ;   in Loop: Header=BB533_22 Depth=1
	s_or_b64 exec, exec, s[28:29]
	s_and_saveexec_b64 s[0:1], s[26:27]
; %bb.25:                               ;   in Loop: Header=BB533_22 Depth=1
	v_mov_b32_e32 v28, v13
	v_mov_b32_e32 v12, v29
; %bb.26:                               ;   in Loop: Header=BB533_22 Depth=1
	s_or_b64 exec, exec, s[0:1]
	ds_bpermute_b32 v13, v20, v28
	ds_bpermute_b32 v29, v20, v12
	s_waitcnt lgkmcnt(1)
	v_cmp_lt_f32_e64 s[26:27], v28, v13
	v_cmp_nlt_f32_e32 vcc, v28, v13
	s_and_saveexec_b64 s[28:29], vcc
	s_cbranch_execz .LBB533_28
; %bb.27:                               ;   in Loop: Header=BB533_22 Depth=1
	v_cmp_eq_f32_e32 vcc, v28, v13
	s_waitcnt lgkmcnt(0)
	v_cmp_lt_i32_e64 s[0:1], v29, v12
	s_and_b64 s[0:1], vcc, s[0:1]
	s_andn2_b64 s[26:27], s[26:27], exec
	s_and_b64 s[0:1], s[0:1], exec
	s_or_b64 s[26:27], s[26:27], s[0:1]
.LBB533_28:                             ;   in Loop: Header=BB533_22 Depth=1
	s_or_b64 exec, exec, s[28:29]
	s_and_saveexec_b64 s[0:1], s[26:27]
	s_cbranch_execz .LBB533_30
; %bb.29:                               ;   in Loop: Header=BB533_22 Depth=1
	v_mov_b32_e32 v28, v13
	s_waitcnt lgkmcnt(0)
	v_mov_b32_e32 v12, v29
.LBB533_30:                             ;   in Loop: Header=BB533_22 Depth=1
	s_or_b64 exec, exec, s[0:1]
	ds_bpermute_b32 v13, v21, v28
	s_waitcnt lgkmcnt(1)
	ds_bpermute_b32 v29, v21, v12
	s_waitcnt lgkmcnt(1)
	v_cmp_lt_f32_e64 s[26:27], v28, v13
	v_cmp_nlt_f32_e32 vcc, v28, v13
	s_and_saveexec_b64 s[28:29], vcc
	s_cbranch_execz .LBB533_32
; %bb.31:                               ;   in Loop: Header=BB533_22 Depth=1
	v_cmp_eq_f32_e32 vcc, v28, v13
	s_waitcnt lgkmcnt(0)
	v_cmp_lt_i32_e64 s[0:1], v29, v12
	s_and_b64 s[0:1], vcc, s[0:1]
	s_andn2_b64 s[26:27], s[26:27], exec
	s_and_b64 s[0:1], s[0:1], exec
	s_or_b64 s[26:27], s[26:27], s[0:1]
.LBB533_32:                             ;   in Loop: Header=BB533_22 Depth=1
	s_or_b64 exec, exec, s[28:29]
	s_and_saveexec_b64 s[0:1], s[26:27]
	s_cbranch_execz .LBB533_34
; %bb.33:                               ;   in Loop: Header=BB533_22 Depth=1
	v_mov_b32_e32 v28, v13
	s_waitcnt lgkmcnt(0)
	v_mov_b32_e32 v12, v29
.LBB533_34:                             ;   in Loop: Header=BB533_22 Depth=1
	s_or_b64 exec, exec, s[0:1]
	ds_bpermute_b32 v13, v22, v28
	s_waitcnt lgkmcnt(1)
	;; [unrolled: 26-line block ×4, first 2 shown]
	ds_bpermute_b32 v29, v24, v12
	s_waitcnt lgkmcnt(1)
	v_cmp_lt_f32_e64 s[26:27], v28, v13
	v_cmp_nlt_f32_e32 vcc, v28, v13
	s_and_saveexec_b64 s[28:29], vcc
	s_cbranch_execnz .LBB533_45
; %bb.43:                               ;   in Loop: Header=BB533_22 Depth=1
	s_or_b64 exec, exec, s[28:29]
	s_and_saveexec_b64 s[0:1], s[26:27]
	s_cbranch_execnz .LBB533_46
.LBB533_44:                             ;   in Loop: Header=BB533_22 Depth=1
	s_or_b64 exec, exec, s[0:1]
	s_and_saveexec_b64 s[26:27], s[6:7]
	s_cbranch_execz .LBB533_21
	s_branch .LBB533_47
.LBB533_45:                             ;   in Loop: Header=BB533_22 Depth=1
	v_cmp_eq_f32_e32 vcc, v28, v13
	s_waitcnt lgkmcnt(0)
	v_cmp_lt_i32_e64 s[0:1], v29, v12
	s_and_b64 s[0:1], vcc, s[0:1]
	s_andn2_b64 s[26:27], s[26:27], exec
	s_and_b64 s[0:1], s[0:1], exec
	s_or_b64 s[26:27], s[26:27], s[0:1]
	s_or_b64 exec, exec, s[28:29]
	s_and_saveexec_b64 s[0:1], s[26:27]
	s_cbranch_execz .LBB533_44
.LBB533_46:                             ;   in Loop: Header=BB533_22 Depth=1
	s_waitcnt lgkmcnt(0)
	v_mov_b32_e32 v12, v29
	v_mov_b32_e32 v28, v13
	s_or_b64 exec, exec, s[0:1]
	s_and_saveexec_b64 s[26:27], s[6:7]
	s_cbranch_execz .LBB533_21
.LBB533_47:                             ;   in Loop: Header=BB533_22 Depth=1
	s_and_b64 vcc, exec, s[2:3]
	s_cbranch_vccnz .LBB533_20
; %bb.48:                               ;   in Loop: Header=BB533_22 Depth=1
	v_ashrrev_i32_e32 v13, 31, v12
	v_lshl_add_u64 v[30:31], v[12:13], 2, s[10:11]
	global_load_dword v13, v[30:31], off
	s_waitcnt vmcnt(0)
	v_sub_f32_e32 v28, v28, v13
	s_branch .LBB533_20
.LBB533_49:
	v_mov_b32_e32 v14, 0
.LBB533_50:
	v_cmp_eq_u32_e32 vcc, 0, v10
	s_and_b64 exec, exec, vcc
	s_cbranch_execz .LBB533_63
; %bb.51:
	s_andn2_b64 vcc, exec, s[4:5]
	v_cvt_f32_f64_e32 v0, s[8:9]
	s_cbranch_vccnz .LBB533_53
; %bb.52:
	v_cmp_lt_f32_e32 vcc, 0, v14
	s_nop 1
	v_cndmask_b32_e32 v1, 1.0, v14, vcc
	v_div_scale_f32 v2, s[0:1], v1, v1, v0
	v_rcp_f32_e32 v3, v2
	s_nop 0
	v_fma_f32 v4, -v2, v3, 1.0
	v_fmac_f32_e32 v3, v4, v3
	v_div_scale_f32 v4, vcc, v0, v1, v0
	v_mul_f32_e32 v5, v4, v3
	v_fma_f32 v6, -v2, v5, v4
	v_fmac_f32_e32 v5, v6, v3
	v_fma_f32 v2, -v2, v5, v4
	v_div_fmas_f32 v2, v2, v3, v5
	v_div_fixup_f32 v0, v2, v1, v0
.LBB533_53:
	s_andn2_b64 vcc, exec, s[24:25]
	s_cbranch_vccnz .LBB533_63
; %bb.54:
	v_mul_lo_u32 v2, v8, s12
	s_cmp_gt_u32 s12, 3
	v_ashrrev_i32_e32 v3, 31, v2
	s_cbranch_scc0 .LBB533_58
; %bb.55:
	s_and_b32 s0, s12, 0x7ffffffc
	v_lshl_add_u64 v[4:5], v[2:3], 2, s[20:21]
	v_mov_b32_e32 v1, v0
	v_lshl_add_u64 v[4:5], v[4:5], 0, 8
	s_mov_b32 s1, s0
.LBB533_56:                             ; =>This Inner Loop Header: Depth=1
	global_load_dwordx4 v[6:9], v[4:5], off offset:-8
	s_add_i32 s1, s1, -4
	s_cmp_lg_u32 s1, 0
	s_waitcnt vmcnt(0)
	v_pk_mul_f32 v[6:7], v[0:1], v[6:7]
	v_pk_mul_f32 v[8:9], v[0:1], v[8:9]
	global_store_dwordx4 v[4:5], v[6:9], off offset:-8
	v_lshl_add_u64 v[4:5], v[4:5], 0, 16
	s_cbranch_scc1 .LBB533_56
; %bb.57:
	s_cmp_lg_u32 s0, s12
	s_cselect_b64 s[2:3], -1, 0
	s_branch .LBB533_60
.LBB533_58:
	s_mov_b64 s[2:3], 0
                                        ; implicit-def: $sgpr0
	s_cbranch_execz .LBB533_60
; %bb.59:
	s_mov_b64 s[2:3], -1
	s_mov_b32 s0, 0
.LBB533_60:
	s_andn2_b64 vcc, exec, s[2:3]
	s_cbranch_vccnz .LBB533_63
; %bb.61:
	s_mov_b32 s1, 0
	v_lshl_add_u64 v[2:3], v[2:3], 0, s[0:1]
	s_sub_i32 s2, s12, s0
	v_lshl_add_u64 v[2:3], v[2:3], 2, s[20:21]
.LBB533_62:                             ; =>This Inner Loop Header: Depth=1
	global_load_dword v1, v[2:3], off
	s_add_i32 s2, s2, -1
	s_cmp_lg_u32 s2, 0
	s_waitcnt vmcnt(0)
	v_mul_f32_e32 v1, v0, v1
	global_store_dword v[2:3], v1, off
	v_lshl_add_u64 v[2:3], v[2:3], 0, 4
	s_cbranch_scc1 .LBB533_62
.LBB533_63:
	s_endpgm
	.section	.rodata,"a",@progbits
	.p2align	6, 0x0
	.amdhsa_kernel _ZN4vllm3moe22topkGatingSoftplusSqrtILi7ELi448ELi4ELi2ELi64ELb0El14__hip_bfloat16EEvPKT6_PKbPfiPT5_PiiiibdPKfPKS9_SF_
		.amdhsa_group_segment_fixed_size 0
		.amdhsa_private_segment_fixed_size 0
		.amdhsa_kernarg_size 96
		.amdhsa_user_sgpr_count 2
		.amdhsa_user_sgpr_dispatch_ptr 0
		.amdhsa_user_sgpr_queue_ptr 0
		.amdhsa_user_sgpr_kernarg_segment_ptr 1
		.amdhsa_user_sgpr_dispatch_id 0
		.amdhsa_user_sgpr_kernarg_preload_length 0
		.amdhsa_user_sgpr_kernarg_preload_offset 0
		.amdhsa_user_sgpr_private_segment_size 0
		.amdhsa_uses_dynamic_stack 0
		.amdhsa_enable_private_segment 0
		.amdhsa_system_sgpr_workgroup_id_x 1
		.amdhsa_system_sgpr_workgroup_id_y 0
		.amdhsa_system_sgpr_workgroup_id_z 0
		.amdhsa_system_sgpr_workgroup_info 0
		.amdhsa_system_vgpr_workitem_id 1
		.amdhsa_next_free_vgpr 36
		.amdhsa_next_free_sgpr 31
		.amdhsa_accum_offset 36
		.amdhsa_reserve_vcc 1
		.amdhsa_float_round_mode_32 0
		.amdhsa_float_round_mode_16_64 0
		.amdhsa_float_denorm_mode_32 3
		.amdhsa_float_denorm_mode_16_64 3
		.amdhsa_dx10_clamp 1
		.amdhsa_ieee_mode 1
		.amdhsa_fp16_overflow 0
		.amdhsa_tg_split 0
		.amdhsa_exception_fp_ieee_invalid_op 0
		.amdhsa_exception_fp_denorm_src 0
		.amdhsa_exception_fp_ieee_div_zero 0
		.amdhsa_exception_fp_ieee_overflow 0
		.amdhsa_exception_fp_ieee_underflow 0
		.amdhsa_exception_fp_ieee_inexact 0
		.amdhsa_exception_int_div_zero 0
	.end_amdhsa_kernel
	.section	.text._ZN4vllm3moe22topkGatingSoftplusSqrtILi7ELi448ELi4ELi2ELi64ELb0El14__hip_bfloat16EEvPKT6_PKbPfiPT5_PiiiibdPKfPKS9_SF_,"axG",@progbits,_ZN4vllm3moe22topkGatingSoftplusSqrtILi7ELi448ELi4ELi2ELi64ELb0El14__hip_bfloat16EEvPKT6_PKbPfiPT5_PiiiibdPKfPKS9_SF_,comdat
.Lfunc_end533:
	.size	_ZN4vllm3moe22topkGatingSoftplusSqrtILi7ELi448ELi4ELi2ELi64ELb0El14__hip_bfloat16EEvPKT6_PKbPfiPT5_PiiiibdPKfPKS9_SF_, .Lfunc_end533-_ZN4vllm3moe22topkGatingSoftplusSqrtILi7ELi448ELi4ELi2ELi64ELb0El14__hip_bfloat16EEvPKT6_PKbPfiPT5_PiiiibdPKfPKS9_SF_
                                        ; -- End function
	.section	.AMDGPU.csdata,"",@progbits
; Kernel info:
; codeLenInByte = 4024
; NumSgprs: 37
; NumVgprs: 36
; NumAgprs: 0
; TotalNumVgprs: 36
; ScratchSize: 0
; MemoryBound: 0
; FloatMode: 240
; IeeeMode: 1
; LDSByteSize: 0 bytes/workgroup (compile time only)
; SGPRBlocks: 4
; VGPRBlocks: 4
; NumSGPRsForWavesPerEU: 37
; NumVGPRsForWavesPerEU: 36
; AccumOffset: 36
; Occupancy: 8
; WaveLimiterHint : 1
; COMPUTE_PGM_RSRC2:SCRATCH_EN: 0
; COMPUTE_PGM_RSRC2:USER_SGPR: 2
; COMPUTE_PGM_RSRC2:TRAP_HANDLER: 0
; COMPUTE_PGM_RSRC2:TGID_X_EN: 1
; COMPUTE_PGM_RSRC2:TGID_Y_EN: 0
; COMPUTE_PGM_RSRC2:TGID_Z_EN: 0
; COMPUTE_PGM_RSRC2:TIDIG_COMP_CNT: 1
; COMPUTE_PGM_RSRC3_GFX90A:ACCUM_OFFSET: 8
; COMPUTE_PGM_RSRC3_GFX90A:TG_SPLIT: 0
	.section	.text._ZN4vllm3moe22topkGatingSoftplusSqrtILi14ELi448ELi4ELi2ELi32ELb1El14__hip_bfloat16EEvPKT6_PKbPfiPT5_PiiiibdPKfPKS9_SF_,"axG",@progbits,_ZN4vllm3moe22topkGatingSoftplusSqrtILi14ELi448ELi4ELi2ELi32ELb1El14__hip_bfloat16EEvPKT6_PKbPfiPT5_PiiiibdPKfPKS9_SF_,comdat
	.protected	_ZN4vllm3moe22topkGatingSoftplusSqrtILi14ELi448ELi4ELi2ELi32ELb1El14__hip_bfloat16EEvPKT6_PKbPfiPT5_PiiiibdPKfPKS9_SF_ ; -- Begin function _ZN4vllm3moe22topkGatingSoftplusSqrtILi14ELi448ELi4ELi2ELi32ELb1El14__hip_bfloat16EEvPKT6_PKbPfiPT5_PiiiibdPKfPKS9_SF_
	.globl	_ZN4vllm3moe22topkGatingSoftplusSqrtILi14ELi448ELi4ELi2ELi32ELb1El14__hip_bfloat16EEvPKT6_PKbPfiPT5_PiiiibdPKfPKS9_SF_
	.p2align	8
	.type	_ZN4vllm3moe22topkGatingSoftplusSqrtILi14ELi448ELi4ELi2ELi32ELb1El14__hip_bfloat16EEvPKT6_PKbPfiPT5_PiiiibdPKfPKS9_SF_,@function
_ZN4vllm3moe22topkGatingSoftplusSqrtILi14ELi448ELi4ELi2ELi32ELb1El14__hip_bfloat16EEvPKT6_PKbPfiPT5_PiiiibdPKfPKS9_SF_: ; @_ZN4vllm3moe22topkGatingSoftplusSqrtILi14ELi448ELi4ELi2ELi32ELb1El14__hip_bfloat16EEvPKT6_PKbPfiPT5_PiiiibdPKfPKS9_SF_
; %bb.0:
	s_load_dword s3, s[0:1], 0x18
	v_and_b32_e32 v1, 0x3ff, v0
	s_lshl_b32 s2, s2, 2
	v_lshrrev_b32_e32 v2, 5, v1
	v_bfe_u32 v0, v0, 10, 10
	v_add3_u32 v16, s2, v0, v2
	s_waitcnt lgkmcnt(0)
	v_cmp_gt_i32_e32 vcc, s3, v16
	s_and_saveexec_b64 s[2:3], vcc
	s_cbranch_execz .LBB534_63
; %bb.1:
	s_load_dwordx4 s[4:7], s[0:1], 0x50
	s_load_dwordx2 s[2:3], s[0:1], 0x0
	s_load_dword s24, s[0:1], 0x30
	s_movk_i32 s8, 0x1c0
	v_mul_lo_u32 v4, v16, s8
	v_ashrrev_i32_e32 v5, 31, v4
	v_and_b32_e32 v26, 31, v1
	s_waitcnt lgkmcnt(0)
	v_mov_b32_e32 v2, s4
	v_mov_b32_e32 v3, s5
	v_lshl_add_u64 v[4:5], v[4:5], 1, s[2:3]
	v_lshlrev_b32_e32 v14, 1, v26
	v_mov_b32_e32 v15, 0
	v_ashrrev_i32_e32 v17, 31, v16
	v_lshl_add_u64 v[0:1], v[16:17], 3, v[2:3]
	v_lshl_add_u64 v[8:9], v[4:5], 0, v[14:15]
	global_load_dwordx2 v[0:1], v[0:1], off
	s_nop 0
	global_load_ushort v2, v[8:9], off offset:64
	global_load_ushort v3, v[8:9], off
	global_load_ushort v4, v[8:9], off offset:192
	global_load_ushort v5, v[8:9], off offset:128
	;; [unrolled: 1-line block ×6, first 2 shown]
	s_ashr_i32 s25, s24, 31
	s_mov_b32 s17, 0x800000
	v_mov_b32_e32 v14, 0x4f800000
	s_mov_b32 s16, 0x3f317217
	s_mov_b32 s15, 0x7f800000
	v_mov_b32_e32 v13, 0x41b17218
	s_mov_b32 s14, 0x41a00000
	s_mov_b32 s11, 0xf800000
	v_mov_b32_e32 v18, s6
	v_mov_b32_e32 v19, s7
	;; [unrolled: 1-line block ×3, first 2 shown]
	v_cmp_lt_i64_e64 s[12:13], s[24:25], 1
	s_mov_b32 s10, 0
	v_cmp_gt_i64_e64 s[8:9], s[24:25], 0
	s_waitcnt vmcnt(7)
	v_lshlrev_b32_e32 v22, 16, v2
	s_waitcnt vmcnt(6)
	v_lshlrev_b32_e32 v23, 16, v3
	v_mul_f32_e32 v2, 0x3fb8aa3b, v23
	v_mul_f32_e32 v3, 0x3fb8aa3b, v22
	s_waitcnt vmcnt(5)
	v_lshlrev_b32_e32 v24, 16, v4
	s_waitcnt vmcnt(4)
	v_lshlrev_b32_e32 v25, 16, v5
	v_exp_f32_e32 v2, v2
	v_exp_f32_e32 v3, v3
	v_mul_f32_e32 v4, 0x3fb8aa3b, v25
	v_mul_f32_e32 v5, 0x3fb8aa3b, v24
	v_exp_f32_e32 v4, v4
	v_exp_f32_e32 v5, v5
	v_mul_lo_u32 v1, v1, s24
	v_mul_lo_u32 v17, v0, s25
	v_mad_u64_u32 v[20:21], s[2:3], v0, s24, 0
	v_add3_u32 v21, v21, v17, v1
	v_pk_add_f32 v[0:1], v[2:3], 1.0 op_sel_hi:[1,0]
	v_pk_add_f32 v[2:3], v[4:5], 1.0 op_sel_hi:[1,0]
	v_cmp_gt_f32_e32 vcc, s17, v1
	v_cmp_gt_f32_e64 s[2:3], s17, v0
	v_cmp_gt_f32_e64 s[4:5], s17, v3
	v_cndmask_b32_e32 v4, 1.0, v14, vcc
	v_cndmask_b32_e64 v5, 1.0, v14, s[2:3]
	v_mul_f32_e32 v1, v1, v4
	v_mul_f32_e32 v0, v0, v5
	v_log_f32_e32 v1, v1
	v_log_f32_e32 v0, v0
	v_cndmask_b32_e64 v17, 1.0, v14, s[4:5]
	v_mul_f32_e32 v3, v3, v17
	v_mul_f32_e32 v17, 0x3f317217, v1
	;; [unrolled: 1-line block ×3, first 2 shown]
	v_fma_f32 v17, v1, s16, -v17
	v_fma_f32 v27, v0, s16, -v27
	v_fmac_f32_e32 v17, 0x3377d1cf, v1
	v_cndmask_b32_e32 v4, 0, v13, vcc
	v_fmac_f32_e32 v27, 0x3377d1cf, v0
	v_fmac_f32_e32 v17, 0x3f317217, v1
	v_cmp_lt_f32_e64 vcc, |v1|, s15
	v_fmac_f32_e32 v27, 0x3f317217, v0
	v_cndmask_b32_e64 v5, 0, v13, s[2:3]
	v_cndmask_b32_e32 v1, v1, v17, vcc
	v_cmp_lt_f32_e64 vcc, |v0|, s15
	v_sub_f32_e32 v1, v1, v4
	v_log_f32_e32 v3, v3
	v_cndmask_b32_e32 v0, v0, v27, vcc
	v_sub_f32_e32 v0, v0, v5
	v_cmp_lt_f32_e32 vcc, s14, v23
	s_waitcnt vmcnt(2)
	v_lshlrev_b32_e32 v7, 16, v7
	v_lshlrev_b32_e32 v6, 16, v6
	v_cndmask_b32_e32 v0, v0, v23, vcc
	v_cmp_lt_f32_e32 vcc, s14, v22
	v_mul_f32_e32 v5, 0x4f800000, v0
	v_cmp_gt_f32_e64 s[2:3], s11, v0
	v_cndmask_b32_e32 v1, v1, v22, vcc
	v_mul_f32_e32 v4, 0x4f800000, v1
	v_cmp_gt_f32_e32 vcc, s11, v1
	v_cndmask_b32_e64 v0, v0, v5, s[2:3]
	v_sqrt_f32_e32 v5, v0
	v_cndmask_b32_e32 v1, v1, v4, vcc
	v_sqrt_f32_e32 v4, v1
	s_waitcnt vmcnt(0)
	v_lshlrev_b32_e32 v11, 16, v11
	v_add_u32_e32 v23, -1, v5
	v_fma_f32 v30, -v23, v5, v0
	v_add_u32_e32 v17, -1, v4
	v_fma_f32 v28, -v17, v4, v1
	v_add_u32_e32 v22, 1, v4
	v_cmp_ge_f32_e64 s[6:7], 0, v28
	v_add_u32_e32 v27, 1, v5
	v_fma_f32 v29, -v22, v4, v1
	v_cndmask_b32_e64 v4, v4, v17, s[6:7]
	v_cmp_ge_f32_e64 s[6:7], 0, v30
	v_fma_f32 v31, -v27, v5, v0
	v_lshlrev_b32_e32 v10, 16, v10
	v_cndmask_b32_e64 v5, v5, v23, s[6:7]
	v_cmp_lt_f32_e64 s[6:7], 0, v29
	v_lshl_add_u64 v[18:19], v[20:21], 3, v[18:19]
	s_nop 0
	v_cndmask_b32_e64 v4, v4, v22, s[6:7]
	v_cmp_lt_f32_e64 s[6:7], 0, v31
	v_mul_f32_e32 v17, 0x37800000, v4
	v_cndmask_b32_e32 v4, v4, v17, vcc
	v_cndmask_b32_e64 v5, v5, v27, s[6:7]
	v_mul_f32_e32 v22, 0x37800000, v5
	v_cmp_class_f32_e32 vcc, v1, v12
	v_cndmask_b32_e64 v5, v5, v22, s[2:3]
	v_cmp_lt_f32_e64 s[2:3], |v3|, s15
	v_cndmask_b32_e32 v1, v4, v1, vcc
	v_cmp_class_f32_e32 vcc, v0, v12
	v_mul_f32_e32 v4, 0x3f317217, v3
	v_fma_f32 v4, v3, s16, -v4
	v_cndmask_b32_e32 v0, v5, v0, vcc
	v_cmp_gt_f32_e32 vcc, s17, v2
	v_fmac_f32_e32 v4, 0x3377d1cf, v3
	v_fmac_f32_e32 v4, 0x3f317217, v3
	v_cndmask_b32_e32 v5, 1.0, v14, vcc
	v_mul_f32_e32 v2, v2, v5
	v_log_f32_e32 v2, v2
	v_cndmask_b32_e64 v3, v3, v4, s[2:3]
	v_cndmask_b32_e64 v4, 0, v13, s[4:5]
	v_sub_f32_e32 v3, v3, v4
	v_mul_f32_e32 v4, 0x3f317217, v2
	v_fma_f32 v4, v2, s16, -v4
	v_fmac_f32_e32 v4, 0x3377d1cf, v2
	v_fmac_f32_e32 v4, 0x3f317217, v2
	v_cmp_lt_f32_e64 s[2:3], |v2|, s15
	s_nop 1
	v_cndmask_b32_e64 v2, v2, v4, s[2:3]
	v_cndmask_b32_e32 v4, 0, v13, vcc
	v_cmp_lt_f32_e32 vcc, s14, v24
	v_sub_f32_e32 v2, v2, v4
	v_cmp_lt_f32_e64 s[2:3], s14, v25
	v_cndmask_b32_e32 v3, v3, v24, vcc
	v_mul_f32_e32 v5, 0x4f800000, v3
	v_cmp_gt_f32_e32 vcc, s11, v3
	v_cndmask_b32_e64 v2, v2, v25, s[2:3]
	s_nop 0
	v_cndmask_b32_e32 v3, v3, v5, vcc
	v_sqrt_f32_e32 v5, v3
	s_nop 0
	v_add_u32_e32 v4, -1, v5
	v_fma_f32 v17, -v4, v5, v3
	v_cmp_ge_f32_e64 s[2:3], 0, v17
	v_add_u32_e32 v17, 1, v5
	s_nop 0
	v_cndmask_b32_e64 v4, v5, v4, s[2:3]
	v_fma_f32 v5, -v17, v5, v3
	v_cmp_lt_f32_e64 s[2:3], 0, v5
	s_nop 1
	v_cndmask_b32_e64 v4, v4, v17, s[2:3]
	v_mul_f32_e32 v17, 0x4f800000, v2
	v_cmp_gt_f32_e64 s[2:3], s11, v2
	v_mul_f32_e32 v5, 0x37800000, v4
	v_cndmask_b32_e32 v4, v4, v5, vcc
	v_cndmask_b32_e64 v2, v2, v17, s[2:3]
	v_sqrt_f32_e32 v17, v2
	v_cmp_class_f32_e32 vcc, v3, v12
	v_add_u32_e32 v23, 1, v17
	s_nop 0
	v_cndmask_b32_e32 v3, v4, v3, vcc
	v_add_u32_e32 v4, -1, v17
	v_fma_f32 v5, -v4, v17, v2
	v_cmp_ge_f32_e32 vcc, 0, v5
	v_mul_f32_e32 v5, 0x3fb8aa3b, v7
	v_exp_f32_e32 v5, v5
	v_cndmask_b32_e32 v22, v17, v4, vcc
	v_mul_f32_e32 v4, 0x3fb8aa3b, v6
	v_exp_f32_e32 v4, v4
	v_fma_f32 v17, -v23, v17, v2
	v_cmp_lt_f32_e32 vcc, 0, v17
	v_pk_add_f32 v[4:5], v[4:5], 1.0 op_sel_hi:[1,0]
	s_nop 0
	v_cndmask_b32_e32 v17, v22, v23, vcc
	v_cmp_gt_f32_e32 vcc, s17, v5
	v_mul_f32_e32 v22, 0x37800000, v17
	v_cndmask_b32_e64 v17, v17, v22, s[2:3]
	v_cndmask_b32_e32 v23, 1.0, v14, vcc
	v_mul_f32_e32 v5, v5, v23
	v_log_f32_e32 v5, v5
	v_cmp_class_f32_e64 s[2:3], v2, v12
	v_cmp_lt_f32_e64 s[4:5], |v5|, s15
	s_nop 0
	v_cndmask_b32_e64 v2, v17, v2, s[2:3]
	v_cmp_gt_f32_e64 s[2:3], s17, v4
	v_mul_f32_e32 v17, 0x3f317217, v5
	v_fma_f32 v17, v5, s16, -v17
	v_cndmask_b32_e64 v22, 1.0, v14, s[2:3]
	v_mul_f32_e32 v4, v4, v22
	v_log_f32_e32 v4, v4
	v_fmac_f32_e32 v17, 0x3377d1cf, v5
	v_fmac_f32_e32 v17, 0x3f317217, v5
	v_cndmask_b32_e64 v5, v5, v17, s[4:5]
	v_cndmask_b32_e32 v17, 0, v13, vcc
	v_sub_f32_e32 v5, v5, v17
	v_mul_f32_e32 v17, 0x3f317217, v4
	v_fma_f32 v17, v4, s16, -v17
	v_fmac_f32_e32 v17, 0x3377d1cf, v4
	v_fmac_f32_e32 v17, 0x3f317217, v4
	v_cmp_lt_f32_e64 vcc, |v4|, s15
	s_nop 1
	v_cndmask_b32_e32 v4, v4, v17, vcc
	v_cmp_lt_f32_e32 vcc, s14, v7
	v_cndmask_b32_e64 v17, 0, v13, s[2:3]
	v_sub_f32_e32 v4, v4, v17
	v_cndmask_b32_e32 v5, v5, v7, vcc
	v_mul_f32_e32 v7, 0x4f800000, v5
	v_cmp_gt_f32_e32 vcc, s11, v5
	v_cmp_lt_f32_e64 s[2:3], s14, v6
	s_nop 0
	v_cndmask_b32_e32 v5, v5, v7, vcc
	v_sqrt_f32_e32 v7, v5
	v_cndmask_b32_e64 v4, v4, v6, s[2:3]
	v_add_u32_e32 v6, -1, v7
	v_fma_f32 v17, -v6, v7, v5
	v_cmp_ge_f32_e64 s[2:3], 0, v17
	v_add_u32_e32 v17, 1, v7
	s_nop 0
	v_cndmask_b32_e64 v6, v7, v6, s[2:3]
	v_fma_f32 v7, -v17, v7, v5
	v_cmp_lt_f32_e64 s[2:3], 0, v7
	s_nop 1
	v_cndmask_b32_e64 v6, v6, v17, s[2:3]
	v_mul_f32_e32 v7, 0x37800000, v6
	v_cndmask_b32_e32 v6, v6, v7, vcc
	v_mul_f32_e32 v7, 0x4f800000, v4
	v_cmp_gt_f32_e32 vcc, s11, v4
	global_load_ushort v17, v[8:9], off offset:512
	global_load_ushort v22, v[8:9], off offset:576
	v_cndmask_b32_e32 v4, v4, v7, vcc
	v_sqrt_f32_e32 v7, v4
	v_cmp_class_f32_e64 s[2:3], v5, v12
	v_add_u32_e32 v24, 1, v7
	s_nop 0
	v_cndmask_b32_e64 v5, v6, v5, s[2:3]
	v_add_u32_e32 v6, -1, v7
	v_fma_f32 v23, -v6, v7, v4
	v_cmp_ge_f32_e64 s[2:3], 0, v23
	v_fma_f32 v25, -v24, v7, v4
	s_waitcnt vmcnt(1)
	v_lshlrev_b32_e32 v17, 16, v17
	v_cndmask_b32_e64 v23, v7, v6, s[2:3]
	v_mul_f32_e32 v6, 0x3fb8aa3b, v10
	v_mul_f32_e32 v7, 0x3fb8aa3b, v11
	v_exp_f32_e32 v6, v6
	v_exp_f32_e32 v7, v7
	v_cmp_lt_f32_e64 s[2:3], 0, v25
	s_waitcnt vmcnt(0)
	v_lshlrev_b32_e32 v22, 16, v22
	v_pk_add_f32 v[6:7], v[6:7], 1.0 op_sel_hi:[1,0]
	v_cndmask_b32_e64 v23, v23, v24, s[2:3]
	v_cmp_gt_f32_e64 s[2:3], s17, v7
	v_mul_f32_e32 v24, 0x37800000, v23
	v_cndmask_b32_e32 v23, v23, v24, vcc
	v_cndmask_b32_e64 v25, 1.0, v14, s[2:3]
	v_mul_f32_e32 v7, v7, v25
	v_log_f32_e32 v7, v7
	v_cmp_class_f32_e32 vcc, v4, v12
	v_cmp_lt_f32_e64 s[4:5], |v7|, s15
	s_nop 0
	v_cndmask_b32_e32 v4, v23, v4, vcc
	v_cmp_gt_f32_e32 vcc, s17, v6
	v_mul_f32_e32 v23, 0x3f317217, v7
	v_fma_f32 v23, v7, s16, -v23
	v_cndmask_b32_e32 v24, 1.0, v14, vcc
	v_mul_f32_e32 v6, v6, v24
	v_log_f32_e32 v6, v6
	v_fmac_f32_e32 v23, 0x3377d1cf, v7
	v_fmac_f32_e32 v23, 0x3f317217, v7
	v_cndmask_b32_e64 v7, v7, v23, s[4:5]
	v_cndmask_b32_e64 v23, 0, v13, s[2:3]
	v_sub_f32_e32 v7, v7, v23
	v_mul_f32_e32 v23, 0x3f317217, v6
	v_fma_f32 v23, v6, s16, -v23
	v_fmac_f32_e32 v23, 0x3377d1cf, v6
	v_fmac_f32_e32 v23, 0x3f317217, v6
	v_cmp_lt_f32_e64 s[2:3], |v6|, s15
	s_nop 1
	v_cndmask_b32_e64 v6, v6, v23, s[2:3]
	v_cndmask_b32_e32 v23, 0, v13, vcc
	v_cmp_lt_f32_e32 vcc, s14, v11
	v_sub_f32_e32 v6, v6, v23
	s_nop 0
	v_cndmask_b32_e32 v7, v7, v11, vcc
	v_mul_f32_e32 v11, 0x4f800000, v7
	v_cmp_gt_f32_e64 s[2:3], s11, v7
	v_cmp_lt_f32_e32 vcc, s14, v10
	s_nop 0
	v_cndmask_b32_e64 v7, v7, v11, s[2:3]
	v_sqrt_f32_e32 v11, v7
	v_cndmask_b32_e32 v6, v6, v10, vcc
	v_add_u32_e32 v10, -1, v11
	v_fma_f32 v23, -v10, v11, v7
	v_cmp_ge_f32_e32 vcc, 0, v23
	v_add_u32_e32 v23, 1, v11
	s_nop 0
	v_cndmask_b32_e32 v10, v11, v10, vcc
	v_fma_f32 v11, -v23, v11, v7
	v_cmp_lt_f32_e32 vcc, 0, v11
	s_nop 1
	v_cndmask_b32_e32 v10, v10, v23, vcc
	v_mul_f32_e32 v23, 0x4f800000, v6
	v_cmp_gt_f32_e32 vcc, s11, v6
	v_mul_f32_e32 v11, 0x37800000, v10
	v_cndmask_b32_e64 v10, v10, v11, s[2:3]
	v_cndmask_b32_e32 v6, v6, v23, vcc
	global_load_ushort v23, v[8:9], off offset:640
	global_load_ushort v24, v[8:9], off offset:704
	v_sqrt_f32_e32 v25, v6
	v_cmp_class_f32_e64 s[2:3], v7, v12
	global_load_ushort v27, v[8:9], off offset:768
	global_load_ushort v28, v[8:9], off offset:832
	v_mul_f32_e32 v8, 0x3fb8aa3b, v17
	v_mul_f32_e32 v9, 0x3fb8aa3b, v22
	v_cndmask_b32_e64 v7, v10, v7, s[2:3]
	v_add_u32_e32 v10, -1, v25
	v_exp_f32_e32 v8, v8
	v_exp_f32_e32 v9, v9
	v_fma_f32 v11, -v10, v25, v6
	v_cmp_ge_f32_e64 s[2:3], 0, v11
	v_add_u32_e32 v11, 1, v25
	v_pk_add_f32 v[8:9], v[8:9], 1.0 op_sel_hi:[1,0]
	v_cndmask_b32_e64 v10, v25, v10, s[2:3]
	v_fma_f32 v25, -v11, v25, v6
	v_cmp_lt_f32_e64 s[2:3], 0, v25
	s_waitcnt vmcnt(3)
	v_lshlrev_b32_e32 v23, 16, v23
	v_cndmask_b32_e64 v10, v10, v11, s[2:3]
	v_cmp_gt_f32_e64 s[2:3], s17, v9
	v_mul_f32_e32 v11, 0x37800000, v10
	v_cndmask_b32_e32 v10, v10, v11, vcc
	v_cndmask_b32_e64 v25, 1.0, v14, s[2:3]
	v_mul_f32_e32 v9, v9, v25
	v_log_f32_e32 v9, v9
	v_cmp_class_f32_e32 vcc, v6, v12
	s_waitcnt vmcnt(2)
	v_lshlrev_b32_e32 v24, 16, v24
	s_waitcnt vmcnt(0)
	v_lshlrev_b32_e32 v28, 16, v28
	v_cndmask_b32_e32 v6, v10, v6, vcc
	v_cmp_gt_f32_e32 vcc, s17, v8
	v_mul_f32_e32 v10, 0x3f317217, v9
	v_fma_f32 v10, v9, s16, -v10
	v_cndmask_b32_e32 v11, 1.0, v14, vcc
	v_mul_f32_e32 v8, v8, v11
	v_log_f32_e32 v8, v8
	v_fmac_f32_e32 v10, 0x3377d1cf, v9
	v_fmac_f32_e32 v10, 0x3f317217, v9
	v_cmp_lt_f32_e64 s[4:5], |v9|, s15
	v_lshlrev_b32_e32 v27, 16, v27
	s_nop 0
	v_cndmask_b32_e64 v9, v9, v10, s[4:5]
	v_cndmask_b32_e64 v10, 0, v13, s[2:3]
	v_sub_f32_e32 v9, v9, v10
	v_mul_f32_e32 v10, 0x3f317217, v8
	v_fma_f32 v10, v8, s16, -v10
	v_fmac_f32_e32 v10, 0x3377d1cf, v8
	v_fmac_f32_e32 v10, 0x3f317217, v8
	v_cmp_lt_f32_e64 s[2:3], |v8|, s15
	s_nop 1
	v_cndmask_b32_e64 v8, v8, v10, s[2:3]
	v_cndmask_b32_e32 v10, 0, v13, vcc
	v_cmp_lt_f32_e32 vcc, s14, v22
	v_sub_f32_e32 v8, v8, v10
	v_cmp_lt_f32_e64 s[2:3], s14, v17
	v_cndmask_b32_e32 v9, v9, v22, vcc
	v_mul_f32_e32 v11, 0x4f800000, v9
	v_cmp_gt_f32_e32 vcc, s11, v9
	v_cndmask_b32_e64 v8, v8, v17, s[2:3]
	s_nop 0
	v_cndmask_b32_e32 v9, v9, v11, vcc
	v_sqrt_f32_e32 v11, v9
	s_nop 0
	v_add_u32_e32 v10, -1, v11
	v_fma_f32 v17, -v10, v11, v9
	v_cmp_ge_f32_e64 s[2:3], 0, v17
	v_add_u32_e32 v17, 1, v11
	s_nop 0
	v_cndmask_b32_e64 v10, v11, v10, s[2:3]
	v_fma_f32 v11, -v17, v11, v9
	v_cmp_lt_f32_e64 s[2:3], 0, v11
	s_nop 1
	v_cndmask_b32_e64 v10, v10, v17, s[2:3]
	v_mul_f32_e32 v17, 0x4f800000, v8
	v_cmp_gt_f32_e64 s[2:3], s11, v8
	v_mul_f32_e32 v11, 0x37800000, v10
	v_cndmask_b32_e32 v10, v10, v11, vcc
	v_cndmask_b32_e64 v8, v8, v17, s[2:3]
	v_sqrt_f32_e32 v17, v8
	v_cmp_class_f32_e32 vcc, v9, v12
	v_add_u32_e32 v25, 1, v17
	s_nop 0
	v_cndmask_b32_e32 v9, v10, v9, vcc
	v_add_u32_e32 v10, -1, v17
	v_fma_f32 v11, -v10, v17, v8
	v_cmp_ge_f32_e32 vcc, 0, v11
	v_mul_f32_e32 v11, 0x3fb8aa3b, v24
	v_exp_f32_e32 v11, v11
	v_cndmask_b32_e32 v22, v17, v10, vcc
	v_mul_f32_e32 v10, 0x3fb8aa3b, v23
	v_exp_f32_e32 v10, v10
	v_fma_f32 v17, -v25, v17, v8
	v_cmp_lt_f32_e32 vcc, 0, v17
	v_pk_add_f32 v[10:11], v[10:11], 1.0 op_sel_hi:[1,0]
	s_nop 0
	v_cndmask_b32_e32 v17, v22, v25, vcc
	v_cmp_gt_f32_e32 vcc, s17, v11
	v_mul_f32_e32 v22, 0x37800000, v17
	v_cndmask_b32_e64 v17, v17, v22, s[2:3]
	v_cndmask_b32_e32 v25, 1.0, v14, vcc
	v_mul_f32_e32 v11, v11, v25
	v_log_f32_e32 v11, v11
	v_cmp_class_f32_e64 s[2:3], v8, v12
	v_cmp_lt_f32_e64 s[4:5], |v11|, s15
	s_nop 0
	v_cndmask_b32_e64 v8, v17, v8, s[2:3]
	v_cmp_gt_f32_e64 s[2:3], s17, v10
	v_mul_f32_e32 v17, 0x3f317217, v11
	v_fma_f32 v17, v11, s16, -v17
	v_cndmask_b32_e64 v22, 1.0, v14, s[2:3]
	v_mul_f32_e32 v10, v10, v22
	v_log_f32_e32 v10, v10
	v_fmac_f32_e32 v17, 0x3377d1cf, v11
	v_fmac_f32_e32 v17, 0x3f317217, v11
	v_cndmask_b32_e64 v11, v11, v17, s[4:5]
	v_cndmask_b32_e32 v17, 0, v13, vcc
	v_sub_f32_e32 v11, v11, v17
	v_mul_f32_e32 v17, 0x3f317217, v10
	v_fma_f32 v17, v10, s16, -v17
	v_fmac_f32_e32 v17, 0x3377d1cf, v10
	v_fmac_f32_e32 v17, 0x3f317217, v10
	v_cmp_lt_f32_e64 vcc, |v10|, s15
	s_nop 1
	v_cndmask_b32_e32 v10, v10, v17, vcc
	v_cmp_lt_f32_e32 vcc, s14, v24
	v_cndmask_b32_e64 v17, 0, v13, s[2:3]
	v_sub_f32_e32 v10, v10, v17
	v_cndmask_b32_e32 v11, v11, v24, vcc
	v_mul_f32_e32 v22, 0x4f800000, v11
	v_cmp_gt_f32_e32 vcc, s11, v11
	v_cmp_lt_f32_e64 s[2:3], s14, v23
	s_nop 0
	v_cndmask_b32_e32 v11, v11, v22, vcc
	v_sqrt_f32_e32 v22, v11
	v_cndmask_b32_e64 v10, v10, v23, s[2:3]
	v_add_u32_e32 v17, -1, v22
	v_fma_f32 v23, -v17, v22, v11
	v_cmp_ge_f32_e64 s[2:3], 0, v23
	v_add_u32_e32 v23, 1, v22
	s_nop 0
	v_cndmask_b32_e64 v17, v22, v17, s[2:3]
	v_fma_f32 v22, -v23, v22, v11
	v_cmp_lt_f32_e64 s[2:3], 0, v22
	s_nop 1
	v_cndmask_b32_e64 v17, v17, v23, s[2:3]
	v_mul_f32_e32 v23, 0x4f800000, v10
	v_cmp_gt_f32_e64 s[2:3], s11, v10
	v_mul_f32_e32 v22, 0x37800000, v17
	v_cndmask_b32_e32 v17, v17, v22, vcc
	v_cndmask_b32_e64 v10, v10, v23, s[2:3]
	v_sqrt_f32_e32 v23, v10
	v_cmp_class_f32_e32 vcc, v11, v12
	v_add_u32_e32 v24, 1, v23
	s_nop 0
	v_cndmask_b32_e32 v11, v17, v11, vcc
	v_add_u32_e32 v17, -1, v23
	v_fma_f32 v22, -v17, v23, v10
	v_cmp_ge_f32_e32 vcc, 0, v22
	v_fma_f32 v25, -v24, v23, v10
	v_mul_f32_e32 v22, 0x3fb8aa3b, v27
	v_cndmask_b32_e32 v17, v23, v17, vcc
	v_mul_f32_e32 v23, 0x3fb8aa3b, v28
	v_exp_f32_e32 v22, v22
	v_exp_f32_e32 v23, v23
	v_cmp_lt_f32_e32 vcc, 0, v25
	v_pk_add_f32 v[22:23], v[22:23], 1.0 op_sel_hi:[1,0]
	s_nop 0
	v_cndmask_b32_e32 v17, v17, v24, vcc
	v_cmp_gt_f32_e32 vcc, s17, v23
	v_mul_f32_e32 v24, 0x37800000, v17
	v_cndmask_b32_e64 v17, v17, v24, s[2:3]
	v_cndmask_b32_e32 v25, 1.0, v14, vcc
	v_mul_f32_e32 v23, v23, v25
	v_log_f32_e32 v23, v23
	v_cmp_class_f32_e64 s[2:3], v10, v12
	v_cmp_lt_f32_e64 s[4:5], |v23|, s15
	s_nop 0
	v_cndmask_b32_e64 v10, v17, v10, s[2:3]
	v_cmp_gt_f32_e64 s[2:3], s17, v22
	v_mul_f32_e32 v17, 0x3f317217, v23
	v_fma_f32 v17, v23, s16, -v17
	v_cndmask_b32_e64 v14, 1.0, v14, s[2:3]
	v_mul_f32_e32 v14, v22, v14
	v_log_f32_e32 v14, v14
	v_fmac_f32_e32 v17, 0x3377d1cf, v23
	v_fmac_f32_e32 v17, 0x3f317217, v23
	v_cndmask_b32_e64 v17, v23, v17, s[4:5]
	v_cndmask_b32_e32 v22, 0, v13, vcc
	v_sub_f32_e32 v17, v17, v22
	v_mul_f32_e32 v22, 0x3f317217, v14
	v_fma_f32 v22, v14, s16, -v22
	v_fmac_f32_e32 v22, 0x3377d1cf, v14
	v_fmac_f32_e32 v22, 0x3f317217, v14
	v_cmp_lt_f32_e64 vcc, |v14|, s15
	v_cndmask_b32_e64 v13, 0, v13, s[2:3]
	v_cmp_lt_f32_e64 s[2:3], s14, v27
	v_cndmask_b32_e32 v14, v14, v22, vcc
	v_cmp_lt_f32_e32 vcc, s14, v28
	v_sub_f32_e32 v13, v14, v13
	v_cndmask_b32_e64 v13, v13, v27, s[2:3]
	v_cndmask_b32_e32 v17, v17, v28, vcc
	v_mul_f32_e32 v22, 0x4f800000, v17
	v_cmp_gt_f32_e32 vcc, s11, v17
	s_nop 1
	v_cndmask_b32_e32 v17, v17, v22, vcc
	v_sqrt_f32_e32 v22, v17
	s_nop 0
	v_add_u32_e32 v14, -1, v22
	v_fma_f32 v23, -v14, v22, v17
	v_cmp_ge_f32_e64 s[2:3], 0, v23
	v_add_u32_e32 v23, 1, v22
	s_nop 0
	v_cndmask_b32_e64 v14, v22, v14, s[2:3]
	v_fma_f32 v22, -v23, v22, v17
	v_cmp_lt_f32_e64 s[2:3], 0, v22
	s_nop 1
	v_cndmask_b32_e64 v14, v14, v23, s[2:3]
	v_mul_f32_e32 v23, 0x4f800000, v13
	v_cmp_gt_f32_e64 s[2:3], s11, v13
	v_mul_f32_e32 v22, 0x37800000, v14
	s_nop 0
	v_cndmask_b32_e64 v23, v13, v23, s[2:3]
	v_sqrt_f32_e32 v24, v23
	v_cndmask_b32_e32 v13, v14, v22, vcc
	v_cmp_class_f32_e32 vcc, v17, v12
	v_add_u32_e32 v14, -1, v24
	s_nop 0
	v_cndmask_b32_e32 v13, v13, v17, vcc
	v_fma_f32 v17, -v14, v24, v23
	v_cmp_ge_f32_e32 vcc, 0, v17
	v_add_u32_e32 v17, 1, v24
	v_fma_f32 v22, -v17, v24, v23
	v_cndmask_b32_e32 v14, v24, v14, vcc
	v_cmp_lt_f32_e32 vcc, 0, v22
	s_nop 1
	v_cndmask_b32_e32 v14, v14, v17, vcc
	v_mul_f32_e32 v17, 0x37800000, v14
	v_cndmask_b32_e64 v14, v14, v17, s[2:3]
	v_cmp_class_f32_e32 vcc, v23, v12
	s_nop 1
	v_cndmask_b32_e32 v12, v14, v23, vcc
	s_and_b64 vcc, exec, s[12:13]
	v_mul_lo_u32 v14, v16, s24
	s_cbranch_vccnz .LBB534_28
; %bb.2:
	s_load_dwordx2 s[4:5], s[0:1], 0x20
	v_mul_lo_u32 v16, v16, s24
	s_cmp_lt_u32 s24, 4
	v_sub_u32_e32 v27, 0, v26
	s_cbranch_scc1 .LBB534_21
; %bb.3:
	s_mov_b32 s7, 0
	s_and_b32 s10, s24, 0x7ffffffc
	v_ashrrev_i32_e32 v17, 31, v16
	v_mov_b32_e32 v15, 0
	s_mov_b32 s6, s7
	s_branch .LBB534_5
.LBB534_4:                              ;   in Loop: Header=BB534_5 Depth=1
	s_or_b64 exec, exec, s[12:13]
	s_add_i32 s6, s6, 4
	s_cmp_eq_u32 s6, s10
	s_cbranch_scc1 .LBB534_21
.LBB534_5:                              ; =>This Loop Header: Depth=1
                                        ;     Child Loop BB534_7 Depth 2
                                        ;     Child Loop BB534_11 Depth 2
	;; [unrolled: 1-line block ×4, first 2 shown]
	v_lshl_add_u64 v[20:21], s[6:7], 3, v[18:19]
	global_load_dwordx2 v[22:23], v[20:21], off
	v_add_u32_e32 v24, s6, v16
	v_ashrrev_i32_e32 v25, 31, v24
	s_mov_b64 s[12:13], 0
	s_waitcnt lgkmcnt(0)
	v_lshl_add_u64 v[24:25], v[24:25], 3, s[4:5]
	s_mov_b64 s[14:15], 0
	s_waitcnt vmcnt(0)
	v_ashrrev_i32_e32 v23, 31, v22
	v_add_u32_e32 v28, v27, v22
	s_branch .LBB534_7
.LBB534_6:                              ;   in Loop: Header=BB534_7 Depth=2
	s_or_b64 exec, exec, s[16:17]
	s_cmp_gt_u32 s14, 12
	s_cselect_b64 s[2:3], -1, 0
	s_xor_b64 s[16:17], vcc, -1
	s_or_b64 s[2:3], s[16:17], s[2:3]
	s_add_u32 s14, s14, 1
	s_addc_u32 s15, s15, 0
	s_and_b64 s[2:3], exec, s[2:3]
	s_or_b64 s[12:13], s[2:3], s[12:13]
	v_subrev_u32_e32 v28, 32, v28
	s_andn2_b64 exec, exec, s[12:13]
	s_cbranch_execz .LBB534_9
.LBB534_7:                              ;   Parent Loop BB534_5 Depth=1
                                        ; =>  This Inner Loop Header: Depth=2
	v_cmp_ne_u32_e32 vcc, 0, v28
	v_cmp_eq_u32_e64 s[2:3], 0, v28
	s_and_saveexec_b64 s[16:17], s[2:3]
	s_cbranch_execz .LBB534_6
; %bb.8:                                ;   in Loop: Header=BB534_7 Depth=2
	s_set_gpr_idx_on s14, gpr_idx(SRC0)
	v_mov_b32_e32 v29, v0
	s_set_gpr_idx_off
	v_add_f32_e32 v15, v15, v29
	global_store_dwordx2 v[24:25], v[22:23], off
	s_branch .LBB534_6
.LBB534_9:                              ;   in Loop: Header=BB534_5 Depth=1
	s_or_b64 exec, exec, s[12:13]
	global_load_dwordx2 v[24:25], v[20:21], off offset:8
	s_ashr_i32 s3, s6, 31
	s_mov_b32 s2, s6
	v_lshl_add_u64 v[22:23], s[2:3], 0, v[16:17]
	s_mov_b64 s[12:13], 0
	v_lshl_add_u64 v[22:23], v[22:23], 3, s[4:5]
	s_mov_b64 s[14:15], 0
	s_waitcnt vmcnt(0)
	v_ashrrev_i32_e32 v25, 31, v24
	v_add_u32_e32 v28, v27, v24
	s_branch .LBB534_11
.LBB534_10:                             ;   in Loop: Header=BB534_11 Depth=2
	s_or_b64 exec, exec, s[16:17]
	s_cmp_gt_u32 s14, 12
	s_cselect_b64 s[2:3], -1, 0
	s_xor_b64 s[16:17], vcc, -1
	s_or_b64 s[2:3], s[16:17], s[2:3]
	s_add_u32 s14, s14, 1
	s_addc_u32 s15, s15, 0
	s_and_b64 s[2:3], exec, s[2:3]
	s_or_b64 s[12:13], s[2:3], s[12:13]
	v_subrev_u32_e32 v28, 32, v28
	s_andn2_b64 exec, exec, s[12:13]
	s_cbranch_execz .LBB534_13
.LBB534_11:                             ;   Parent Loop BB534_5 Depth=1
                                        ; =>  This Inner Loop Header: Depth=2
	v_cmp_ne_u32_e32 vcc, 0, v28
	v_cmp_eq_u32_e64 s[2:3], 0, v28
	s_and_saveexec_b64 s[16:17], s[2:3]
	s_cbranch_execz .LBB534_10
; %bb.12:                               ;   in Loop: Header=BB534_11 Depth=2
	s_set_gpr_idx_on s14, gpr_idx(SRC0)
	v_mov_b32_e32 v29, v0
	s_set_gpr_idx_off
	v_add_f32_e32 v15, v15, v29
	global_store_dwordx2 v[22:23], v[24:25], off offset:8
	s_branch .LBB534_10
.LBB534_13:                             ;   in Loop: Header=BB534_5 Depth=1
	s_or_b64 exec, exec, s[12:13]
	global_load_dwordx2 v[24:25], v[20:21], off offset:16
	s_mov_b64 s[12:13], 0
	s_mov_b64 s[14:15], 0
	s_waitcnt vmcnt(0)
	v_ashrrev_i32_e32 v25, 31, v24
	v_add_u32_e32 v28, v27, v24
	s_branch .LBB534_15
.LBB534_14:                             ;   in Loop: Header=BB534_15 Depth=2
	s_or_b64 exec, exec, s[16:17]
	s_cmp_gt_u32 s14, 12
	s_cselect_b64 s[2:3], -1, 0
	s_xor_b64 s[16:17], vcc, -1
	s_or_b64 s[2:3], s[16:17], s[2:3]
	s_add_u32 s14, s14, 1
	s_addc_u32 s15, s15, 0
	s_and_b64 s[2:3], exec, s[2:3]
	s_or_b64 s[12:13], s[2:3], s[12:13]
	v_subrev_u32_e32 v28, 32, v28
	s_andn2_b64 exec, exec, s[12:13]
	s_cbranch_execz .LBB534_17
.LBB534_15:                             ;   Parent Loop BB534_5 Depth=1
                                        ; =>  This Inner Loop Header: Depth=2
	v_cmp_ne_u32_e32 vcc, 0, v28
	v_cmp_eq_u32_e64 s[2:3], 0, v28
	s_and_saveexec_b64 s[16:17], s[2:3]
	s_cbranch_execz .LBB534_14
; %bb.16:                               ;   in Loop: Header=BB534_15 Depth=2
	s_set_gpr_idx_on s14, gpr_idx(SRC0)
	v_mov_b32_e32 v29, v0
	s_set_gpr_idx_off
	v_add_f32_e32 v15, v15, v29
	global_store_dwordx2 v[22:23], v[24:25], off offset:16
	s_branch .LBB534_14
.LBB534_17:                             ;   in Loop: Header=BB534_5 Depth=1
	s_or_b64 exec, exec, s[12:13]
	global_load_dwordx2 v[20:21], v[20:21], off offset:24
	s_mov_b64 s[12:13], 0
	s_mov_b64 s[14:15], 0
	s_waitcnt vmcnt(0)
	v_ashrrev_i32_e32 v21, 31, v20
	v_add_u32_e32 v24, v27, v20
	s_branch .LBB534_19
.LBB534_18:                             ;   in Loop: Header=BB534_19 Depth=2
	s_or_b64 exec, exec, s[16:17]
	s_cmp_gt_u32 s14, 12
	s_cselect_b64 s[2:3], -1, 0
	s_xor_b64 s[16:17], vcc, -1
	s_or_b64 s[2:3], s[16:17], s[2:3]
	s_add_u32 s14, s14, 1
	s_addc_u32 s15, s15, 0
	s_and_b64 s[2:3], exec, s[2:3]
	s_or_b64 s[12:13], s[2:3], s[12:13]
	v_subrev_u32_e32 v24, 32, v24
	s_andn2_b64 exec, exec, s[12:13]
	s_cbranch_execz .LBB534_4
.LBB534_19:                             ;   Parent Loop BB534_5 Depth=1
                                        ; =>  This Inner Loop Header: Depth=2
	v_cmp_ne_u32_e32 vcc, 0, v24
	v_cmp_eq_u32_e64 s[2:3], 0, v24
	s_and_saveexec_b64 s[16:17], s[2:3]
	s_cbranch_execz .LBB534_18
; %bb.20:                               ;   in Loop: Header=BB534_19 Depth=2
	s_set_gpr_idx_on s14, gpr_idx(SRC0)
	v_mov_b32_e32 v25, v0
	s_set_gpr_idx_off
	v_add_f32_e32 v15, v15, v25
	global_store_dwordx2 v[22:23], v[20:21], off offset:24
	s_branch .LBB534_18
.LBB534_21:
	s_and_b32 s16, s24, 3
	s_cmp_eq_u32 s16, 0
	s_mov_b32 s11, 0
	s_cbranch_scc1 .LBB534_28
; %bb.22:
	s_mov_b32 s17, s11
	s_branch .LBB534_24
.LBB534_23:                             ;   in Loop: Header=BB534_24 Depth=1
	s_or_b64 exec, exec, s[6:7]
	s_add_i32 s10, s10, 1
	s_add_i32 s17, s17, 1
	s_cmp_lg_u32 s17, s16
	s_cbranch_scc0 .LBB534_28
.LBB534_24:                             ; =>This Loop Header: Depth=1
                                        ;     Child Loop BB534_26 Depth 2
	v_lshl_add_u64 v[20:21], s[10:11], 3, v[18:19]
	global_load_dwordx2 v[20:21], v[20:21], off
	v_add_u32_e32 v22, s10, v16
	v_ashrrev_i32_e32 v23, 31, v22
	s_mov_b64 s[6:7], 0
	s_waitcnt lgkmcnt(0)
	v_lshl_add_u64 v[22:23], v[22:23], 3, s[4:5]
	s_mov_b64 s[12:13], 0
	s_waitcnt vmcnt(0)
	v_ashrrev_i32_e32 v21, 31, v20
	v_add_u32_e32 v17, v27, v20
	s_branch .LBB534_26
.LBB534_25:                             ;   in Loop: Header=BB534_26 Depth=2
	s_or_b64 exec, exec, s[14:15]
	s_cmp_gt_u32 s12, 12
	s_cselect_b64 s[2:3], -1, 0
	s_xor_b64 s[14:15], vcc, -1
	s_or_b64 s[2:3], s[14:15], s[2:3]
	s_add_u32 s12, s12, 1
	s_addc_u32 s13, s13, 0
	s_and_b64 s[2:3], exec, s[2:3]
	s_or_b64 s[6:7], s[2:3], s[6:7]
	v_subrev_u32_e32 v17, 32, v17
	s_andn2_b64 exec, exec, s[6:7]
	s_cbranch_execz .LBB534_23
.LBB534_26:                             ;   Parent Loop BB534_24 Depth=1
                                        ; =>  This Inner Loop Header: Depth=2
	v_cmp_ne_u32_e32 vcc, 0, v17
	v_cmp_eq_u32_e64 s[2:3], 0, v17
	s_and_saveexec_b64 s[14:15], s[2:3]
	s_cbranch_execz .LBB534_25
; %bb.27:                               ;   in Loop: Header=BB534_26 Depth=2
	s_set_gpr_idx_on s12, gpr_idx(SRC0)
	v_mov_b32_e32 v24, v0
	s_set_gpr_idx_off
	v_add_f32_e32 v15, v15, v24
	global_store_dwordx2 v[22:23], v[20:21], off
	s_branch .LBB534_25
.LBB534_28:
	s_waitcnt lgkmcnt(0)
	s_load_dword s4, s[0:1], 0x3c
	s_waitcnt lgkmcnt(0)
	s_bitcmp1_b32 s4, 0
	s_cselect_b64 s[2:3], -1, 0
	s_bitcmp0_b32 s4, 0
	s_cbranch_scc0 .LBB534_31
; %bb.29:
	s_load_dwordx2 s[4:5], s[0:1], 0x40
	s_andn2_b64 vcc, exec, s[2:3]
	s_waitcnt lgkmcnt(0)
	v_cvt_f32_f64_e32 v20, s[4:5]
	s_cbranch_vccz .LBB534_32
.LBB534_30:
	s_andn2_b64 vcc, exec, s[8:9]
	s_cbranch_vccz .LBB534_33
	s_branch .LBB534_63
.LBB534_31:
	v_mbcnt_lo_u32_b32 v16, -1, 0
	v_mbcnt_hi_u32_b32 v16, -1, v16
	v_and_b32_e32 v17, 0x60, v16
	v_add_u32_e32 v17, 32, v17
	v_xor_b32_e32 v20, 16, v16
	v_cmp_lt_i32_e32 vcc, v20, v17
	v_xor_b32_e32 v21, 8, v16
	s_nop 0
	v_cndmask_b32_e32 v20, v16, v20, vcc
	v_lshlrev_b32_e32 v20, 2, v20
	ds_bpermute_b32 v20, v20, v15
	v_cmp_lt_i32_e32 vcc, v21, v17
	s_waitcnt lgkmcnt(0)
	v_add_f32_e32 v15, v15, v20
	v_cndmask_b32_e32 v20, v16, v21, vcc
	v_lshlrev_b32_e32 v20, 2, v20
	ds_bpermute_b32 v20, v20, v15
	v_xor_b32_e32 v21, 4, v16
	v_cmp_lt_i32_e32 vcc, v21, v17
	s_waitcnt lgkmcnt(0)
	v_add_f32_e32 v15, v15, v20
	v_cndmask_b32_e32 v20, v16, v21, vcc
	v_lshlrev_b32_e32 v20, 2, v20
	ds_bpermute_b32 v20, v20, v15
	v_xor_b32_e32 v21, 2, v16
	;; [unrolled: 7-line block ×3, first 2 shown]
	v_cmp_lt_i32_e32 vcc, v21, v17
	s_waitcnt lgkmcnt(0)
	v_add_f32_e32 v15, v15, v20
	v_cndmask_b32_e32 v16, v16, v21, vcc
	v_lshlrev_b32_e32 v16, 2, v16
	ds_bpermute_b32 v16, v16, v15
	s_waitcnt lgkmcnt(0)
	v_add_f32_e32 v15, v15, v16
	s_load_dwordx2 s[4:5], s[0:1], 0x40
	s_andn2_b64 vcc, exec, s[2:3]
	s_waitcnt lgkmcnt(0)
	v_cvt_f32_f64_e32 v20, s[4:5]
	s_cbranch_vccnz .LBB534_30
.LBB534_32:
	v_cmp_lt_f32_e32 vcc, 0, v15
	s_nop 1
	v_cndmask_b32_e32 v15, 1.0, v15, vcc
	v_div_scale_f32 v16, s[2:3], v15, v15, v20
	v_rcp_f32_e32 v17, v16
	s_nop 0
	v_fma_f32 v21, -v16, v17, 1.0
	v_fmac_f32_e32 v17, v21, v17
	v_div_scale_f32 v21, vcc, v20, v15, v20
	v_mul_f32_e32 v22, v21, v17
	v_fma_f32 v23, -v16, v22, v21
	v_fmac_f32_e32 v22, v23, v17
	v_fma_f32 v16, -v16, v22, v21
	v_div_fmas_f32 v16, v16, v17, v22
	v_div_fixup_f32 v20, v16, v15, v20
	s_andn2_b64 vcc, exec, s[8:9]
	s_cbranch_vccnz .LBB534_63
.LBB534_33:
	s_load_dwordx2 s[26:27], s[0:1], 0x10
	v_or_b32_e32 v21, 32, v26
	v_or_b32_e32 v22, 64, v26
	;; [unrolled: 1-line block ×13, first 2 shown]
	s_branch .LBB534_35
.LBB534_34:                             ;   in Loop: Header=BB534_35 Depth=1
	s_or_b64 exec, exec, s[0:1]
	s_add_i32 s24, s24, -1
	v_add_u32_e32 v14, 1, v14
	s_cmp_lg_u32 s24, 0
	v_lshl_add_u64 v[18:19], v[18:19], 0, 8
	s_cbranch_scc0 .LBB534_63
.LBB534_35:                             ; =>This Inner Loop Header: Depth=1
	global_load_dword v15, v[18:19], off
	v_mov_b64_e32 v[16:17], 0
	s_waitcnt vmcnt(0)
	v_cmp_eq_u32_e32 vcc, v26, v15
	v_cmp_ne_u32_e64 s[0:1], v26, v15
	s_and_saveexec_b64 s[28:29], s[0:1]
	s_cbranch_execz .LBB534_61
; %bb.36:                               ;   in Loop: Header=BB534_35 Depth=1
	v_cmp_eq_u32_e64 s[0:1], v21, v15
	v_cmp_ne_u32_e64 s[2:3], v21, v15
	v_mov_b64_e32 v[16:17], 1
	s_and_saveexec_b64 s[30:31], s[2:3]
	s_cbranch_execz .LBB534_60
; %bb.37:                               ;   in Loop: Header=BB534_35 Depth=1
	v_cmp_eq_u32_e64 s[2:3], v22, v15
	v_cmp_ne_u32_e64 s[4:5], v22, v15
	v_mov_b64_e32 v[16:17], 2
	;; [unrolled: 6-line block ×12, first 2 shown]
	s_and_saveexec_b64 s[56:57], s[22:23]
	s_xor_b64 s[56:57], exec, s[56:57]
; %bb.48:                               ;   in Loop: Header=BB534_35 Depth=1
	v_cmp_eq_u32_e64 s[22:23], v34, v15
	s_andn2_b64 s[54:55], s[54:55], exec
	s_and_b64 s[22:23], s[22:23], exec
	v_mov_b64_e32 v[16:17], 13
	s_or_b64 s[54:55], s[54:55], s[22:23]
; %bb.49:                               ;   in Loop: Header=BB534_35 Depth=1
	s_or_b64 exec, exec, s[56:57]
	s_andn2_b64 s[20:21], s[20:21], exec
	s_and_b64 s[22:23], s[54:55], exec
	s_or_b64 s[20:21], s[20:21], s[22:23]
.LBB534_50:                             ;   in Loop: Header=BB534_35 Depth=1
	s_or_b64 exec, exec, s[52:53]
	s_andn2_b64 s[18:19], s[18:19], exec
	s_and_b64 s[20:21], s[20:21], exec
	s_or_b64 s[18:19], s[18:19], s[20:21]
.LBB534_51:                             ;   in Loop: Header=BB534_35 Depth=1
	s_or_b64 exec, exec, s[50:51]
	s_andn2_b64 s[16:17], s[16:17], exec
	s_and_b64 s[18:19], s[18:19], exec
	s_or_b64 s[16:17], s[16:17], s[18:19]
.LBB534_52:                             ;   in Loop: Header=BB534_35 Depth=1
	s_or_b64 exec, exec, s[48:49]
	s_andn2_b64 s[14:15], s[14:15], exec
	s_and_b64 s[16:17], s[16:17], exec
	s_or_b64 s[14:15], s[14:15], s[16:17]
.LBB534_53:                             ;   in Loop: Header=BB534_35 Depth=1
	s_or_b64 exec, exec, s[46:47]
	s_andn2_b64 s[12:13], s[12:13], exec
	s_and_b64 s[14:15], s[14:15], exec
	s_or_b64 s[12:13], s[12:13], s[14:15]
.LBB534_54:                             ;   in Loop: Header=BB534_35 Depth=1
	s_or_b64 exec, exec, s[44:45]
	s_andn2_b64 s[10:11], s[10:11], exec
	s_and_b64 s[12:13], s[12:13], exec
	s_or_b64 s[10:11], s[10:11], s[12:13]
.LBB534_55:                             ;   in Loop: Header=BB534_35 Depth=1
	s_or_b64 exec, exec, s[42:43]
	s_andn2_b64 s[8:9], s[8:9], exec
	s_and_b64 s[10:11], s[10:11], exec
	s_or_b64 s[8:9], s[8:9], s[10:11]
.LBB534_56:                             ;   in Loop: Header=BB534_35 Depth=1
	s_or_b64 exec, exec, s[40:41]
	s_andn2_b64 s[6:7], s[6:7], exec
	s_and_b64 s[8:9], s[8:9], exec
	s_or_b64 s[6:7], s[6:7], s[8:9]
.LBB534_57:                             ;   in Loop: Header=BB534_35 Depth=1
	s_or_b64 exec, exec, s[38:39]
	s_andn2_b64 s[4:5], s[4:5], exec
	s_and_b64 s[6:7], s[6:7], exec
	s_or_b64 s[4:5], s[4:5], s[6:7]
.LBB534_58:                             ;   in Loop: Header=BB534_35 Depth=1
	s_or_b64 exec, exec, s[36:37]
	s_andn2_b64 s[2:3], s[2:3], exec
	s_and_b64 s[4:5], s[4:5], exec
	s_or_b64 s[2:3], s[2:3], s[4:5]
.LBB534_59:                             ;   in Loop: Header=BB534_35 Depth=1
	s_or_b64 exec, exec, s[34:35]
	s_andn2_b64 s[0:1], s[0:1], exec
	s_and_b64 s[2:3], s[2:3], exec
	s_or_b64 s[0:1], s[0:1], s[2:3]
.LBB534_60:                             ;   in Loop: Header=BB534_35 Depth=1
	s_or_b64 exec, exec, s[30:31]
	s_andn2_b64 s[2:3], vcc, exec
	s_and_b64 s[0:1], s[0:1], exec
	s_or_b64 vcc, s[2:3], s[0:1]
.LBB534_61:                             ;   in Loop: Header=BB534_35 Depth=1
	s_or_b64 exec, exec, s[28:29]
	s_and_saveexec_b64 s[0:1], vcc
	s_cbranch_execz .LBB534_34
; %bb.62:                               ;   in Loop: Header=BB534_35 Depth=1
	v_cmp_eq_u32_e32 vcc, 1, v16
	s_nop 1
	v_cndmask_b32_e32 v15, v0, v1, vcc
	v_cmp_eq_u32_e32 vcc, 2, v16
	s_nop 1
	v_cndmask_b32_e32 v15, v15, v2, vcc
	;; [unrolled: 3-line block ×13, first 2 shown]
	v_mul_f32_e32 v35, v20, v15
	v_ashrrev_i32_e32 v15, 31, v14
	s_waitcnt lgkmcnt(0)
	v_lshl_add_u64 v[16:17], v[14:15], 2, s[26:27]
	global_store_dword v[16:17], v35, off
	s_branch .LBB534_34
.LBB534_63:
	s_endpgm
	.section	.rodata,"a",@progbits
	.p2align	6, 0x0
	.amdhsa_kernel _ZN4vllm3moe22topkGatingSoftplusSqrtILi14ELi448ELi4ELi2ELi32ELb1El14__hip_bfloat16EEvPKT6_PKbPfiPT5_PiiiibdPKfPKS9_SF_
		.amdhsa_group_segment_fixed_size 0
		.amdhsa_private_segment_fixed_size 0
		.amdhsa_kernarg_size 96
		.amdhsa_user_sgpr_count 2
		.amdhsa_user_sgpr_dispatch_ptr 0
		.amdhsa_user_sgpr_queue_ptr 0
		.amdhsa_user_sgpr_kernarg_segment_ptr 1
		.amdhsa_user_sgpr_dispatch_id 0
		.amdhsa_user_sgpr_kernarg_preload_length 0
		.amdhsa_user_sgpr_kernarg_preload_offset 0
		.amdhsa_user_sgpr_private_segment_size 0
		.amdhsa_uses_dynamic_stack 0
		.amdhsa_enable_private_segment 0
		.amdhsa_system_sgpr_workgroup_id_x 1
		.amdhsa_system_sgpr_workgroup_id_y 0
		.amdhsa_system_sgpr_workgroup_id_z 0
		.amdhsa_system_sgpr_workgroup_info 0
		.amdhsa_system_vgpr_workitem_id 1
		.amdhsa_next_free_vgpr 36
		.amdhsa_next_free_sgpr 58
		.amdhsa_accum_offset 36
		.amdhsa_reserve_vcc 1
		.amdhsa_float_round_mode_32 0
		.amdhsa_float_round_mode_16_64 0
		.amdhsa_float_denorm_mode_32 3
		.amdhsa_float_denorm_mode_16_64 3
		.amdhsa_dx10_clamp 1
		.amdhsa_ieee_mode 1
		.amdhsa_fp16_overflow 0
		.amdhsa_tg_split 0
		.amdhsa_exception_fp_ieee_invalid_op 0
		.amdhsa_exception_fp_denorm_src 0
		.amdhsa_exception_fp_ieee_div_zero 0
		.amdhsa_exception_fp_ieee_overflow 0
		.amdhsa_exception_fp_ieee_underflow 0
		.amdhsa_exception_fp_ieee_inexact 0
		.amdhsa_exception_int_div_zero 0
	.end_amdhsa_kernel
	.section	.text._ZN4vllm3moe22topkGatingSoftplusSqrtILi14ELi448ELi4ELi2ELi32ELb1El14__hip_bfloat16EEvPKT6_PKbPfiPT5_PiiiibdPKfPKS9_SF_,"axG",@progbits,_ZN4vllm3moe22topkGatingSoftplusSqrtILi14ELi448ELi4ELi2ELi32ELb1El14__hip_bfloat16EEvPKT6_PKbPfiPT5_PiiiibdPKfPKS9_SF_,comdat
.Lfunc_end534:
	.size	_ZN4vllm3moe22topkGatingSoftplusSqrtILi14ELi448ELi4ELi2ELi32ELb1El14__hip_bfloat16EEvPKT6_PKbPfiPT5_PiiiibdPKfPKS9_SF_, .Lfunc_end534-_ZN4vllm3moe22topkGatingSoftplusSqrtILi14ELi448ELi4ELi2ELi32ELb1El14__hip_bfloat16EEvPKT6_PKbPfiPT5_PiiiibdPKfPKS9_SF_
                                        ; -- End function
	.section	.AMDGPU.csdata,"",@progbits
; Kernel info:
; codeLenInByte = 5680
; NumSgprs: 64
; NumVgprs: 36
; NumAgprs: 0
; TotalNumVgprs: 36
; ScratchSize: 0
; MemoryBound: 0
; FloatMode: 240
; IeeeMode: 1
; LDSByteSize: 0 bytes/workgroup (compile time only)
; SGPRBlocks: 7
; VGPRBlocks: 4
; NumSGPRsForWavesPerEU: 64
; NumVGPRsForWavesPerEU: 36
; AccumOffset: 36
; Occupancy: 8
; WaveLimiterHint : 1
; COMPUTE_PGM_RSRC2:SCRATCH_EN: 0
; COMPUTE_PGM_RSRC2:USER_SGPR: 2
; COMPUTE_PGM_RSRC2:TRAP_HANDLER: 0
; COMPUTE_PGM_RSRC2:TGID_X_EN: 1
; COMPUTE_PGM_RSRC2:TGID_Y_EN: 0
; COMPUTE_PGM_RSRC2:TGID_Z_EN: 0
; COMPUTE_PGM_RSRC2:TIDIG_COMP_CNT: 1
; COMPUTE_PGM_RSRC3_GFX90A:ACCUM_OFFSET: 8
; COMPUTE_PGM_RSRC3_GFX90A:TG_SPLIT: 0
	.section	.text._ZN4vllm3moe22topkGatingSoftplusSqrtILi14ELi448ELi4ELi2ELi32ELb0El14__hip_bfloat16EEvPKT6_PKbPfiPT5_PiiiibdPKfPKS9_SF_,"axG",@progbits,_ZN4vllm3moe22topkGatingSoftplusSqrtILi14ELi448ELi4ELi2ELi32ELb0El14__hip_bfloat16EEvPKT6_PKbPfiPT5_PiiiibdPKfPKS9_SF_,comdat
	.protected	_ZN4vllm3moe22topkGatingSoftplusSqrtILi14ELi448ELi4ELi2ELi32ELb0El14__hip_bfloat16EEvPKT6_PKbPfiPT5_PiiiibdPKfPKS9_SF_ ; -- Begin function _ZN4vllm3moe22topkGatingSoftplusSqrtILi14ELi448ELi4ELi2ELi32ELb0El14__hip_bfloat16EEvPKT6_PKbPfiPT5_PiiiibdPKfPKS9_SF_
	.globl	_ZN4vllm3moe22topkGatingSoftplusSqrtILi14ELi448ELi4ELi2ELi32ELb0El14__hip_bfloat16EEvPKT6_PKbPfiPT5_PiiiibdPKfPKS9_SF_
	.p2align	8
	.type	_ZN4vllm3moe22topkGatingSoftplusSqrtILi14ELi448ELi4ELi2ELi32ELb0El14__hip_bfloat16EEvPKT6_PKbPfiPT5_PiiiibdPKfPKS9_SF_,@function
_ZN4vllm3moe22topkGatingSoftplusSqrtILi14ELi448ELi4ELi2ELi32ELb0El14__hip_bfloat16EEvPKT6_PKbPfiPT5_PiiiibdPKfPKS9_SF_: ; @_ZN4vllm3moe22topkGatingSoftplusSqrtILi14ELi448ELi4ELi2ELi32ELb0El14__hip_bfloat16EEvPKT6_PKbPfiPT5_PiiiibdPKfPKS9_SF_
; %bb.0:
	s_load_dword s30, s[0:1], 0x18
	v_and_b32_e32 v1, 0x3ff, v0
	s_lshl_b32 s2, s2, 2
	v_lshrrev_b32_e32 v2, 5, v1
	v_bfe_u32 v0, v0, 10, 10
	v_add3_u32 v14, s2, v0, v2
	s_waitcnt lgkmcnt(0)
	v_cmp_gt_i32_e32 vcc, s30, v14
	s_and_saveexec_b64 s[2:3], vcc
	s_cbranch_execz .LBB535_73
; %bb.1:
	s_load_dwordx4 s[4:7], s[0:1], 0x0
	s_load_dwordx2 s[20:21], s[0:1], 0x10
	s_waitcnt lgkmcnt(0)
	s_cmp_eq_u64 s[6:7], 0
	s_cbranch_scc1 .LBB535_3
; %bb.2:
	v_ashrrev_i32_e32 v15, 31, v14
	v_lshl_add_u64 v[2:3], s[6:7], 0, v[14:15]
	global_load_ubyte v0, v[2:3], off
	s_waitcnt vmcnt(0)
	v_and_b32_e32 v0, 1, v0
	v_cmp_eq_u32_e32 vcc, 1, v0
	s_xor_b64 s[2:3], vcc, -1
	s_orn2_b64 s[22:23], s[2:3], exec
	s_branch .LBB535_4
.LBB535_3:
	s_mov_b64 s[22:23], -1
.LBB535_4:
	s_movk_i32 s2, 0x1c0
	v_mul_lo_u32 v4, v14, s2
	v_mov_b32_e32 v2, s4
	v_mov_b32_e32 v3, s5
	v_ashrrev_i32_e32 v5, 31, v4
	v_and_b32_e32 v16, 31, v1
	v_lshl_add_u64 v[2:3], v[4:5], 1, v[2:3]
	v_mov_b32_e32 v1, 0
	v_lshlrev_b32_e32 v0, 1, v16
	v_lshl_add_u64 v[18:19], v[2:3], 0, v[0:1]
	global_load_ushort v0, v[18:19], off
	global_load_ushort v1, v[18:19], off offset:64
	global_load_ushort v2, v[18:19], off offset:128
	;; [unrolled: 1-line block ×13, first 2 shown]
	s_mov_b32 s16, 0x800000
	v_mov_b32_e32 v18, 0x4f800000
	s_mov_b32 s13, 0x3f317217
	s_mov_b32 s14, 0x7f800000
	v_mov_b32_e32 v19, 0x41b17218
	s_mov_b32 s12, 0x41a00000
	s_mov_b32 s15, 0xf800000
	s_load_dwordx4 s[8:11], s[0:1], 0x40
	s_waitcnt lgkmcnt(0)
	s_cmp_lg_u64 s[10:11], 0
	s_cselect_b64 s[6:7], -1, 0
	s_and_b64 s[2:3], exec, s[6:7]
	s_waitcnt vmcnt(13)
	v_lshlrev_b32_e32 v0, 16, v0
	v_mul_f32_e32 v15, 0x3fb8aa3b, v0
	v_exp_f32_e32 v15, v15
	s_nop 0
	v_add_f32_e32 v15, 1.0, v15
	v_cmp_gt_f32_e32 vcc, s16, v15
	s_nop 1
	v_cndmask_b32_e32 v17, 1.0, v18, vcc
	v_mul_f32_e32 v15, v15, v17
	v_log_f32_e32 v20, v15
	v_cndmask_b32_e32 v21, 0, v19, vcc
	v_mov_b32_e32 v17, 0x260
	v_lshlrev_b32_e32 v15, 2, v16
	v_mul_f32_e32 v22, 0x3f317217, v20
	v_fma_f32 v22, v20, s13, -v22
	v_fmac_f32_e32 v22, 0x3377d1cf, v20
	v_fmac_f32_e32 v22, 0x3f317217, v20
	v_cmp_lt_f32_e64 vcc, |v20|, s14
	s_nop 1
	v_cndmask_b32_e32 v20, v20, v22, vcc
	v_sub_f32_e32 v20, v20, v21
	v_cmp_lt_f32_e32 vcc, s12, v0
	s_nop 1
	v_cndmask_b32_e32 v0, v20, v0, vcc
	v_mul_f32_e32 v20, 0x4f800000, v0
	v_cmp_gt_f32_e32 vcc, s15, v0
	s_nop 1
	v_cndmask_b32_e32 v0, v0, v20, vcc
	v_sqrt_f32_e32 v20, v0
	s_nop 0
	v_add_u32_e32 v21, -1, v20
	v_add_u32_e32 v22, 1, v20
	v_fma_f32 v23, -v21, v20, v0
	v_fma_f32 v24, -v22, v20, v0
	v_cmp_ge_f32_e64 s[4:5], 0, v23
	s_nop 1
	v_cndmask_b32_e64 v20, v20, v21, s[4:5]
	v_cmp_lt_f32_e64 s[4:5], 0, v24
	s_nop 1
	v_cndmask_b32_e64 v20, v20, v22, s[4:5]
	v_mul_f32_e32 v21, 0x37800000, v20
	v_cndmask_b32_e32 v20, v20, v21, vcc
	v_cmp_class_f32_e32 vcc, v0, v17
	s_nop 1
	v_cndmask_b32_e32 v0, v20, v0, vcc
	s_mov_b64 vcc, s[2:3]
	s_cbranch_vccz .LBB535_6
; %bb.5:
	global_load_dword v20, v15, s[10:11]
	s_waitcnt vmcnt(0)
	v_add_f32_e32 v0, v0, v20
.LBB535_6:
	s_waitcnt vmcnt(12)
	v_lshlrev_b32_e32 v1, 16, v1
	v_mul_f32_e32 v20, 0x3fb8aa3b, v1
	v_exp_f32_e32 v20, v20
	s_nop 0
	v_add_f32_e32 v20, 1.0, v20
	v_cmp_gt_f32_e32 vcc, s16, v20
	s_nop 1
	v_cndmask_b32_e32 v18, 1.0, v18, vcc
	v_mul_f32_e32 v18, v20, v18
	v_log_f32_e32 v18, v18
	v_cndmask_b32_e32 v19, 0, v19, vcc
	v_mul_f32_e32 v20, 0x3f317217, v18
	v_fma_f32 v20, v18, s13, -v20
	v_fmac_f32_e32 v20, 0x3377d1cf, v18
	v_fmac_f32_e32 v20, 0x3f317217, v18
	v_cmp_lt_f32_e64 vcc, |v18|, s14
	s_nop 1
	v_cndmask_b32_e32 v18, v18, v20, vcc
	v_sub_f32_e32 v18, v18, v19
	v_cmp_lt_f32_e32 vcc, s12, v1
	s_nop 1
	v_cndmask_b32_e32 v1, v18, v1, vcc
	v_mul_f32_e32 v18, 0x4f800000, v1
	v_cmp_gt_f32_e32 vcc, s15, v1
	s_nop 1
	v_cndmask_b32_e32 v1, v1, v18, vcc
	v_sqrt_f32_e32 v18, v1
	v_cmp_class_f32_e64 s[4:5], v1, v17
	v_add_u32_e32 v19, -1, v18
	v_add_u32_e32 v20, 1, v18
	v_fma_f32 v21, -v19, v18, v1
	v_fma_f32 v22, -v20, v18, v1
	v_cmp_ge_f32_e64 s[2:3], 0, v21
	s_nop 1
	v_cndmask_b32_e64 v18, v18, v19, s[2:3]
	v_cmp_lt_f32_e64 s[2:3], 0, v22
	s_nop 1
	v_cndmask_b32_e64 v18, v18, v20, s[2:3]
	v_mul_f32_e32 v19, 0x37800000, v18
	v_cndmask_b32_e32 v18, v18, v19, vcc
	v_cndmask_b32_e64 v19, 0, 1, s[6:7]
	v_cmp_ne_u32_e64 s[2:3], 1, v19
	s_andn2_b64 vcc, exec, s[6:7]
	v_cndmask_b32_e64 v1, v18, v1, s[4:5]
	s_cbranch_vccnz .LBB535_8
; %bb.7:
	global_load_dword v17, v15, s[10:11] offset:128
	s_waitcnt vmcnt(0)
	v_add_f32_e32 v1, v1, v17
.LBB535_8:
	s_waitcnt vmcnt(11)
	v_lshlrev_b32_e32 v2, 16, v2
	v_mul_f32_e32 v17, 0x3fb8aa3b, v2
	v_exp_f32_e32 v17, v17
	s_mov_b32 s14, 0x800000
	v_mov_b32_e32 v18, 0x4f800000
	s_mov_b32 s7, 0x3f317217
	v_add_f32_e32 v17, 1.0, v17
	v_cmp_gt_f32_e32 vcc, s14, v17
	s_mov_b32 s12, 0x7f800000
	s_mov_b32 s6, 0x41a00000
	v_cndmask_b32_e32 v19, 1.0, v18, vcc
	v_mul_f32_e32 v17, v17, v19
	v_log_f32_e32 v17, v17
	s_mov_b32 s13, 0xf800000
	v_mul_f32_e32 v19, 0x3f317217, v17
	v_fma_f32 v19, v17, s7, -v19
	v_fmac_f32_e32 v19, 0x3377d1cf, v17
	v_fmac_f32_e32 v19, 0x3f317217, v17
	v_cmp_lt_f32_e64 s[4:5], |v17|, s12
	s_nop 1
	v_cndmask_b32_e64 v17, v17, v19, s[4:5]
	v_mov_b32_e32 v19, 0x41b17218
	v_cndmask_b32_e32 v20, 0, v19, vcc
	v_sub_f32_e32 v17, v17, v20
	v_cmp_lt_f32_e32 vcc, s6, v2
	s_nop 1
	v_cndmask_b32_e32 v2, v17, v2, vcc
	v_mul_f32_e32 v17, 0x4f800000, v2
	v_cmp_gt_f32_e32 vcc, s13, v2
	s_nop 1
	v_cndmask_b32_e32 v2, v2, v17, vcc
	v_sqrt_f32_e32 v17, v2
	s_nop 0
	v_add_u32_e32 v20, -1, v17
	v_fma_f32 v21, -v20, v17, v2
	v_cmp_ge_f32_e64 s[4:5], 0, v21
	v_add_u32_e32 v21, 1, v17
	s_nop 0
	v_cndmask_b32_e64 v20, v17, v20, s[4:5]
	v_fma_f32 v17, -v21, v17, v2
	v_cmp_lt_f32_e64 s[4:5], 0, v17
	s_nop 1
	v_cndmask_b32_e64 v17, v20, v21, s[4:5]
	v_mul_f32_e32 v20, 0x37800000, v17
	v_cndmask_b32_e32 v20, v17, v20, vcc
	v_mov_b32_e32 v17, 0x260
	v_cmp_class_f32_e64 s[4:5], v2, v17
	s_and_b64 vcc, exec, s[2:3]
	s_nop 0
	v_cndmask_b32_e64 v2, v20, v2, s[4:5]
	s_cbranch_vccnz .LBB535_10
; %bb.9:
	global_load_dword v20, v15, s[10:11] offset:256
	s_waitcnt vmcnt(0)
	v_add_f32_e32 v2, v2, v20
.LBB535_10:
	s_waitcnt vmcnt(10)
	v_lshlrev_b32_e32 v3, 16, v3
	v_mul_f32_e32 v20, 0x3fb8aa3b, v3
	v_exp_f32_e32 v20, v20
	s_nop 0
	v_add_f32_e32 v20, 1.0, v20
	v_cmp_gt_f32_e32 vcc, s14, v20
	s_nop 1
	v_cndmask_b32_e32 v18, 1.0, v18, vcc
	v_mul_f32_e32 v18, v20, v18
	v_log_f32_e32 v18, v18
	v_cndmask_b32_e32 v19, 0, v19, vcc
	v_mul_f32_e32 v20, 0x3f317217, v18
	v_fma_f32 v20, v18, s7, -v20
	v_fmac_f32_e32 v20, 0x3377d1cf, v18
	v_fmac_f32_e32 v20, 0x3f317217, v18
	v_cmp_lt_f32_e64 vcc, |v18|, s12
	s_nop 1
	v_cndmask_b32_e32 v18, v18, v20, vcc
	v_sub_f32_e32 v18, v18, v19
	v_cmp_lt_f32_e32 vcc, s6, v3
	s_nop 1
	v_cndmask_b32_e32 v3, v18, v3, vcc
	v_mul_f32_e32 v18, 0x4f800000, v3
	v_cmp_gt_f32_e32 vcc, s13, v3
	s_nop 1
	v_cndmask_b32_e32 v3, v3, v18, vcc
	v_sqrt_f32_e32 v18, v3
	s_nop 0
	v_add_u32_e32 v19, -1, v18
	v_add_u32_e32 v20, 1, v18
	v_fma_f32 v21, -v19, v18, v3
	v_fma_f32 v22, -v20, v18, v3
	v_cmp_ge_f32_e64 s[4:5], 0, v21
	s_nop 1
	v_cndmask_b32_e64 v18, v18, v19, s[4:5]
	v_cmp_lt_f32_e64 s[4:5], 0, v22
	s_nop 1
	v_cndmask_b32_e64 v18, v18, v20, s[4:5]
	v_mul_f32_e32 v19, 0x37800000, v18
	v_cndmask_b32_e32 v18, v18, v19, vcc
	v_cmp_class_f32_e64 s[4:5], v3, v17
	s_and_b64 vcc, exec, s[2:3]
	s_nop 0
	v_cndmask_b32_e64 v3, v18, v3, s[4:5]
	s_cbranch_vccnz .LBB535_12
; %bb.11:
	global_load_dword v17, v15, s[10:11] offset:384
	s_waitcnt vmcnt(0)
	v_add_f32_e32 v3, v3, v17
.LBB535_12:
	s_waitcnt vmcnt(9)
	v_lshlrev_b32_e32 v4, 16, v4
	v_mul_f32_e32 v17, 0x3fb8aa3b, v4
	v_exp_f32_e32 v17, v17
	v_mov_b32_e32 v18, 0x4f800000
	v_add_f32_e32 v17, 1.0, v17
	v_cmp_gt_f32_e32 vcc, s14, v17
	s_nop 1
	v_cndmask_b32_e32 v19, 1.0, v18, vcc
	v_mul_f32_e32 v17, v17, v19
	v_log_f32_e32 v17, v17
	s_nop 0
	v_mul_f32_e32 v19, 0x3f317217, v17
	v_fma_f32 v19, v17, s7, -v19
	v_fmac_f32_e32 v19, 0x3377d1cf, v17
	v_fmac_f32_e32 v19, 0x3f317217, v17
	v_cmp_lt_f32_e64 s[4:5], |v17|, s12
	s_nop 1
	v_cndmask_b32_e64 v17, v17, v19, s[4:5]
	v_mov_b32_e32 v19, 0x41b17218
	v_cndmask_b32_e32 v20, 0, v19, vcc
	v_sub_f32_e32 v17, v17, v20
	v_cmp_lt_f32_e32 vcc, s6, v4
	s_nop 1
	v_cndmask_b32_e32 v4, v17, v4, vcc
	v_mul_f32_e32 v17, 0x4f800000, v4
	v_cmp_gt_f32_e32 vcc, s13, v4
	s_nop 1
	v_cndmask_b32_e32 v4, v4, v17, vcc
	v_sqrt_f32_e32 v17, v4
	s_nop 0
	v_add_u32_e32 v20, -1, v17
	v_fma_f32 v21, -v20, v17, v4
	v_cmp_ge_f32_e64 s[4:5], 0, v21
	v_add_u32_e32 v21, 1, v17
	s_nop 0
	v_cndmask_b32_e64 v20, v17, v20, s[4:5]
	v_fma_f32 v17, -v21, v17, v4
	v_cmp_lt_f32_e64 s[4:5], 0, v17
	s_nop 1
	v_cndmask_b32_e64 v17, v20, v21, s[4:5]
	v_mul_f32_e32 v20, 0x37800000, v17
	v_cndmask_b32_e32 v20, v17, v20, vcc
	v_mov_b32_e32 v17, 0x260
	v_cmp_class_f32_e64 s[4:5], v4, v17
	s_and_b64 vcc, exec, s[2:3]
	s_nop 0
	v_cndmask_b32_e64 v4, v20, v4, s[4:5]
	s_cbranch_vccnz .LBB535_14
; %bb.13:
	global_load_dword v20, v15, s[10:11] offset:512
	s_waitcnt vmcnt(0)
	v_add_f32_e32 v4, v4, v20
.LBB535_14:
	s_waitcnt vmcnt(8)
	v_lshlrev_b32_e32 v5, 16, v5
	v_mul_f32_e32 v20, 0x3fb8aa3b, v5
	v_exp_f32_e32 v20, v20
	s_nop 0
	v_add_f32_e32 v20, 1.0, v20
	v_cmp_gt_f32_e32 vcc, s14, v20
	s_nop 1
	v_cndmask_b32_e32 v18, 1.0, v18, vcc
	v_mul_f32_e32 v18, v20, v18
	v_log_f32_e32 v18, v18
	v_cndmask_b32_e32 v19, 0, v19, vcc
	v_mul_f32_e32 v20, 0x3f317217, v18
	v_fma_f32 v20, v18, s7, -v20
	v_fmac_f32_e32 v20, 0x3377d1cf, v18
	v_fmac_f32_e32 v20, 0x3f317217, v18
	v_cmp_lt_f32_e64 vcc, |v18|, s12
	s_nop 1
	v_cndmask_b32_e32 v18, v18, v20, vcc
	v_sub_f32_e32 v18, v18, v19
	v_cmp_lt_f32_e32 vcc, s6, v5
	s_nop 1
	v_cndmask_b32_e32 v5, v18, v5, vcc
	v_mul_f32_e32 v18, 0x4f800000, v5
	v_cmp_gt_f32_e32 vcc, s13, v5
	s_nop 1
	v_cndmask_b32_e32 v5, v5, v18, vcc
	v_sqrt_f32_e32 v18, v5
	s_nop 0
	v_add_u32_e32 v19, -1, v18
	v_add_u32_e32 v20, 1, v18
	v_fma_f32 v21, -v19, v18, v5
	v_fma_f32 v22, -v20, v18, v5
	v_cmp_ge_f32_e64 s[4:5], 0, v21
	s_nop 1
	v_cndmask_b32_e64 v18, v18, v19, s[4:5]
	v_cmp_lt_f32_e64 s[4:5], 0, v22
	s_nop 1
	v_cndmask_b32_e64 v18, v18, v20, s[4:5]
	v_mul_f32_e32 v19, 0x37800000, v18
	v_cndmask_b32_e32 v18, v18, v19, vcc
	v_cmp_class_f32_e64 s[4:5], v5, v17
	s_and_b64 vcc, exec, s[2:3]
	s_nop 0
	v_cndmask_b32_e64 v5, v18, v5, s[4:5]
	s_cbranch_vccnz .LBB535_16
; %bb.15:
	global_load_dword v17, v15, s[10:11] offset:640
	s_waitcnt vmcnt(0)
	v_add_f32_e32 v5, v5, v17
.LBB535_16:
	s_waitcnt vmcnt(7)
	v_lshlrev_b32_e32 v6, 16, v6
	v_mul_f32_e32 v17, 0x3fb8aa3b, v6
	v_exp_f32_e32 v17, v17
	v_mov_b32_e32 v18, 0x4f800000
	v_add_f32_e32 v17, 1.0, v17
	v_cmp_gt_f32_e32 vcc, s14, v17
	s_nop 1
	v_cndmask_b32_e32 v19, 1.0, v18, vcc
	v_mul_f32_e32 v17, v17, v19
	v_log_f32_e32 v17, v17
	s_nop 0
	v_mul_f32_e32 v19, 0x3f317217, v17
	v_fma_f32 v19, v17, s7, -v19
	v_fmac_f32_e32 v19, 0x3377d1cf, v17
	v_fmac_f32_e32 v19, 0x3f317217, v17
	v_cmp_lt_f32_e64 s[4:5], |v17|, s12
	s_nop 1
	v_cndmask_b32_e64 v17, v17, v19, s[4:5]
	v_mov_b32_e32 v19, 0x41b17218
	v_cndmask_b32_e32 v20, 0, v19, vcc
	v_sub_f32_e32 v17, v17, v20
	v_cmp_lt_f32_e32 vcc, s6, v6
	s_nop 1
	v_cndmask_b32_e32 v6, v17, v6, vcc
	v_mul_f32_e32 v17, 0x4f800000, v6
	v_cmp_gt_f32_e32 vcc, s13, v6
	s_nop 1
	v_cndmask_b32_e32 v6, v6, v17, vcc
	v_sqrt_f32_e32 v17, v6
	s_nop 0
	v_add_u32_e32 v20, -1, v17
	v_fma_f32 v21, -v20, v17, v6
	v_cmp_ge_f32_e64 s[4:5], 0, v21
	v_add_u32_e32 v21, 1, v17
	s_nop 0
	v_cndmask_b32_e64 v20, v17, v20, s[4:5]
	v_fma_f32 v17, -v21, v17, v6
	v_cmp_lt_f32_e64 s[4:5], 0, v17
	s_nop 1
	v_cndmask_b32_e64 v17, v20, v21, s[4:5]
	v_mul_f32_e32 v20, 0x37800000, v17
	v_cndmask_b32_e32 v20, v17, v20, vcc
	v_mov_b32_e32 v17, 0x260
	v_cmp_class_f32_e64 s[4:5], v6, v17
	s_and_b64 vcc, exec, s[2:3]
	s_nop 0
	v_cndmask_b32_e64 v6, v20, v6, s[4:5]
	s_cbranch_vccnz .LBB535_18
; %bb.17:
	global_load_dword v20, v15, s[10:11] offset:768
	s_waitcnt vmcnt(0)
	v_add_f32_e32 v6, v6, v20
.LBB535_18:
	s_waitcnt vmcnt(6)
	v_lshlrev_b32_e32 v7, 16, v7
	v_mul_f32_e32 v20, 0x3fb8aa3b, v7
	v_exp_f32_e32 v20, v20
	s_nop 0
	v_add_f32_e32 v20, 1.0, v20
	v_cmp_gt_f32_e32 vcc, s14, v20
	s_nop 1
	v_cndmask_b32_e32 v18, 1.0, v18, vcc
	v_mul_f32_e32 v18, v20, v18
	v_log_f32_e32 v18, v18
	v_cndmask_b32_e32 v19, 0, v19, vcc
	v_mul_f32_e32 v20, 0x3f317217, v18
	v_fma_f32 v20, v18, s7, -v20
	v_fmac_f32_e32 v20, 0x3377d1cf, v18
	v_fmac_f32_e32 v20, 0x3f317217, v18
	v_cmp_lt_f32_e64 vcc, |v18|, s12
	s_nop 1
	v_cndmask_b32_e32 v18, v18, v20, vcc
	v_sub_f32_e32 v18, v18, v19
	v_cmp_lt_f32_e32 vcc, s6, v7
	s_nop 1
	v_cndmask_b32_e32 v7, v18, v7, vcc
	v_mul_f32_e32 v18, 0x4f800000, v7
	v_cmp_gt_f32_e32 vcc, s13, v7
	s_nop 1
	v_cndmask_b32_e32 v7, v7, v18, vcc
	v_sqrt_f32_e32 v18, v7
	s_nop 0
	v_add_u32_e32 v19, -1, v18
	v_add_u32_e32 v20, 1, v18
	v_fma_f32 v21, -v19, v18, v7
	v_fma_f32 v22, -v20, v18, v7
	v_cmp_ge_f32_e64 s[4:5], 0, v21
	s_nop 1
	v_cndmask_b32_e64 v18, v18, v19, s[4:5]
	v_cmp_lt_f32_e64 s[4:5], 0, v22
	s_nop 1
	v_cndmask_b32_e64 v18, v18, v20, s[4:5]
	v_mul_f32_e32 v19, 0x37800000, v18
	v_cndmask_b32_e32 v18, v18, v19, vcc
	v_cmp_class_f32_e64 s[4:5], v7, v17
	s_and_b64 vcc, exec, s[2:3]
	s_nop 0
	v_cndmask_b32_e64 v7, v18, v7, s[4:5]
	s_cbranch_vccnz .LBB535_20
; %bb.19:
	global_load_dword v17, v15, s[10:11] offset:896
	s_waitcnt vmcnt(0)
	v_add_f32_e32 v7, v7, v17
.LBB535_20:
	s_waitcnt vmcnt(5)
	v_lshlrev_b32_e32 v8, 16, v8
	v_mul_f32_e32 v17, 0x3fb8aa3b, v8
	v_exp_f32_e32 v17, v17
	v_mov_b32_e32 v18, 0x4f800000
	v_add_f32_e32 v17, 1.0, v17
	v_cmp_gt_f32_e32 vcc, s14, v17
	s_nop 1
	v_cndmask_b32_e32 v19, 1.0, v18, vcc
	v_mul_f32_e32 v17, v17, v19
	v_log_f32_e32 v17, v17
	s_nop 0
	v_mul_f32_e32 v19, 0x3f317217, v17
	v_fma_f32 v19, v17, s7, -v19
	v_fmac_f32_e32 v19, 0x3377d1cf, v17
	v_fmac_f32_e32 v19, 0x3f317217, v17
	v_cmp_lt_f32_e64 s[4:5], |v17|, s12
	s_nop 1
	v_cndmask_b32_e64 v17, v17, v19, s[4:5]
	v_mov_b32_e32 v19, 0x41b17218
	v_cndmask_b32_e32 v20, 0, v19, vcc
	v_sub_f32_e32 v17, v17, v20
	v_cmp_lt_f32_e32 vcc, s6, v8
	s_nop 1
	v_cndmask_b32_e32 v8, v17, v8, vcc
	v_mul_f32_e32 v17, 0x4f800000, v8
	v_cmp_gt_f32_e32 vcc, s13, v8
	s_nop 1
	v_cndmask_b32_e32 v8, v8, v17, vcc
	v_sqrt_f32_e32 v17, v8
	s_nop 0
	v_add_u32_e32 v20, -1, v17
	v_fma_f32 v21, -v20, v17, v8
	v_cmp_ge_f32_e64 s[4:5], 0, v21
	v_add_u32_e32 v21, 1, v17
	s_nop 0
	v_cndmask_b32_e64 v20, v17, v20, s[4:5]
	v_fma_f32 v17, -v21, v17, v8
	v_cmp_lt_f32_e64 s[4:5], 0, v17
	s_nop 1
	v_cndmask_b32_e64 v17, v20, v21, s[4:5]
	v_mul_f32_e32 v20, 0x37800000, v17
	v_cndmask_b32_e32 v20, v17, v20, vcc
	v_mov_b32_e32 v17, 0x260
	v_cmp_class_f32_e64 s[4:5], v8, v17
	s_and_b64 vcc, exec, s[2:3]
	s_nop 0
	v_cndmask_b32_e64 v8, v20, v8, s[4:5]
	s_cbranch_vccnz .LBB535_22
; %bb.21:
	global_load_dword v20, v15, s[10:11] offset:1024
	s_waitcnt vmcnt(0)
	v_add_f32_e32 v8, v8, v20
.LBB535_22:
	s_waitcnt vmcnt(4)
	v_lshlrev_b32_e32 v9, 16, v9
	v_mul_f32_e32 v20, 0x3fb8aa3b, v9
	v_exp_f32_e32 v20, v20
	s_nop 0
	v_add_f32_e32 v20, 1.0, v20
	v_cmp_gt_f32_e32 vcc, s14, v20
	s_nop 1
	v_cndmask_b32_e32 v18, 1.0, v18, vcc
	v_mul_f32_e32 v18, v20, v18
	v_log_f32_e32 v18, v18
	v_cndmask_b32_e32 v19, 0, v19, vcc
	v_mul_f32_e32 v20, 0x3f317217, v18
	v_fma_f32 v20, v18, s7, -v20
	v_fmac_f32_e32 v20, 0x3377d1cf, v18
	v_fmac_f32_e32 v20, 0x3f317217, v18
	v_cmp_lt_f32_e64 vcc, |v18|, s12
	s_nop 1
	v_cndmask_b32_e32 v18, v18, v20, vcc
	v_sub_f32_e32 v18, v18, v19
	v_cmp_lt_f32_e32 vcc, s6, v9
	s_nop 1
	v_cndmask_b32_e32 v9, v18, v9, vcc
	v_mul_f32_e32 v18, 0x4f800000, v9
	v_cmp_gt_f32_e32 vcc, s13, v9
	s_nop 1
	v_cndmask_b32_e32 v9, v9, v18, vcc
	v_sqrt_f32_e32 v18, v9
	s_nop 0
	v_add_u32_e32 v19, -1, v18
	v_add_u32_e32 v20, 1, v18
	v_fma_f32 v21, -v19, v18, v9
	v_fma_f32 v22, -v20, v18, v9
	v_cmp_ge_f32_e64 s[4:5], 0, v21
	s_nop 1
	v_cndmask_b32_e64 v18, v18, v19, s[4:5]
	v_cmp_lt_f32_e64 s[4:5], 0, v22
	s_nop 1
	v_cndmask_b32_e64 v18, v18, v20, s[4:5]
	v_mul_f32_e32 v19, 0x37800000, v18
	v_cndmask_b32_e32 v18, v18, v19, vcc
	v_cmp_class_f32_e64 s[4:5], v9, v17
	s_and_b64 vcc, exec, s[2:3]
	s_nop 0
	v_cndmask_b32_e64 v9, v18, v9, s[4:5]
	s_cbranch_vccnz .LBB535_24
; %bb.23:
	global_load_dword v17, v15, s[10:11] offset:1152
	s_waitcnt vmcnt(0)
	v_add_f32_e32 v9, v9, v17
.LBB535_24:
	s_waitcnt vmcnt(3)
	v_lshlrev_b32_e32 v10, 16, v10
	v_mul_f32_e32 v17, 0x3fb8aa3b, v10
	v_exp_f32_e32 v17, v17
	v_mov_b32_e32 v18, 0x4f800000
	v_add_f32_e32 v17, 1.0, v17
	v_cmp_gt_f32_e32 vcc, s14, v17
	s_nop 1
	v_cndmask_b32_e32 v19, 1.0, v18, vcc
	v_mul_f32_e32 v17, v17, v19
	v_log_f32_e32 v17, v17
	s_nop 0
	v_mul_f32_e32 v19, 0x3f317217, v17
	v_fma_f32 v19, v17, s7, -v19
	v_fmac_f32_e32 v19, 0x3377d1cf, v17
	v_fmac_f32_e32 v19, 0x3f317217, v17
	v_cmp_lt_f32_e64 s[4:5], |v17|, s12
	s_nop 1
	v_cndmask_b32_e64 v17, v17, v19, s[4:5]
	v_mov_b32_e32 v19, 0x41b17218
	v_cndmask_b32_e32 v20, 0, v19, vcc
	v_sub_f32_e32 v17, v17, v20
	v_cmp_lt_f32_e32 vcc, s6, v10
	s_nop 1
	v_cndmask_b32_e32 v10, v17, v10, vcc
	v_mul_f32_e32 v17, 0x4f800000, v10
	v_cmp_gt_f32_e32 vcc, s13, v10
	s_nop 1
	v_cndmask_b32_e32 v10, v10, v17, vcc
	v_sqrt_f32_e32 v17, v10
	s_nop 0
	v_add_u32_e32 v20, -1, v17
	v_fma_f32 v21, -v20, v17, v10
	v_cmp_ge_f32_e64 s[4:5], 0, v21
	v_add_u32_e32 v21, 1, v17
	s_nop 0
	v_cndmask_b32_e64 v20, v17, v20, s[4:5]
	v_fma_f32 v17, -v21, v17, v10
	v_cmp_lt_f32_e64 s[4:5], 0, v17
	s_nop 1
	v_cndmask_b32_e64 v17, v20, v21, s[4:5]
	v_mul_f32_e32 v20, 0x37800000, v17
	v_cndmask_b32_e32 v20, v17, v20, vcc
	v_mov_b32_e32 v17, 0x260
	v_cmp_class_f32_e64 s[4:5], v10, v17
	s_and_b64 vcc, exec, s[2:3]
	s_nop 0
	v_cndmask_b32_e64 v10, v20, v10, s[4:5]
	s_cbranch_vccnz .LBB535_26
; %bb.25:
	global_load_dword v20, v15, s[10:11] offset:1280
	s_waitcnt vmcnt(0)
	v_add_f32_e32 v10, v10, v20
.LBB535_26:
	s_waitcnt vmcnt(2)
	v_lshlrev_b32_e32 v11, 16, v11
	v_mul_f32_e32 v20, 0x3fb8aa3b, v11
	v_exp_f32_e32 v20, v20
	s_nop 0
	v_add_f32_e32 v20, 1.0, v20
	v_cmp_gt_f32_e32 vcc, s14, v20
	s_nop 1
	v_cndmask_b32_e32 v18, 1.0, v18, vcc
	v_mul_f32_e32 v18, v20, v18
	v_log_f32_e32 v18, v18
	v_cndmask_b32_e32 v19, 0, v19, vcc
	v_mul_f32_e32 v20, 0x3f317217, v18
	v_fma_f32 v20, v18, s7, -v20
	v_fmac_f32_e32 v20, 0x3377d1cf, v18
	v_fmac_f32_e32 v20, 0x3f317217, v18
	v_cmp_lt_f32_e64 vcc, |v18|, s12
	s_nop 1
	v_cndmask_b32_e32 v18, v18, v20, vcc
	v_sub_f32_e32 v18, v18, v19
	v_cmp_lt_f32_e32 vcc, s6, v11
	s_nop 1
	v_cndmask_b32_e32 v11, v18, v11, vcc
	v_mul_f32_e32 v18, 0x4f800000, v11
	v_cmp_gt_f32_e32 vcc, s13, v11
	s_nop 1
	v_cndmask_b32_e32 v11, v11, v18, vcc
	v_sqrt_f32_e32 v18, v11
	s_nop 0
	v_add_u32_e32 v19, -1, v18
	v_add_u32_e32 v20, 1, v18
	v_fma_f32 v21, -v19, v18, v11
	v_fma_f32 v22, -v20, v18, v11
	v_cmp_ge_f32_e64 s[4:5], 0, v21
	s_nop 1
	v_cndmask_b32_e64 v18, v18, v19, s[4:5]
	v_cmp_lt_f32_e64 s[4:5], 0, v22
	s_nop 1
	v_cndmask_b32_e64 v18, v18, v20, s[4:5]
	v_mul_f32_e32 v19, 0x37800000, v18
	v_cndmask_b32_e32 v18, v18, v19, vcc
	v_cmp_class_f32_e64 s[4:5], v11, v17
	s_and_b64 vcc, exec, s[2:3]
	s_nop 0
	v_cndmask_b32_e64 v11, v18, v11, s[4:5]
	s_cbranch_vccnz .LBB535_28
; %bb.27:
	global_load_dword v17, v15, s[10:11] offset:1408
	s_waitcnt vmcnt(0)
	v_add_f32_e32 v11, v11, v17
.LBB535_28:
	s_waitcnt vmcnt(1)
	v_lshlrev_b32_e32 v12, 16, v12
	v_mul_f32_e32 v17, 0x3fb8aa3b, v12
	v_exp_f32_e32 v17, v17
	v_mov_b32_e32 v18, 0x4f800000
	v_add_f32_e32 v17, 1.0, v17
	v_cmp_gt_f32_e32 vcc, s14, v17
	s_nop 1
	v_cndmask_b32_e32 v19, 1.0, v18, vcc
	v_mul_f32_e32 v17, v17, v19
	v_log_f32_e32 v17, v17
	s_nop 0
	v_mul_f32_e32 v19, 0x3f317217, v17
	v_fma_f32 v19, v17, s7, -v19
	v_fmac_f32_e32 v19, 0x3377d1cf, v17
	v_fmac_f32_e32 v19, 0x3f317217, v17
	v_cmp_lt_f32_e64 s[4:5], |v17|, s12
	s_nop 1
	v_cndmask_b32_e64 v17, v17, v19, s[4:5]
	v_mov_b32_e32 v19, 0x41b17218
	v_cndmask_b32_e32 v20, 0, v19, vcc
	v_sub_f32_e32 v17, v17, v20
	v_cmp_lt_f32_e32 vcc, s6, v12
	s_nop 1
	v_cndmask_b32_e32 v12, v17, v12, vcc
	v_mul_f32_e32 v17, 0x4f800000, v12
	v_cmp_gt_f32_e32 vcc, s13, v12
	s_nop 1
	v_cndmask_b32_e32 v12, v12, v17, vcc
	v_sqrt_f32_e32 v17, v12
	s_nop 0
	v_add_u32_e32 v20, -1, v17
	v_fma_f32 v21, -v20, v17, v12
	v_cmp_ge_f32_e64 s[4:5], 0, v21
	v_add_u32_e32 v21, 1, v17
	s_nop 0
	v_cndmask_b32_e64 v20, v17, v20, s[4:5]
	v_fma_f32 v17, -v21, v17, v12
	v_cmp_lt_f32_e64 s[4:5], 0, v17
	s_nop 1
	v_cndmask_b32_e64 v17, v20, v21, s[4:5]
	v_mul_f32_e32 v20, 0x37800000, v17
	v_cndmask_b32_e32 v20, v17, v20, vcc
	v_mov_b32_e32 v17, 0x260
	v_cmp_class_f32_e64 s[4:5], v12, v17
	s_and_b64 vcc, exec, s[2:3]
	s_nop 0
	v_cndmask_b32_e64 v12, v20, v12, s[4:5]
	s_cbranch_vccnz .LBB535_30
; %bb.29:
	global_load_dword v20, v15, s[10:11] offset:1536
	s_waitcnt vmcnt(0)
	v_add_f32_e32 v12, v12, v20
.LBB535_30:
	s_waitcnt vmcnt(0)
	v_lshlrev_b32_e32 v13, 16, v13
	v_mul_f32_e32 v20, 0x3fb8aa3b, v13
	v_exp_f32_e32 v20, v20
	s_nop 0
	v_add_f32_e32 v20, 1.0, v20
	v_cmp_gt_f32_e32 vcc, s14, v20
	s_nop 1
	v_cndmask_b32_e32 v18, 1.0, v18, vcc
	v_mul_f32_e32 v18, v20, v18
	v_log_f32_e32 v18, v18
	v_cndmask_b32_e32 v19, 0, v19, vcc
	v_mul_f32_e32 v20, 0x3f317217, v18
	v_fma_f32 v20, v18, s7, -v20
	v_fmac_f32_e32 v20, 0x3377d1cf, v18
	v_fmac_f32_e32 v20, 0x3f317217, v18
	v_cmp_lt_f32_e64 vcc, |v18|, s12
	s_nop 1
	v_cndmask_b32_e32 v18, v18, v20, vcc
	v_sub_f32_e32 v18, v18, v19
	v_cmp_lt_f32_e32 vcc, s6, v13
	s_nop 1
	v_cndmask_b32_e32 v13, v18, v13, vcc
	v_mul_f32_e32 v18, 0x4f800000, v13
	v_cmp_gt_f32_e32 vcc, s13, v13
	s_nop 1
	v_cndmask_b32_e32 v13, v13, v18, vcc
	v_sqrt_f32_e32 v18, v13
	s_nop 0
	v_add_u32_e32 v19, -1, v18
	v_add_u32_e32 v20, 1, v18
	v_fma_f32 v21, -v19, v18, v13
	v_fma_f32 v22, -v20, v18, v13
	v_cmp_ge_f32_e64 s[4:5], 0, v21
	s_nop 1
	v_cndmask_b32_e64 v18, v18, v19, s[4:5]
	v_cmp_lt_f32_e64 s[4:5], 0, v22
	s_nop 1
	v_cndmask_b32_e64 v18, v18, v20, s[4:5]
	v_mul_f32_e32 v19, 0x37800000, v18
	v_cndmask_b32_e32 v18, v18, v19, vcc
	v_cmp_class_f32_e64 s[4:5], v13, v17
	s_and_b64 vcc, exec, s[2:3]
	s_nop 0
	v_cndmask_b32_e64 v13, v18, v13, s[4:5]
	s_cbranch_vccnz .LBB535_32
; %bb.31:
	global_load_dword v15, v15, s[10:11] offset:1664
	s_waitcnt vmcnt(0)
	v_add_f32_e32 v13, v13, v15
.LBB535_32:
	s_load_dwordx4 s[12:15], s[0:1], 0x30
	s_mov_b32 s31, 0
	v_cmp_eq_u32_e64 s[6:7], 0, v16
	s_waitcnt lgkmcnt(0)
	s_bitcmp1_b32 s15, 0
	s_cselect_b64 s[4:5], -1, 0
	s_cmp_gt_i32 s12, 0
	s_cselect_b64 s[24:25], -1, 0
	s_and_b64 vcc, exec, s[24:25]
	s_cbranch_vccz .LBB535_59
; %bb.33:
	v_mbcnt_lo_u32_b32 v15, -1, 0
	v_mbcnt_hi_u32_b32 v18, -1, v15
	v_and_b32_e32 v15, 0x60, v18
	v_add_u32_e32 v19, 32, v15
	v_xor_b32_e32 v24, 16, v18
	v_cmp_lt_i32_e32 vcc, v24, v19
	s_load_dwordx4 s[16:19], s[0:1], 0x20
	v_mul_lo_u32 v15, v14, s12
	v_cndmask_b32_e32 v24, v18, v24, vcc
	v_lshlrev_b32_e32 v33, 2, v24
	v_xor_b32_e32 v24, 8, v18
	v_cmp_lt_i32_e32 vcc, v24, v19
	v_or_b32_e32 v17, 32, v16
	v_or_b32_e32 v20, 64, v16
	v_cndmask_b32_e32 v24, v18, v24, vcc
	v_lshlrev_b32_e32 v34, 2, v24
	v_xor_b32_e32 v24, 4, v18
	v_cmp_lt_i32_e32 vcc, v24, v19
	v_or_b32_e32 v21, 0x60, v16
	v_or_b32_e32 v22, 0x80, v16
	;; [unrolled: 6-line block ×4, first 2 shown]
	v_cndmask_b32_e32 v18, v18, v24, vcc
	v_or_b32_e32 v28, 0x120, v16
	v_or_b32_e32 v29, 0x140, v16
	;; [unrolled: 1-line block ×5, first 2 shown]
	v_lshlrev_b32_e32 v37, 2, v18
	v_mov_b32_e32 v24, 0
	v_mov_b32_e32 v38, 0x1c0
	;; [unrolled: 1-line block ×4, first 2 shown]
	s_branch .LBB535_36
.LBB535_34:                             ;   in Loop: Header=BB535_36 Depth=1
	s_waitcnt lgkmcnt(0)
	v_add_u32_e32 v42, s31, v15
	v_ashrrev_i32_e32 v43, 31, v42
	v_cmp_le_i32_e32 vcc, s13, v18
	v_cmp_gt_i32_e64 s[0:1], s14, v18
	v_lshlrev_b64 v[44:45], 2, v[42:43]
	s_and_b64 s[0:1], vcc, s[0:1]
	v_lshl_add_u64 v[46:47], s[20:21], 0, v[44:45]
	v_subrev_u32_e32 v19, s13, v18
	global_store_dword v[46:47], v41, off
	v_ashrrev_i32_e32 v46, 31, v19
	s_and_b64 vcc, s[22:23], s[0:1]
	v_cndmask_b32_e32 v47, 0, v46, vcc
	v_cndmask_b32_e32 v46, v38, v19, vcc
	v_lshl_add_u64 v[42:43], v[42:43], 3, s[16:17]
	v_add_f32_e32 v19, v24, v41
	global_store_dwordx2 v[42:43], v[46:47], off
	v_lshl_add_u64 v[42:43], s[18:19], 0, v[44:45]
	v_cndmask_b32_e64 v24, v24, v19, s[4:5]
	global_store_dword v[42:43], v40, off
.LBB535_35:                             ;   in Loop: Header=BB535_36 Depth=1
	s_or_b64 exec, exec, s[26:27]
	v_ashrrev_i32_e32 v19, 31, v18
	v_lshrrev_b32_e32 v19, 27, v19
	v_add_u32_e32 v19, v18, v19
	v_and_b32_e32 v41, 0xffffffe0, v19
	v_sub_u32_e32 v18, v18, v41
	s_add_i32 s31, s31, 1
	v_cmp_eq_u32_e32 vcc, v16, v18
	s_cmp_lt_i32 s31, s12
	v_ashrrev_i32_e32 v18, 5, v19
	s_cselect_b64 s[26:27], -1, 0
	v_cmp_ne_u32_e64 s[0:1], 13, v18
	s_and_b64 vcc, s[26:27], vcc
	s_cmp_eq_u32 s12, s31
	v_cndmask_b32_e64 v19, v39, v13, s[0:1]
	v_cmp_ne_u32_e64 s[0:1], 12, v18
	v_cndmask_b32_e32 v13, v13, v19, vcc
	v_add_u32_e32 v40, s30, v40
	v_cndmask_b32_e64 v19, v39, v12, s[0:1]
	v_cmp_ne_u32_e64 s[0:1], 11, v18
	v_cndmask_b32_e32 v12, v12, v19, vcc
	s_nop 0
	v_cndmask_b32_e64 v19, v39, v11, s[0:1]
	v_cmp_ne_u32_e64 s[0:1], 10, v18
	v_cndmask_b32_e32 v11, v11, v19, vcc
	s_nop 0
	v_cndmask_b32_e64 v19, v39, v10, s[0:1]
	v_cmp_ne_u32_e64 s[0:1], 9, v18
	v_cndmask_b32_e32 v10, v10, v19, vcc
	s_nop 0
	v_cndmask_b32_e64 v19, v39, v9, s[0:1]
	v_cmp_ne_u32_e64 s[0:1], 8, v18
	v_cndmask_b32_e32 v9, v9, v19, vcc
	s_nop 0
	v_cndmask_b32_e64 v19, v39, v8, s[0:1]
	v_cmp_ne_u32_e64 s[0:1], 7, v18
	v_cndmask_b32_e32 v8, v8, v19, vcc
	s_nop 0
	v_cndmask_b32_e64 v19, v39, v7, s[0:1]
	v_cmp_ne_u32_e64 s[0:1], 6, v18
	v_cndmask_b32_e32 v7, v7, v19, vcc
	s_nop 0
	v_cndmask_b32_e64 v19, v39, v6, s[0:1]
	v_cmp_ne_u32_e64 s[0:1], 5, v18
	v_cndmask_b32_e32 v6, v6, v19, vcc
	s_nop 0
	v_cndmask_b32_e64 v19, v39, v5, s[0:1]
	v_cmp_ne_u32_e64 s[0:1], 4, v18
	v_cndmask_b32_e32 v5, v5, v19, vcc
	s_nop 0
	v_cndmask_b32_e64 v19, v39, v4, s[0:1]
	v_cmp_ne_u32_e64 s[0:1], 3, v18
	v_cndmask_b32_e32 v4, v4, v19, vcc
	s_nop 0
	v_cndmask_b32_e64 v19, v39, v3, s[0:1]
	v_cmp_ne_u32_e64 s[0:1], 2, v18
	v_cndmask_b32_e32 v3, v3, v19, vcc
	s_nop 0
	v_cndmask_b32_e64 v19, v39, v2, s[0:1]
	v_cmp_ne_u32_e64 s[0:1], 1, v18
	v_cndmask_b32_e32 v2, v2, v19, vcc
	s_nop 0
	v_cndmask_b32_e64 v19, v39, v1, s[0:1]
	v_cmp_ne_u32_e64 s[0:1], 0, v18
	v_cndmask_b32_e32 v1, v1, v19, vcc
	s_nop 0
	v_cndmask_b32_e64 v18, v39, v0, s[0:1]
	v_cndmask_b32_e32 v0, v0, v18, vcc
	s_cbranch_scc1 .LBB535_60
.LBB535_36:                             ; =>This Inner Loop Header: Depth=1
	v_cmp_gt_f32_e32 vcc, v1, v0
	s_nop 1
	v_cndmask_b32_e32 v19, v0, v1, vcc
	v_cndmask_b32_e32 v18, v16, v17, vcc
	v_cmp_gt_f32_e32 vcc, v2, v19
	s_nop 1
	v_cndmask_b32_e32 v19, v19, v2, vcc
	v_cndmask_b32_e32 v18, v18, v20, vcc
	;; [unrolled: 4-line block ×13, first 2 shown]
	ds_bpermute_b32 v19, v33, v41
	s_waitcnt lgkmcnt(0)
	ds_bpermute_b32 v42, v33, v18
	s_waitcnt lgkmcnt(0)
	v_cmp_lt_f32_e64 s[26:27], v41, v19
	v_cmp_nlt_f32_e32 vcc, v41, v19
	s_and_saveexec_b64 s[28:29], vcc
; %bb.37:                               ;   in Loop: Header=BB535_36 Depth=1
	v_cmp_eq_f32_e32 vcc, v41, v19
	v_cmp_lt_i32_e64 s[0:1], v42, v18
	s_and_b64 s[0:1], vcc, s[0:1]
	s_andn2_b64 s[26:27], s[26:27], exec
	s_and_b64 s[0:1], s[0:1], exec
	s_or_b64 s[26:27], s[26:27], s[0:1]
; %bb.38:                               ;   in Loop: Header=BB535_36 Depth=1
	s_or_b64 exec, exec, s[28:29]
	s_and_saveexec_b64 s[0:1], s[26:27]
; %bb.39:                               ;   in Loop: Header=BB535_36 Depth=1
	v_mov_b32_e32 v41, v19
	v_mov_b32_e32 v18, v42
; %bb.40:                               ;   in Loop: Header=BB535_36 Depth=1
	s_or_b64 exec, exec, s[0:1]
	ds_bpermute_b32 v19, v34, v41
	ds_bpermute_b32 v42, v34, v18
	s_waitcnt lgkmcnt(1)
	v_cmp_lt_f32_e64 s[26:27], v41, v19
	v_cmp_nlt_f32_e32 vcc, v41, v19
	s_and_saveexec_b64 s[28:29], vcc
	s_cbranch_execz .LBB535_42
; %bb.41:                               ;   in Loop: Header=BB535_36 Depth=1
	v_cmp_eq_f32_e32 vcc, v41, v19
	s_waitcnt lgkmcnt(0)
	v_cmp_lt_i32_e64 s[0:1], v42, v18
	s_and_b64 s[0:1], vcc, s[0:1]
	s_andn2_b64 s[26:27], s[26:27], exec
	s_and_b64 s[0:1], s[0:1], exec
	s_or_b64 s[26:27], s[26:27], s[0:1]
.LBB535_42:                             ;   in Loop: Header=BB535_36 Depth=1
	s_or_b64 exec, exec, s[28:29]
	s_and_saveexec_b64 s[0:1], s[26:27]
	s_cbranch_execz .LBB535_44
; %bb.43:                               ;   in Loop: Header=BB535_36 Depth=1
	v_mov_b32_e32 v41, v19
	s_waitcnt lgkmcnt(0)
	v_mov_b32_e32 v18, v42
.LBB535_44:                             ;   in Loop: Header=BB535_36 Depth=1
	s_or_b64 exec, exec, s[0:1]
	ds_bpermute_b32 v19, v35, v41
	s_waitcnt lgkmcnt(1)
	ds_bpermute_b32 v42, v35, v18
	s_waitcnt lgkmcnt(1)
	v_cmp_lt_f32_e64 s[26:27], v41, v19
	v_cmp_nlt_f32_e32 vcc, v41, v19
	s_and_saveexec_b64 s[28:29], vcc
	s_cbranch_execz .LBB535_46
; %bb.45:                               ;   in Loop: Header=BB535_36 Depth=1
	v_cmp_eq_f32_e32 vcc, v41, v19
	s_waitcnt lgkmcnt(0)
	v_cmp_lt_i32_e64 s[0:1], v42, v18
	s_and_b64 s[0:1], vcc, s[0:1]
	s_andn2_b64 s[26:27], s[26:27], exec
	s_and_b64 s[0:1], s[0:1], exec
	s_or_b64 s[26:27], s[26:27], s[0:1]
.LBB535_46:                             ;   in Loop: Header=BB535_36 Depth=1
	s_or_b64 exec, exec, s[28:29]
	s_and_saveexec_b64 s[0:1], s[26:27]
	s_cbranch_execz .LBB535_48
; %bb.47:                               ;   in Loop: Header=BB535_36 Depth=1
	v_mov_b32_e32 v41, v19
	s_waitcnt lgkmcnt(0)
	v_mov_b32_e32 v18, v42
.LBB535_48:                             ;   in Loop: Header=BB535_36 Depth=1
	s_or_b64 exec, exec, s[0:1]
	ds_bpermute_b32 v19, v36, v41
	s_waitcnt lgkmcnt(1)
	;; [unrolled: 26-line block ×3, first 2 shown]
	ds_bpermute_b32 v42, v37, v18
	s_waitcnt lgkmcnt(1)
	v_cmp_lt_f32_e64 s[26:27], v41, v19
	v_cmp_nlt_f32_e32 vcc, v41, v19
	s_and_saveexec_b64 s[28:29], vcc
	s_cbranch_execnz .LBB535_55
; %bb.53:                               ;   in Loop: Header=BB535_36 Depth=1
	s_or_b64 exec, exec, s[28:29]
	s_and_saveexec_b64 s[0:1], s[26:27]
	s_cbranch_execnz .LBB535_56
.LBB535_54:                             ;   in Loop: Header=BB535_36 Depth=1
	s_or_b64 exec, exec, s[0:1]
	s_and_saveexec_b64 s[26:27], s[6:7]
	s_cbranch_execz .LBB535_35
	s_branch .LBB535_57
.LBB535_55:                             ;   in Loop: Header=BB535_36 Depth=1
	v_cmp_eq_f32_e32 vcc, v41, v19
	s_waitcnt lgkmcnt(0)
	v_cmp_lt_i32_e64 s[0:1], v42, v18
	s_and_b64 s[0:1], vcc, s[0:1]
	s_andn2_b64 s[26:27], s[26:27], exec
	s_and_b64 s[0:1], s[0:1], exec
	s_or_b64 s[26:27], s[26:27], s[0:1]
	s_or_b64 exec, exec, s[28:29]
	s_and_saveexec_b64 s[0:1], s[26:27]
	s_cbranch_execz .LBB535_54
.LBB535_56:                             ;   in Loop: Header=BB535_36 Depth=1
	s_waitcnt lgkmcnt(0)
	v_mov_b32_e32 v18, v42
	v_mov_b32_e32 v41, v19
	s_or_b64 exec, exec, s[0:1]
	s_and_saveexec_b64 s[26:27], s[6:7]
	s_cbranch_execz .LBB535_35
.LBB535_57:                             ;   in Loop: Header=BB535_36 Depth=1
	s_and_b64 vcc, exec, s[2:3]
	s_cbranch_vccnz .LBB535_34
; %bb.58:                               ;   in Loop: Header=BB535_36 Depth=1
	v_ashrrev_i32_e32 v19, 31, v18
	s_waitcnt lgkmcnt(0)
	v_lshl_add_u64 v[42:43], v[18:19], 2, s[10:11]
	global_load_dword v19, v[42:43], off
	s_waitcnt vmcnt(0)
	v_sub_f32_e32 v41, v41, v19
	s_branch .LBB535_34
.LBB535_59:
	v_mov_b32_e32 v24, 0
.LBB535_60:
	v_cmp_eq_u32_e32 vcc, 0, v16
	s_and_b64 exec, exec, vcc
	s_cbranch_execz .LBB535_73
; %bb.61:
	s_andn2_b64 vcc, exec, s[4:5]
	v_cvt_f32_f64_e32 v0, s[8:9]
	s_cbranch_vccnz .LBB535_63
; %bb.62:
	v_cmp_lt_f32_e32 vcc, 0, v24
	s_nop 1
	v_cndmask_b32_e32 v1, 1.0, v24, vcc
	v_div_scale_f32 v2, s[0:1], v1, v1, v0
	v_rcp_f32_e32 v3, v2
	s_nop 0
	v_fma_f32 v4, -v2, v3, 1.0
	v_fmac_f32_e32 v3, v4, v3
	v_div_scale_f32 v4, vcc, v0, v1, v0
	v_mul_f32_e32 v5, v4, v3
	v_fma_f32 v6, -v2, v5, v4
	v_fmac_f32_e32 v5, v6, v3
	v_fma_f32 v2, -v2, v5, v4
	v_div_fmas_f32 v2, v2, v3, v5
	v_div_fixup_f32 v0, v2, v1, v0
.LBB535_63:
	s_andn2_b64 vcc, exec, s[24:25]
	s_cbranch_vccnz .LBB535_73
; %bb.64:
	v_mul_lo_u32 v2, v14, s12
	s_cmp_gt_u32 s12, 3
	v_ashrrev_i32_e32 v3, 31, v2
	s_cbranch_scc0 .LBB535_68
; %bb.65:
	s_and_b32 s0, s12, 0x7ffffffc
	v_lshl_add_u64 v[4:5], v[2:3], 2, s[20:21]
	v_mov_b32_e32 v1, v0
	v_lshl_add_u64 v[4:5], v[4:5], 0, 8
	s_mov_b32 s1, s0
.LBB535_66:                             ; =>This Inner Loop Header: Depth=1
	global_load_dwordx4 v[6:9], v[4:5], off offset:-8
	s_add_i32 s1, s1, -4
	s_cmp_lg_u32 s1, 0
	s_waitcnt vmcnt(0)
	v_pk_mul_f32 v[6:7], v[0:1], v[6:7]
	v_pk_mul_f32 v[8:9], v[0:1], v[8:9]
	global_store_dwordx4 v[4:5], v[6:9], off offset:-8
	v_lshl_add_u64 v[4:5], v[4:5], 0, 16
	s_cbranch_scc1 .LBB535_66
; %bb.67:
	s_cmp_lg_u32 s0, s12
	s_cselect_b64 s[2:3], -1, 0
	s_branch .LBB535_70
.LBB535_68:
	s_mov_b64 s[2:3], 0
                                        ; implicit-def: $sgpr0
	s_cbranch_execz .LBB535_70
; %bb.69:
	s_mov_b64 s[2:3], -1
	s_mov_b32 s0, 0
.LBB535_70:
	s_andn2_b64 vcc, exec, s[2:3]
	s_cbranch_vccnz .LBB535_73
; %bb.71:
	s_mov_b32 s1, 0
	v_lshl_add_u64 v[2:3], v[2:3], 0, s[0:1]
	s_sub_i32 s2, s12, s0
	v_lshl_add_u64 v[2:3], v[2:3], 2, s[20:21]
.LBB535_72:                             ; =>This Inner Loop Header: Depth=1
	global_load_dword v1, v[2:3], off
	s_add_i32 s2, s2, -1
	s_cmp_lg_u32 s2, 0
	s_waitcnt vmcnt(0)
	v_mul_f32_e32 v1, v0, v1
	global_store_dword v[2:3], v1, off
	v_lshl_add_u64 v[2:3], v[2:3], 0, 4
	s_cbranch_scc1 .LBB535_72
.LBB535_73:
	s_endpgm
	.section	.rodata,"a",@progbits
	.p2align	6, 0x0
	.amdhsa_kernel _ZN4vllm3moe22topkGatingSoftplusSqrtILi14ELi448ELi4ELi2ELi32ELb0El14__hip_bfloat16EEvPKT6_PKbPfiPT5_PiiiibdPKfPKS9_SF_
		.amdhsa_group_segment_fixed_size 0
		.amdhsa_private_segment_fixed_size 0
		.amdhsa_kernarg_size 96
		.amdhsa_user_sgpr_count 2
		.amdhsa_user_sgpr_dispatch_ptr 0
		.amdhsa_user_sgpr_queue_ptr 0
		.amdhsa_user_sgpr_kernarg_segment_ptr 1
		.amdhsa_user_sgpr_dispatch_id 0
		.amdhsa_user_sgpr_kernarg_preload_length 0
		.amdhsa_user_sgpr_kernarg_preload_offset 0
		.amdhsa_user_sgpr_private_segment_size 0
		.amdhsa_uses_dynamic_stack 0
		.amdhsa_enable_private_segment 0
		.amdhsa_system_sgpr_workgroup_id_x 1
		.amdhsa_system_sgpr_workgroup_id_y 0
		.amdhsa_system_sgpr_workgroup_id_z 0
		.amdhsa_system_sgpr_workgroup_info 0
		.amdhsa_system_vgpr_workitem_id 1
		.amdhsa_next_free_vgpr 48
		.amdhsa_next_free_sgpr 32
		.amdhsa_accum_offset 48
		.amdhsa_reserve_vcc 1
		.amdhsa_float_round_mode_32 0
		.amdhsa_float_round_mode_16_64 0
		.amdhsa_float_denorm_mode_32 3
		.amdhsa_float_denorm_mode_16_64 3
		.amdhsa_dx10_clamp 1
		.amdhsa_ieee_mode 1
		.amdhsa_fp16_overflow 0
		.amdhsa_tg_split 0
		.amdhsa_exception_fp_ieee_invalid_op 0
		.amdhsa_exception_fp_denorm_src 0
		.amdhsa_exception_fp_ieee_div_zero 0
		.amdhsa_exception_fp_ieee_overflow 0
		.amdhsa_exception_fp_ieee_underflow 0
		.amdhsa_exception_fp_ieee_inexact 0
		.amdhsa_exception_int_div_zero 0
	.end_amdhsa_kernel
	.section	.text._ZN4vllm3moe22topkGatingSoftplusSqrtILi14ELi448ELi4ELi2ELi32ELb0El14__hip_bfloat16EEvPKT6_PKbPfiPT5_PiiiibdPKfPKS9_SF_,"axG",@progbits,_ZN4vllm3moe22topkGatingSoftplusSqrtILi14ELi448ELi4ELi2ELi32ELb0El14__hip_bfloat16EEvPKT6_PKbPfiPT5_PiiiibdPKfPKS9_SF_,comdat
.Lfunc_end535:
	.size	_ZN4vllm3moe22topkGatingSoftplusSqrtILi14ELi448ELi4ELi2ELi32ELb0El14__hip_bfloat16EEvPKT6_PKbPfiPT5_PiiiibdPKfPKS9_SF_, .Lfunc_end535-_ZN4vllm3moe22topkGatingSoftplusSqrtILi14ELi448ELi4ELi2ELi32ELb0El14__hip_bfloat16EEvPKT6_PKbPfiPT5_PiiiibdPKfPKS9_SF_
                                        ; -- End function
	.section	.AMDGPU.csdata,"",@progbits
; Kernel info:
; codeLenInByte = 6216
; NumSgprs: 38
; NumVgprs: 48
; NumAgprs: 0
; TotalNumVgprs: 48
; ScratchSize: 0
; MemoryBound: 0
; FloatMode: 240
; IeeeMode: 1
; LDSByteSize: 0 bytes/workgroup (compile time only)
; SGPRBlocks: 4
; VGPRBlocks: 5
; NumSGPRsForWavesPerEU: 38
; NumVGPRsForWavesPerEU: 48
; AccumOffset: 48
; Occupancy: 8
; WaveLimiterHint : 0
; COMPUTE_PGM_RSRC2:SCRATCH_EN: 0
; COMPUTE_PGM_RSRC2:USER_SGPR: 2
; COMPUTE_PGM_RSRC2:TRAP_HANDLER: 0
; COMPUTE_PGM_RSRC2:TGID_X_EN: 1
; COMPUTE_PGM_RSRC2:TGID_Y_EN: 0
; COMPUTE_PGM_RSRC2:TGID_Z_EN: 0
; COMPUTE_PGM_RSRC2:TIDIG_COMP_CNT: 1
; COMPUTE_PGM_RSRC3_GFX90A:ACCUM_OFFSET: 11
; COMPUTE_PGM_RSRC3_GFX90A:TG_SPLIT: 0
	.section	.text._ZN4vllm3moe22topkGatingSoftplusSqrtILi9ELi576ELi4ELi2ELi64ELb1El14__hip_bfloat16EEvPKT6_PKbPfiPT5_PiiiibdPKfPKS9_SF_,"axG",@progbits,_ZN4vllm3moe22topkGatingSoftplusSqrtILi9ELi576ELi4ELi2ELi64ELb1El14__hip_bfloat16EEvPKT6_PKbPfiPT5_PiiiibdPKfPKS9_SF_,comdat
	.protected	_ZN4vllm3moe22topkGatingSoftplusSqrtILi9ELi576ELi4ELi2ELi64ELb1El14__hip_bfloat16EEvPKT6_PKbPfiPT5_PiiiibdPKfPKS9_SF_ ; -- Begin function _ZN4vllm3moe22topkGatingSoftplusSqrtILi9ELi576ELi4ELi2ELi64ELb1El14__hip_bfloat16EEvPKT6_PKbPfiPT5_PiiiibdPKfPKS9_SF_
	.globl	_ZN4vllm3moe22topkGatingSoftplusSqrtILi9ELi576ELi4ELi2ELi64ELb1El14__hip_bfloat16EEvPKT6_PKbPfiPT5_PiiiibdPKfPKS9_SF_
	.p2align	8
	.type	_ZN4vllm3moe22topkGatingSoftplusSqrtILi9ELi576ELi4ELi2ELi64ELb1El14__hip_bfloat16EEvPKT6_PKbPfiPT5_PiiiibdPKfPKS9_SF_,@function
_ZN4vllm3moe22topkGatingSoftplusSqrtILi9ELi576ELi4ELi2ELi64ELb1El14__hip_bfloat16EEvPKT6_PKbPfiPT5_PiiiibdPKfPKS9_SF_: ; @_ZN4vllm3moe22topkGatingSoftplusSqrtILi9ELi576ELi4ELi2ELi64ELb1El14__hip_bfloat16EEvPKT6_PKbPfiPT5_PiiiibdPKfPKS9_SF_
; %bb.0:
	s_load_dword s3, s[0:1], 0x18
	v_and_b32_e32 v1, 0x3ff, v0
	s_lshl_b32 s2, s2, 2
	v_lshrrev_b32_e32 v2, 6, v1
	v_bfe_u32 v0, v0, 10, 10
	v_add3_u32 v10, s2, v0, v2
	s_waitcnt lgkmcnt(0)
	v_cmp_gt_i32_e32 vcc, s3, v10
	s_and_saveexec_b64 s[2:3], vcc
	s_cbranch_execz .LBB536_31
; %bb.1:
	s_load_dwordx4 s[8:11], s[0:1], 0x50
	s_load_dwordx2 s[2:3], s[0:1], 0x0
	s_load_dword s14, s[0:1], 0x30
	s_movk_i32 s4, 0x240
	v_mul_lo_u32 v2, v10, s4
	v_ashrrev_i32_e32 v3, 31, v2
	v_and_b32_e32 v20, 63, v1
	s_waitcnt lgkmcnt(0)
	v_mov_b32_e32 v4, s8
	v_mov_b32_e32 v5, s9
	v_lshl_add_u64 v[2:3], v[2:3], 1, s[2:3]
	v_lshlrev_b32_e32 v8, 1, v20
	v_mov_b32_e32 v9, 0
	v_ashrrev_i32_e32 v11, 31, v10
	v_lshl_add_u64 v[2:3], v[2:3], 0, v[8:9]
	v_lshl_add_u64 v[4:5], v[10:11], 3, v[4:5]
	global_load_ushort v6, v[2:3], off offset:1024
	global_load_dwordx2 v[0:1], v[4:5], off
	global_load_ushort v7, v[2:3], off offset:128
	global_load_ushort v8, v[2:3], off
	global_load_ushort v11, v[2:3], off offset:384
	global_load_ushort v12, v[2:3], off offset:256
	;; [unrolled: 1-line block ×6, first 2 shown]
	s_ashr_i32 s15, s14, 31
	s_mov_b32 s21, 0x800000
	v_mov_b32_e32 v14, 0x4f800000
	s_mov_b32 s20, 0x3f317217
	s_mov_b32 s19, 0x7f800000
	v_mov_b32_e32 v15, 0x41b17218
	s_mov_b32 s13, 0x41a00000
	s_mov_b32 s18, 0xf800000
	v_mov_b32_e32 v16, 0x260
	v_cmp_lt_i64_e64 s[16:17], s[14:15], 1
	s_mov_b32 s12, 0
	v_cmp_gt_i64_e64 s[8:9], s[14:15], 0
	v_mul_lo_u32 v10, v10, s14
	s_waitcnt vmcnt(8)
	v_mul_lo_u32 v1, v1, s14
	s_waitcnt vmcnt(7)
	v_lshlrev_b32_e32 v7, 16, v7
	s_waitcnt vmcnt(6)
	v_lshlrev_b32_e32 v8, 16, v8
	v_mul_f32_e32 v2, 0x3fb8aa3b, v8
	v_mul_f32_e32 v3, 0x3fb8aa3b, v7
	s_waitcnt vmcnt(5)
	v_lshlrev_b32_e32 v11, 16, v11
	s_waitcnt vmcnt(4)
	v_lshlrev_b32_e32 v23, 16, v12
	v_exp_f32_e32 v2, v2
	v_exp_f32_e32 v3, v3
	v_mul_f32_e32 v4, 0x3fb8aa3b, v23
	v_mul_f32_e32 v5, 0x3fb8aa3b, v11
	v_exp_f32_e32 v4, v4
	v_exp_f32_e32 v5, v5
	v_lshlrev_b32_e32 v22, 16, v6
	v_mul_lo_u32 v6, v0, s15
	v_mad_u64_u32 v[12:13], s[2:3], v0, s14, 0
	v_add3_u32 v13, v13, v6, v1
	v_pk_add_f32 v[0:1], v[2:3], 1.0 op_sel_hi:[1,0]
	v_pk_add_f32 v[2:3], v[4:5], 1.0 op_sel_hi:[1,0]
	v_cmp_gt_f32_e32 vcc, s21, v1
	v_cmp_gt_f32_e64 s[2:3], s21, v0
	v_cmp_gt_f32_e64 s[4:5], s21, v3
	v_cndmask_b32_e32 v4, 1.0, v14, vcc
	v_cndmask_b32_e64 v5, 1.0, v14, s[2:3]
	v_mul_f32_e32 v1, v1, v4
	v_mul_f32_e32 v0, v0, v5
	v_log_f32_e32 v1, v1
	v_log_f32_e32 v0, v0
	v_cndmask_b32_e64 v6, 1.0, v14, s[4:5]
	v_mul_f32_e32 v3, v3, v6
	v_mul_f32_e32 v6, 0x3f317217, v1
	;; [unrolled: 1-line block ×3, first 2 shown]
	v_fma_f32 v6, v1, s20, -v6
	v_fma_f32 v24, v0, s20, -v24
	v_fmac_f32_e32 v6, 0x3377d1cf, v1
	v_cndmask_b32_e32 v4, 0, v15, vcc
	v_fmac_f32_e32 v24, 0x3377d1cf, v0
	v_fmac_f32_e32 v6, 0x3f317217, v1
	v_cmp_lt_f32_e64 vcc, |v1|, s19
	v_fmac_f32_e32 v24, 0x3f317217, v0
	v_cndmask_b32_e64 v5, 0, v15, s[2:3]
	v_cndmask_b32_e32 v1, v1, v6, vcc
	v_cmp_lt_f32_e64 vcc, |v0|, s19
	v_sub_f32_e32 v1, v1, v4
	v_log_f32_e32 v3, v3
	v_cndmask_b32_e32 v0, v0, v24, vcc
	v_sub_f32_e32 v0, v0, v5
	v_cmp_lt_f32_e32 vcc, s13, v8
	s_waitcnt vmcnt(3)
	v_lshlrev_b32_e32 v17, 16, v17
	s_waitcnt vmcnt(1)
	v_lshlrev_b32_e32 v19, 16, v19
	v_cndmask_b32_e32 v0, v0, v8, vcc
	v_cmp_lt_f32_e32 vcc, s13, v7
	v_mul_f32_e32 v5, 0x4f800000, v0
	v_cmp_gt_f32_e64 s[2:3], s18, v0
	v_cndmask_b32_e32 v1, v1, v7, vcc
	v_mul_f32_e32 v4, 0x4f800000, v1
	v_cmp_gt_f32_e32 vcc, s18, v1
	v_cndmask_b32_e64 v0, v0, v5, s[2:3]
	v_sqrt_f32_e32 v5, v0
	v_cndmask_b32_e32 v1, v1, v4, vcc
	v_sqrt_f32_e32 v4, v1
	v_lshl_add_u64 v[12:13], v[12:13], 3, s[10:11]
	v_add_u32_e32 v8, -1, v5
	v_fma_f32 v27, -v8, v5, v0
	v_add_u32_e32 v6, -1, v4
	v_fma_f32 v25, -v6, v4, v1
	v_add_u32_e32 v7, 1, v4
	v_cmp_ge_f32_e64 s[6:7], 0, v25
	v_add_u32_e32 v24, 1, v5
	v_fma_f32 v26, -v7, v4, v1
	v_cndmask_b32_e64 v4, v4, v6, s[6:7]
	v_cmp_ge_f32_e64 s[6:7], 0, v27
	v_fma_f32 v28, -v24, v5, v0
	s_nop 0
	v_cndmask_b32_e64 v5, v5, v8, s[6:7]
	v_cmp_lt_f32_e64 s[6:7], 0, v26
	s_nop 1
	v_cndmask_b32_e64 v4, v4, v7, s[6:7]
	v_cmp_lt_f32_e64 s[6:7], 0, v28
	v_mul_f32_e32 v6, 0x37800000, v4
	v_cndmask_b32_e32 v4, v4, v6, vcc
	v_cndmask_b32_e64 v5, v5, v24, s[6:7]
	v_mul_f32_e32 v7, 0x37800000, v5
	v_cmp_class_f32_e32 vcc, v1, v16
	v_cndmask_b32_e64 v5, v5, v7, s[2:3]
	v_cmp_lt_f32_e64 s[2:3], |v3|, s19
	v_cndmask_b32_e32 v1, v4, v1, vcc
	v_cmp_class_f32_e32 vcc, v0, v16
	v_mul_f32_e32 v4, 0x3f317217, v3
	v_fma_f32 v4, v3, s20, -v4
	v_cndmask_b32_e32 v0, v5, v0, vcc
	v_cmp_gt_f32_e32 vcc, s21, v2
	v_fmac_f32_e32 v4, 0x3377d1cf, v3
	v_fmac_f32_e32 v4, 0x3f317217, v3
	v_cndmask_b32_e32 v5, 1.0, v14, vcc
	v_mul_f32_e32 v2, v2, v5
	v_log_f32_e32 v2, v2
	v_cndmask_b32_e64 v3, v3, v4, s[2:3]
	v_cndmask_b32_e64 v4, 0, v15, s[4:5]
	v_sub_f32_e32 v3, v3, v4
	v_mul_f32_e32 v4, 0x3f317217, v2
	v_fma_f32 v4, v2, s20, -v4
	v_fmac_f32_e32 v4, 0x3377d1cf, v2
	v_fmac_f32_e32 v4, 0x3f317217, v2
	v_cmp_lt_f32_e64 s[2:3], |v2|, s19
	s_nop 1
	v_cndmask_b32_e64 v2, v2, v4, s[2:3]
	v_cndmask_b32_e32 v4, 0, v15, vcc
	v_cmp_lt_f32_e32 vcc, s13, v11
	v_sub_f32_e32 v2, v2, v4
	v_cmp_lt_f32_e64 s[2:3], s13, v23
	v_cndmask_b32_e32 v3, v3, v11, vcc
	v_mul_f32_e32 v5, 0x4f800000, v3
	v_cmp_gt_f32_e32 vcc, s18, v3
	v_cndmask_b32_e64 v2, v2, v23, s[2:3]
	v_lshlrev_b32_e32 v11, 16, v18
	v_cndmask_b32_e32 v3, v3, v5, vcc
	v_sqrt_f32_e32 v5, v3
	s_waitcnt vmcnt(0)
	v_lshlrev_b32_e32 v18, 16, v21
	v_add_u32_e32 v4, -1, v5
	v_fma_f32 v6, -v4, v5, v3
	v_cmp_ge_f32_e64 s[2:3], 0, v6
	v_add_u32_e32 v6, 1, v5
	s_nop 0
	v_cndmask_b32_e64 v4, v5, v4, s[2:3]
	v_fma_f32 v5, -v6, v5, v3
	v_cmp_lt_f32_e64 s[2:3], 0, v5
	s_nop 1
	v_cndmask_b32_e64 v4, v4, v6, s[2:3]
	v_mul_f32_e32 v6, 0x4f800000, v2
	v_cmp_gt_f32_e64 s[2:3], s18, v2
	v_mul_f32_e32 v5, 0x37800000, v4
	v_cndmask_b32_e32 v4, v4, v5, vcc
	v_cndmask_b32_e64 v2, v2, v6, s[2:3]
	v_sqrt_f32_e32 v6, v2
	v_cmp_class_f32_e32 vcc, v3, v16
	v_add_u32_e32 v8, 1, v6
	s_nop 0
	v_cndmask_b32_e32 v3, v4, v3, vcc
	v_add_u32_e32 v4, -1, v6
	v_fma_f32 v5, -v4, v6, v2
	v_cmp_ge_f32_e32 vcc, 0, v5
	v_mul_f32_e32 v5, 0x3fb8aa3b, v11
	v_exp_f32_e32 v5, v5
	v_cndmask_b32_e32 v7, v6, v4, vcc
	v_mul_f32_e32 v4, 0x3fb8aa3b, v17
	v_exp_f32_e32 v4, v4
	v_fma_f32 v6, -v8, v6, v2
	v_cmp_lt_f32_e32 vcc, 0, v6
	v_pk_add_f32 v[4:5], v[4:5], 1.0 op_sel_hi:[1,0]
	s_nop 0
	v_cndmask_b32_e32 v6, v7, v8, vcc
	v_cmp_gt_f32_e32 vcc, s21, v5
	v_mul_f32_e32 v7, 0x37800000, v6
	v_cndmask_b32_e64 v6, v6, v7, s[2:3]
	v_cndmask_b32_e32 v8, 1.0, v14, vcc
	v_mul_f32_e32 v5, v5, v8
	v_log_f32_e32 v5, v5
	v_cmp_class_f32_e64 s[2:3], v2, v16
	v_cmp_lt_f32_e64 s[4:5], |v5|, s19
	s_nop 0
	v_cndmask_b32_e64 v2, v6, v2, s[2:3]
	v_cmp_gt_f32_e64 s[2:3], s21, v4
	v_mul_f32_e32 v6, 0x3f317217, v5
	v_fma_f32 v6, v5, s20, -v6
	v_cndmask_b32_e64 v7, 1.0, v14, s[2:3]
	v_mul_f32_e32 v4, v4, v7
	v_log_f32_e32 v4, v4
	v_fmac_f32_e32 v6, 0x3377d1cf, v5
	v_fmac_f32_e32 v6, 0x3f317217, v5
	v_cndmask_b32_e64 v5, v5, v6, s[4:5]
	v_cndmask_b32_e32 v6, 0, v15, vcc
	v_sub_f32_e32 v5, v5, v6
	v_mul_f32_e32 v6, 0x3f317217, v4
	v_fma_f32 v6, v4, s20, -v6
	v_fmac_f32_e32 v6, 0x3377d1cf, v4
	v_fmac_f32_e32 v6, 0x3f317217, v4
	v_cmp_lt_f32_e64 vcc, |v4|, s19
	s_nop 1
	v_cndmask_b32_e32 v4, v4, v6, vcc
	v_cmp_lt_f32_e32 vcc, s13, v11
	v_cndmask_b32_e64 v6, 0, v15, s[2:3]
	v_sub_f32_e32 v4, v4, v6
	v_cndmask_b32_e32 v5, v5, v11, vcc
	v_mul_f32_e32 v7, 0x4f800000, v5
	v_cmp_gt_f32_e32 vcc, s18, v5
	v_cmp_lt_f32_e64 s[2:3], s13, v17
	s_nop 0
	v_cndmask_b32_e32 v5, v5, v7, vcc
	v_sqrt_f32_e32 v7, v5
	v_cndmask_b32_e64 v4, v4, v17, s[2:3]
	v_add_u32_e32 v6, -1, v7
	v_fma_f32 v8, -v6, v7, v5
	v_cmp_ge_f32_e64 s[2:3], 0, v8
	v_add_u32_e32 v8, 1, v7
	s_nop 0
	v_cndmask_b32_e64 v6, v7, v6, s[2:3]
	v_fma_f32 v7, -v8, v7, v5
	v_cmp_lt_f32_e64 s[2:3], 0, v7
	s_nop 1
	v_cndmask_b32_e64 v6, v6, v8, s[2:3]
	v_mul_f32_e32 v8, 0x4f800000, v4
	v_cmp_gt_f32_e64 s[2:3], s18, v4
	v_mul_f32_e32 v7, 0x37800000, v6
	v_cndmask_b32_e32 v6, v6, v7, vcc
	v_cndmask_b32_e64 v4, v4, v8, s[2:3]
	v_sqrt_f32_e32 v8, v4
	v_cmp_class_f32_e32 vcc, v5, v16
	v_add_u32_e32 v17, 1, v8
	s_nop 0
	v_cndmask_b32_e32 v5, v6, v5, vcc
	v_add_u32_e32 v6, -1, v8
	v_fma_f32 v7, -v6, v8, v4
	v_cmp_ge_f32_e32 vcc, 0, v7
	v_mul_f32_e32 v7, 0x3fb8aa3b, v18
	v_exp_f32_e32 v7, v7
	v_cndmask_b32_e32 v11, v8, v6, vcc
	v_mul_f32_e32 v6, 0x3fb8aa3b, v19
	v_exp_f32_e32 v6, v6
	v_fma_f32 v8, -v17, v8, v4
	v_cmp_lt_f32_e32 vcc, 0, v8
	v_pk_add_f32 v[6:7], v[6:7], 1.0 op_sel_hi:[1,0]
	s_nop 0
	v_cndmask_b32_e32 v8, v11, v17, vcc
	v_cmp_gt_f32_e32 vcc, s21, v7
	v_mul_f32_e32 v11, 0x37800000, v8
	v_cndmask_b32_e64 v8, v8, v11, s[2:3]
	v_cndmask_b32_e32 v17, 1.0, v14, vcc
	v_mul_f32_e32 v7, v7, v17
	v_log_f32_e32 v7, v7
	v_cmp_class_f32_e64 s[2:3], v4, v16
	v_cmp_lt_f32_e64 s[4:5], |v7|, s19
	s_nop 0
	v_cndmask_b32_e64 v4, v8, v4, s[2:3]
	v_cmp_gt_f32_e64 s[2:3], s21, v6
	v_mul_f32_e32 v8, 0x3f317217, v7
	v_fma_f32 v8, v7, s20, -v8
	v_cndmask_b32_e64 v11, 1.0, v14, s[2:3]
	v_mul_f32_e32 v6, v6, v11
	v_log_f32_e32 v6, v6
	v_fmac_f32_e32 v8, 0x3377d1cf, v7
	v_fmac_f32_e32 v8, 0x3f317217, v7
	v_cndmask_b32_e64 v7, v7, v8, s[4:5]
	v_cndmask_b32_e32 v8, 0, v15, vcc
	v_sub_f32_e32 v7, v7, v8
	v_mul_f32_e32 v8, 0x3f317217, v6
	v_fma_f32 v8, v6, s20, -v8
	v_fmac_f32_e32 v8, 0x3377d1cf, v6
	v_fmac_f32_e32 v8, 0x3f317217, v6
	v_cmp_lt_f32_e64 vcc, |v6|, s19
	s_nop 1
	v_cndmask_b32_e32 v6, v6, v8, vcc
	v_cmp_lt_f32_e32 vcc, s13, v18
	v_cndmask_b32_e64 v8, 0, v15, s[2:3]
	v_sub_f32_e32 v6, v6, v8
	v_cndmask_b32_e32 v7, v7, v18, vcc
	v_mul_f32_e32 v11, 0x4f800000, v7
	v_cmp_gt_f32_e32 vcc, s18, v7
	v_cmp_lt_f32_e64 s[2:3], s13, v19
	v_mul_f32_e32 v18, 0x3fb8aa3b, v22
	v_cndmask_b32_e32 v7, v7, v11, vcc
	v_sqrt_f32_e32 v11, v7
	v_cndmask_b32_e64 v6, v6, v19, s[2:3]
	v_exp_f32_e32 v18, v18
	v_add_u32_e32 v8, -1, v11
	v_fma_f32 v17, -v8, v11, v7
	v_cmp_ge_f32_e64 s[2:3], 0, v17
	v_add_u32_e32 v17, 1, v11
	v_add_f32_e32 v18, 1.0, v18
	v_cndmask_b32_e64 v8, v11, v8, s[2:3]
	v_fma_f32 v11, -v17, v11, v7
	v_cmp_lt_f32_e64 s[2:3], 0, v11
	s_nop 1
	v_cndmask_b32_e64 v8, v8, v17, s[2:3]
	v_mul_f32_e32 v17, 0x4f800000, v6
	v_cmp_gt_f32_e64 s[2:3], s18, v6
	v_mul_f32_e32 v11, 0x37800000, v8
	v_cndmask_b32_e32 v8, v8, v11, vcc
	v_cndmask_b32_e64 v6, v6, v17, s[2:3]
	v_sqrt_f32_e32 v17, v6
	v_cmp_class_f32_e32 vcc, v7, v16
	s_nop 1
	v_cndmask_b32_e32 v7, v8, v7, vcc
	v_add_u32_e32 v8, -1, v17
	v_fma_f32 v11, -v8, v17, v6
	v_cmp_ge_f32_e32 vcc, 0, v11
	v_add_u32_e32 v11, 1, v17
	s_nop 0
	v_cndmask_b32_e32 v8, v17, v8, vcc
	v_cmp_gt_f32_e32 vcc, s21, v18
	v_fma_f32 v17, -v11, v17, v6
	v_cmp_lt_f32_e64 s[4:5], 0, v17
	v_cndmask_b32_e32 v14, 1.0, v14, vcc
	v_mul_f32_e32 v14, v18, v14
	v_log_f32_e32 v14, v14
	v_cndmask_b32_e64 v8, v8, v11, s[4:5]
	v_cndmask_b32_e32 v15, 0, v15, vcc
	v_cmp_lt_f32_e32 vcc, s13, v22
	v_mul_f32_e32 v17, 0x3f317217, v14
	v_fma_f32 v17, v14, s20, -v17
	v_fmac_f32_e32 v17, 0x3377d1cf, v14
	v_fmac_f32_e32 v17, 0x3f317217, v14
	v_cmp_lt_f32_e64 s[4:5], |v14|, s19
	v_mul_f32_e32 v11, 0x37800000, v8
	v_cndmask_b32_e64 v8, v8, v11, s[2:3]
	v_cndmask_b32_e64 v14, v14, v17, s[4:5]
	v_sub_f32_e32 v14, v14, v15
	v_cndmask_b32_e32 v14, v14, v22, vcc
	v_mul_f32_e32 v15, 0x4f800000, v14
	v_cmp_gt_f32_e32 vcc, s18, v14
	v_cmp_class_f32_e64 s[2:3], v6, v16
	s_nop 0
	v_cndmask_b32_e32 v14, v14, v15, vcc
	v_sqrt_f32_e32 v15, v14
	v_cndmask_b32_e64 v6, v8, v6, s[2:3]
	v_add_u32_e32 v8, -1, v15
	v_fma_f32 v11, -v8, v15, v14
	v_cmp_ge_f32_e64 s[2:3], 0, v11
	v_add_u32_e32 v11, 1, v15
	s_nop 0
	v_cndmask_b32_e64 v8, v15, v8, s[2:3]
	v_fma_f32 v15, -v11, v15, v14
	v_cmp_lt_f32_e64 s[2:3], 0, v15
	s_nop 1
	v_cndmask_b32_e64 v8, v8, v11, s[2:3]
	v_mul_f32_e32 v11, 0x37800000, v8
	v_cndmask_b32_e32 v8, v8, v11, vcc
	v_cmp_class_f32_e32 vcc, v14, v16
	s_nop 1
	v_cndmask_b32_e32 v8, v8, v14, vcc
	s_and_b64 vcc, exec, s[16:17]
	s_cbranch_vccnz .LBB536_28
; %bb.2:
	s_load_dwordx2 s[4:5], s[0:1], 0x20
	s_cmp_lt_u32 s14, 4
	v_sub_u32_e32 v21, 0, v20
	s_cbranch_scc1 .LBB536_21
; %bb.3:
	s_mov_b32 s7, 0
	s_and_b32 s12, s14, 0x7ffffffc
	v_ashrrev_i32_e32 v11, 31, v10
	v_mov_b32_e32 v9, 0
	s_mov_b32 s6, s7
	s_branch .LBB536_5
.LBB536_4:                              ;   in Loop: Header=BB536_5 Depth=1
	s_or_b64 exec, exec, s[10:11]
	s_add_i32 s6, s6, 4
	s_cmp_eq_u32 s6, s12
	s_cbranch_scc1 .LBB536_21
.LBB536_5:                              ; =>This Loop Header: Depth=1
                                        ;     Child Loop BB536_7 Depth 2
                                        ;     Child Loop BB536_11 Depth 2
	;; [unrolled: 1-line block ×4, first 2 shown]
	v_lshl_add_u64 v[14:15], s[6:7], 3, v[12:13]
	global_load_dwordx2 v[16:17], v[14:15], off
	v_add_u32_e32 v18, s6, v10
	v_ashrrev_i32_e32 v19, 31, v18
	s_mov_b64 s[10:11], 0
	s_waitcnt lgkmcnt(0)
	v_lshl_add_u64 v[18:19], v[18:19], 3, s[4:5]
	s_mov_b64 s[16:17], 0
	s_waitcnt vmcnt(0)
	v_ashrrev_i32_e32 v17, 31, v16
	v_add_u32_e32 v22, v21, v16
	s_branch .LBB536_7
.LBB536_6:                              ;   in Loop: Header=BB536_7 Depth=2
	s_or_b64 exec, exec, s[18:19]
	s_cmp_gt_u32 s16, 7
	s_cselect_b64 s[2:3], -1, 0
	s_xor_b64 s[18:19], vcc, -1
	s_or_b64 s[2:3], s[18:19], s[2:3]
	s_add_u32 s16, s16, 1
	s_addc_u32 s17, s17, 0
	s_and_b64 s[2:3], exec, s[2:3]
	s_or_b64 s[10:11], s[2:3], s[10:11]
	v_subrev_u32_e32 v22, 64, v22
	s_andn2_b64 exec, exec, s[10:11]
	s_cbranch_execz .LBB536_9
.LBB536_7:                              ;   Parent Loop BB536_5 Depth=1
                                        ; =>  This Inner Loop Header: Depth=2
	v_cmp_ne_u32_e32 vcc, 0, v22
	v_cmp_eq_u32_e64 s[2:3], 0, v22
	s_and_saveexec_b64 s[18:19], s[2:3]
	s_cbranch_execz .LBB536_6
; %bb.8:                                ;   in Loop: Header=BB536_7 Depth=2
	s_set_gpr_idx_on s16, gpr_idx(SRC0)
	v_mov_b32_e32 v23, v0
	s_set_gpr_idx_off
	v_add_f32_e32 v9, v9, v23
	global_store_dwordx2 v[18:19], v[16:17], off
	s_branch .LBB536_6
.LBB536_9:                              ;   in Loop: Header=BB536_5 Depth=1
	s_or_b64 exec, exec, s[10:11]
	global_load_dwordx2 v[18:19], v[14:15], off offset:8
	s_ashr_i32 s3, s6, 31
	s_mov_b32 s2, s6
	v_lshl_add_u64 v[16:17], s[2:3], 0, v[10:11]
	s_mov_b64 s[10:11], 0
	v_lshl_add_u64 v[16:17], v[16:17], 3, s[4:5]
	s_mov_b64 s[16:17], 0
	s_waitcnt vmcnt(0)
	v_ashrrev_i32_e32 v19, 31, v18
	v_add_u32_e32 v22, v21, v18
	s_branch .LBB536_11
.LBB536_10:                             ;   in Loop: Header=BB536_11 Depth=2
	s_or_b64 exec, exec, s[18:19]
	s_cmp_gt_u32 s16, 7
	s_cselect_b64 s[2:3], -1, 0
	s_xor_b64 s[18:19], vcc, -1
	s_or_b64 s[2:3], s[18:19], s[2:3]
	s_add_u32 s16, s16, 1
	s_addc_u32 s17, s17, 0
	s_and_b64 s[2:3], exec, s[2:3]
	s_or_b64 s[10:11], s[2:3], s[10:11]
	v_subrev_u32_e32 v22, 64, v22
	s_andn2_b64 exec, exec, s[10:11]
	s_cbranch_execz .LBB536_13
.LBB536_11:                             ;   Parent Loop BB536_5 Depth=1
                                        ; =>  This Inner Loop Header: Depth=2
	v_cmp_ne_u32_e32 vcc, 0, v22
	v_cmp_eq_u32_e64 s[2:3], 0, v22
	s_and_saveexec_b64 s[18:19], s[2:3]
	s_cbranch_execz .LBB536_10
; %bb.12:                               ;   in Loop: Header=BB536_11 Depth=2
	s_set_gpr_idx_on s16, gpr_idx(SRC0)
	v_mov_b32_e32 v23, v0
	s_set_gpr_idx_off
	v_add_f32_e32 v9, v9, v23
	global_store_dwordx2 v[16:17], v[18:19], off offset:8
	s_branch .LBB536_10
.LBB536_13:                             ;   in Loop: Header=BB536_5 Depth=1
	s_or_b64 exec, exec, s[10:11]
	global_load_dwordx2 v[18:19], v[14:15], off offset:16
	s_mov_b64 s[10:11], 0
	s_mov_b64 s[16:17], 0
	s_waitcnt vmcnt(0)
	v_ashrrev_i32_e32 v19, 31, v18
	v_add_u32_e32 v22, v21, v18
	s_branch .LBB536_15
.LBB536_14:                             ;   in Loop: Header=BB536_15 Depth=2
	s_or_b64 exec, exec, s[18:19]
	s_cmp_gt_u32 s16, 7
	s_cselect_b64 s[2:3], -1, 0
	s_xor_b64 s[18:19], vcc, -1
	s_or_b64 s[2:3], s[18:19], s[2:3]
	s_add_u32 s16, s16, 1
	s_addc_u32 s17, s17, 0
	s_and_b64 s[2:3], exec, s[2:3]
	s_or_b64 s[10:11], s[2:3], s[10:11]
	v_subrev_u32_e32 v22, 64, v22
	s_andn2_b64 exec, exec, s[10:11]
	s_cbranch_execz .LBB536_17
.LBB536_15:                             ;   Parent Loop BB536_5 Depth=1
                                        ; =>  This Inner Loop Header: Depth=2
	v_cmp_ne_u32_e32 vcc, 0, v22
	v_cmp_eq_u32_e64 s[2:3], 0, v22
	s_and_saveexec_b64 s[18:19], s[2:3]
	s_cbranch_execz .LBB536_14
; %bb.16:                               ;   in Loop: Header=BB536_15 Depth=2
	s_set_gpr_idx_on s16, gpr_idx(SRC0)
	v_mov_b32_e32 v23, v0
	s_set_gpr_idx_off
	v_add_f32_e32 v9, v9, v23
	global_store_dwordx2 v[16:17], v[18:19], off offset:16
	s_branch .LBB536_14
.LBB536_17:                             ;   in Loop: Header=BB536_5 Depth=1
	s_or_b64 exec, exec, s[10:11]
	global_load_dwordx2 v[14:15], v[14:15], off offset:24
	s_mov_b64 s[10:11], 0
	s_mov_b64 s[16:17], 0
	s_waitcnt vmcnt(0)
	v_ashrrev_i32_e32 v15, 31, v14
	v_add_u32_e32 v18, v21, v14
	s_branch .LBB536_19
.LBB536_18:                             ;   in Loop: Header=BB536_19 Depth=2
	s_or_b64 exec, exec, s[18:19]
	s_cmp_gt_u32 s16, 7
	s_cselect_b64 s[2:3], -1, 0
	s_xor_b64 s[18:19], vcc, -1
	s_or_b64 s[2:3], s[18:19], s[2:3]
	s_add_u32 s16, s16, 1
	s_addc_u32 s17, s17, 0
	s_and_b64 s[2:3], exec, s[2:3]
	s_or_b64 s[10:11], s[2:3], s[10:11]
	v_subrev_u32_e32 v18, 64, v18
	s_andn2_b64 exec, exec, s[10:11]
	s_cbranch_execz .LBB536_4
.LBB536_19:                             ;   Parent Loop BB536_5 Depth=1
                                        ; =>  This Inner Loop Header: Depth=2
	v_cmp_ne_u32_e32 vcc, 0, v18
	v_cmp_eq_u32_e64 s[2:3], 0, v18
	s_and_saveexec_b64 s[18:19], s[2:3]
	s_cbranch_execz .LBB536_18
; %bb.20:                               ;   in Loop: Header=BB536_19 Depth=2
	s_set_gpr_idx_on s16, gpr_idx(SRC0)
	v_mov_b32_e32 v19, v0
	s_set_gpr_idx_off
	v_add_f32_e32 v9, v9, v19
	global_store_dwordx2 v[16:17], v[14:15], off offset:24
	s_branch .LBB536_18
.LBB536_21:
	s_and_b32 s15, s14, 3
	s_cmp_eq_u32 s15, 0
	s_mov_b32 s13, 0
	s_cbranch_scc1 .LBB536_28
; %bb.22:
	s_mov_b32 s18, s13
	s_branch .LBB536_24
.LBB536_23:                             ;   in Loop: Header=BB536_24 Depth=1
	s_or_b64 exec, exec, s[6:7]
	s_add_i32 s12, s12, 1
	s_add_i32 s18, s18, 1
	s_cmp_lg_u32 s18, s15
	s_cbranch_scc0 .LBB536_28
.LBB536_24:                             ; =>This Loop Header: Depth=1
                                        ;     Child Loop BB536_26 Depth 2
	v_lshl_add_u64 v[14:15], s[12:13], 3, v[12:13]
	global_load_dwordx2 v[14:15], v[14:15], off
	v_add_u32_e32 v16, s12, v10
	v_ashrrev_i32_e32 v17, 31, v16
	s_mov_b64 s[6:7], 0
	s_waitcnt lgkmcnt(0)
	v_lshl_add_u64 v[16:17], v[16:17], 3, s[4:5]
	s_mov_b64 s[10:11], 0
	s_waitcnt vmcnt(0)
	v_ashrrev_i32_e32 v15, 31, v14
	v_add_u32_e32 v11, v21, v14
	s_branch .LBB536_26
.LBB536_25:                             ;   in Loop: Header=BB536_26 Depth=2
	s_or_b64 exec, exec, s[16:17]
	s_cmp_gt_u32 s10, 7
	s_cselect_b64 s[2:3], -1, 0
	s_xor_b64 s[16:17], vcc, -1
	s_or_b64 s[2:3], s[16:17], s[2:3]
	s_add_u32 s10, s10, 1
	s_addc_u32 s11, s11, 0
	s_and_b64 s[2:3], exec, s[2:3]
	s_or_b64 s[6:7], s[2:3], s[6:7]
	v_subrev_u32_e32 v11, 64, v11
	s_andn2_b64 exec, exec, s[6:7]
	s_cbranch_execz .LBB536_23
.LBB536_26:                             ;   Parent Loop BB536_24 Depth=1
                                        ; =>  This Inner Loop Header: Depth=2
	v_cmp_ne_u32_e32 vcc, 0, v11
	v_cmp_eq_u32_e64 s[2:3], 0, v11
	s_and_saveexec_b64 s[16:17], s[2:3]
	s_cbranch_execz .LBB536_25
; %bb.27:                               ;   in Loop: Header=BB536_26 Depth=2
	s_set_gpr_idx_on s10, gpr_idx(SRC0)
	v_mov_b32_e32 v18, v0
	s_set_gpr_idx_off
	v_add_f32_e32 v9, v9, v18
	global_store_dwordx2 v[16:17], v[14:15], off
	s_branch .LBB536_25
.LBB536_28:
	s_waitcnt lgkmcnt(0)
	s_load_dword s4, s[0:1], 0x3c
	s_waitcnt lgkmcnt(0)
	s_bitcmp1_b32 s4, 0
	s_cselect_b64 s[2:3], -1, 0
	s_bitcmp0_b32 s4, 0
	s_cbranch_scc0 .LBB536_32
; %bb.29:
	s_load_dwordx2 s[4:5], s[0:1], 0x40
	s_andn2_b64 vcc, exec, s[2:3]
	s_waitcnt lgkmcnt(0)
	v_cvt_f32_f64_e32 v21, s[4:5]
	s_cbranch_vccz .LBB536_33
.LBB536_30:
	s_andn2_b64 vcc, exec, s[8:9]
	s_cbranch_vccz .LBB536_34
.LBB536_31:
	s_endpgm
.LBB536_32:
	v_mbcnt_lo_u32_b32 v11, -1, 0
	v_mbcnt_hi_u32_b32 v11, -1, v11
	v_and_b32_e32 v14, 64, v11
	v_add_u32_e32 v14, 64, v14
	v_xor_b32_e32 v15, 32, v11
	v_cmp_lt_i32_e32 vcc, v15, v14
	v_xor_b32_e32 v16, 16, v11
	s_nop 0
	v_cndmask_b32_e32 v15, v11, v15, vcc
	v_lshlrev_b32_e32 v15, 2, v15
	ds_bpermute_b32 v15, v15, v9
	v_cmp_lt_i32_e32 vcc, v16, v14
	s_waitcnt lgkmcnt(0)
	v_add_f32_e32 v9, v9, v15
	v_cndmask_b32_e32 v15, v11, v16, vcc
	v_lshlrev_b32_e32 v15, 2, v15
	ds_bpermute_b32 v15, v15, v9
	v_xor_b32_e32 v16, 8, v11
	v_cmp_lt_i32_e32 vcc, v16, v14
	s_waitcnt lgkmcnt(0)
	v_add_f32_e32 v9, v9, v15
	v_cndmask_b32_e32 v15, v11, v16, vcc
	v_lshlrev_b32_e32 v15, 2, v15
	ds_bpermute_b32 v15, v15, v9
	v_xor_b32_e32 v16, 4, v11
	;; [unrolled: 7-line block ×4, first 2 shown]
	v_cmp_lt_i32_e32 vcc, v16, v14
	s_waitcnt lgkmcnt(0)
	v_add_f32_e32 v9, v9, v15
	v_cndmask_b32_e32 v11, v11, v16, vcc
	v_lshlrev_b32_e32 v11, 2, v11
	ds_bpermute_b32 v11, v11, v9
	s_waitcnt lgkmcnt(0)
	v_add_f32_e32 v9, v9, v11
	s_load_dwordx2 s[4:5], s[0:1], 0x40
	s_andn2_b64 vcc, exec, s[2:3]
	s_waitcnt lgkmcnt(0)
	v_cvt_f32_f64_e32 v21, s[4:5]
	s_cbranch_vccnz .LBB536_30
.LBB536_33:
	v_cmp_lt_f32_e32 vcc, 0, v9
	s_nop 1
	v_cndmask_b32_e32 v9, 1.0, v9, vcc
	v_div_scale_f32 v11, s[2:3], v9, v9, v21
	v_rcp_f32_e32 v14, v11
	s_nop 0
	v_fma_f32 v15, -v11, v14, 1.0
	v_fmac_f32_e32 v14, v15, v14
	v_div_scale_f32 v15, vcc, v21, v9, v21
	v_mul_f32_e32 v16, v15, v14
	v_fma_f32 v17, -v11, v16, v15
	v_fmac_f32_e32 v16, v17, v14
	v_fma_f32 v11, -v11, v16, v15
	v_div_fmas_f32 v11, v11, v14, v16
	v_div_fixup_f32 v21, v11, v9, v21
	s_andn2_b64 vcc, exec, s[8:9]
	s_cbranch_vccnz .LBB536_31
.LBB536_34:
	s_load_dwordx2 s[16:17], s[0:1], 0x10
	v_or_b32_e32 v28, 64, v20
	v_or_b32_e32 v27, 0x80, v20
	;; [unrolled: 1-line block ×8, first 2 shown]
	s_cmp_eq_u32 s14, 1
	s_mov_b32 s18, 0
	s_cbranch_scc1 .LBB536_73
; %bb.35:
	v_ashrrev_i32_e32 v11, 31, v10
	s_waitcnt lgkmcnt(0)
	v_lshl_add_u64 v[14:15], v[10:11], 2, s[16:17]
	s_and_b32 s18, s14, 0x7ffffffe
	v_lshl_add_u64 v[14:15], v[14:15], 0, 4
	v_lshl_add_u64 v[16:17], v[12:13], 0, 8
	s_mov_b32 s15, 0
	s_branch .LBB536_37
.LBB536_36:                             ;   in Loop: Header=BB536_37 Depth=1
	s_or_b64 exec, exec, s[0:1]
	s_add_i32 s15, s15, 2
	v_lshl_add_u64 v[14:15], v[14:15], 0, 8
	s_cmp_lg_u32 s18, s15
	v_lshl_add_u64 v[16:17], v[16:17], 0, 16
	s_cbranch_scc0 .LBB536_73
.LBB536_37:                             ; =>This Inner Loop Header: Depth=1
	global_load_dword v11, v[16:17], off offset:-8
	v_mov_b64_e32 v[18:19], 0
	s_waitcnt vmcnt(0)
	v_cmp_eq_u32_e32 vcc, v20, v11
	v_cmp_ne_u32_e64 s[0:1], v20, v11
	s_and_saveexec_b64 s[20:21], s[0:1]
	s_cbranch_execz .LBB536_53
; %bb.38:                               ;   in Loop: Header=BB536_37 Depth=1
	v_cmp_eq_u32_e64 s[0:1], v28, v11
	v_cmp_ne_u32_e64 s[2:3], v28, v11
	v_mov_b64_e32 v[18:19], 1
	s_and_saveexec_b64 s[22:23], s[2:3]
	s_cbranch_execz .LBB536_52
; %bb.39:                               ;   in Loop: Header=BB536_37 Depth=1
	v_cmp_eq_u32_e64 s[2:3], v27, v11
	v_cmp_ne_u32_e64 s[4:5], v27, v11
	v_mov_b64_e32 v[18:19], 2
	;; [unrolled: 6-line block ×7, first 2 shown]
	s_and_saveexec_b64 s[38:39], s[12:13]
	s_xor_b64 s[38:39], exec, s[38:39]
; %bb.45:                               ;   in Loop: Header=BB536_37 Depth=1
	v_cmp_eq_u32_e64 s[12:13], v9, v11
	s_andn2_b64 s[36:37], s[36:37], exec
	s_and_b64 s[12:13], s[12:13], exec
	v_mov_b64_e32 v[18:19], 8
	s_or_b64 s[36:37], s[36:37], s[12:13]
; %bb.46:                               ;   in Loop: Header=BB536_37 Depth=1
	s_or_b64 exec, exec, s[38:39]
	s_andn2_b64 s[10:11], s[10:11], exec
	s_and_b64 s[12:13], s[36:37], exec
	s_or_b64 s[10:11], s[10:11], s[12:13]
.LBB536_47:                             ;   in Loop: Header=BB536_37 Depth=1
	s_or_b64 exec, exec, s[34:35]
	s_andn2_b64 s[8:9], s[8:9], exec
	s_and_b64 s[10:11], s[10:11], exec
	s_or_b64 s[8:9], s[8:9], s[10:11]
.LBB536_48:                             ;   in Loop: Header=BB536_37 Depth=1
	s_or_b64 exec, exec, s[30:31]
	s_andn2_b64 s[6:7], s[6:7], exec
	s_and_b64 s[8:9], s[8:9], exec
	s_or_b64 s[6:7], s[6:7], s[8:9]
.LBB536_49:                             ;   in Loop: Header=BB536_37 Depth=1
	s_or_b64 exec, exec, s[28:29]
	s_andn2_b64 s[4:5], s[4:5], exec
	s_and_b64 s[6:7], s[6:7], exec
	s_or_b64 s[4:5], s[4:5], s[6:7]
.LBB536_50:                             ;   in Loop: Header=BB536_37 Depth=1
	s_or_b64 exec, exec, s[26:27]
	s_andn2_b64 s[2:3], s[2:3], exec
	s_and_b64 s[4:5], s[4:5], exec
	s_or_b64 s[2:3], s[2:3], s[4:5]
.LBB536_51:                             ;   in Loop: Header=BB536_37 Depth=1
	s_or_b64 exec, exec, s[24:25]
	s_andn2_b64 s[0:1], s[0:1], exec
	s_and_b64 s[2:3], s[2:3], exec
	s_or_b64 s[0:1], s[0:1], s[2:3]
.LBB536_52:                             ;   in Loop: Header=BB536_37 Depth=1
	s_or_b64 exec, exec, s[22:23]
	s_andn2_b64 s[2:3], vcc, exec
	s_and_b64 s[0:1], s[0:1], exec
	s_or_b64 vcc, s[2:3], s[0:1]
.LBB536_53:                             ;   in Loop: Header=BB536_37 Depth=1
	s_or_b64 exec, exec, s[20:21]
	s_and_saveexec_b64 s[0:1], vcc
	s_cbranch_execz .LBB536_55
; %bb.54:                               ;   in Loop: Header=BB536_37 Depth=1
	v_cmp_eq_u32_e32 vcc, 1, v18
	v_add_u32_e32 v30, s15, v10
	v_ashrrev_i32_e32 v31, 31, v30
	v_cndmask_b32_e32 v11, v0, v1, vcc
	v_cmp_eq_u32_e32 vcc, 2, v18
	s_nop 1
	v_cndmask_b32_e32 v11, v11, v2, vcc
	v_cmp_eq_u32_e32 vcc, 3, v18
	s_nop 1
	;; [unrolled: 3-line block ×6, first 2 shown]
	v_cndmask_b32_e32 v11, v11, v7, vcc
	v_cmp_eq_u32_e32 vcc, 8, v18
	v_lshl_add_u64 v[18:19], v[30:31], 2, s[16:17]
	s_nop 0
	v_cndmask_b32_e32 v11, v11, v8, vcc
	v_mul_f32_e32 v11, v21, v11
	global_store_dword v[18:19], v11, off
.LBB536_55:                             ;   in Loop: Header=BB536_37 Depth=1
	s_or_b64 exec, exec, s[0:1]
	global_load_dword v11, v[16:17], off
	v_mov_b64_e32 v[18:19], 0
	s_waitcnt vmcnt(0)
	v_cmp_eq_u32_e64 s[10:11], v20, v11
	v_cmp_ne_u32_e32 vcc, v20, v11
	s_and_saveexec_b64 s[12:13], vcc
	s_cbranch_execz .LBB536_71
; %bb.56:                               ;   in Loop: Header=BB536_37 Depth=1
	v_cmp_eq_u32_e32 vcc, v28, v11
	v_cmp_ne_u32_e64 s[0:1], v28, v11
	v_mov_b64_e32 v[18:19], 1
	s_and_saveexec_b64 s[20:21], s[0:1]
	s_cbranch_execz .LBB536_70
; %bb.57:                               ;   in Loop: Header=BB536_37 Depth=1
	v_cmp_eq_u32_e64 s[0:1], v27, v11
	v_cmp_ne_u32_e64 s[2:3], v27, v11
	v_mov_b64_e32 v[18:19], 2
	s_and_saveexec_b64 s[22:23], s[2:3]
	s_cbranch_execz .LBB536_69
; %bb.58:                               ;   in Loop: Header=BB536_37 Depth=1
	v_cmp_eq_u32_e64 s[2:3], v26, v11
	v_cmp_ne_u32_e64 s[4:5], v26, v11
	v_mov_b64_e32 v[18:19], 3
	s_and_saveexec_b64 s[24:25], s[4:5]
	s_cbranch_execz .LBB536_68
; %bb.59:                               ;   in Loop: Header=BB536_37 Depth=1
	v_cmp_eq_u32_e64 s[4:5], v25, v11
	v_cmp_ne_u32_e64 s[6:7], v25, v11
	v_mov_b64_e32 v[18:19], 4
	s_and_saveexec_b64 s[26:27], s[6:7]
	s_cbranch_execz .LBB536_67
; %bb.60:                               ;   in Loop: Header=BB536_37 Depth=1
	v_cmp_eq_u32_e64 s[6:7], v24, v11
	v_cmp_ne_u32_e64 s[8:9], v24, v11
	v_mov_b64_e32 v[18:19], 5
	s_and_saveexec_b64 s[28:29], s[8:9]
	s_cbranch_execz .LBB536_66
; %bb.61:                               ;   in Loop: Header=BB536_37 Depth=1
	v_cmp_eq_u32_e64 s[30:31], v23, v11
	v_cmp_ne_u32_e64 s[8:9], v23, v11
	v_mov_b64_e32 v[18:19], 6
	s_and_saveexec_b64 s[34:35], s[8:9]
	s_cbranch_execz .LBB536_65
; %bb.62:                               ;   in Loop: Header=BB536_37 Depth=1
	v_cmp_eq_u32_e64 s[36:37], v22, v11
	v_cmp_ne_u32_e64 s[8:9], v22, v11
	v_mov_b64_e32 v[18:19], 7
	s_and_saveexec_b64 s[38:39], s[8:9]
; %bb.63:                               ;   in Loop: Header=BB536_37 Depth=1
	v_cmp_eq_u32_e64 s[8:9], v9, v11
	s_andn2_b64 s[36:37], s[36:37], exec
	s_and_b64 s[8:9], s[8:9], exec
	v_mov_b64_e32 v[18:19], 8
	s_or_b64 s[36:37], s[36:37], s[8:9]
; %bb.64:                               ;   in Loop: Header=BB536_37 Depth=1
	s_or_b64 exec, exec, s[38:39]
	s_andn2_b64 s[8:9], s[30:31], exec
	s_and_b64 s[30:31], s[36:37], exec
	s_or_b64 s[30:31], s[8:9], s[30:31]
.LBB536_65:                             ;   in Loop: Header=BB536_37 Depth=1
	s_or_b64 exec, exec, s[34:35]
	s_andn2_b64 s[6:7], s[6:7], exec
	s_and_b64 s[8:9], s[30:31], exec
	s_or_b64 s[6:7], s[6:7], s[8:9]
.LBB536_66:                             ;   in Loop: Header=BB536_37 Depth=1
	s_or_b64 exec, exec, s[28:29]
	s_andn2_b64 s[4:5], s[4:5], exec
	s_and_b64 s[6:7], s[6:7], exec
	s_or_b64 s[4:5], s[4:5], s[6:7]
.LBB536_67:                             ;   in Loop: Header=BB536_37 Depth=1
	s_or_b64 exec, exec, s[26:27]
	s_andn2_b64 s[2:3], s[2:3], exec
	s_and_b64 s[4:5], s[4:5], exec
	s_or_b64 s[2:3], s[2:3], s[4:5]
.LBB536_68:                             ;   in Loop: Header=BB536_37 Depth=1
	s_or_b64 exec, exec, s[24:25]
	s_andn2_b64 s[0:1], s[0:1], exec
	s_and_b64 s[2:3], s[2:3], exec
	s_or_b64 s[0:1], s[0:1], s[2:3]
.LBB536_69:                             ;   in Loop: Header=BB536_37 Depth=1
	s_or_b64 exec, exec, s[22:23]
	s_andn2_b64 s[2:3], vcc, exec
	s_and_b64 s[0:1], s[0:1], exec
	s_or_b64 vcc, s[2:3], s[0:1]
.LBB536_70:                             ;   in Loop: Header=BB536_37 Depth=1
	s_or_b64 exec, exec, s[20:21]
	s_andn2_b64 s[0:1], s[10:11], exec
	s_and_b64 s[2:3], vcc, exec
	s_or_b64 s[10:11], s[0:1], s[2:3]
.LBB536_71:                             ;   in Loop: Header=BB536_37 Depth=1
	s_or_b64 exec, exec, s[12:13]
	s_and_saveexec_b64 s[0:1], s[10:11]
	s_cbranch_execz .LBB536_36
; %bb.72:                               ;   in Loop: Header=BB536_37 Depth=1
	v_cmp_eq_u32_e32 vcc, 1, v18
	s_nop 1
	v_cndmask_b32_e32 v11, v0, v1, vcc
	v_cmp_eq_u32_e32 vcc, 2, v18
	s_nop 1
	v_cndmask_b32_e32 v11, v11, v2, vcc
	;; [unrolled: 3-line block ×8, first 2 shown]
	v_mul_f32_e32 v11, v21, v11
	global_store_dword v[14:15], v11, off
	s_branch .LBB536_36
.LBB536_73:
	s_bitcmp0_b32 s14, 0
	s_mov_b32 s19, 0
	s_cbranch_scc1 .LBB536_31
; %bb.74:
	v_lshl_add_u64 v[12:13], s[18:19], 3, v[12:13]
	global_load_dword v11, v[12:13], off
	v_mov_b64_e32 v[12:13], 0
	s_waitcnt vmcnt(0)
	v_cmp_eq_u32_e64 s[10:11], v20, v11
	v_cmp_ne_u32_e32 vcc, v20, v11
	s_and_saveexec_b64 s[12:13], vcc
	s_cbranch_execz .LBB536_90
; %bb.75:
	v_cmp_eq_u32_e32 vcc, v28, v11
	v_cmp_ne_u32_e64 s[0:1], v28, v11
	v_mov_b64_e32 v[12:13], 1
	s_and_saveexec_b64 s[14:15], s[0:1]
	s_cbranch_execz .LBB536_89
; %bb.76:
	v_cmp_eq_u32_e64 s[0:1], v27, v11
	v_cmp_ne_u32_e64 s[2:3], v27, v11
	v_mov_b64_e32 v[12:13], 2
	s_and_saveexec_b64 s[20:21], s[2:3]
	s_cbranch_execz .LBB536_88
; %bb.77:
	v_cmp_eq_u32_e64 s[2:3], v26, v11
	;; [unrolled: 6-line block ×6, first 2 shown]
	v_cmp_ne_u32_e64 s[8:9], v22, v11
	v_mov_b64_e32 v[12:13], 7
	s_and_saveexec_b64 s[36:37], s[8:9]
; %bb.82:
	v_cmp_eq_u32_e64 s[8:9], v9, v11
	s_andn2_b64 s[34:35], s[34:35], exec
	s_and_b64 s[8:9], s[8:9], exec
	v_mov_b64_e32 v[12:13], 8
	s_or_b64 s[34:35], s[34:35], s[8:9]
; %bb.83:
	s_or_b64 exec, exec, s[36:37]
	s_andn2_b64 s[8:9], s[28:29], exec
	s_and_b64 s[28:29], s[34:35], exec
	s_or_b64 s[28:29], s[8:9], s[28:29]
.LBB536_84:
	s_or_b64 exec, exec, s[30:31]
	s_andn2_b64 s[6:7], s[6:7], exec
	s_and_b64 s[8:9], s[28:29], exec
	s_or_b64 s[6:7], s[6:7], s[8:9]
.LBB536_85:
	s_or_b64 exec, exec, s[26:27]
	s_andn2_b64 s[4:5], s[4:5], exec
	s_and_b64 s[6:7], s[6:7], exec
	s_or_b64 s[4:5], s[4:5], s[6:7]
.LBB536_86:
	s_or_b64 exec, exec, s[24:25]
	s_andn2_b64 s[2:3], s[2:3], exec
	s_and_b64 s[4:5], s[4:5], exec
	s_or_b64 s[2:3], s[2:3], s[4:5]
.LBB536_87:
	s_or_b64 exec, exec, s[22:23]
	s_andn2_b64 s[0:1], s[0:1], exec
	s_and_b64 s[2:3], s[2:3], exec
	s_or_b64 s[0:1], s[0:1], s[2:3]
.LBB536_88:
	s_or_b64 exec, exec, s[20:21]
	s_andn2_b64 s[2:3], vcc, exec
	s_and_b64 s[0:1], s[0:1], exec
	s_or_b64 vcc, s[2:3], s[0:1]
.LBB536_89:
	s_or_b64 exec, exec, s[14:15]
	s_andn2_b64 s[0:1], s[10:11], exec
	s_and_b64 s[2:3], vcc, exec
	s_or_b64 s[10:11], s[0:1], s[2:3]
.LBB536_90:
	s_or_b64 exec, exec, s[12:13]
	s_and_b64 exec, exec, s[10:11]
	s_cbranch_execz .LBB536_31
; %bb.91:
	v_cmp_eq_u32_e32 vcc, 1, v12
	v_add_u32_e32 v10, s18, v10
	v_ashrrev_i32_e32 v11, 31, v10
	v_cndmask_b32_e32 v0, v0, v1, vcc
	v_cmp_eq_u32_e32 vcc, 2, v12
	s_nop 1
	v_cndmask_b32_e32 v0, v0, v2, vcc
	v_cmp_eq_u32_e32 vcc, 3, v12
	s_nop 1
	;; [unrolled: 3-line block ×7, first 2 shown]
	v_cndmask_b32_e32 v0, v0, v8, vcc
	v_mul_f32_e32 v2, v21, v0
	s_waitcnt lgkmcnt(0)
	v_lshl_add_u64 v[0:1], v[10:11], 2, s[16:17]
	global_store_dword v[0:1], v2, off
	s_endpgm
	.section	.rodata,"a",@progbits
	.p2align	6, 0x0
	.amdhsa_kernel _ZN4vllm3moe22topkGatingSoftplusSqrtILi9ELi576ELi4ELi2ELi64ELb1El14__hip_bfloat16EEvPKT6_PKbPfiPT5_PiiiibdPKfPKS9_SF_
		.amdhsa_group_segment_fixed_size 0
		.amdhsa_private_segment_fixed_size 0
		.amdhsa_kernarg_size 96
		.amdhsa_user_sgpr_count 2
		.amdhsa_user_sgpr_dispatch_ptr 0
		.amdhsa_user_sgpr_queue_ptr 0
		.amdhsa_user_sgpr_kernarg_segment_ptr 1
		.amdhsa_user_sgpr_dispatch_id 0
		.amdhsa_user_sgpr_kernarg_preload_length 0
		.amdhsa_user_sgpr_kernarg_preload_offset 0
		.amdhsa_user_sgpr_private_segment_size 0
		.amdhsa_uses_dynamic_stack 0
		.amdhsa_enable_private_segment 0
		.amdhsa_system_sgpr_workgroup_id_x 1
		.amdhsa_system_sgpr_workgroup_id_y 0
		.amdhsa_system_sgpr_workgroup_id_z 0
		.amdhsa_system_sgpr_workgroup_info 0
		.amdhsa_system_vgpr_workitem_id 1
		.amdhsa_next_free_vgpr 32
		.amdhsa_next_free_sgpr 40
		.amdhsa_accum_offset 32
		.amdhsa_reserve_vcc 1
		.amdhsa_float_round_mode_32 0
		.amdhsa_float_round_mode_16_64 0
		.amdhsa_float_denorm_mode_32 3
		.amdhsa_float_denorm_mode_16_64 3
		.amdhsa_dx10_clamp 1
		.amdhsa_ieee_mode 1
		.amdhsa_fp16_overflow 0
		.amdhsa_tg_split 0
		.amdhsa_exception_fp_ieee_invalid_op 0
		.amdhsa_exception_fp_denorm_src 0
		.amdhsa_exception_fp_ieee_div_zero 0
		.amdhsa_exception_fp_ieee_overflow 0
		.amdhsa_exception_fp_ieee_underflow 0
		.amdhsa_exception_fp_ieee_inexact 0
		.amdhsa_exception_int_div_zero 0
	.end_amdhsa_kernel
	.section	.text._ZN4vllm3moe22topkGatingSoftplusSqrtILi9ELi576ELi4ELi2ELi64ELb1El14__hip_bfloat16EEvPKT6_PKbPfiPT5_PiiiibdPKfPKS9_SF_,"axG",@progbits,_ZN4vllm3moe22topkGatingSoftplusSqrtILi9ELi576ELi4ELi2ELi64ELb1El14__hip_bfloat16EEvPKT6_PKbPfiPT5_PiiiibdPKfPKS9_SF_,comdat
.Lfunc_end536:
	.size	_ZN4vllm3moe22topkGatingSoftplusSqrtILi9ELi576ELi4ELi2ELi64ELb1El14__hip_bfloat16EEvPKT6_PKbPfiPT5_PiiiibdPKfPKS9_SF_, .Lfunc_end536-_ZN4vllm3moe22topkGatingSoftplusSqrtILi9ELi576ELi4ELi2ELi64ELb1El14__hip_bfloat16EEvPKT6_PKbPfiPT5_PiiiibdPKfPKS9_SF_
                                        ; -- End function
	.section	.AMDGPU.csdata,"",@progbits
; Kernel info:
; codeLenInByte = 5264
; NumSgprs: 46
; NumVgprs: 32
; NumAgprs: 0
; TotalNumVgprs: 32
; ScratchSize: 0
; MemoryBound: 0
; FloatMode: 240
; IeeeMode: 1
; LDSByteSize: 0 bytes/workgroup (compile time only)
; SGPRBlocks: 5
; VGPRBlocks: 3
; NumSGPRsForWavesPerEU: 46
; NumVGPRsForWavesPerEU: 32
; AccumOffset: 32
; Occupancy: 8
; WaveLimiterHint : 1
; COMPUTE_PGM_RSRC2:SCRATCH_EN: 0
; COMPUTE_PGM_RSRC2:USER_SGPR: 2
; COMPUTE_PGM_RSRC2:TRAP_HANDLER: 0
; COMPUTE_PGM_RSRC2:TGID_X_EN: 1
; COMPUTE_PGM_RSRC2:TGID_Y_EN: 0
; COMPUTE_PGM_RSRC2:TGID_Z_EN: 0
; COMPUTE_PGM_RSRC2:TIDIG_COMP_CNT: 1
; COMPUTE_PGM_RSRC3_GFX90A:ACCUM_OFFSET: 7
; COMPUTE_PGM_RSRC3_GFX90A:TG_SPLIT: 0
	.section	.text._ZN4vllm3moe22topkGatingSoftplusSqrtILi9ELi576ELi4ELi2ELi64ELb0El14__hip_bfloat16EEvPKT6_PKbPfiPT5_PiiiibdPKfPKS9_SF_,"axG",@progbits,_ZN4vllm3moe22topkGatingSoftplusSqrtILi9ELi576ELi4ELi2ELi64ELb0El14__hip_bfloat16EEvPKT6_PKbPfiPT5_PiiiibdPKfPKS9_SF_,comdat
	.protected	_ZN4vllm3moe22topkGatingSoftplusSqrtILi9ELi576ELi4ELi2ELi64ELb0El14__hip_bfloat16EEvPKT6_PKbPfiPT5_PiiiibdPKfPKS9_SF_ ; -- Begin function _ZN4vllm3moe22topkGatingSoftplusSqrtILi9ELi576ELi4ELi2ELi64ELb0El14__hip_bfloat16EEvPKT6_PKbPfiPT5_PiiiibdPKfPKS9_SF_
	.globl	_ZN4vllm3moe22topkGatingSoftplusSqrtILi9ELi576ELi4ELi2ELi64ELb0El14__hip_bfloat16EEvPKT6_PKbPfiPT5_PiiiibdPKfPKS9_SF_
	.p2align	8
	.type	_ZN4vllm3moe22topkGatingSoftplusSqrtILi9ELi576ELi4ELi2ELi64ELb0El14__hip_bfloat16EEvPKT6_PKbPfiPT5_PiiiibdPKfPKS9_SF_,@function
_ZN4vllm3moe22topkGatingSoftplusSqrtILi9ELi576ELi4ELi2ELi64ELb0El14__hip_bfloat16EEvPKT6_PKbPfiPT5_PiiiibdPKfPKS9_SF_: ; @_ZN4vllm3moe22topkGatingSoftplusSqrtILi9ELi576ELi4ELi2ELi64ELb0El14__hip_bfloat16EEvPKT6_PKbPfiPT5_PiiiibdPKfPKS9_SF_
; %bb.0:
	s_load_dword s30, s[0:1], 0x18
	v_and_b32_e32 v1, 0x3ff, v0
	s_lshl_b32 s2, s2, 2
	v_lshrrev_b32_e32 v2, 6, v1
	v_bfe_u32 v0, v0, 10, 10
	v_add3_u32 v10, s2, v0, v2
	s_waitcnt lgkmcnt(0)
	v_cmp_gt_i32_e32 vcc, s30, v10
	s_and_saveexec_b64 s[2:3], vcc
	s_cbranch_execz .LBB537_67
; %bb.1:
	s_load_dwordx4 s[4:7], s[0:1], 0x0
	s_load_dwordx2 s[20:21], s[0:1], 0x10
	s_waitcnt lgkmcnt(0)
	s_cmp_eq_u64 s[6:7], 0
	s_cbranch_scc1 .LBB537_3
; %bb.2:
	v_ashrrev_i32_e32 v11, 31, v10
	v_lshl_add_u64 v[2:3], s[6:7], 0, v[10:11]
	global_load_ubyte v0, v[2:3], off
	s_waitcnt vmcnt(0)
	v_and_b32_e32 v0, 1, v0
	v_cmp_eq_u32_e32 vcc, 1, v0
	s_xor_b64 s[2:3], vcc, -1
	s_orn2_b64 s[22:23], s[2:3], exec
	s_branch .LBB537_4
.LBB537_3:
	s_mov_b64 s[22:23], -1
.LBB537_4:
	s_movk_i32 s2, 0x240
	v_mul_lo_u32 v4, v10, s2
	v_mov_b32_e32 v2, s4
	v_mov_b32_e32 v3, s5
	v_ashrrev_i32_e32 v5, 31, v4
	v_and_b32_e32 v12, 63, v1
	v_lshl_add_u64 v[2:3], v[4:5], 1, v[2:3]
	v_mov_b32_e32 v1, 0
	v_lshlrev_b32_e32 v0, 1, v12
	v_lshl_add_u64 v[14:15], v[2:3], 0, v[0:1]
	global_load_ushort v0, v[14:15], off
	global_load_ushort v1, v[14:15], off offset:128
	global_load_ushort v2, v[14:15], off offset:256
	;; [unrolled: 1-line block ×8, first 2 shown]
	s_mov_b32 s16, 0x800000
	v_mov_b32_e32 v13, 0x4f800000
	s_mov_b32 s13, 0x3f317217
	s_mov_b32 s14, 0x7f800000
	v_mov_b32_e32 v14, 0x41b17218
	s_mov_b32 s12, 0x41a00000
	s_mov_b32 s15, 0xf800000
	s_load_dwordx4 s[8:11], s[0:1], 0x40
	s_waitcnt lgkmcnt(0)
	s_cmp_lg_u64 s[10:11], 0
	s_cselect_b64 s[6:7], -1, 0
	s_and_b64 s[2:3], exec, s[6:7]
	s_waitcnt vmcnt(8)
	v_lshlrev_b32_e32 v0, 16, v0
	v_mul_f32_e32 v9, 0x3fb8aa3b, v0
	v_exp_f32_e32 v9, v9
	s_nop 0
	v_add_f32_e32 v9, 1.0, v9
	v_cmp_gt_f32_e32 vcc, s16, v9
	s_nop 1
	v_cndmask_b32_e32 v11, 1.0, v13, vcc
	v_mul_f32_e32 v9, v9, v11
	v_log_f32_e32 v15, v9
	v_cndmask_b32_e32 v16, 0, v14, vcc
	v_mov_b32_e32 v11, 0x260
	v_lshlrev_b32_e32 v9, 2, v12
	v_mul_f32_e32 v17, 0x3f317217, v15
	v_fma_f32 v17, v15, s13, -v17
	v_fmac_f32_e32 v17, 0x3377d1cf, v15
	v_fmac_f32_e32 v17, 0x3f317217, v15
	v_cmp_lt_f32_e64 vcc, |v15|, s14
	s_nop 1
	v_cndmask_b32_e32 v15, v15, v17, vcc
	v_sub_f32_e32 v15, v15, v16
	v_cmp_lt_f32_e32 vcc, s12, v0
	s_nop 1
	v_cndmask_b32_e32 v0, v15, v0, vcc
	v_mul_f32_e32 v15, 0x4f800000, v0
	v_cmp_gt_f32_e32 vcc, s15, v0
	s_nop 1
	v_cndmask_b32_e32 v0, v0, v15, vcc
	v_sqrt_f32_e32 v15, v0
	s_nop 0
	v_add_u32_e32 v16, -1, v15
	v_add_u32_e32 v17, 1, v15
	v_fma_f32 v18, -v16, v15, v0
	v_fma_f32 v19, -v17, v15, v0
	v_cmp_ge_f32_e64 s[4:5], 0, v18
	s_nop 1
	v_cndmask_b32_e64 v15, v15, v16, s[4:5]
	v_cmp_lt_f32_e64 s[4:5], 0, v19
	s_nop 1
	v_cndmask_b32_e64 v15, v15, v17, s[4:5]
	v_mul_f32_e32 v16, 0x37800000, v15
	v_cndmask_b32_e32 v15, v15, v16, vcc
	v_cmp_class_f32_e32 vcc, v0, v11
	s_nop 1
	v_cndmask_b32_e32 v0, v15, v0, vcc
	s_mov_b64 vcc, s[2:3]
	s_cbranch_vccz .LBB537_6
; %bb.5:
	global_load_dword v15, v9, s[10:11]
	s_waitcnt vmcnt(0)
	v_add_f32_e32 v0, v0, v15
.LBB537_6:
	s_waitcnt vmcnt(7)
	v_lshlrev_b32_e32 v1, 16, v1
	v_mul_f32_e32 v15, 0x3fb8aa3b, v1
	v_exp_f32_e32 v15, v15
	s_nop 0
	v_add_f32_e32 v15, 1.0, v15
	v_cmp_gt_f32_e32 vcc, s16, v15
	s_nop 1
	v_cndmask_b32_e32 v13, 1.0, v13, vcc
	v_mul_f32_e32 v13, v15, v13
	v_log_f32_e32 v13, v13
	v_cndmask_b32_e32 v14, 0, v14, vcc
	v_mul_f32_e32 v15, 0x3f317217, v13
	v_fma_f32 v15, v13, s13, -v15
	v_fmac_f32_e32 v15, 0x3377d1cf, v13
	v_fmac_f32_e32 v15, 0x3f317217, v13
	v_cmp_lt_f32_e64 vcc, |v13|, s14
	s_nop 1
	v_cndmask_b32_e32 v13, v13, v15, vcc
	v_sub_f32_e32 v13, v13, v14
	v_cmp_lt_f32_e32 vcc, s12, v1
	s_nop 1
	v_cndmask_b32_e32 v1, v13, v1, vcc
	v_mul_f32_e32 v13, 0x4f800000, v1
	v_cmp_gt_f32_e32 vcc, s15, v1
	s_nop 1
	v_cndmask_b32_e32 v1, v1, v13, vcc
	v_sqrt_f32_e32 v13, v1
	v_cmp_class_f32_e64 s[4:5], v1, v11
	v_add_u32_e32 v14, -1, v13
	v_add_u32_e32 v15, 1, v13
	v_fma_f32 v16, -v14, v13, v1
	v_fma_f32 v17, -v15, v13, v1
	v_cmp_ge_f32_e64 s[2:3], 0, v16
	s_nop 1
	v_cndmask_b32_e64 v13, v13, v14, s[2:3]
	v_cmp_lt_f32_e64 s[2:3], 0, v17
	s_nop 1
	v_cndmask_b32_e64 v13, v13, v15, s[2:3]
	v_mul_f32_e32 v14, 0x37800000, v13
	v_cndmask_b32_e32 v13, v13, v14, vcc
	v_cndmask_b32_e64 v14, 0, 1, s[6:7]
	v_cmp_ne_u32_e64 s[2:3], 1, v14
	s_andn2_b64 vcc, exec, s[6:7]
	v_cndmask_b32_e64 v1, v13, v1, s[4:5]
	s_cbranch_vccnz .LBB537_8
; %bb.7:
	global_load_dword v11, v9, s[10:11] offset:256
	s_waitcnt vmcnt(0)
	v_add_f32_e32 v1, v1, v11
.LBB537_8:
	s_waitcnt vmcnt(6)
	v_lshlrev_b32_e32 v2, 16, v2
	v_mul_f32_e32 v11, 0x3fb8aa3b, v2
	v_exp_f32_e32 v11, v11
	s_mov_b32 s14, 0x800000
	v_mov_b32_e32 v13, 0x4f800000
	s_mov_b32 s7, 0x3f317217
	v_add_f32_e32 v11, 1.0, v11
	v_cmp_gt_f32_e32 vcc, s14, v11
	s_mov_b32 s12, 0x7f800000
	s_mov_b32 s6, 0x41a00000
	v_cndmask_b32_e32 v14, 1.0, v13, vcc
	v_mul_f32_e32 v11, v11, v14
	v_log_f32_e32 v11, v11
	s_mov_b32 s13, 0xf800000
	v_mul_f32_e32 v14, 0x3f317217, v11
	v_fma_f32 v14, v11, s7, -v14
	v_fmac_f32_e32 v14, 0x3377d1cf, v11
	v_fmac_f32_e32 v14, 0x3f317217, v11
	v_cmp_lt_f32_e64 s[4:5], |v11|, s12
	s_nop 1
	v_cndmask_b32_e64 v11, v11, v14, s[4:5]
	v_mov_b32_e32 v14, 0x41b17218
	v_cndmask_b32_e32 v15, 0, v14, vcc
	v_sub_f32_e32 v11, v11, v15
	v_cmp_lt_f32_e32 vcc, s6, v2
	s_nop 1
	v_cndmask_b32_e32 v2, v11, v2, vcc
	v_mul_f32_e32 v11, 0x4f800000, v2
	v_cmp_gt_f32_e32 vcc, s13, v2
	s_nop 1
	v_cndmask_b32_e32 v2, v2, v11, vcc
	v_sqrt_f32_e32 v11, v2
	s_nop 0
	v_add_u32_e32 v15, -1, v11
	v_fma_f32 v16, -v15, v11, v2
	v_cmp_ge_f32_e64 s[4:5], 0, v16
	v_add_u32_e32 v16, 1, v11
	s_nop 0
	v_cndmask_b32_e64 v15, v11, v15, s[4:5]
	v_fma_f32 v11, -v16, v11, v2
	v_cmp_lt_f32_e64 s[4:5], 0, v11
	s_nop 1
	v_cndmask_b32_e64 v11, v15, v16, s[4:5]
	v_mul_f32_e32 v15, 0x37800000, v11
	v_cndmask_b32_e32 v15, v11, v15, vcc
	v_mov_b32_e32 v11, 0x260
	v_cmp_class_f32_e64 s[4:5], v2, v11
	s_and_b64 vcc, exec, s[2:3]
	s_nop 0
	v_cndmask_b32_e64 v2, v15, v2, s[4:5]
	s_cbranch_vccnz .LBB537_10
; %bb.9:
	global_load_dword v15, v9, s[10:11] offset:512
	s_waitcnt vmcnt(0)
	v_add_f32_e32 v2, v2, v15
.LBB537_10:
	s_waitcnt vmcnt(5)
	v_lshlrev_b32_e32 v3, 16, v3
	v_mul_f32_e32 v15, 0x3fb8aa3b, v3
	v_exp_f32_e32 v15, v15
	s_nop 0
	v_add_f32_e32 v15, 1.0, v15
	v_cmp_gt_f32_e32 vcc, s14, v15
	s_nop 1
	v_cndmask_b32_e32 v13, 1.0, v13, vcc
	v_mul_f32_e32 v13, v15, v13
	v_log_f32_e32 v13, v13
	v_cndmask_b32_e32 v14, 0, v14, vcc
	v_mul_f32_e32 v15, 0x3f317217, v13
	v_fma_f32 v15, v13, s7, -v15
	v_fmac_f32_e32 v15, 0x3377d1cf, v13
	v_fmac_f32_e32 v15, 0x3f317217, v13
	v_cmp_lt_f32_e64 vcc, |v13|, s12
	s_nop 1
	v_cndmask_b32_e32 v13, v13, v15, vcc
	v_sub_f32_e32 v13, v13, v14
	v_cmp_lt_f32_e32 vcc, s6, v3
	s_nop 1
	v_cndmask_b32_e32 v3, v13, v3, vcc
	v_mul_f32_e32 v13, 0x4f800000, v3
	v_cmp_gt_f32_e32 vcc, s13, v3
	s_nop 1
	v_cndmask_b32_e32 v3, v3, v13, vcc
	v_sqrt_f32_e32 v13, v3
	s_nop 0
	v_add_u32_e32 v14, -1, v13
	v_add_u32_e32 v15, 1, v13
	v_fma_f32 v16, -v14, v13, v3
	v_fma_f32 v17, -v15, v13, v3
	v_cmp_ge_f32_e64 s[4:5], 0, v16
	s_nop 1
	v_cndmask_b32_e64 v13, v13, v14, s[4:5]
	v_cmp_lt_f32_e64 s[4:5], 0, v17
	s_nop 1
	v_cndmask_b32_e64 v13, v13, v15, s[4:5]
	v_mul_f32_e32 v14, 0x37800000, v13
	v_cndmask_b32_e32 v13, v13, v14, vcc
	v_cmp_class_f32_e64 s[4:5], v3, v11
	s_and_b64 vcc, exec, s[2:3]
	s_nop 0
	v_cndmask_b32_e64 v3, v13, v3, s[4:5]
	s_cbranch_vccnz .LBB537_12
; %bb.11:
	global_load_dword v11, v9, s[10:11] offset:768
	s_waitcnt vmcnt(0)
	v_add_f32_e32 v3, v3, v11
.LBB537_12:
	s_waitcnt vmcnt(4)
	v_lshlrev_b32_e32 v4, 16, v4
	v_mul_f32_e32 v11, 0x3fb8aa3b, v4
	v_exp_f32_e32 v11, v11
	v_mov_b32_e32 v13, 0x4f800000
	v_add_f32_e32 v11, 1.0, v11
	v_cmp_gt_f32_e32 vcc, s14, v11
	s_nop 1
	v_cndmask_b32_e32 v14, 1.0, v13, vcc
	v_mul_f32_e32 v11, v11, v14
	v_log_f32_e32 v11, v11
	s_nop 0
	v_mul_f32_e32 v14, 0x3f317217, v11
	v_fma_f32 v14, v11, s7, -v14
	v_fmac_f32_e32 v14, 0x3377d1cf, v11
	v_fmac_f32_e32 v14, 0x3f317217, v11
	v_cmp_lt_f32_e64 s[4:5], |v11|, s12
	s_nop 1
	v_cndmask_b32_e64 v11, v11, v14, s[4:5]
	v_mov_b32_e32 v14, 0x41b17218
	v_cndmask_b32_e32 v15, 0, v14, vcc
	v_sub_f32_e32 v11, v11, v15
	v_cmp_lt_f32_e32 vcc, s6, v4
	s_nop 1
	v_cndmask_b32_e32 v4, v11, v4, vcc
	v_mul_f32_e32 v11, 0x4f800000, v4
	v_cmp_gt_f32_e32 vcc, s13, v4
	s_nop 1
	v_cndmask_b32_e32 v4, v4, v11, vcc
	v_sqrt_f32_e32 v11, v4
	s_nop 0
	v_add_u32_e32 v15, -1, v11
	v_fma_f32 v16, -v15, v11, v4
	v_cmp_ge_f32_e64 s[4:5], 0, v16
	v_add_u32_e32 v16, 1, v11
	s_nop 0
	v_cndmask_b32_e64 v15, v11, v15, s[4:5]
	v_fma_f32 v11, -v16, v11, v4
	v_cmp_lt_f32_e64 s[4:5], 0, v11
	s_nop 1
	v_cndmask_b32_e64 v11, v15, v16, s[4:5]
	v_mul_f32_e32 v15, 0x37800000, v11
	v_cndmask_b32_e32 v15, v11, v15, vcc
	v_mov_b32_e32 v11, 0x260
	v_cmp_class_f32_e64 s[4:5], v4, v11
	s_and_b64 vcc, exec, s[2:3]
	s_nop 0
	v_cndmask_b32_e64 v4, v15, v4, s[4:5]
	s_cbranch_vccnz .LBB537_14
; %bb.13:
	global_load_dword v15, v9, s[10:11] offset:1024
	s_waitcnt vmcnt(0)
	v_add_f32_e32 v4, v4, v15
.LBB537_14:
	s_waitcnt vmcnt(3)
	v_lshlrev_b32_e32 v5, 16, v5
	v_mul_f32_e32 v15, 0x3fb8aa3b, v5
	v_exp_f32_e32 v15, v15
	s_nop 0
	v_add_f32_e32 v15, 1.0, v15
	v_cmp_gt_f32_e32 vcc, s14, v15
	s_nop 1
	v_cndmask_b32_e32 v13, 1.0, v13, vcc
	v_mul_f32_e32 v13, v15, v13
	v_log_f32_e32 v13, v13
	v_cndmask_b32_e32 v14, 0, v14, vcc
	v_mul_f32_e32 v15, 0x3f317217, v13
	v_fma_f32 v15, v13, s7, -v15
	v_fmac_f32_e32 v15, 0x3377d1cf, v13
	v_fmac_f32_e32 v15, 0x3f317217, v13
	v_cmp_lt_f32_e64 vcc, |v13|, s12
	s_nop 1
	v_cndmask_b32_e32 v13, v13, v15, vcc
	v_sub_f32_e32 v13, v13, v14
	v_cmp_lt_f32_e32 vcc, s6, v5
	s_nop 1
	v_cndmask_b32_e32 v5, v13, v5, vcc
	v_mul_f32_e32 v13, 0x4f800000, v5
	v_cmp_gt_f32_e32 vcc, s13, v5
	s_nop 1
	v_cndmask_b32_e32 v5, v5, v13, vcc
	v_sqrt_f32_e32 v13, v5
	s_nop 0
	v_add_u32_e32 v14, -1, v13
	v_add_u32_e32 v15, 1, v13
	v_fma_f32 v16, -v14, v13, v5
	v_fma_f32 v17, -v15, v13, v5
	v_cmp_ge_f32_e64 s[4:5], 0, v16
	s_nop 1
	v_cndmask_b32_e64 v13, v13, v14, s[4:5]
	v_cmp_lt_f32_e64 s[4:5], 0, v17
	s_nop 1
	v_cndmask_b32_e64 v13, v13, v15, s[4:5]
	v_mul_f32_e32 v14, 0x37800000, v13
	v_cndmask_b32_e32 v13, v13, v14, vcc
	v_cmp_class_f32_e64 s[4:5], v5, v11
	s_and_b64 vcc, exec, s[2:3]
	s_nop 0
	v_cndmask_b32_e64 v5, v13, v5, s[4:5]
	s_cbranch_vccnz .LBB537_16
; %bb.15:
	global_load_dword v11, v9, s[10:11] offset:1280
	s_waitcnt vmcnt(0)
	v_add_f32_e32 v5, v5, v11
.LBB537_16:
	s_waitcnt vmcnt(2)
	v_lshlrev_b32_e32 v6, 16, v6
	v_mul_f32_e32 v11, 0x3fb8aa3b, v6
	v_exp_f32_e32 v11, v11
	v_mov_b32_e32 v13, 0x4f800000
	v_add_f32_e32 v11, 1.0, v11
	v_cmp_gt_f32_e32 vcc, s14, v11
	s_nop 1
	v_cndmask_b32_e32 v14, 1.0, v13, vcc
	v_mul_f32_e32 v11, v11, v14
	v_log_f32_e32 v11, v11
	s_nop 0
	v_mul_f32_e32 v14, 0x3f317217, v11
	v_fma_f32 v14, v11, s7, -v14
	v_fmac_f32_e32 v14, 0x3377d1cf, v11
	v_fmac_f32_e32 v14, 0x3f317217, v11
	v_cmp_lt_f32_e64 s[4:5], |v11|, s12
	s_nop 1
	v_cndmask_b32_e64 v11, v11, v14, s[4:5]
	v_mov_b32_e32 v14, 0x41b17218
	v_cndmask_b32_e32 v15, 0, v14, vcc
	v_sub_f32_e32 v11, v11, v15
	v_cmp_lt_f32_e32 vcc, s6, v6
	s_nop 1
	v_cndmask_b32_e32 v6, v11, v6, vcc
	v_mul_f32_e32 v11, 0x4f800000, v6
	v_cmp_gt_f32_e32 vcc, s13, v6
	s_nop 1
	v_cndmask_b32_e32 v6, v6, v11, vcc
	v_sqrt_f32_e32 v11, v6
	s_nop 0
	v_add_u32_e32 v15, -1, v11
	v_fma_f32 v16, -v15, v11, v6
	v_cmp_ge_f32_e64 s[4:5], 0, v16
	v_add_u32_e32 v16, 1, v11
	s_nop 0
	v_cndmask_b32_e64 v15, v11, v15, s[4:5]
	v_fma_f32 v11, -v16, v11, v6
	v_cmp_lt_f32_e64 s[4:5], 0, v11
	s_nop 1
	v_cndmask_b32_e64 v11, v15, v16, s[4:5]
	v_mul_f32_e32 v15, 0x37800000, v11
	v_cndmask_b32_e32 v15, v11, v15, vcc
	v_mov_b32_e32 v11, 0x260
	v_cmp_class_f32_e64 s[4:5], v6, v11
	s_and_b64 vcc, exec, s[2:3]
	s_nop 0
	v_cndmask_b32_e64 v6, v15, v6, s[4:5]
	s_cbranch_vccnz .LBB537_18
; %bb.17:
	global_load_dword v15, v9, s[10:11] offset:1536
	s_waitcnt vmcnt(0)
	v_add_f32_e32 v6, v6, v15
.LBB537_18:
	s_waitcnt vmcnt(1)
	v_lshlrev_b32_e32 v7, 16, v7
	v_mul_f32_e32 v15, 0x3fb8aa3b, v7
	v_exp_f32_e32 v15, v15
	s_nop 0
	v_add_f32_e32 v15, 1.0, v15
	v_cmp_gt_f32_e32 vcc, s14, v15
	s_nop 1
	v_cndmask_b32_e32 v13, 1.0, v13, vcc
	v_mul_f32_e32 v13, v15, v13
	v_log_f32_e32 v13, v13
	v_cndmask_b32_e32 v14, 0, v14, vcc
	v_mul_f32_e32 v15, 0x3f317217, v13
	v_fma_f32 v15, v13, s7, -v15
	v_fmac_f32_e32 v15, 0x3377d1cf, v13
	v_fmac_f32_e32 v15, 0x3f317217, v13
	v_cmp_lt_f32_e64 vcc, |v13|, s12
	s_nop 1
	v_cndmask_b32_e32 v13, v13, v15, vcc
	v_sub_f32_e32 v13, v13, v14
	v_cmp_lt_f32_e32 vcc, s6, v7
	s_nop 1
	v_cndmask_b32_e32 v7, v13, v7, vcc
	v_mul_f32_e32 v13, 0x4f800000, v7
	v_cmp_gt_f32_e32 vcc, s13, v7
	s_nop 1
	v_cndmask_b32_e32 v7, v7, v13, vcc
	v_sqrt_f32_e32 v13, v7
	s_nop 0
	v_add_u32_e32 v14, -1, v13
	v_add_u32_e32 v15, 1, v13
	v_fma_f32 v16, -v14, v13, v7
	v_fma_f32 v17, -v15, v13, v7
	v_cmp_ge_f32_e64 s[4:5], 0, v16
	s_nop 1
	v_cndmask_b32_e64 v13, v13, v14, s[4:5]
	v_cmp_lt_f32_e64 s[4:5], 0, v17
	s_nop 1
	v_cndmask_b32_e64 v13, v13, v15, s[4:5]
	v_mul_f32_e32 v14, 0x37800000, v13
	v_cndmask_b32_e32 v13, v13, v14, vcc
	v_cmp_class_f32_e64 s[4:5], v7, v11
	s_and_b64 vcc, exec, s[2:3]
	s_nop 0
	v_cndmask_b32_e64 v7, v13, v7, s[4:5]
	s_cbranch_vccnz .LBB537_20
; %bb.19:
	global_load_dword v11, v9, s[10:11] offset:1792
	s_waitcnt vmcnt(0)
	v_add_f32_e32 v7, v7, v11
.LBB537_20:
	s_waitcnt vmcnt(0)
	v_lshlrev_b32_e32 v8, 16, v8
	v_mul_f32_e32 v11, 0x3fb8aa3b, v8
	v_exp_f32_e32 v11, v11
	s_mov_b32 s4, 0x800000
	v_mov_b32_e32 v13, 0x4f800000
	s_mov_b32 s5, 0x7f800000
	v_add_f32_e32 v11, 1.0, v11
	v_cmp_gt_f32_e32 vcc, s4, v11
	s_mov_b32 s4, 0x3f317217
	s_nop 0
	v_cndmask_b32_e32 v13, 1.0, v13, vcc
	v_mul_f32_e32 v11, v11, v13
	v_log_f32_e32 v11, v11
	s_nop 0
	v_mul_f32_e32 v13, 0x3f317217, v11
	v_fma_f32 v13, v11, s4, -v13
	v_fmamk_f32 v13, v11, 0x3377d1cf, v13
	v_fmac_f32_e32 v13, 0x3f317217, v11
	v_cmp_lt_f32_e64 s[4:5], |v11|, s5
	s_nop 1
	v_cndmask_b32_e64 v11, v11, v13, s[4:5]
	v_mov_b32_e32 v13, 0x41b17218
	v_cndmask_b32_e32 v13, 0, v13, vcc
	v_sub_f32_e32 v11, v11, v13
	v_cmp_lt_f32_e32 vcc, s6, v8
	s_mov_b32 s4, 0xf800000
	s_nop 0
	v_cndmask_b32_e32 v8, v11, v8, vcc
	v_mul_f32_e32 v11, 0x4f800000, v8
	v_cmp_gt_f32_e32 vcc, s4, v8
	s_nop 1
	v_cndmask_b32_e32 v8, v8, v11, vcc
	v_sqrt_f32_e32 v11, v8
	s_nop 0
	v_add_u32_e32 v13, -1, v11
	v_fma_f32 v14, -v13, v11, v8
	v_cmp_ge_f32_e64 s[4:5], 0, v14
	v_add_u32_e32 v14, 1, v11
	s_nop 0
	v_cndmask_b32_e64 v13, v11, v13, s[4:5]
	v_fma_f32 v11, -v14, v11, v8
	v_cmp_lt_f32_e64 s[4:5], 0, v11
	s_nop 1
	v_cndmask_b32_e64 v11, v13, v14, s[4:5]
	v_mul_f32_e32 v13, 0x37800000, v11
	v_cndmask_b32_e32 v11, v11, v13, vcc
	v_mov_b32_e32 v13, 0x260
	v_cmp_class_f32_e64 s[4:5], v8, v13
	s_and_b64 vcc, exec, s[2:3]
	s_nop 0
	v_cndmask_b32_e64 v8, v11, v8, s[4:5]
	s_cbranch_vccnz .LBB537_22
; %bb.21:
	global_load_dword v9, v9, s[10:11] offset:2048
	s_waitcnt vmcnt(0)
	v_add_f32_e32 v8, v8, v9
.LBB537_22:
	s_load_dwordx4 s[12:15], s[0:1], 0x30
	v_cmp_eq_u32_e64 s[6:7], 0, v12
	s_waitcnt lgkmcnt(0)
	s_bitcmp1_b32 s15, 0
	s_cselect_b64 s[4:5], -1, 0
	s_cmp_gt_i32 s12, 0
	s_cselect_b64 s[24:25], -1, 0
	s_and_b64 vcc, exec, s[24:25]
	s_cbranch_vccz .LBB537_53
; %bb.23:
	v_mbcnt_lo_u32_b32 v9, -1, 0
	v_mbcnt_hi_u32_b32 v14, -1, v9
	v_and_b32_e32 v9, 64, v14
	v_add_u32_e32 v15, 64, v9
	v_xor_b32_e32 v18, 32, v14
	v_cmp_lt_i32_e32 vcc, v18, v15
	s_load_dwordx4 s[16:19], s[0:1], 0x20
	s_mov_b32 s15, 0
	v_cndmask_b32_e32 v18, v14, v18, vcc
	v_lshlrev_b32_e32 v23, 2, v18
	v_xor_b32_e32 v18, 16, v14
	v_cmp_lt_i32_e32 vcc, v18, v15
	v_mul_lo_u32 v9, v10, s12
	v_or_b32_e32 v11, 64, v12
	v_cndmask_b32_e32 v18, v14, v18, vcc
	v_lshlrev_b32_e32 v24, 2, v18
	v_xor_b32_e32 v18, 8, v14
	v_cmp_lt_i32_e32 vcc, v18, v15
	v_or_b32_e32 v13, 0x80, v12
	v_or_b32_e32 v16, 0xc0, v12
	v_cndmask_b32_e32 v18, v14, v18, vcc
	v_lshlrev_b32_e32 v25, 2, v18
	v_xor_b32_e32 v18, 4, v14
	v_cmp_lt_i32_e32 vcc, v18, v15
	v_or_b32_e32 v17, 0x100, v12
	;; [unrolled: 6-line block ×4, first 2 shown]
	v_mov_b32_e32 v29, 0x240
	v_cndmask_b32_e32 v14, v14, v18, vcc
	v_lshlrev_b32_e32 v28, 2, v14
	v_mov_b32_e32 v18, 0
	v_mov_b32_e32 v30, 0xc61c4000
	;; [unrolled: 1-line block ×3, first 2 shown]
	s_branch .LBB537_26
.LBB537_24:                             ;   in Loop: Header=BB537_26 Depth=1
	v_add_u32_e32 v34, s15, v9
	v_cmp_le_i32_e32 vcc, s13, v14
	v_cmp_gt_i32_e64 s[0:1], s14, v14
	v_ashrrev_i32_e32 v35, 31, v34
	s_and_b64 s[0:1], vcc, s[0:1]
	v_lshlrev_b64 v[36:37], 2, v[34:35]
	v_subrev_u32_e32 v15, s13, v14
	v_lshl_add_u64 v[38:39], s[20:21], 0, v[36:37]
	s_waitcnt lgkmcnt(0)
	v_ashrrev_i32_e32 v33, 31, v15
	s_and_b64 vcc, s[22:23], s[0:1]
	global_store_dword v[38:39], v32, off
	v_cndmask_b32_e32 v39, 0, v33, vcc
	v_cndmask_b32_e32 v38, v29, v15, vcc
	v_lshl_add_u64 v[34:35], v[34:35], 3, s[16:17]
	v_add_f32_e32 v15, v18, v32
	global_store_dwordx2 v[34:35], v[38:39], off
	v_lshl_add_u64 v[34:35], s[18:19], 0, v[36:37]
	v_cndmask_b32_e64 v18, v18, v15, s[4:5]
	global_store_dword v[34:35], v31, off
.LBB537_25:                             ;   in Loop: Header=BB537_26 Depth=1
	s_or_b64 exec, exec, s[26:27]
	v_ashrrev_i32_e32 v15, 31, v14
	v_lshrrev_b32_e32 v15, 26, v15
	v_add_u32_e32 v15, v14, v15
	v_and_b32_e32 v32, 0xffffffc0, v15
	v_sub_u32_e32 v14, v14, v32
	s_add_i32 s15, s15, 1
	v_cmp_eq_u32_e32 vcc, v12, v14
	s_cmp_lt_i32 s15, s12
	v_ashrrev_i32_e32 v14, 6, v15
	s_cselect_b64 s[26:27], -1, 0
	v_cmp_ne_u32_e64 s[0:1], 8, v14
	s_and_b64 vcc, s[26:27], vcc
	s_cmp_eq_u32 s12, s15
	v_cndmask_b32_e64 v15, v30, v8, s[0:1]
	v_cmp_ne_u32_e64 s[0:1], 7, v14
	v_cndmask_b32_e32 v8, v8, v15, vcc
	v_add_u32_e32 v31, s30, v31
	v_cndmask_b32_e64 v15, v30, v7, s[0:1]
	v_cmp_ne_u32_e64 s[0:1], 6, v14
	v_cndmask_b32_e32 v7, v7, v15, vcc
	s_nop 0
	v_cndmask_b32_e64 v15, v30, v6, s[0:1]
	v_cmp_ne_u32_e64 s[0:1], 5, v14
	v_cndmask_b32_e32 v6, v6, v15, vcc
	s_nop 0
	;; [unrolled: 4-line block ×7, first 2 shown]
	v_cndmask_b32_e64 v14, v30, v0, s[0:1]
	v_cndmask_b32_e32 v0, v0, v14, vcc
	s_cbranch_scc1 .LBB537_54
.LBB537_26:                             ; =>This Inner Loop Header: Depth=1
	v_cmp_gt_f32_e32 vcc, v1, v0
	s_nop 1
	v_cndmask_b32_e32 v15, v0, v1, vcc
	v_cndmask_b32_e32 v14, v12, v11, vcc
	v_cmp_gt_f32_e32 vcc, v2, v15
	s_nop 1
	v_cndmask_b32_e32 v15, v15, v2, vcc
	v_cndmask_b32_e32 v14, v14, v13, vcc
	;; [unrolled: 4-line block ×8, first 2 shown]
	ds_bpermute_b32 v15, v23, v32
	s_waitcnt lgkmcnt(0)
	ds_bpermute_b32 v33, v23, v14
	s_waitcnt lgkmcnt(0)
	v_cmp_lt_f32_e64 s[26:27], v32, v15
	v_cmp_nlt_f32_e32 vcc, v32, v15
	s_and_saveexec_b64 s[28:29], vcc
; %bb.27:                               ;   in Loop: Header=BB537_26 Depth=1
	v_cmp_eq_f32_e32 vcc, v32, v15
	v_cmp_lt_i32_e64 s[0:1], v33, v14
	s_and_b64 s[0:1], vcc, s[0:1]
	s_andn2_b64 s[26:27], s[26:27], exec
	s_and_b64 s[0:1], s[0:1], exec
	s_or_b64 s[26:27], s[26:27], s[0:1]
; %bb.28:                               ;   in Loop: Header=BB537_26 Depth=1
	s_or_b64 exec, exec, s[28:29]
	s_and_saveexec_b64 s[0:1], s[26:27]
; %bb.29:                               ;   in Loop: Header=BB537_26 Depth=1
	v_mov_b32_e32 v32, v15
	v_mov_b32_e32 v14, v33
; %bb.30:                               ;   in Loop: Header=BB537_26 Depth=1
	s_or_b64 exec, exec, s[0:1]
	ds_bpermute_b32 v15, v24, v32
	ds_bpermute_b32 v33, v24, v14
	s_waitcnt lgkmcnt(1)
	v_cmp_lt_f32_e64 s[26:27], v32, v15
	v_cmp_nlt_f32_e32 vcc, v32, v15
	s_and_saveexec_b64 s[28:29], vcc
	s_cbranch_execz .LBB537_32
; %bb.31:                               ;   in Loop: Header=BB537_26 Depth=1
	v_cmp_eq_f32_e32 vcc, v32, v15
	s_waitcnt lgkmcnt(0)
	v_cmp_lt_i32_e64 s[0:1], v33, v14
	s_and_b64 s[0:1], vcc, s[0:1]
	s_andn2_b64 s[26:27], s[26:27], exec
	s_and_b64 s[0:1], s[0:1], exec
	s_or_b64 s[26:27], s[26:27], s[0:1]
.LBB537_32:                             ;   in Loop: Header=BB537_26 Depth=1
	s_or_b64 exec, exec, s[28:29]
	s_and_saveexec_b64 s[0:1], s[26:27]
	s_cbranch_execz .LBB537_34
; %bb.33:                               ;   in Loop: Header=BB537_26 Depth=1
	v_mov_b32_e32 v32, v15
	s_waitcnt lgkmcnt(0)
	v_mov_b32_e32 v14, v33
.LBB537_34:                             ;   in Loop: Header=BB537_26 Depth=1
	s_or_b64 exec, exec, s[0:1]
	ds_bpermute_b32 v15, v25, v32
	s_waitcnt lgkmcnt(1)
	ds_bpermute_b32 v33, v25, v14
	s_waitcnt lgkmcnt(1)
	v_cmp_lt_f32_e64 s[26:27], v32, v15
	v_cmp_nlt_f32_e32 vcc, v32, v15
	s_and_saveexec_b64 s[28:29], vcc
	s_cbranch_execz .LBB537_36
; %bb.35:                               ;   in Loop: Header=BB537_26 Depth=1
	v_cmp_eq_f32_e32 vcc, v32, v15
	s_waitcnt lgkmcnt(0)
	v_cmp_lt_i32_e64 s[0:1], v33, v14
	s_and_b64 s[0:1], vcc, s[0:1]
	s_andn2_b64 s[26:27], s[26:27], exec
	s_and_b64 s[0:1], s[0:1], exec
	s_or_b64 s[26:27], s[26:27], s[0:1]
.LBB537_36:                             ;   in Loop: Header=BB537_26 Depth=1
	s_or_b64 exec, exec, s[28:29]
	s_and_saveexec_b64 s[0:1], s[26:27]
	s_cbranch_execz .LBB537_38
; %bb.37:                               ;   in Loop: Header=BB537_26 Depth=1
	v_mov_b32_e32 v32, v15
	s_waitcnt lgkmcnt(0)
	v_mov_b32_e32 v14, v33
.LBB537_38:                             ;   in Loop: Header=BB537_26 Depth=1
	s_or_b64 exec, exec, s[0:1]
	ds_bpermute_b32 v15, v26, v32
	s_waitcnt lgkmcnt(1)
	ds_bpermute_b32 v33, v26, v14
	s_waitcnt lgkmcnt(1)
	v_cmp_lt_f32_e64 s[26:27], v32, v15
	v_cmp_nlt_f32_e32 vcc, v32, v15
	s_and_saveexec_b64 s[28:29], vcc
	s_cbranch_execz .LBB537_40
; %bb.39:                               ;   in Loop: Header=BB537_26 Depth=1
	v_cmp_eq_f32_e32 vcc, v32, v15
	s_waitcnt lgkmcnt(0)
	v_cmp_lt_i32_e64 s[0:1], v33, v14
	s_and_b64 s[0:1], vcc, s[0:1]
	s_andn2_b64 s[26:27], s[26:27], exec
	s_and_b64 s[0:1], s[0:1], exec
	s_or_b64 s[26:27], s[26:27], s[0:1]
.LBB537_40:                             ;   in Loop: Header=BB537_26 Depth=1
	s_or_b64 exec, exec, s[28:29]
	s_and_saveexec_b64 s[0:1], s[26:27]
	s_cbranch_execz .LBB537_42
; %bb.41:                               ;   in Loop: Header=BB537_26 Depth=1
	v_mov_b32_e32 v32, v15
	s_waitcnt lgkmcnt(0)
	v_mov_b32_e32 v14, v33
.LBB537_42:                             ;   in Loop: Header=BB537_26 Depth=1
	s_or_b64 exec, exec, s[0:1]
	ds_bpermute_b32 v15, v27, v32
	s_waitcnt lgkmcnt(1)
	ds_bpermute_b32 v33, v27, v14
	s_waitcnt lgkmcnt(1)
	v_cmp_lt_f32_e64 s[26:27], v32, v15
	v_cmp_nlt_f32_e32 vcc, v32, v15
	s_and_saveexec_b64 s[28:29], vcc
	s_cbranch_execz .LBB537_44
; %bb.43:                               ;   in Loop: Header=BB537_26 Depth=1
	v_cmp_eq_f32_e32 vcc, v32, v15
	s_waitcnt lgkmcnt(0)
	v_cmp_lt_i32_e64 s[0:1], v33, v14
	s_and_b64 s[0:1], vcc, s[0:1]
	s_andn2_b64 s[26:27], s[26:27], exec
	s_and_b64 s[0:1], s[0:1], exec
	s_or_b64 s[26:27], s[26:27], s[0:1]
.LBB537_44:                             ;   in Loop: Header=BB537_26 Depth=1
	s_or_b64 exec, exec, s[28:29]
	s_and_saveexec_b64 s[0:1], s[26:27]
	s_cbranch_execz .LBB537_46
; %bb.45:                               ;   in Loop: Header=BB537_26 Depth=1
	v_mov_b32_e32 v32, v15
	s_waitcnt lgkmcnt(0)
	v_mov_b32_e32 v14, v33
.LBB537_46:                             ;   in Loop: Header=BB537_26 Depth=1
	s_or_b64 exec, exec, s[0:1]
	ds_bpermute_b32 v15, v28, v32
	s_waitcnt lgkmcnt(1)
	ds_bpermute_b32 v33, v28, v14
	s_waitcnt lgkmcnt(1)
	v_cmp_lt_f32_e64 s[26:27], v32, v15
	v_cmp_nlt_f32_e32 vcc, v32, v15
	s_and_saveexec_b64 s[28:29], vcc
	s_cbranch_execnz .LBB537_49
; %bb.47:                               ;   in Loop: Header=BB537_26 Depth=1
	s_or_b64 exec, exec, s[28:29]
	s_and_saveexec_b64 s[0:1], s[26:27]
	s_cbranch_execnz .LBB537_50
.LBB537_48:                             ;   in Loop: Header=BB537_26 Depth=1
	s_or_b64 exec, exec, s[0:1]
	s_and_saveexec_b64 s[26:27], s[6:7]
	s_cbranch_execz .LBB537_25
	s_branch .LBB537_51
.LBB537_49:                             ;   in Loop: Header=BB537_26 Depth=1
	v_cmp_eq_f32_e32 vcc, v32, v15
	s_waitcnt lgkmcnt(0)
	v_cmp_lt_i32_e64 s[0:1], v33, v14
	s_and_b64 s[0:1], vcc, s[0:1]
	s_andn2_b64 s[26:27], s[26:27], exec
	s_and_b64 s[0:1], s[0:1], exec
	s_or_b64 s[26:27], s[26:27], s[0:1]
	s_or_b64 exec, exec, s[28:29]
	s_and_saveexec_b64 s[0:1], s[26:27]
	s_cbranch_execz .LBB537_48
.LBB537_50:                             ;   in Loop: Header=BB537_26 Depth=1
	s_waitcnt lgkmcnt(0)
	v_mov_b32_e32 v14, v33
	v_mov_b32_e32 v32, v15
	s_or_b64 exec, exec, s[0:1]
	s_and_saveexec_b64 s[26:27], s[6:7]
	s_cbranch_execz .LBB537_25
.LBB537_51:                             ;   in Loop: Header=BB537_26 Depth=1
	s_and_b64 vcc, exec, s[2:3]
	s_cbranch_vccnz .LBB537_24
; %bb.52:                               ;   in Loop: Header=BB537_26 Depth=1
	v_ashrrev_i32_e32 v15, 31, v14
	v_lshl_add_u64 v[34:35], v[14:15], 2, s[10:11]
	global_load_dword v15, v[34:35], off
	s_waitcnt vmcnt(0)
	v_sub_f32_e32 v32, v32, v15
	s_branch .LBB537_24
.LBB537_53:
	v_mov_b32_e32 v18, 0
.LBB537_54:
	v_cmp_eq_u32_e32 vcc, 0, v12
	s_and_b64 exec, exec, vcc
	s_cbranch_execz .LBB537_67
; %bb.55:
	s_andn2_b64 vcc, exec, s[4:5]
	v_cvt_f32_f64_e32 v0, s[8:9]
	s_cbranch_vccnz .LBB537_57
; %bb.56:
	v_cmp_lt_f32_e32 vcc, 0, v18
	s_nop 1
	v_cndmask_b32_e32 v1, 1.0, v18, vcc
	v_div_scale_f32 v2, s[0:1], v1, v1, v0
	v_rcp_f32_e32 v3, v2
	s_nop 0
	v_fma_f32 v4, -v2, v3, 1.0
	v_fmac_f32_e32 v3, v4, v3
	v_div_scale_f32 v4, vcc, v0, v1, v0
	v_mul_f32_e32 v5, v4, v3
	v_fma_f32 v6, -v2, v5, v4
	v_fmac_f32_e32 v5, v6, v3
	v_fma_f32 v2, -v2, v5, v4
	v_div_fmas_f32 v2, v2, v3, v5
	v_div_fixup_f32 v0, v2, v1, v0
.LBB537_57:
	s_andn2_b64 vcc, exec, s[24:25]
	s_cbranch_vccnz .LBB537_67
; %bb.58:
	v_mul_lo_u32 v2, v10, s12
	s_cmp_gt_u32 s12, 3
	v_ashrrev_i32_e32 v3, 31, v2
	s_cbranch_scc0 .LBB537_62
; %bb.59:
	s_and_b32 s0, s12, 0x7ffffffc
	v_lshl_add_u64 v[4:5], v[2:3], 2, s[20:21]
	v_mov_b32_e32 v1, v0
	v_lshl_add_u64 v[4:5], v[4:5], 0, 8
	s_mov_b32 s1, s0
.LBB537_60:                             ; =>This Inner Loop Header: Depth=1
	global_load_dwordx4 v[6:9], v[4:5], off offset:-8
	s_add_i32 s1, s1, -4
	s_cmp_lg_u32 s1, 0
	s_waitcnt vmcnt(0)
	v_pk_mul_f32 v[6:7], v[0:1], v[6:7]
	v_pk_mul_f32 v[8:9], v[0:1], v[8:9]
	global_store_dwordx4 v[4:5], v[6:9], off offset:-8
	v_lshl_add_u64 v[4:5], v[4:5], 0, 16
	s_cbranch_scc1 .LBB537_60
; %bb.61:
	s_cmp_lg_u32 s0, s12
	s_cselect_b64 s[2:3], -1, 0
	s_branch .LBB537_64
.LBB537_62:
	s_mov_b64 s[2:3], 0
                                        ; implicit-def: $sgpr0
	s_cbranch_execz .LBB537_64
; %bb.63:
	s_mov_b64 s[2:3], -1
	s_mov_b32 s0, 0
.LBB537_64:
	s_andn2_b64 vcc, exec, s[2:3]
	s_cbranch_vccnz .LBB537_67
; %bb.65:
	s_mov_b32 s1, 0
	v_lshl_add_u64 v[2:3], v[2:3], 0, s[0:1]
	s_sub_i32 s2, s12, s0
	v_lshl_add_u64 v[2:3], v[2:3], 2, s[20:21]
.LBB537_66:                             ; =>This Inner Loop Header: Depth=1
	global_load_dword v1, v[2:3], off
	s_add_i32 s2, s2, -1
	s_cmp_lg_u32 s2, 0
	s_waitcnt vmcnt(0)
	v_mul_f32_e32 v1, v0, v1
	global_store_dword v[2:3], v1, off
	v_lshl_add_u64 v[2:3], v[2:3], 0, 4
	s_cbranch_scc1 .LBB537_66
.LBB537_67:
	s_endpgm
	.section	.rodata,"a",@progbits
	.p2align	6, 0x0
	.amdhsa_kernel _ZN4vllm3moe22topkGatingSoftplusSqrtILi9ELi576ELi4ELi2ELi64ELb0El14__hip_bfloat16EEvPKT6_PKbPfiPT5_PiiiibdPKfPKS9_SF_
		.amdhsa_group_segment_fixed_size 0
		.amdhsa_private_segment_fixed_size 0
		.amdhsa_kernarg_size 96
		.amdhsa_user_sgpr_count 2
		.amdhsa_user_sgpr_dispatch_ptr 0
		.amdhsa_user_sgpr_queue_ptr 0
		.amdhsa_user_sgpr_kernarg_segment_ptr 1
		.amdhsa_user_sgpr_dispatch_id 0
		.amdhsa_user_sgpr_kernarg_preload_length 0
		.amdhsa_user_sgpr_kernarg_preload_offset 0
		.amdhsa_user_sgpr_private_segment_size 0
		.amdhsa_uses_dynamic_stack 0
		.amdhsa_enable_private_segment 0
		.amdhsa_system_sgpr_workgroup_id_x 1
		.amdhsa_system_sgpr_workgroup_id_y 0
		.amdhsa_system_sgpr_workgroup_id_z 0
		.amdhsa_system_sgpr_workgroup_info 0
		.amdhsa_system_vgpr_workitem_id 1
		.amdhsa_next_free_vgpr 40
		.amdhsa_next_free_sgpr 31
		.amdhsa_accum_offset 40
		.amdhsa_reserve_vcc 1
		.amdhsa_float_round_mode_32 0
		.amdhsa_float_round_mode_16_64 0
		.amdhsa_float_denorm_mode_32 3
		.amdhsa_float_denorm_mode_16_64 3
		.amdhsa_dx10_clamp 1
		.amdhsa_ieee_mode 1
		.amdhsa_fp16_overflow 0
		.amdhsa_tg_split 0
		.amdhsa_exception_fp_ieee_invalid_op 0
		.amdhsa_exception_fp_denorm_src 0
		.amdhsa_exception_fp_ieee_div_zero 0
		.amdhsa_exception_fp_ieee_overflow 0
		.amdhsa_exception_fp_ieee_underflow 0
		.amdhsa_exception_fp_ieee_inexact 0
		.amdhsa_exception_int_div_zero 0
	.end_amdhsa_kernel
	.section	.text._ZN4vllm3moe22topkGatingSoftplusSqrtILi9ELi576ELi4ELi2ELi64ELb0El14__hip_bfloat16EEvPKT6_PKbPfiPT5_PiiiibdPKfPKS9_SF_,"axG",@progbits,_ZN4vllm3moe22topkGatingSoftplusSqrtILi9ELi576ELi4ELi2ELi64ELb0El14__hip_bfloat16EEvPKT6_PKbPfiPT5_PiiiibdPKfPKS9_SF_,comdat
.Lfunc_end537:
	.size	_ZN4vllm3moe22topkGatingSoftplusSqrtILi9ELi576ELi4ELi2ELi64ELb0El14__hip_bfloat16EEvPKT6_PKbPfiPT5_PiiiibdPKfPKS9_SF_, .Lfunc_end537-_ZN4vllm3moe22topkGatingSoftplusSqrtILi9ELi576ELi4ELi2ELi64ELb0El14__hip_bfloat16EEvPKT6_PKbPfiPT5_PiiiibdPKfPKS9_SF_
                                        ; -- End function
	.section	.AMDGPU.csdata,"",@progbits
; Kernel info:
; codeLenInByte = 4708
; NumSgprs: 37
; NumVgprs: 40
; NumAgprs: 0
; TotalNumVgprs: 40
; ScratchSize: 0
; MemoryBound: 0
; FloatMode: 240
; IeeeMode: 1
; LDSByteSize: 0 bytes/workgroup (compile time only)
; SGPRBlocks: 4
; VGPRBlocks: 4
; NumSGPRsForWavesPerEU: 37
; NumVGPRsForWavesPerEU: 40
; AccumOffset: 40
; Occupancy: 8
; WaveLimiterHint : 1
; COMPUTE_PGM_RSRC2:SCRATCH_EN: 0
; COMPUTE_PGM_RSRC2:USER_SGPR: 2
; COMPUTE_PGM_RSRC2:TRAP_HANDLER: 0
; COMPUTE_PGM_RSRC2:TGID_X_EN: 1
; COMPUTE_PGM_RSRC2:TGID_Y_EN: 0
; COMPUTE_PGM_RSRC2:TGID_Z_EN: 0
; COMPUTE_PGM_RSRC2:TIDIG_COMP_CNT: 1
; COMPUTE_PGM_RSRC3_GFX90A:ACCUM_OFFSET: 9
; COMPUTE_PGM_RSRC3_GFX90A:TG_SPLIT: 0
	.section	.text._ZN4vllm3moe22topkGatingSoftplusSqrtILi18ELi576ELi4ELi2ELi32ELb1El14__hip_bfloat16EEvPKT6_PKbPfiPT5_PiiiibdPKfPKS9_SF_,"axG",@progbits,_ZN4vllm3moe22topkGatingSoftplusSqrtILi18ELi576ELi4ELi2ELi32ELb1El14__hip_bfloat16EEvPKT6_PKbPfiPT5_PiiiibdPKfPKS9_SF_,comdat
	.protected	_ZN4vllm3moe22topkGatingSoftplusSqrtILi18ELi576ELi4ELi2ELi32ELb1El14__hip_bfloat16EEvPKT6_PKbPfiPT5_PiiiibdPKfPKS9_SF_ ; -- Begin function _ZN4vllm3moe22topkGatingSoftplusSqrtILi18ELi576ELi4ELi2ELi32ELb1El14__hip_bfloat16EEvPKT6_PKbPfiPT5_PiiiibdPKfPKS9_SF_
	.globl	_ZN4vllm3moe22topkGatingSoftplusSqrtILi18ELi576ELi4ELi2ELi32ELb1El14__hip_bfloat16EEvPKT6_PKbPfiPT5_PiiiibdPKfPKS9_SF_
	.p2align	8
	.type	_ZN4vllm3moe22topkGatingSoftplusSqrtILi18ELi576ELi4ELi2ELi32ELb1El14__hip_bfloat16EEvPKT6_PKbPfiPT5_PiiiibdPKfPKS9_SF_,@function
_ZN4vllm3moe22topkGatingSoftplusSqrtILi18ELi576ELi4ELi2ELi32ELb1El14__hip_bfloat16EEvPKT6_PKbPfiPT5_PiiiibdPKfPKS9_SF_: ; @_ZN4vllm3moe22topkGatingSoftplusSqrtILi18ELi576ELi4ELi2ELi32ELb1El14__hip_bfloat16EEvPKT6_PKbPfiPT5_PiiiibdPKfPKS9_SF_
; %bb.0:
	s_load_dword s3, s[0:1], 0x18
	v_and_b32_e32 v1, 0x3ff, v0
	s_lshl_b32 s2, s2, 2
	v_lshrrev_b32_e32 v2, 5, v1
	v_bfe_u32 v0, v0, 10, 10
	v_add3_u32 v10, s2, v0, v2
	s_waitcnt lgkmcnt(0)
	v_cmp_gt_i32_e32 vcc, s3, v10
	s_and_saveexec_b64 s[2:3], vcc
	s_cbranch_execz .LBB538_71
; %bb.1:
	s_load_dwordx4 s[4:7], s[0:1], 0x50
	s_load_dwordx2 s[2:3], s[0:1], 0x0
	s_load_dword s34, s[0:1], 0x30
	s_movk_i32 s8, 0x240
	v_mul_lo_u32 v4, v10, s8
	v_ashrrev_i32_e32 v5, 31, v4
	v_and_b32_e32 v16, 31, v1
	s_waitcnt lgkmcnt(0)
	v_mov_b32_e32 v2, s4
	v_mov_b32_e32 v3, s5
	v_lshl_add_u64 v[4:5], v[4:5], 1, s[2:3]
	v_lshlrev_b32_e32 v8, 1, v16
	v_mov_b32_e32 v9, 0
	v_ashrrev_i32_e32 v11, 31, v10
	v_lshl_add_u64 v[0:1], v[4:5], 0, v[8:9]
	v_lshl_add_u64 v[2:3], v[10:11], 3, v[2:3]
	global_load_ushort v4, v[0:1], off offset:128
	global_load_ushort v5, v[0:1], off offset:192
	;; [unrolled: 1-line block ×16, first 2 shown]
	global_load_dwordx2 v[14:15], v[2:3], off
	global_load_ushort v29, v[0:1], off offset:64
	global_load_ushort v30, v[0:1], off
	s_mov_b32 s15, 0x800000
	s_ashr_i32 s35, s34, 31
	v_mov_b32_e32 v8, 0x4f800000
	s_mov_b32 s13, 0x3f317217
	s_mov_b32 s14, 0x7f800000
	v_mov_b32_e32 v11, 0x41b17218
	s_mov_b32 s9, 0x41a00000
	s_mov_b32 s12, 0xf800000
	v_mov_b32_e32 v12, s6
	v_mov_b32_e32 v13, s7
	v_cmp_lt_i64_e64 s[10:11], s[34:35], 1
	s_mov_b32 s8, 0
	v_cmp_gt_i64_e64 s[6:7], s[34:35], 0
	s_waitcnt vmcnt(18)
	v_lshlrev_b32_e32 v31, 16, v4
	s_waitcnt vmcnt(17)
	v_lshlrev_b32_e32 v0, 16, v5
	;; [unrolled: 2-line block ×11, first 2 shown]
	scratch_store_dwordx4 off, v[0:3], off offset:12
	scratch_store_dwordx4 off, v[4:7], off offset:28
	s_waitcnt vmcnt(8)
	v_lshlrev_b32_e32 v21, 16, v25
	s_waitcnt vmcnt(7)
	v_lshlrev_b32_e32 v22, 16, v26
	;; [unrolled: 2-line block ×5, first 2 shown]
	v_mul_f32_e32 v1, 0x3fb8aa3b, v27
	v_mul_f32_e32 v3, 0x3fb8aa3b, v26
	v_exp_f32_e32 v2, v1
	v_exp_f32_e32 v3, v3
	v_mul_lo_u32 v17, v15, s34
	v_mul_lo_u32 v25, v14, s35
	v_mad_u64_u32 v[14:15], s[2:3], v14, s34, 0
	v_pk_add_f32 v[2:3], v[2:3], 1.0 op_sel_hi:[1,0]
	v_lshlrev_b32_e32 v20, 16, v24
	v_cmp_gt_f32_e32 vcc, s15, v3
	v_cmp_gt_f32_e64 s[2:3], s15, v2
	v_lshlrev_b32_e32 v24, 16, v28
	v_cndmask_b32_e32 v1, 1.0, v8, vcc
	v_cndmask_b32_e64 v4, 1.0, v8, s[2:3]
	v_mul_f32_e32 v1, v3, v1
	v_mul_f32_e32 v2, v2, v4
	v_log_f32_e32 v1, v1
	v_log_f32_e32 v2, v2
	v_cndmask_b32_e32 v3, 0, v11, vcc
	v_cndmask_b32_e64 v4, 0, v11, s[2:3]
	v_mul_f32_e32 v5, 0x3f317217, v1
	v_mul_f32_e32 v6, 0x3f317217, v2
	v_fma_f32 v5, v1, s13, -v5
	v_fma_f32 v6, v2, s13, -v6
	v_fmac_f32_e32 v5, 0x3377d1cf, v1
	v_fmac_f32_e32 v6, 0x3377d1cf, v2
	;; [unrolled: 1-line block ×3, first 2 shown]
	v_cmp_lt_f32_e64 vcc, |v1|, s14
	v_fmac_f32_e32 v6, 0x3f317217, v2
	v_cmp_lt_f32_e64 s[2:3], s9, v27
	v_cndmask_b32_e32 v1, v1, v5, vcc
	v_cmp_lt_f32_e64 vcc, |v2|, s14
	v_sub_f32_e32 v1, v1, v3
	scratch_store_dwordx4 off, v[18:21], off offset:44
	scratch_store_dwordx3 off, v[22:24], off offset:60
	v_cndmask_b32_e32 v2, v2, v6, vcc
	v_cmp_lt_f32_e32 vcc, s9, v26
	v_sub_f32_e32 v2, v2, v4
	v_cndmask_b32_e64 v2, v2, v27, s[2:3]
	v_cndmask_b32_e32 v1, v1, v26, vcc
	v_mul_f32_e32 v3, 0x4f800000, v1
	v_cmp_gt_f32_e32 vcc, s12, v1
	v_add3_u32 v15, v15, v25, v17
	v_mul_f32_e32 v17, 0x4f800000, v2
	v_cndmask_b32_e32 v1, v1, v3, vcc
	v_sqrt_f32_e32 v3, v1
	s_nop 0
	v_add_u32_e32 v4, -1, v3
	v_fma_f32 v6, -v4, v3, v1
	v_add_u32_e32 v5, 1, v3
	v_cmp_ge_f32_e64 s[2:3], 0, v6
	s_nop 1
	v_cndmask_b32_e64 v4, v3, v4, s[2:3]
	v_fma_f32 v3, -v5, v3, v1
	v_cmp_lt_f32_e64 s[2:3], 0, v3
	s_nop 1
	v_cndmask_b32_e64 v3, v4, v5, s[2:3]
	v_mul_f32_e32 v4, 0x37800000, v3
	v_cndmask_b32_e32 v3, v3, v4, vcc
	scratch_load_dwordx4 v[4:7], off, off offset:16
	v_cmp_gt_f32_e32 vcc, s12, v2
	s_nop 1
	v_cndmask_b32_e32 v18, v2, v17, vcc
	v_sqrt_f32_e32 v2, v18
	v_mov_b32_e32 v17, 0x260
	v_cmp_class_f32_e64 s[2:3], v1, v17
	v_add_u32_e32 v20, 1, v2
	s_nop 0
	v_cndmask_b32_e64 v19, v3, v1, s[2:3]
	v_add_u32_e32 v1, -1, v2
	v_fma_f32 v3, -v1, v2, v18
	v_cmp_ge_f32_e64 s[2:3], 0, v3
	v_fma_f32 v21, -v20, v2, v18
	v_mul_f32_e32 v3, 0x3fb8aa3b, v0
	v_cndmask_b32_e64 v1, v2, v1, s[2:3]
	v_mul_f32_e32 v2, 0x3fb8aa3b, v31
	v_exp_f32_e32 v2, v2
	v_exp_f32_e32 v3, v3
	v_cmp_lt_f32_e64 s[2:3], 0, v21
	v_pk_add_f32 v[2:3], v[2:3], 1.0 op_sel_hi:[1,0]
	s_nop 0
	v_cndmask_b32_e64 v1, v1, v20, s[2:3]
	v_cmp_gt_f32_e64 s[2:3], s15, v3
	v_mul_f32_e32 v20, 0x37800000, v1
	v_cndmask_b32_e32 v1, v1, v20, vcc
	v_cndmask_b32_e64 v21, 1.0, v8, s[2:3]
	v_mul_f32_e32 v3, v3, v21
	v_log_f32_e32 v3, v3
	v_cmp_class_f32_e32 vcc, v18, v17
	v_cmp_lt_f32_e64 s[4:5], |v3|, s14
	s_nop 0
	v_cndmask_b32_e32 v18, v1, v18, vcc
	v_cmp_gt_f32_e32 vcc, s15, v2
	v_mul_f32_e32 v1, 0x3f317217, v3
	v_fma_f32 v1, v3, s13, -v1
	v_cndmask_b32_e32 v20, 1.0, v8, vcc
	v_mul_f32_e32 v2, v2, v20
	v_log_f32_e32 v2, v2
	v_fmac_f32_e32 v1, 0x3377d1cf, v3
	v_fmac_f32_e32 v1, 0x3f317217, v3
	v_cndmask_b32_e64 v1, v3, v1, s[4:5]
	v_cndmask_b32_e64 v3, 0, v11, s[2:3]
	v_sub_f32_e32 v1, v1, v3
	v_mul_f32_e32 v3, 0x3f317217, v2
	v_fma_f32 v3, v2, s13, -v3
	v_fmac_f32_e32 v3, 0x3377d1cf, v2
	v_fmac_f32_e32 v3, 0x3f317217, v2
	v_cmp_lt_f32_e64 s[2:3], |v2|, s14
	s_nop 1
	v_cndmask_b32_e64 v2, v2, v3, s[2:3]
	v_cndmask_b32_e32 v3, 0, v11, vcc
	v_cmp_lt_f32_e32 vcc, s9, v0
	v_sub_f32_e32 v2, v2, v3
	s_nop 0
	v_cndmask_b32_e32 v0, v1, v0, vcc
	v_mul_f32_e32 v1, 0x4f800000, v0
	v_cmp_gt_f32_e64 s[2:3], s12, v0
	v_cmp_lt_f32_e32 vcc, s9, v31
	s_nop 0
	v_cndmask_b32_e64 v0, v0, v1, s[2:3]
	v_sqrt_f32_e32 v1, v0
	v_cndmask_b32_e32 v2, v2, v31, vcc
	v_add_u32_e32 v3, -1, v1
	v_fma_f32 v20, -v3, v1, v0
	v_cmp_ge_f32_e32 vcc, 0, v20
	v_add_u32_e32 v20, 1, v1
	s_nop 0
	v_cndmask_b32_e32 v3, v1, v3, vcc
	v_fma_f32 v1, -v20, v1, v0
	v_cmp_lt_f32_e32 vcc, 0, v1
	s_nop 1
	v_cndmask_b32_e32 v1, v3, v20, vcc
	v_mul_f32_e32 v20, 0x4f800000, v2
	v_cmp_gt_f32_e32 vcc, s12, v2
	v_mul_f32_e32 v3, 0x37800000, v1
	v_cndmask_b32_e64 v1, v1, v3, s[2:3]
	v_cndmask_b32_e32 v20, v2, v20, vcc
	v_sqrt_f32_e32 v2, v20
	v_cmp_class_f32_e64 s[2:3], v0, v17
	v_add_u32_e32 v25, 1, v2
	s_nop 0
	v_cndmask_b32_e64 v21, v1, v0, s[2:3]
	v_add_u32_e32 v0, -1, v2
	v_fma_f32 v1, -v0, v2, v20
	v_cmp_ge_f32_e64 s[2:3], 0, v1
	v_fma_f32 v26, -v25, v2, v20
	s_nop 0
	v_cndmask_b32_e64 v24, v2, v0, s[2:3]
	scratch_load_dwordx4 v[0:3], off, off offset:32
	s_waitcnt vmcnt(1)
	v_mul_f32_e32 v22, 0x3fb8aa3b, v4
	v_mul_f32_e32 v23, 0x3fb8aa3b, v5
	v_exp_f32_e32 v22, v22
	v_exp_f32_e32 v23, v23
	v_cmp_lt_f32_e64 s[2:3], 0, v26
	v_pk_add_f32 v[22:23], v[22:23], 1.0 op_sel_hi:[1,0]
	s_nop 0
	v_cndmask_b32_e64 v24, v24, v25, s[2:3]
	v_mul_f32_e32 v25, 0x37800000, v24
	v_cndmask_b32_e32 v24, v24, v25, vcc
	v_cmp_gt_f32_e32 vcc, s15, v23
	v_cmp_class_f32_e64 s[2:3], v20, v17
	s_nop 0
	v_cndmask_b32_e32 v25, 1.0, v8, vcc
	v_mul_f32_e32 v23, v23, v25
	v_log_f32_e32 v23, v23
	v_cndmask_b32_e64 v20, v24, v20, s[2:3]
	v_cmp_gt_f32_e64 s[2:3], s15, v22
	scratch_store_dwordx4 off, v[18:21], off
	v_cmp_lt_f32_e64 s[4:5], |v23|, s14
	s_nop 0
	v_cndmask_b32_e64 v19, 1.0, v8, s[2:3]
	v_mul_f32_e32 v18, 0x3f317217, v23
	v_mul_f32_e32 v19, v22, v19
	v_fma_f32 v18, v23, s13, -v18
	v_log_f32_e32 v19, v19
	v_fmac_f32_e32 v18, 0x3377d1cf, v23
	v_fmac_f32_e32 v18, 0x3f317217, v23
	v_cndmask_b32_e64 v18, v23, v18, s[4:5]
	v_cndmask_b32_e32 v20, 0, v11, vcc
	v_sub_f32_e32 v18, v18, v20
	v_mul_f32_e32 v20, 0x3f317217, v19
	v_fma_f32 v20, v19, s13, -v20
	v_fmac_f32_e32 v20, 0x3377d1cf, v19
	v_fmac_f32_e32 v20, 0x3f317217, v19
	v_cmp_lt_f32_e64 vcc, |v19|, s14
	s_nop 1
	v_cndmask_b32_e32 v19, v19, v20, vcc
	v_cmp_lt_f32_e32 vcc, s9, v5
	v_cndmask_b32_e64 v20, 0, v11, s[2:3]
	v_sub_f32_e32 v19, v19, v20
	v_cndmask_b32_e32 v5, v18, v5, vcc
	v_mul_f32_e32 v18, 0x4f800000, v5
	v_cmp_gt_f32_e32 vcc, s12, v5
	v_cmp_lt_f32_e64 s[2:3], s9, v4
	s_nop 0
	v_cndmask_b32_e32 v5, v5, v18, vcc
	v_sqrt_f32_e32 v18, v5
	v_cndmask_b32_e64 v4, v19, v4, s[2:3]
	v_add_u32_e32 v19, -1, v18
	v_fma_f32 v20, -v19, v18, v5
	v_cmp_ge_f32_e64 s[2:3], 0, v20
	v_add_u32_e32 v20, 1, v18
	s_nop 0
	v_cndmask_b32_e64 v19, v18, v19, s[2:3]
	v_fma_f32 v18, -v20, v18, v5
	v_cmp_lt_f32_e64 s[2:3], 0, v18
	s_nop 1
	v_cndmask_b32_e64 v18, v19, v20, s[2:3]
	v_mul_f32_e32 v20, 0x4f800000, v4
	v_cmp_gt_f32_e64 s[2:3], s12, v4
	v_mul_f32_e32 v19, 0x37800000, v18
	v_cndmask_b32_e32 v18, v18, v19, vcc
	v_cndmask_b32_e64 v4, v4, v20, s[2:3]
	v_sqrt_f32_e32 v20, v4
	v_cmp_class_f32_e32 vcc, v5, v17
	v_add_u32_e32 v22, 1, v20
	s_nop 0
	v_cndmask_b32_e32 v5, v18, v5, vcc
	v_add_u32_e32 v18, -1, v20
	v_fma_f32 v19, -v18, v20, v4
	v_cmp_ge_f32_e32 vcc, 0, v19
	v_mul_f32_e32 v19, 0x3fb8aa3b, v7
	v_exp_f32_e32 v19, v19
	v_cndmask_b32_e32 v21, v20, v18, vcc
	v_mul_f32_e32 v18, 0x3fb8aa3b, v6
	v_exp_f32_e32 v18, v18
	v_fma_f32 v20, -v22, v20, v4
	v_cmp_lt_f32_e32 vcc, 0, v20
	v_pk_add_f32 v[18:19], v[18:19], 1.0 op_sel_hi:[1,0]
	s_nop 0
	v_cndmask_b32_e32 v20, v21, v22, vcc
	v_cmp_gt_f32_e32 vcc, s15, v19
	v_mul_f32_e32 v21, 0x37800000, v20
	v_cndmask_b32_e64 v20, v20, v21, s[2:3]
	v_cndmask_b32_e32 v22, 1.0, v8, vcc
	v_mul_f32_e32 v19, v19, v22
	v_log_f32_e32 v19, v19
	v_cmp_class_f32_e64 s[2:3], v4, v17
	v_cmp_lt_f32_e64 s[4:5], |v19|, s14
	s_nop 0
	v_cndmask_b32_e64 v4, v20, v4, s[2:3]
	v_cmp_gt_f32_e64 s[2:3], s15, v18
	v_mul_f32_e32 v20, 0x3f317217, v19
	v_fma_f32 v20, v19, s13, -v20
	v_cndmask_b32_e64 v21, 1.0, v8, s[2:3]
	v_mul_f32_e32 v18, v18, v21
	v_log_f32_e32 v18, v18
	v_fmac_f32_e32 v20, 0x3377d1cf, v19
	v_fmac_f32_e32 v20, 0x3f317217, v19
	v_cndmask_b32_e64 v19, v19, v20, s[4:5]
	v_cndmask_b32_e32 v20, 0, v11, vcc
	v_sub_f32_e32 v19, v19, v20
	v_mul_f32_e32 v20, 0x3f317217, v18
	v_fma_f32 v20, v18, s13, -v20
	v_fmac_f32_e32 v20, 0x3377d1cf, v18
	v_fmac_f32_e32 v20, 0x3f317217, v18
	v_cmp_lt_f32_e64 vcc, |v18|, s14
	s_nop 1
	v_cndmask_b32_e32 v18, v18, v20, vcc
	v_cmp_lt_f32_e32 vcc, s9, v7
	v_cndmask_b32_e64 v20, 0, v11, s[2:3]
	v_sub_f32_e32 v18, v18, v20
	v_cndmask_b32_e32 v7, v19, v7, vcc
	v_mul_f32_e32 v19, 0x4f800000, v7
	v_cmp_gt_f32_e32 vcc, s12, v7
	v_cmp_lt_f32_e64 s[2:3], s9, v6
	s_nop 0
	v_cndmask_b32_e32 v7, v7, v19, vcc
	v_sqrt_f32_e32 v19, v7
	v_cndmask_b32_e64 v6, v18, v6, s[2:3]
	v_add_u32_e32 v18, -1, v19
	v_fma_f32 v20, -v18, v19, v7
	v_cmp_ge_f32_e64 s[2:3], 0, v20
	v_add_u32_e32 v20, 1, v19
	s_nop 0
	v_cndmask_b32_e64 v18, v19, v18, s[2:3]
	v_fma_f32 v19, -v20, v19, v7
	v_cmp_lt_f32_e64 s[2:3], 0, v19
	s_nop 1
	v_cndmask_b32_e64 v18, v18, v20, s[2:3]
	v_mul_f32_e32 v20, 0x4f800000, v6
	v_cmp_gt_f32_e64 s[2:3], s12, v6
	v_mul_f32_e32 v19, 0x37800000, v18
	v_cndmask_b32_e32 v18, v18, v19, vcc
	v_cndmask_b32_e64 v6, v6, v20, s[2:3]
	v_sqrt_f32_e32 v20, v6
	v_cmp_class_f32_e32 vcc, v7, v17
	v_add_u32_e32 v22, 1, v20
	s_nop 0
	v_cndmask_b32_e32 v7, v18, v7, vcc
	v_add_u32_e32 v18, -1, v20
	v_fma_f32 v19, -v18, v20, v6
	v_cmp_ge_f32_e32 vcc, 0, v19
	s_waitcnt vmcnt(1)
	v_mul_f32_e32 v19, 0x3fb8aa3b, v1
	v_exp_f32_e32 v19, v19
	v_cndmask_b32_e32 v21, v20, v18, vcc
	v_mul_f32_e32 v18, 0x3fb8aa3b, v0
	v_exp_f32_e32 v18, v18
	v_fma_f32 v20, -v22, v20, v6
	v_cmp_lt_f32_e32 vcc, 0, v20
	v_pk_add_f32 v[18:19], v[18:19], 1.0 op_sel_hi:[1,0]
	s_nop 0
	v_cndmask_b32_e32 v20, v21, v22, vcc
	v_mul_f32_e32 v21, 0x37800000, v20
	v_cmp_gt_f32_e32 vcc, s15, v19
	v_cndmask_b32_e64 v20, v20, v21, s[2:3]
	v_cmp_class_f32_e64 s[2:3], v6, v17
	v_cndmask_b32_e32 v21, 1.0, v8, vcc
	v_mul_f32_e32 v19, v19, v21
	v_log_f32_e32 v19, v19
	v_cndmask_b32_e64 v6, v20, v6, s[2:3]
	v_cmp_gt_f32_e64 s[2:3], s15, v18
	scratch_store_dwordx4 off, v[4:7], off offset:16
	v_cmp_lt_f32_e64 s[4:5], |v19|, s14
	s_nop 0
	v_cndmask_b32_e64 v5, 1.0, v8, s[2:3]
	v_mul_f32_e32 v4, 0x3f317217, v19
	v_mul_f32_e32 v5, v18, v5
	v_fma_f32 v4, v19, s13, -v4
	v_log_f32_e32 v5, v5
	v_fmac_f32_e32 v4, 0x3377d1cf, v19
	v_fmac_f32_e32 v4, 0x3f317217, v19
	v_cndmask_b32_e64 v4, v19, v4, s[4:5]
	v_cndmask_b32_e32 v6, 0, v11, vcc
	v_sub_f32_e32 v4, v4, v6
	v_mul_f32_e32 v6, 0x3f317217, v5
	v_fma_f32 v6, v5, s13, -v6
	v_fmac_f32_e32 v6, 0x3377d1cf, v5
	v_fmac_f32_e32 v6, 0x3f317217, v5
	v_cmp_lt_f32_e64 vcc, |v5|, s14
	s_nop 1
	v_cndmask_b32_e32 v5, v5, v6, vcc
	v_cmp_lt_f32_e32 vcc, s9, v1
	v_cndmask_b32_e64 v6, 0, v11, s[2:3]
	v_sub_f32_e32 v5, v5, v6
	v_cndmask_b32_e32 v1, v4, v1, vcc
	v_mul_f32_e32 v4, 0x4f800000, v1
	v_cmp_gt_f32_e32 vcc, s12, v1
	v_cmp_lt_f32_e64 s[2:3], s9, v0
	s_nop 0
	v_cndmask_b32_e32 v1, v1, v4, vcc
	v_sqrt_f32_e32 v4, v1
	v_cndmask_b32_e64 v0, v5, v0, s[2:3]
	v_mul_f32_e32 v20, 0x4f800000, v0
	v_add_u32_e32 v5, -1, v4
	v_fma_f32 v6, -v5, v4, v1
	v_cmp_ge_f32_e64 s[2:3], 0, v6
	v_add_u32_e32 v6, 1, v4
	s_nop 0
	v_cndmask_b32_e64 v5, v4, v5, s[2:3]
	v_fma_f32 v4, -v6, v4, v1
	v_cmp_lt_f32_e64 s[2:3], 0, v4
	s_nop 1
	v_cndmask_b32_e64 v18, v5, v6, s[2:3]
	scratch_load_dwordx4 v[4:7], off, off offset:48
	v_cmp_gt_f32_e64 s[2:3], s12, v0
	v_mul_f32_e32 v19, 0x37800000, v18
	v_cndmask_b32_e32 v18, v18, v19, vcc
	v_cndmask_b32_e64 v0, v0, v20, s[2:3]
	v_sqrt_f32_e32 v20, v0
	v_cmp_class_f32_e32 vcc, v1, v17
	v_add_u32_e32 v22, 1, v20
	s_nop 0
	v_cndmask_b32_e32 v1, v18, v1, vcc
	v_add_u32_e32 v18, -1, v20
	v_fma_f32 v19, -v18, v20, v0
	v_cmp_ge_f32_e32 vcc, 0, v19
	v_mul_f32_e32 v19, 0x3fb8aa3b, v3
	v_exp_f32_e32 v19, v19
	v_cndmask_b32_e32 v21, v20, v18, vcc
	v_mul_f32_e32 v18, 0x3fb8aa3b, v2
	v_exp_f32_e32 v18, v18
	v_fma_f32 v20, -v22, v20, v0
	v_cmp_lt_f32_e32 vcc, 0, v20
	v_pk_add_f32 v[18:19], v[18:19], 1.0 op_sel_hi:[1,0]
	s_nop 0
	v_cndmask_b32_e32 v20, v21, v22, vcc
	v_cmp_gt_f32_e32 vcc, s15, v19
	v_mul_f32_e32 v21, 0x37800000, v20
	v_cndmask_b32_e64 v20, v20, v21, s[2:3]
	v_cndmask_b32_e32 v22, 1.0, v8, vcc
	v_mul_f32_e32 v19, v19, v22
	v_log_f32_e32 v19, v19
	v_cmp_class_f32_e64 s[2:3], v0, v17
	v_cmp_lt_f32_e64 s[4:5], |v19|, s14
	s_nop 0
	v_cndmask_b32_e64 v0, v20, v0, s[2:3]
	v_cmp_gt_f32_e64 s[2:3], s15, v18
	v_mul_f32_e32 v20, 0x3f317217, v19
	v_fma_f32 v20, v19, s13, -v20
	v_cndmask_b32_e64 v21, 1.0, v8, s[2:3]
	v_mul_f32_e32 v18, v18, v21
	v_log_f32_e32 v18, v18
	v_fmac_f32_e32 v20, 0x3377d1cf, v19
	v_fmac_f32_e32 v20, 0x3f317217, v19
	v_cndmask_b32_e64 v19, v19, v20, s[4:5]
	v_cndmask_b32_e32 v20, 0, v11, vcc
	v_sub_f32_e32 v19, v19, v20
	v_mul_f32_e32 v20, 0x3f317217, v18
	v_fma_f32 v20, v18, s13, -v20
	v_fmac_f32_e32 v20, 0x3377d1cf, v18
	v_fmac_f32_e32 v20, 0x3f317217, v18
	v_cmp_lt_f32_e64 vcc, |v18|, s14
	s_nop 1
	v_cndmask_b32_e32 v18, v18, v20, vcc
	v_cmp_lt_f32_e32 vcc, s9, v3
	v_cndmask_b32_e64 v20, 0, v11, s[2:3]
	v_sub_f32_e32 v18, v18, v20
	v_cndmask_b32_e32 v3, v19, v3, vcc
	v_mul_f32_e32 v19, 0x4f800000, v3
	v_cmp_gt_f32_e64 s[2:3], s12, v3
	v_cmp_lt_f32_e32 vcc, s9, v2
	s_nop 0
	v_cndmask_b32_e64 v3, v3, v19, s[2:3]
	v_sqrt_f32_e32 v19, v3
	v_cndmask_b32_e32 v2, v18, v2, vcc
	v_add_u32_e32 v18, -1, v19
	v_fma_f32 v20, -v18, v19, v3
	v_cmp_ge_f32_e32 vcc, 0, v20
	v_add_u32_e32 v20, 1, v19
	s_nop 0
	v_cndmask_b32_e32 v18, v19, v18, vcc
	v_fma_f32 v19, -v20, v19, v3
	v_cmp_lt_f32_e32 vcc, 0, v19
	s_nop 1
	v_cndmask_b32_e32 v18, v18, v20, vcc
	v_mul_f32_e32 v20, 0x4f800000, v2
	v_cmp_gt_f32_e32 vcc, s12, v2
	v_mul_f32_e32 v19, 0x37800000, v18
	v_cndmask_b32_e64 v18, v18, v19, s[2:3]
	v_cndmask_b32_e32 v2, v2, v20, vcc
	v_sqrt_f32_e32 v20, v2
	v_cmp_class_f32_e64 s[2:3], v3, v17
	v_add_u32_e32 v23, 1, v20
	s_nop 0
	v_cndmask_b32_e64 v3, v18, v3, s[2:3]
	v_add_u32_e32 v18, -1, v20
	v_fma_f32 v19, -v18, v20, v2
	v_cmp_ge_f32_e64 s[2:3], 0, v19
	v_fma_f32 v24, -v23, v20, v2
	s_nop 0
	v_cndmask_b32_e64 v22, v20, v18, s[2:3]
	scratch_load_dwordx2 v[18:19], off, off offset:64
	s_waitcnt vmcnt(1)
	v_mul_f32_e32 v20, 0x3fb8aa3b, v4
	v_mul_f32_e32 v21, 0x3fb8aa3b, v5
	v_exp_f32_e32 v20, v20
	v_exp_f32_e32 v21, v21
	v_cmp_lt_f32_e64 s[2:3], 0, v24
	v_pk_add_f32 v[20:21], v[20:21], 1.0 op_sel_hi:[1,0]
	s_nop 0
	v_cndmask_b32_e64 v22, v22, v23, s[2:3]
	v_mul_f32_e32 v23, 0x37800000, v22
	v_cndmask_b32_e32 v22, v22, v23, vcc
	v_cmp_gt_f32_e32 vcc, s15, v21
	v_cmp_class_f32_e64 s[2:3], v2, v17
	s_nop 0
	v_cndmask_b32_e32 v23, 1.0, v8, vcc
	v_mul_f32_e32 v21, v21, v23
	v_log_f32_e32 v21, v21
	v_cndmask_b32_e64 v2, v22, v2, s[2:3]
	v_cmp_gt_f32_e64 s[2:3], s15, v20
	scratch_store_dwordx4 off, v[0:3], off offset:32
	v_cmp_lt_f32_e64 s[4:5], |v21|, s14
	s_nop 0
	v_cndmask_b32_e64 v1, 1.0, v8, s[2:3]
	v_mul_f32_e32 v0, 0x3f317217, v21
	v_mul_f32_e32 v1, v20, v1
	v_fma_f32 v0, v21, s13, -v0
	v_log_f32_e32 v1, v1
	v_fmac_f32_e32 v0, 0x3377d1cf, v21
	v_fmac_f32_e32 v0, 0x3f317217, v21
	v_cndmask_b32_e64 v0, v21, v0, s[4:5]
	v_cndmask_b32_e32 v2, 0, v11, vcc
	v_sub_f32_e32 v0, v0, v2
	v_mul_f32_e32 v2, 0x3f317217, v1
	v_fma_f32 v2, v1, s13, -v2
	v_fmac_f32_e32 v2, 0x3377d1cf, v1
	v_fmac_f32_e32 v2, 0x3f317217, v1
	v_cmp_lt_f32_e64 vcc, |v1|, s14
	s_nop 1
	v_cndmask_b32_e32 v1, v1, v2, vcc
	v_cmp_lt_f32_e32 vcc, s9, v5
	v_cndmask_b32_e64 v2, 0, v11, s[2:3]
	v_sub_f32_e32 v1, v1, v2
	v_cndmask_b32_e32 v0, v0, v5, vcc
	v_mul_f32_e32 v3, 0x4f800000, v0
	v_cmp_gt_f32_e32 vcc, s12, v0
	v_cmp_lt_f32_e64 s[2:3], s9, v4
	s_nop 0
	v_cndmask_b32_e32 v0, v0, v3, vcc
	v_sqrt_f32_e32 v3, v0
	v_cndmask_b32_e64 v1, v1, v4, s[2:3]
	v_add_u32_e32 v2, -1, v3
	v_fma_f32 v4, -v2, v3, v0
	v_cmp_ge_f32_e64 s[2:3], 0, v4
	v_add_u32_e32 v4, 1, v3
	s_nop 0
	v_cndmask_b32_e64 v2, v3, v2, s[2:3]
	v_fma_f32 v3, -v4, v3, v0
	v_cmp_lt_f32_e64 s[2:3], 0, v3
	s_nop 1
	v_cndmask_b32_e64 v2, v2, v4, s[2:3]
	v_mul_f32_e32 v4, 0x4f800000, v1
	v_cmp_gt_f32_e64 s[2:3], s12, v1
	v_mul_f32_e32 v3, 0x37800000, v2
	s_nop 0
	v_cndmask_b32_e64 v4, v1, v4, s[2:3]
	v_sqrt_f32_e32 v5, v4
	v_cndmask_b32_e32 v1, v2, v3, vcc
	v_cmp_class_f32_e32 vcc, v0, v17
	v_mul_f32_e32 v3, 0x3fb8aa3b, v7
	v_exp_f32_e32 v3, v3
	v_cndmask_b32_e32 v1, v1, v0, vcc
	v_add_u32_e32 v0, -1, v5
	v_fma_f32 v2, -v0, v5, v4
	v_cmp_ge_f32_e32 vcc, 0, v2
	v_mul_f32_e32 v2, 0x3fb8aa3b, v6
	v_exp_f32_e32 v2, v2
	v_add_u32_e32 v20, 1, v5
	v_cndmask_b32_e32 v0, v5, v0, vcc
	v_fma_f32 v5, -v20, v5, v4
	v_cmp_lt_f32_e32 vcc, 0, v5
	v_pk_add_f32 v[2:3], v[2:3], 1.0 op_sel_hi:[1,0]
	s_nop 0
	v_cndmask_b32_e32 v0, v0, v20, vcc
	v_cmp_gt_f32_e32 vcc, s15, v3
	v_mul_f32_e32 v5, 0x37800000, v0
	v_cndmask_b32_e64 v0, v0, v5, s[2:3]
	v_cndmask_b32_e32 v20, 1.0, v8, vcc
	v_mul_f32_e32 v3, v3, v20
	v_log_f32_e32 v3, v3
	v_cmp_class_f32_e64 s[2:3], v4, v17
	v_cmp_lt_f32_e64 s[4:5], |v3|, s14
	s_nop 0
	v_cndmask_b32_e64 v0, v0, v4, s[2:3]
	v_cmp_gt_f32_e64 s[2:3], s15, v2
	v_mul_f32_e32 v4, 0x3f317217, v3
	v_fma_f32 v4, v3, s13, -v4
	v_cndmask_b32_e64 v5, 1.0, v8, s[2:3]
	v_mul_f32_e32 v2, v2, v5
	v_log_f32_e32 v2, v2
	v_fmac_f32_e32 v4, 0x3377d1cf, v3
	v_fmac_f32_e32 v4, 0x3f317217, v3
	v_cndmask_b32_e64 v3, v3, v4, s[4:5]
	v_cndmask_b32_e32 v4, 0, v11, vcc
	v_sub_f32_e32 v3, v3, v4
	v_mul_f32_e32 v4, 0x3f317217, v2
	v_fma_f32 v4, v2, s13, -v4
	v_fmac_f32_e32 v4, 0x3377d1cf, v2
	v_fmac_f32_e32 v4, 0x3f317217, v2
	v_cmp_lt_f32_e64 vcc, |v2|, s14
	s_nop 1
	v_cndmask_b32_e32 v2, v2, v4, vcc
	v_cmp_lt_f32_e32 vcc, s9, v7
	v_cndmask_b32_e64 v4, 0, v11, s[2:3]
	v_sub_f32_e32 v2, v2, v4
	v_cndmask_b32_e32 v3, v3, v7, vcc
	v_mul_f32_e32 v5, 0x4f800000, v3
	v_cmp_gt_f32_e32 vcc, s12, v3
	v_cmp_lt_f32_e64 s[2:3], s9, v6
	s_nop 0
	v_cndmask_b32_e32 v3, v3, v5, vcc
	v_sqrt_f32_e32 v5, v3
	v_cndmask_b32_e64 v2, v2, v6, s[2:3]
	v_add_u32_e32 v4, -1, v5
	v_fma_f32 v6, -v4, v5, v3
	v_cmp_ge_f32_e64 s[2:3], 0, v6
	v_add_u32_e32 v6, 1, v5
	s_nop 0
	v_cndmask_b32_e64 v4, v5, v4, s[2:3]
	v_fma_f32 v5, -v6, v5, v3
	v_cmp_lt_f32_e64 s[2:3], 0, v5
	s_nop 1
	v_cndmask_b32_e64 v4, v4, v6, s[2:3]
	v_mul_f32_e32 v6, 0x4f800000, v2
	v_cmp_gt_f32_e64 s[2:3], s12, v2
	v_mul_f32_e32 v5, 0x37800000, v4
	v_cndmask_b32_e32 v4, v4, v5, vcc
	v_cndmask_b32_e64 v2, v2, v6, s[2:3]
	v_sqrt_f32_e32 v6, v2
	v_cmp_class_f32_e32 vcc, v3, v17
	v_add_u32_e32 v20, 1, v6
	s_nop 0
	v_cndmask_b32_e32 v3, v4, v3, vcc
	v_add_u32_e32 v4, -1, v6
	v_fma_f32 v5, -v4, v6, v2
	v_cmp_ge_f32_e32 vcc, 0, v5
	s_waitcnt vmcnt(1)
	v_mul_f32_e32 v5, 0x3fb8aa3b, v19
	v_exp_f32_e32 v5, v5
	v_cndmask_b32_e32 v7, v6, v4, vcc
	v_mul_f32_e32 v4, 0x3fb8aa3b, v18
	v_exp_f32_e32 v4, v4
	v_fma_f32 v6, -v20, v6, v2
	v_cmp_lt_f32_e32 vcc, 0, v6
	v_pk_add_f32 v[4:5], v[4:5], 1.0 op_sel_hi:[1,0]
	s_nop 0
	v_cndmask_b32_e32 v6, v7, v20, vcc
	v_mul_f32_e32 v7, 0x37800000, v6
	v_cmp_gt_f32_e32 vcc, s15, v5
	v_cndmask_b32_e64 v6, v6, v7, s[2:3]
	v_cmp_class_f32_e64 s[2:3], v2, v17
	v_cndmask_b32_e32 v7, 1.0, v8, vcc
	v_mul_f32_e32 v5, v5, v7
	v_log_f32_e32 v5, v5
	v_cndmask_b32_e64 v2, v6, v2, s[2:3]
	v_cmp_gt_f32_e64 s[2:3], s15, v4
	scratch_store_dwordx4 off, v[0:3], off offset:48
	v_cmp_lt_f32_e64 s[4:5], |v5|, s14
	s_nop 0
	v_cndmask_b32_e64 v1, 1.0, v8, s[2:3]
	v_mul_f32_e32 v0, 0x3f317217, v5
	v_mul_f32_e32 v1, v4, v1
	v_fma_f32 v0, v5, s13, -v0
	v_log_f32_e32 v1, v1
	v_fmac_f32_e32 v0, 0x3377d1cf, v5
	v_fmac_f32_e32 v0, 0x3f317217, v5
	v_cndmask_b32_e64 v0, v5, v0, s[4:5]
	v_cndmask_b32_e32 v2, 0, v11, vcc
	v_sub_f32_e32 v0, v0, v2
	v_mul_f32_e32 v2, 0x3f317217, v1
	v_fma_f32 v2, v1, s13, -v2
	v_fmac_f32_e32 v2, 0x3377d1cf, v1
	v_fmac_f32_e32 v2, 0x3f317217, v1
	v_cmp_lt_f32_e64 vcc, |v1|, s14
	s_nop 1
	v_cndmask_b32_e32 v1, v1, v2, vcc
	v_cmp_lt_f32_e32 vcc, s9, v19
	v_cndmask_b32_e64 v2, 0, v11, s[2:3]
	v_sub_f32_e32 v1, v1, v2
	v_cndmask_b32_e32 v0, v0, v19, vcc
	v_mul_f32_e32 v3, 0x4f800000, v0
	v_cmp_gt_f32_e32 vcc, s12, v0
	v_cmp_lt_f32_e64 s[2:3], s9, v18
	s_nop 0
	v_cndmask_b32_e32 v0, v0, v3, vcc
	v_sqrt_f32_e32 v3, v0
	v_cndmask_b32_e64 v1, v1, v18, s[2:3]
	v_add_u32_e32 v2, -1, v3
	v_fma_f32 v4, -v2, v3, v0
	v_cmp_ge_f32_e64 s[2:3], 0, v4
	v_add_u32_e32 v4, 1, v3
	s_nop 0
	v_cndmask_b32_e64 v2, v3, v2, s[2:3]
	v_fma_f32 v3, -v4, v3, v0
	v_cmp_lt_f32_e64 s[2:3], 0, v3
	s_nop 1
	v_cndmask_b32_e64 v2, v2, v4, s[2:3]
	v_mul_f32_e32 v4, 0x4f800000, v1
	v_cmp_gt_f32_e64 s[2:3], s12, v1
	v_mul_f32_e32 v3, 0x37800000, v2
	s_nop 0
	v_cndmask_b32_e64 v4, v1, v4, s[2:3]
	v_sqrt_f32_e32 v5, v4
	v_cndmask_b32_e32 v1, v2, v3, vcc
	v_cmp_class_f32_e32 vcc, v0, v17
	s_nop 1
	v_cndmask_b32_e32 v1, v1, v0, vcc
	v_add_u32_e32 v0, -1, v5
	v_fma_f32 v2, -v0, v5, v4
	v_cmp_ge_f32_e32 vcc, 0, v2
	v_add_u32_e32 v2, 1, v5
	v_fma_f32 v3, -v2, v5, v4
	v_cndmask_b32_e32 v0, v5, v0, vcc
	v_cmp_lt_f32_e32 vcc, 0, v3
	s_nop 1
	v_cndmask_b32_e32 v0, v0, v2, vcc
	v_mul_f32_e32 v2, 0x37800000, v0
	v_cndmask_b32_e64 v0, v0, v2, s[2:3]
	v_cmp_class_f32_e32 vcc, v4, v17
	v_mul_lo_u32 v2, v10, s34
	s_nop 0
	v_cndmask_b32_e32 v0, v0, v4, vcc
	scratch_store_dwordx2 off, v[0:1], off offset:64
	v_lshl_add_u64 v[0:1], v[14:15], 3, v[12:13]
	s_and_b64 vcc, exec, s[10:11]
	s_cbranch_vccnz .LBB538_28
; %bb.2:
	s_load_dwordx2 s[4:5], s[0:1], 0x20
	v_mul_lo_u32 v4, v10, s34
	s_cmp_lt_u32 s34, 4
	v_sub_u32_e32 v3, 0, v16
	s_cbranch_scc1 .LBB538_21
; %bb.3:
	s_mov_b32 s11, 0
	s_and_b32 s8, s34, 0x7ffffffc
	v_ashrrev_i32_e32 v5, 31, v4
	v_mov_b32_e32 v9, 0
	s_mov_b32 s10, s11
	s_branch .LBB538_5
.LBB538_4:                              ;   in Loop: Header=BB538_5 Depth=1
	s_or_b64 exec, exec, s[12:13]
	s_add_i32 s10, s10, 4
	s_cmp_eq_u32 s10, s8
	s_cbranch_scc1 .LBB538_21
.LBB538_5:                              ; =>This Loop Header: Depth=1
                                        ;     Child Loop BB538_7 Depth 2
                                        ;     Child Loop BB538_11 Depth 2
	;; [unrolled: 1-line block ×4, first 2 shown]
	v_lshl_add_u64 v[6:7], s[10:11], 3, v[0:1]
	global_load_dwordx2 v[10:11], v[6:7], off
	v_add_u32_e32 v12, s10, v4
	v_ashrrev_i32_e32 v13, 31, v12
	v_mov_b32_e32 v8, 0
	s_mov_b64 s[12:13], 0
	s_waitcnt lgkmcnt(0)
	v_lshl_add_u64 v[12:13], v[12:13], 3, s[4:5]
	s_mov_b32 s9, 0
	s_waitcnt vmcnt(0)
	v_ashrrev_i32_e32 v11, 31, v10
	v_add_u32_e32 v14, v3, v10
	s_branch .LBB538_7
.LBB538_6:                              ;   in Loop: Header=BB538_7 Depth=2
	s_or_b64 exec, exec, s[14:15]
	s_add_i32 s16, s9, 1
	s_cmp_gt_u32 s9, 16
	s_cselect_b64 s[2:3], -1, 0
	s_xor_b64 s[14:15], vcc, -1
	s_or_b64 s[2:3], s[14:15], s[2:3]
	s_and_b64 s[2:3], exec, s[2:3]
	v_subrev_u32_e32 v14, 32, v14
	v_add_u32_e32 v8, 4, v8
	s_or_b64 s[12:13], s[2:3], s[12:13]
	s_mov_b32 s9, s16
	s_andn2_b64 exec, exec, s[12:13]
	s_cbranch_execz .LBB538_9
.LBB538_7:                              ;   Parent Loop BB538_5 Depth=1
                                        ; =>  This Inner Loop Header: Depth=2
	v_cmp_ne_u32_e32 vcc, 0, v14
	v_cmp_eq_u32_e64 s[2:3], 0, v14
	s_and_saveexec_b64 s[14:15], s[2:3]
	s_cbranch_execz .LBB538_6
; %bb.8:                                ;   in Loop: Header=BB538_7 Depth=2
	scratch_load_dword v15, v8, off
	s_waitcnt vmcnt(0)
	v_add_f32_e32 v9, v9, v15
	global_store_dwordx2 v[12:13], v[10:11], off
	s_branch .LBB538_6
.LBB538_9:                              ;   in Loop: Header=BB538_5 Depth=1
	s_or_b64 exec, exec, s[12:13]
	global_load_dwordx2 v[12:13], v[6:7], off offset:8
	s_ashr_i32 s3, s10, 31
	s_mov_b32 s2, s10
	v_lshl_add_u64 v[10:11], s[2:3], 0, v[4:5]
	v_mov_b32_e32 v8, 0
	s_mov_b32 s9, 0
	v_lshl_add_u64 v[10:11], v[10:11], 3, s[4:5]
	s_mov_b64 s[12:13], 0
	s_waitcnt vmcnt(0)
	v_ashrrev_i32_e32 v13, 31, v12
	v_add_u32_e32 v14, v3, v12
	s_branch .LBB538_11
.LBB538_10:                             ;   in Loop: Header=BB538_11 Depth=2
	s_or_b64 exec, exec, s[14:15]
	s_add_i32 s16, s9, 1
	s_cmp_gt_u32 s9, 16
	s_cselect_b64 s[2:3], -1, 0
	s_xor_b64 s[14:15], vcc, -1
	s_or_b64 s[2:3], s[14:15], s[2:3]
	s_and_b64 s[2:3], exec, s[2:3]
	v_add_u32_e32 v8, 4, v8
	v_subrev_u32_e32 v14, 32, v14
	s_or_b64 s[12:13], s[2:3], s[12:13]
	s_mov_b32 s9, s16
	s_andn2_b64 exec, exec, s[12:13]
	s_cbranch_execz .LBB538_13
.LBB538_11:                             ;   Parent Loop BB538_5 Depth=1
                                        ; =>  This Inner Loop Header: Depth=2
	v_cmp_ne_u32_e32 vcc, 0, v14
	v_cmp_eq_u32_e64 s[2:3], 0, v14
	s_and_saveexec_b64 s[14:15], s[2:3]
	s_cbranch_execz .LBB538_10
; %bb.12:                               ;   in Loop: Header=BB538_11 Depth=2
	scratch_load_dword v15, v8, off
	s_waitcnt vmcnt(0)
	v_add_f32_e32 v9, v9, v15
	global_store_dwordx2 v[10:11], v[12:13], off offset:8
	s_branch .LBB538_10
.LBB538_13:                             ;   in Loop: Header=BB538_5 Depth=1
	s_or_b64 exec, exec, s[12:13]
	global_load_dwordx2 v[12:13], v[6:7], off offset:16
	v_mov_b32_e32 v8, 0
	s_mov_b32 s9, 0
	s_mov_b64 s[12:13], 0
	s_waitcnt vmcnt(0)
	v_ashrrev_i32_e32 v13, 31, v12
	v_add_u32_e32 v14, v3, v12
	s_branch .LBB538_15
.LBB538_14:                             ;   in Loop: Header=BB538_15 Depth=2
	s_or_b64 exec, exec, s[14:15]
	s_add_i32 s16, s9, 1
	s_cmp_gt_u32 s9, 16
	s_cselect_b64 s[2:3], -1, 0
	s_xor_b64 s[14:15], vcc, -1
	s_or_b64 s[2:3], s[14:15], s[2:3]
	s_and_b64 s[2:3], exec, s[2:3]
	v_add_u32_e32 v8, 4, v8
	v_subrev_u32_e32 v14, 32, v14
	s_or_b64 s[12:13], s[2:3], s[12:13]
	s_mov_b32 s9, s16
	s_andn2_b64 exec, exec, s[12:13]
	s_cbranch_execz .LBB538_17
.LBB538_15:                             ;   Parent Loop BB538_5 Depth=1
                                        ; =>  This Inner Loop Header: Depth=2
	v_cmp_ne_u32_e32 vcc, 0, v14
	v_cmp_eq_u32_e64 s[2:3], 0, v14
	s_and_saveexec_b64 s[14:15], s[2:3]
	s_cbranch_execz .LBB538_14
; %bb.16:                               ;   in Loop: Header=BB538_15 Depth=2
	scratch_load_dword v15, v8, off
	s_waitcnt vmcnt(0)
	v_add_f32_e32 v9, v9, v15
	global_store_dwordx2 v[10:11], v[12:13], off offset:16
	s_branch .LBB538_14
.LBB538_17:                             ;   in Loop: Header=BB538_5 Depth=1
	s_or_b64 exec, exec, s[12:13]
	global_load_dwordx2 v[6:7], v[6:7], off offset:24
	v_mov_b32_e32 v8, 0
	s_mov_b32 s9, 0
	s_mov_b64 s[12:13], 0
	s_waitcnt vmcnt(0)
	v_ashrrev_i32_e32 v7, 31, v6
	v_add_u32_e32 v12, v3, v6
	s_branch .LBB538_19
.LBB538_18:                             ;   in Loop: Header=BB538_19 Depth=2
	s_or_b64 exec, exec, s[14:15]
	s_add_i32 s16, s9, 1
	s_cmp_gt_u32 s9, 16
	s_cselect_b64 s[2:3], -1, 0
	s_xor_b64 s[14:15], vcc, -1
	s_or_b64 s[2:3], s[14:15], s[2:3]
	s_and_b64 s[2:3], exec, s[2:3]
	v_add_u32_e32 v8, 4, v8
	v_subrev_u32_e32 v12, 32, v12
	s_or_b64 s[12:13], s[2:3], s[12:13]
	s_mov_b32 s9, s16
	s_andn2_b64 exec, exec, s[12:13]
	s_cbranch_execz .LBB538_4
.LBB538_19:                             ;   Parent Loop BB538_5 Depth=1
                                        ; =>  This Inner Loop Header: Depth=2
	v_cmp_ne_u32_e32 vcc, 0, v12
	v_cmp_eq_u32_e64 s[2:3], 0, v12
	s_and_saveexec_b64 s[14:15], s[2:3]
	s_cbranch_execz .LBB538_18
; %bb.20:                               ;   in Loop: Header=BB538_19 Depth=2
	scratch_load_dword v13, v8, off
	s_waitcnt vmcnt(0)
	v_add_f32_e32 v9, v9, v13
	global_store_dwordx2 v[10:11], v[6:7], off offset:24
	s_branch .LBB538_18
.LBB538_21:
	s_and_b32 s14, s34, 3
	s_cmp_eq_u32 s14, 0
	s_mov_b32 s9, 0
	s_cbranch_scc1 .LBB538_28
; %bb.22:
	s_mov_b32 s15, s9
	s_branch .LBB538_24
.LBB538_23:                             ;   in Loop: Header=BB538_24 Depth=1
	s_or_b64 exec, exec, s[10:11]
	s_add_i32 s8, s8, 1
	s_add_i32 s15, s15, 1
	s_cmp_lg_u32 s15, s14
	s_cbranch_scc0 .LBB538_28
.LBB538_24:                             ; =>This Loop Header: Depth=1
                                        ;     Child Loop BB538_26 Depth 2
	v_lshl_add_u64 v[6:7], s[8:9], 3, v[0:1]
	global_load_dwordx2 v[6:7], v[6:7], off
	v_add_u32_e32 v10, s8, v4
	v_ashrrev_i32_e32 v11, 31, v10
	v_mov_b32_e32 v5, 0
	s_mov_b32 s16, 0
	s_waitcnt lgkmcnt(0)
	v_lshl_add_u64 v[10:11], v[10:11], 3, s[4:5]
	s_mov_b64 s[10:11], 0
	s_waitcnt vmcnt(0)
	v_ashrrev_i32_e32 v7, 31, v6
	v_add_u32_e32 v8, v3, v6
	s_branch .LBB538_26
.LBB538_25:                             ;   in Loop: Header=BB538_26 Depth=2
	s_or_b64 exec, exec, s[12:13]
	s_add_i32 s17, s16, 1
	s_cmp_gt_u32 s16, 16
	s_cselect_b64 s[2:3], -1, 0
	s_xor_b64 s[12:13], vcc, -1
	s_or_b64 s[2:3], s[12:13], s[2:3]
	s_and_b64 s[2:3], exec, s[2:3]
	v_add_u32_e32 v5, 4, v5
	v_subrev_u32_e32 v8, 32, v8
	s_or_b64 s[10:11], s[2:3], s[10:11]
	s_mov_b32 s16, s17
	s_andn2_b64 exec, exec, s[10:11]
	s_cbranch_execz .LBB538_23
.LBB538_26:                             ;   Parent Loop BB538_24 Depth=1
                                        ; =>  This Inner Loop Header: Depth=2
	v_cmp_ne_u32_e32 vcc, 0, v8
	v_cmp_eq_u32_e64 s[2:3], 0, v8
	s_and_saveexec_b64 s[12:13], s[2:3]
	s_cbranch_execz .LBB538_25
; %bb.27:                               ;   in Loop: Header=BB538_26 Depth=2
	scratch_load_dword v12, v5, off
	s_waitcnt vmcnt(0)
	v_add_f32_e32 v9, v9, v12
	global_store_dwordx2 v[10:11], v[6:7], off
	s_branch .LBB538_25
.LBB538_28:
	s_waitcnt lgkmcnt(0)
	s_load_dword s4, s[0:1], 0x3c
	s_waitcnt lgkmcnt(0)
	s_bitcmp1_b32 s4, 0
	s_cselect_b64 s[2:3], -1, 0
	s_bitcmp0_b32 s4, 0
	s_cbranch_scc0 .LBB538_31
; %bb.29:
	s_load_dwordx2 s[4:5], s[0:1], 0x40
	s_andn2_b64 vcc, exec, s[2:3]
	s_waitcnt lgkmcnt(0)
	v_cvt_f32_f64_e32 v4, s[4:5]
	s_cbranch_vccz .LBB538_32
.LBB538_30:
	s_andn2_b64 vcc, exec, s[6:7]
	s_cbranch_vccz .LBB538_33
	s_branch .LBB538_71
.LBB538_31:
	v_mbcnt_lo_u32_b32 v3, -1, 0
	v_mbcnt_hi_u32_b32 v3, -1, v3
	v_and_b32_e32 v4, 0x60, v3
	v_add_u32_e32 v4, 32, v4
	v_xor_b32_e32 v5, 16, v3
	v_cmp_lt_i32_e32 vcc, v5, v4
	v_xor_b32_e32 v6, 8, v3
	v_xor_b32_e32 v7, 4, v3
	v_cndmask_b32_e32 v5, v3, v5, vcc
	v_lshlrev_b32_e32 v5, 2, v5
	ds_bpermute_b32 v5, v5, v9
	v_cmp_lt_i32_e32 vcc, v6, v4
	s_waitcnt lgkmcnt(0)
	v_add_f32_e32 v5, v9, v5
	v_cndmask_b32_e32 v6, v3, v6, vcc
	v_lshlrev_b32_e32 v6, 2, v6
	ds_bpermute_b32 v6, v6, v5
	v_cmp_lt_i32_e32 vcc, v7, v4
	s_waitcnt lgkmcnt(0)
	v_add_f32_e32 v5, v5, v6
	v_cndmask_b32_e32 v6, v3, v7, vcc
	v_lshlrev_b32_e32 v6, 2, v6
	ds_bpermute_b32 v6, v6, v5
	v_xor_b32_e32 v7, 2, v3
	v_cmp_lt_i32_e32 vcc, v7, v4
	s_waitcnt lgkmcnt(0)
	v_add_f32_e32 v5, v5, v6
	v_cndmask_b32_e32 v6, v3, v7, vcc
	v_lshlrev_b32_e32 v6, 2, v6
	ds_bpermute_b32 v6, v6, v5
	v_xor_b32_e32 v7, 1, v3
	v_cmp_lt_i32_e32 vcc, v7, v4
	s_waitcnt lgkmcnt(0)
	v_add_f32_e32 v5, v5, v6
	v_cndmask_b32_e32 v3, v3, v7, vcc
	v_lshlrev_b32_e32 v3, 2, v3
	ds_bpermute_b32 v3, v3, v5
	s_waitcnt lgkmcnt(0)
	v_add_f32_e32 v9, v5, v3
	s_load_dwordx2 s[4:5], s[0:1], 0x40
	s_andn2_b64 vcc, exec, s[2:3]
	s_waitcnt lgkmcnt(0)
	v_cvt_f32_f64_e32 v4, s[4:5]
	s_cbranch_vccnz .LBB538_30
.LBB538_32:
	v_cmp_lt_f32_e32 vcc, 0, v9
	s_nop 1
	v_cndmask_b32_e32 v3, 1.0, v9, vcc
	v_div_scale_f32 v5, s[2:3], v3, v3, v4
	v_rcp_f32_e32 v6, v5
	s_nop 0
	v_fma_f32 v7, -v5, v6, 1.0
	v_fmac_f32_e32 v6, v7, v6
	v_div_scale_f32 v7, vcc, v4, v3, v4
	v_mul_f32_e32 v8, v7, v6
	v_fma_f32 v9, -v5, v8, v7
	v_fmac_f32_e32 v8, v9, v6
	v_fma_f32 v5, -v5, v8, v7
	v_div_fmas_f32 v5, v5, v6, v8
	v_div_fixup_f32 v4, v5, v3, v4
	s_andn2_b64 vcc, exec, s[6:7]
	s_cbranch_vccnz .LBB538_71
.LBB538_33:
	s_load_dwordx2 s[36:37], s[0:1], 0x10
	v_mov_b32_e32 v3, 0
	v_or_b32_e32 v5, 4, v3
	v_or_b32_e32 v6, 8, v3
	;; [unrolled: 1-line block ×3, first 2 shown]
	v_add_u32_e32 v8, 16, v3
	v_add_u32_e32 v9, 20, v3
	;; [unrolled: 1-line block ×14, first 2 shown]
	v_or_b32_e32 v23, 32, v16
	v_or_b32_e32 v24, 64, v16
	;; [unrolled: 1-line block ×17, first 2 shown]
	s_branch .LBB538_35
.LBB538_34:                             ;   in Loop: Header=BB538_35 Depth=1
	s_or_b64 exec, exec, s[0:1]
	s_add_i32 s34, s34, -1
	v_add_u32_e32 v2, 1, v2
	s_cmp_eq_u32 s34, 0
	v_lshl_add_u64 v[0:1], v[0:1], 0, 8
	s_cbranch_scc1 .LBB538_71
.LBB538_35:                             ; =>This Inner Loop Header: Depth=1
	global_load_dword v40, v[0:1], off
	v_mov_b32_e32 v3, 0
	s_waitcnt vmcnt(0)
	v_cmp_eq_u32_e32 vcc, v16, v40
	v_cmp_ne_u32_e64 s[0:1], v16, v40
	s_and_saveexec_b64 s[38:39], s[0:1]
	s_cbranch_execz .LBB538_69
; %bb.36:                               ;   in Loop: Header=BB538_35 Depth=1
	v_cmp_eq_u32_e64 s[0:1], v23, v40
	v_cmp_ne_u32_e64 s[2:3], v23, v40
	v_mov_b32_e32 v3, v5
	s_and_saveexec_b64 s[40:41], s[2:3]
	s_cbranch_execz .LBB538_68
; %bb.37:                               ;   in Loop: Header=BB538_35 Depth=1
	v_cmp_eq_u32_e64 s[2:3], v24, v40
	v_cmp_ne_u32_e64 s[4:5], v24, v40
	v_mov_b32_e32 v3, v6
	;; [unrolled: 6-line block ×16, first 2 shown]
	s_and_saveexec_b64 s[72:73], s[30:31]
	s_xor_b64 s[72:73], exec, s[72:73]
; %bb.52:                               ;   in Loop: Header=BB538_35 Depth=1
	v_cmp_eq_u32_e64 s[30:31], v39, v40
	s_andn2_b64 s[70:71], s[70:71], exec
	s_and_b64 s[30:31], s[30:31], exec
	s_or_b64 s[70:71], s[70:71], s[30:31]
	v_mov_b32_e32 v3, v22
; %bb.53:                               ;   in Loop: Header=BB538_35 Depth=1
	s_or_b64 exec, exec, s[72:73]
	s_andn2_b64 s[28:29], s[28:29], exec
	s_and_b64 s[30:31], s[70:71], exec
	s_or_b64 s[28:29], s[28:29], s[30:31]
.LBB538_54:                             ;   in Loop: Header=BB538_35 Depth=1
	s_or_b64 exec, exec, s[68:69]
	s_andn2_b64 s[26:27], s[26:27], exec
	s_and_b64 s[28:29], s[28:29], exec
	s_or_b64 s[26:27], s[26:27], s[28:29]
.LBB538_55:                             ;   in Loop: Header=BB538_35 Depth=1
	s_or_b64 exec, exec, s[66:67]
	s_andn2_b64 s[24:25], s[24:25], exec
	s_and_b64 s[26:27], s[26:27], exec
	s_or_b64 s[24:25], s[24:25], s[26:27]
.LBB538_56:                             ;   in Loop: Header=BB538_35 Depth=1
	s_or_b64 exec, exec, s[64:65]
	s_andn2_b64 s[22:23], s[22:23], exec
	s_and_b64 s[24:25], s[24:25], exec
	s_or_b64 s[22:23], s[22:23], s[24:25]
.LBB538_57:                             ;   in Loop: Header=BB538_35 Depth=1
	s_or_b64 exec, exec, s[62:63]
	s_andn2_b64 s[20:21], s[20:21], exec
	s_and_b64 s[22:23], s[22:23], exec
	s_or_b64 s[20:21], s[20:21], s[22:23]
.LBB538_58:                             ;   in Loop: Header=BB538_35 Depth=1
	s_or_b64 exec, exec, s[60:61]
	s_andn2_b64 s[18:19], s[18:19], exec
	s_and_b64 s[20:21], s[20:21], exec
	s_or_b64 s[18:19], s[18:19], s[20:21]
.LBB538_59:                             ;   in Loop: Header=BB538_35 Depth=1
	s_or_b64 exec, exec, s[58:59]
	s_andn2_b64 s[16:17], s[16:17], exec
	s_and_b64 s[18:19], s[18:19], exec
	s_or_b64 s[16:17], s[16:17], s[18:19]
.LBB538_60:                             ;   in Loop: Header=BB538_35 Depth=1
	s_or_b64 exec, exec, s[56:57]
	s_andn2_b64 s[14:15], s[14:15], exec
	s_and_b64 s[16:17], s[16:17], exec
	s_or_b64 s[14:15], s[14:15], s[16:17]
.LBB538_61:                             ;   in Loop: Header=BB538_35 Depth=1
	s_or_b64 exec, exec, s[54:55]
	s_andn2_b64 s[12:13], s[12:13], exec
	s_and_b64 s[14:15], s[14:15], exec
	s_or_b64 s[12:13], s[12:13], s[14:15]
.LBB538_62:                             ;   in Loop: Header=BB538_35 Depth=1
	s_or_b64 exec, exec, s[52:53]
	s_andn2_b64 s[10:11], s[10:11], exec
	s_and_b64 s[12:13], s[12:13], exec
	s_or_b64 s[10:11], s[10:11], s[12:13]
.LBB538_63:                             ;   in Loop: Header=BB538_35 Depth=1
	s_or_b64 exec, exec, s[50:51]
	s_andn2_b64 s[8:9], s[8:9], exec
	s_and_b64 s[10:11], s[10:11], exec
	s_or_b64 s[8:9], s[8:9], s[10:11]
.LBB538_64:                             ;   in Loop: Header=BB538_35 Depth=1
	s_or_b64 exec, exec, s[48:49]
	s_andn2_b64 s[6:7], s[6:7], exec
	s_and_b64 s[8:9], s[8:9], exec
	s_or_b64 s[6:7], s[6:7], s[8:9]
.LBB538_65:                             ;   in Loop: Header=BB538_35 Depth=1
	s_or_b64 exec, exec, s[46:47]
	s_andn2_b64 s[4:5], s[4:5], exec
	s_and_b64 s[6:7], s[6:7], exec
	s_or_b64 s[4:5], s[4:5], s[6:7]
.LBB538_66:                             ;   in Loop: Header=BB538_35 Depth=1
	s_or_b64 exec, exec, s[44:45]
	s_andn2_b64 s[2:3], s[2:3], exec
	s_and_b64 s[4:5], s[4:5], exec
	s_or_b64 s[2:3], s[2:3], s[4:5]
.LBB538_67:                             ;   in Loop: Header=BB538_35 Depth=1
	s_or_b64 exec, exec, s[42:43]
	s_andn2_b64 s[0:1], s[0:1], exec
	s_and_b64 s[2:3], s[2:3], exec
	s_or_b64 s[0:1], s[0:1], s[2:3]
.LBB538_68:                             ;   in Loop: Header=BB538_35 Depth=1
	s_or_b64 exec, exec, s[40:41]
	s_andn2_b64 s[2:3], vcc, exec
	s_and_b64 s[0:1], s[0:1], exec
	s_or_b64 vcc, s[2:3], s[0:1]
.LBB538_69:                             ;   in Loop: Header=BB538_35 Depth=1
	s_or_b64 exec, exec, s[38:39]
	s_and_saveexec_b64 s[0:1], vcc
	s_cbranch_execz .LBB538_34
; %bb.70:                               ;   in Loop: Header=BB538_35 Depth=1
	scratch_load_dword v40, v3, off
	v_ashrrev_i32_e32 v3, 31, v2
	s_waitcnt vmcnt(0)
	v_mul_f32_e32 v42, v4, v40
	s_waitcnt lgkmcnt(0)
	v_lshl_add_u64 v[40:41], v[2:3], 2, s[36:37]
	global_store_dword v[40:41], v42, off
	s_branch .LBB538_34
.LBB538_71:
	s_endpgm
	.section	.rodata,"a",@progbits
	.p2align	6, 0x0
	.amdhsa_kernel _ZN4vllm3moe22topkGatingSoftplusSqrtILi18ELi576ELi4ELi2ELi32ELb1El14__hip_bfloat16EEvPKT6_PKbPfiPT5_PiiiibdPKfPKS9_SF_
		.amdhsa_group_segment_fixed_size 0
		.amdhsa_private_segment_fixed_size 80
		.amdhsa_kernarg_size 96
		.amdhsa_user_sgpr_count 2
		.amdhsa_user_sgpr_dispatch_ptr 0
		.amdhsa_user_sgpr_queue_ptr 0
		.amdhsa_user_sgpr_kernarg_segment_ptr 1
		.amdhsa_user_sgpr_dispatch_id 0
		.amdhsa_user_sgpr_kernarg_preload_length 0
		.amdhsa_user_sgpr_kernarg_preload_offset 0
		.amdhsa_user_sgpr_private_segment_size 0
		.amdhsa_uses_dynamic_stack 0
		.amdhsa_enable_private_segment 1
		.amdhsa_system_sgpr_workgroup_id_x 1
		.amdhsa_system_sgpr_workgroup_id_y 0
		.amdhsa_system_sgpr_workgroup_id_z 0
		.amdhsa_system_sgpr_workgroup_info 0
		.amdhsa_system_vgpr_workitem_id 1
		.amdhsa_next_free_vgpr 43
		.amdhsa_next_free_sgpr 74
		.amdhsa_accum_offset 44
		.amdhsa_reserve_vcc 1
		.amdhsa_float_round_mode_32 0
		.amdhsa_float_round_mode_16_64 0
		.amdhsa_float_denorm_mode_32 3
		.amdhsa_float_denorm_mode_16_64 3
		.amdhsa_dx10_clamp 1
		.amdhsa_ieee_mode 1
		.amdhsa_fp16_overflow 0
		.amdhsa_tg_split 0
		.amdhsa_exception_fp_ieee_invalid_op 0
		.amdhsa_exception_fp_denorm_src 0
		.amdhsa_exception_fp_ieee_div_zero 0
		.amdhsa_exception_fp_ieee_overflow 0
		.amdhsa_exception_fp_ieee_underflow 0
		.amdhsa_exception_fp_ieee_inexact 0
		.amdhsa_exception_int_div_zero 0
	.end_amdhsa_kernel
	.section	.text._ZN4vllm3moe22topkGatingSoftplusSqrtILi18ELi576ELi4ELi2ELi32ELb1El14__hip_bfloat16EEvPKT6_PKbPfiPT5_PiiiibdPKfPKS9_SF_,"axG",@progbits,_ZN4vllm3moe22topkGatingSoftplusSqrtILi18ELi576ELi4ELi2ELi32ELb1El14__hip_bfloat16EEvPKT6_PKbPfiPT5_PiiiibdPKfPKS9_SF_,comdat
.Lfunc_end538:
	.size	_ZN4vllm3moe22topkGatingSoftplusSqrtILi18ELi576ELi4ELi2ELi32ELb1El14__hip_bfloat16EEvPKT6_PKbPfiPT5_PiiiibdPKfPKS9_SF_, .Lfunc_end538-_ZN4vllm3moe22topkGatingSoftplusSqrtILi18ELi576ELi4ELi2ELi32ELb1El14__hip_bfloat16EEvPKT6_PKbPfiPT5_PiiiibdPKfPKS9_SF_
                                        ; -- End function
	.section	.AMDGPU.csdata,"",@progbits
; Kernel info:
; codeLenInByte = 6948
; NumSgprs: 80
; NumVgprs: 43
; NumAgprs: 0
; TotalNumVgprs: 43
; ScratchSize: 80
; MemoryBound: 0
; FloatMode: 240
; IeeeMode: 1
; LDSByteSize: 0 bytes/workgroup (compile time only)
; SGPRBlocks: 9
; VGPRBlocks: 5
; NumSGPRsForWavesPerEU: 80
; NumVGPRsForWavesPerEU: 43
; AccumOffset: 44
; Occupancy: 8
; WaveLimiterHint : 1
; COMPUTE_PGM_RSRC2:SCRATCH_EN: 1
; COMPUTE_PGM_RSRC2:USER_SGPR: 2
; COMPUTE_PGM_RSRC2:TRAP_HANDLER: 0
; COMPUTE_PGM_RSRC2:TGID_X_EN: 1
; COMPUTE_PGM_RSRC2:TGID_Y_EN: 0
; COMPUTE_PGM_RSRC2:TGID_Z_EN: 0
; COMPUTE_PGM_RSRC2:TIDIG_COMP_CNT: 1
; COMPUTE_PGM_RSRC3_GFX90A:ACCUM_OFFSET: 10
; COMPUTE_PGM_RSRC3_GFX90A:TG_SPLIT: 0
	.section	.text._ZN4vllm3moe22topkGatingSoftplusSqrtILi18ELi576ELi4ELi2ELi32ELb0El14__hip_bfloat16EEvPKT6_PKbPfiPT5_PiiiibdPKfPKS9_SF_,"axG",@progbits,_ZN4vllm3moe22topkGatingSoftplusSqrtILi18ELi576ELi4ELi2ELi32ELb0El14__hip_bfloat16EEvPKT6_PKbPfiPT5_PiiiibdPKfPKS9_SF_,comdat
	.protected	_ZN4vllm3moe22topkGatingSoftplusSqrtILi18ELi576ELi4ELi2ELi32ELb0El14__hip_bfloat16EEvPKT6_PKbPfiPT5_PiiiibdPKfPKS9_SF_ ; -- Begin function _ZN4vllm3moe22topkGatingSoftplusSqrtILi18ELi576ELi4ELi2ELi32ELb0El14__hip_bfloat16EEvPKT6_PKbPfiPT5_PiiiibdPKfPKS9_SF_
	.globl	_ZN4vllm3moe22topkGatingSoftplusSqrtILi18ELi576ELi4ELi2ELi32ELb0El14__hip_bfloat16EEvPKT6_PKbPfiPT5_PiiiibdPKfPKS9_SF_
	.p2align	8
	.type	_ZN4vllm3moe22topkGatingSoftplusSqrtILi18ELi576ELi4ELi2ELi32ELb0El14__hip_bfloat16EEvPKT6_PKbPfiPT5_PiiiibdPKfPKS9_SF_,@function
_ZN4vllm3moe22topkGatingSoftplusSqrtILi18ELi576ELi4ELi2ELi32ELb0El14__hip_bfloat16EEvPKT6_PKbPfiPT5_PiiiibdPKfPKS9_SF_: ; @_ZN4vllm3moe22topkGatingSoftplusSqrtILi18ELi576ELi4ELi2ELi32ELb0El14__hip_bfloat16EEvPKT6_PKbPfiPT5_PiiiibdPKfPKS9_SF_
; %bb.0:
	s_load_dword s30, s[0:1], 0x18
	v_and_b32_e32 v1, 0x3ff, v0
	s_lshl_b32 s2, s2, 2
	v_lshrrev_b32_e32 v2, 5, v1
	v_bfe_u32 v0, v0, 10, 10
	v_add3_u32 v14, s2, v0, v2
	s_waitcnt lgkmcnt(0)
	v_cmp_gt_i32_e32 vcc, s30, v14
	s_and_saveexec_b64 s[2:3], vcc
	s_cbranch_execz .LBB539_83
; %bb.1:
	s_load_dwordx4 s[4:7], s[0:1], 0x0
	s_load_dwordx2 s[20:21], s[0:1], 0x10
	s_waitcnt lgkmcnt(0)
	s_cmp_eq_u64 s[6:7], 0
	s_cbranch_scc1 .LBB539_3
; %bb.2:
	v_ashrrev_i32_e32 v15, 31, v14
	v_lshl_add_u64 v[2:3], s[6:7], 0, v[14:15]
	global_load_ubyte v0, v[2:3], off
	s_waitcnt vmcnt(0)
	v_and_b32_e32 v0, 1, v0
	v_cmp_eq_u32_e32 vcc, 1, v0
	s_xor_b64 s[2:3], vcc, -1
	s_orn2_b64 s[22:23], s[2:3], exec
	s_branch .LBB539_4
.LBB539_3:
	s_mov_b64 s[22:23], -1
.LBB539_4:
	s_movk_i32 s2, 0x240
	v_mul_lo_u32 v4, v14, s2
	v_mov_b32_e32 v2, s4
	v_mov_b32_e32 v3, s5
	v_ashrrev_i32_e32 v5, 31, v4
	v_and_b32_e32 v16, 31, v1
	v_lshl_add_u64 v[2:3], v[4:5], 1, v[2:3]
	v_mov_b32_e32 v1, 0
	v_lshlrev_b32_e32 v0, 1, v16
	v_lshl_add_u64 v[0:1], v[2:3], 0, v[0:1]
	global_load_ushort v2, v[0:1], off
	global_load_ushort v3, v[0:1], off offset:64
	global_load_ushort v4, v[0:1], off offset:128
	;; [unrolled: 1-line block ×7, first 2 shown]
	s_mov_b32 s16, 0x800000
	v_mov_b32_e32 v17, 0x4f800000
	s_mov_b32 s13, 0x3f317217
	s_mov_b32 s14, 0x7f800000
	v_mov_b32_e32 v20, 0x41b17218
	s_mov_b32 s12, 0x41a00000
	s_mov_b32 s15, 0xf800000
	s_load_dwordx4 s[8:11], s[0:1], 0x40
	v_mov_b32_e32 v15, 0x260
	s_waitcnt lgkmcnt(0)
	s_cmp_lg_u64 s[10:11], 0
	s_cselect_b64 s[6:7], -1, 0
	s_and_b64 vcc, exec, s[6:7]
	s_waitcnt vmcnt(7)
	v_lshlrev_b32_e32 v10, 16, v2
	s_waitcnt vmcnt(6)
	v_lshlrev_b32_e32 v11, 16, v3
	;; [unrolled: 2-line block ×4, first 2 shown]
	scratch_store_dwordx4 off, v[10:13], off
	global_load_ushort v2, v[0:1], off offset:512
	global_load_ushort v3, v[0:1], off offset:576
	;; [unrolled: 1-line block ×6, first 2 shown]
	scratch_load_dword v25, off, off
	global_load_ushort v26, v[0:1], off offset:896
	global_load_ushort v27, v[0:1], off offset:960
	;; [unrolled: 1-line block ×4, first 2 shown]
	s_waitcnt vmcnt(15)
	v_lshlrev_b32_e32 v8, 16, v6
	s_waitcnt vmcnt(12)
	v_lshlrev_b32_e32 v11, 16, v19
	v_lshlrev_b32_e32 v9, 16, v7
	;; [unrolled: 1-line block ×4, first 2 shown]
	scratch_store_dwordx4 off, v[8:11], off offset:16
	s_waitcnt vmcnt(11)
	v_lshlrev_b32_e32 v4, 16, v2
	s_waitcnt vmcnt(10)
	v_lshlrev_b32_e32 v5, 16, v3
	;; [unrolled: 2-line block ×6, first 2 shown]
	s_waitcnt vmcnt(5)
	v_mul_f32_e32 v2, 0x3fb8aa3b, v25
	v_exp_f32_e32 v19, v2
	s_waitcnt vmcnt(4)
	v_lshlrev_b32_e32 v2, 16, v26
	s_waitcnt vmcnt(3)
	v_lshlrev_b32_e32 v3, 16, v27
	;; [unrolled: 2-line block ×3, first 2 shown]
	v_add_f32_e32 v19, 1.0, v19
	v_cmp_gt_f32_e64 s[2:3], s16, v19
	s_nop 1
	v_cndmask_b32_e64 v21, 1.0, v17, s[2:3]
	v_mul_f32_e32 v19, v19, v21
	v_log_f32_e32 v21, v19
	v_cndmask_b32_e64 v22, 0, v20, s[2:3]
	s_waitcnt vmcnt(1)
	v_lshlrev_b32_e32 v19, 16, v29
	scratch_store_dwordx4 off, v[4:7], off offset:32
	scratch_store_dwordx4 off, v[0:3], off offset:48
	scratch_store_dwordx2 off, v[18:19], off offset:64
	v_mul_f32_e32 v23, 0x3f317217, v21
	v_fma_f32 v23, v21, s13, -v23
	v_fmac_f32_e32 v23, 0x3377d1cf, v21
	v_fmac_f32_e32 v23, 0x3f317217, v21
	v_cmp_lt_f32_e64 s[2:3], |v21|, s14
	s_nop 1
	v_cndmask_b32_e64 v21, v21, v23, s[2:3]
	v_sub_f32_e32 v21, v21, v22
	v_cmp_lt_f32_e64 s[2:3], s12, v25
	s_nop 1
	v_cndmask_b32_e64 v21, v21, v25, s[2:3]
	v_mul_f32_e32 v22, 0x4f800000, v21
	v_cmp_gt_f32_e64 s[2:3], s15, v21
	s_nop 1
	v_cndmask_b32_e64 v21, v21, v22, s[2:3]
	v_sqrt_f32_e32 v22, v21
	s_nop 0
	v_add_u32_e32 v23, -1, v22
	v_add_u32_e32 v24, 1, v22
	v_fma_f32 v25, -v23, v22, v21
	v_fma_f32 v26, -v24, v22, v21
	v_cmp_ge_f32_e64 s[4:5], 0, v25
	s_nop 1
	v_cndmask_b32_e64 v22, v22, v23, s[4:5]
	v_cmp_lt_f32_e64 s[4:5], 0, v26
	s_nop 1
	v_cndmask_b32_e64 v22, v22, v24, s[4:5]
	v_mul_f32_e32 v23, 0x37800000, v22
	v_cndmask_b32_e64 v22, v22, v23, s[2:3]
	v_cmp_class_f32_e64 s[2:3], v21, v15
	s_nop 1
	v_cndmask_b32_e64 v21, v22, v21, s[2:3]
	s_cbranch_vccz .LBB539_6
; %bb.5:
	global_load_dword v22, v12, s[10:11]
	s_waitcnt vmcnt(0)
	v_add_f32_e32 v21, v21, v22
.LBB539_6:
	scratch_load_dword v22, off, off offset:4
	s_waitcnt vmcnt(0)
	v_mul_f32_e32 v23, 0x3fb8aa3b, v22
	v_exp_f32_e32 v23, v23
	scratch_store_dword off, v21, off
	v_add_f32_e32 v23, 1.0, v23
	v_cmp_gt_f32_e32 vcc, s16, v23
	s_nop 1
	v_cndmask_b32_e32 v17, 1.0, v17, vcc
	v_mul_f32_e32 v17, v23, v17
	v_log_f32_e32 v17, v17
	v_cndmask_b32_e32 v20, 0, v20, vcc
	v_mul_f32_e32 v21, 0x3f317217, v17
	v_fma_f32 v21, v17, s13, -v21
	v_fmac_f32_e32 v21, 0x3377d1cf, v17
	v_fmac_f32_e32 v21, 0x3f317217, v17
	v_cmp_lt_f32_e64 vcc, |v17|, s14
	s_nop 1
	v_cndmask_b32_e32 v17, v17, v21, vcc
	v_sub_f32_e32 v17, v17, v20
	v_cmp_lt_f32_e32 vcc, s12, v22
	v_cndmask_b32_e64 v21, 0, 1, s[6:7]
	v_cmp_ne_u32_e64 s[2:3], 1, v21
	v_cndmask_b32_e32 v17, v17, v22, vcc
	v_mul_f32_e32 v20, 0x4f800000, v17
	v_cmp_gt_f32_e64 s[4:5], s15, v17
	s_andn2_b64 vcc, exec, s[6:7]
	s_nop 0
	v_cndmask_b32_e64 v17, v17, v20, s[4:5]
	v_sqrt_f32_e32 v20, v17
	s_nop 0
	v_add_u32_e32 v21, -1, v20
	v_add_u32_e32 v22, 1, v20
	v_fma_f32 v23, -v21, v20, v17
	v_fma_f32 v24, -v22, v20, v17
	v_cmp_ge_f32_e64 s[6:7], 0, v23
	s_nop 1
	v_cndmask_b32_e64 v20, v20, v21, s[6:7]
	v_cmp_lt_f32_e64 s[6:7], 0, v24
	s_nop 1
	v_cndmask_b32_e64 v20, v20, v22, s[6:7]
	v_mul_f32_e32 v21, 0x37800000, v20
	v_cndmask_b32_e64 v20, v20, v21, s[4:5]
	v_cmp_class_f32_e64 s[4:5], v17, v15
	s_nop 1
	v_cndmask_b32_e64 v17, v20, v17, s[4:5]
	s_cbranch_vccnz .LBB539_8
; %bb.7:
	global_load_dword v15, v12, s[10:11] offset:128
	s_waitcnt vmcnt(0)
	v_add_f32_e32 v17, v17, v15
.LBB539_8:
	scratch_load_dword v21, off, off offset:8
	s_mov_b32 s15, 0x800000
	s_mov_b32 s16, 0xf800000
	scratch_store_dword off, v17, off offset:4
	v_mov_b32_e32 v17, 0x260
	s_waitcnt vmcnt(1)
	v_mul_f32_e32 v15, 0x3fb8aa3b, v21
	v_exp_f32_e32 v20, v15
	v_mov_b32_e32 v15, 0x4f800000
	v_add_f32_e32 v20, 1.0, v20
	v_cmp_gt_f32_e32 vcc, s15, v20
	s_nop 1
	v_cndmask_b32_e32 v22, 1.0, v15, vcc
	v_mul_f32_e32 v20, v20, v22
	v_log_f32_e32 v22, v20
	v_mov_b32_e32 v20, 0x41b17218
	v_cndmask_b32_e32 v23, 0, v20, vcc
	v_mul_f32_e32 v24, 0x3f317217, v22
	v_fma_f32 v24, v22, s13, -v24
	v_fmac_f32_e32 v24, 0x3377d1cf, v22
	v_fmac_f32_e32 v24, 0x3f317217, v22
	v_cmp_lt_f32_e64 vcc, |v22|, s14
	s_nop 1
	v_cndmask_b32_e32 v22, v22, v24, vcc
	v_sub_f32_e32 v22, v22, v23
	v_cmp_lt_f32_e32 vcc, s12, v21
	s_nop 1
	v_cndmask_b32_e32 v21, v22, v21, vcc
	v_mul_f32_e32 v22, 0x4f800000, v21
	v_cmp_gt_f32_e64 s[4:5], s16, v21
	s_and_b64 vcc, exec, s[2:3]
	s_nop 0
	v_cndmask_b32_e64 v21, v21, v22, s[4:5]
	v_sqrt_f32_e32 v22, v21
	s_nop 0
	v_add_u32_e32 v23, -1, v22
	v_add_u32_e32 v24, 1, v22
	v_fma_f32 v25, -v23, v22, v21
	v_fma_f32 v26, -v24, v22, v21
	v_cmp_ge_f32_e64 s[6:7], 0, v25
	s_nop 1
	v_cndmask_b32_e64 v22, v22, v23, s[6:7]
	v_cmp_lt_f32_e64 s[6:7], 0, v26
	s_nop 1
	v_cndmask_b32_e64 v22, v22, v24, s[6:7]
	v_mul_f32_e32 v23, 0x37800000, v22
	v_cndmask_b32_e64 v22, v22, v23, s[4:5]
	v_cmp_class_f32_e64 s[4:5], v21, v17
	s_nop 1
	v_cndmask_b32_e64 v21, v22, v21, s[4:5]
	s_cbranch_vccnz .LBB539_10
; %bb.9:
	global_load_dword v22, v12, s[10:11] offset:256
	s_waitcnt vmcnt(0)
	v_add_f32_e32 v21, v21, v22
.LBB539_10:
	v_mul_f32_e32 v22, 0x3fb8aa3b, v13
	v_exp_f32_e32 v22, v22
	scratch_store_dword off, v21, off offset:8
	v_add_f32_e32 v22, 1.0, v22
	v_cmp_gt_f32_e32 vcc, s15, v22
	s_nop 1
	v_cndmask_b32_e32 v15, 1.0, v15, vcc
	v_mul_f32_e32 v15, v22, v15
	v_log_f32_e32 v15, v15
	v_cndmask_b32_e32 v20, 0, v20, vcc
	v_mul_f32_e32 v22, 0x3f317217, v15
	v_fma_f32 v22, v15, s13, -v22
	v_fmac_f32_e32 v22, 0x3377d1cf, v15
	v_fmac_f32_e32 v22, 0x3f317217, v15
	v_cmp_lt_f32_e64 vcc, |v15|, s14
	s_nop 1
	v_cndmask_b32_e32 v15, v15, v22, vcc
	v_sub_f32_e32 v15, v15, v20
	v_cmp_lt_f32_e32 vcc, s12, v13
	s_nop 1
	v_cndmask_b32_e32 v13, v15, v13, vcc
	v_mul_f32_e32 v15, 0x4f800000, v13
	v_cmp_gt_f32_e32 vcc, s16, v13
	s_nop 1
	v_cndmask_b32_e32 v13, v13, v15, vcc
	v_sqrt_f32_e32 v15, v13
	s_nop 0
	v_add_u32_e32 v20, -1, v15
	v_add_u32_e32 v21, 1, v15
	v_fma_f32 v22, -v20, v15, v13
	v_fma_f32 v23, -v21, v15, v13
	v_cmp_ge_f32_e64 s[4:5], 0, v22
	s_nop 1
	v_cndmask_b32_e64 v15, v15, v20, s[4:5]
	v_cmp_lt_f32_e64 s[4:5], 0, v23
	s_nop 1
	v_cndmask_b32_e64 v15, v15, v21, s[4:5]
	v_mul_f32_e32 v20, 0x37800000, v15
	v_cndmask_b32_e32 v15, v15, v20, vcc
	v_cmp_class_f32_e64 s[4:5], v13, v17
	s_and_b64 vcc, exec, s[2:3]
	s_nop 0
	v_cndmask_b32_e64 v17, v15, v13, s[4:5]
	s_cbranch_vccnz .LBB539_12
; %bb.11:
	global_load_dword v13, v12, s[10:11] offset:384
	s_waitcnt vmcnt(0)
	v_add_f32_e32 v17, v17, v13
.LBB539_12:
	v_mul_f32_e32 v13, 0x3fb8aa3b, v8
	v_exp_f32_e32 v15, v13
	s_mov_b32 s13, 0x800000
	v_mov_b32_e32 v13, 0x4f800000
	s_mov_b32 s7, 0x3f317217
	v_add_f32_e32 v15, 1.0, v15
	v_cmp_gt_f32_e32 vcc, s13, v15
	s_mov_b32 s12, 0x7f800000
	s_mov_b32 s6, 0x41a00000
	v_cndmask_b32_e32 v20, 1.0, v13, vcc
	v_mul_f32_e32 v15, v15, v20
	v_log_f32_e32 v15, v15
	s_mov_b32 s14, 0xf800000
	scratch_store_dword off, v17, off offset:12
	v_mul_f32_e32 v20, 0x3f317217, v15
	v_fma_f32 v20, v15, s7, -v20
	v_fmac_f32_e32 v20, 0x3377d1cf, v15
	v_fmac_f32_e32 v20, 0x3f317217, v15
	v_cmp_lt_f32_e64 s[4:5], |v15|, s12
	s_nop 1
	v_cndmask_b32_e64 v20, v15, v20, s[4:5]
	v_mov_b32_e32 v15, 0x41b17218
	v_cndmask_b32_e32 v21, 0, v15, vcc
	v_sub_f32_e32 v20, v20, v21
	v_cmp_lt_f32_e32 vcc, s6, v8
	s_nop 1
	v_cndmask_b32_e32 v8, v20, v8, vcc
	v_mul_f32_e32 v20, 0x4f800000, v8
	v_cmp_gt_f32_e32 vcc, s14, v8
	s_nop 1
	v_cndmask_b32_e32 v20, v8, v20, vcc
	v_sqrt_f32_e32 v8, v20
	s_nop 0
	v_add_u32_e32 v17, -1, v8
	v_fma_f32 v21, -v17, v8, v20
	v_cmp_ge_f32_e64 s[4:5], 0, v21
	v_add_u32_e32 v21, 1, v8
	s_nop 0
	v_cndmask_b32_e64 v17, v8, v17, s[4:5]
	v_fma_f32 v8, -v21, v8, v20
	v_cmp_lt_f32_e64 s[4:5], 0, v8
	s_nop 1
	v_cndmask_b32_e64 v8, v17, v21, s[4:5]
	v_mul_f32_e32 v17, 0x37800000, v8
	v_cndmask_b32_e32 v17, v8, v17, vcc
	v_mov_b32_e32 v8, 0x260
	v_cmp_class_f32_e64 s[4:5], v20, v8
	s_and_b64 vcc, exec, s[2:3]
	s_nop 0
	v_cndmask_b32_e64 v17, v17, v20, s[4:5]
	s_cbranch_vccnz .LBB539_14
; %bb.13:
	global_load_dword v20, v12, s[10:11] offset:512
	s_waitcnt vmcnt(0)
	v_add_f32_e32 v17, v17, v20
.LBB539_14:
	v_mul_f32_e32 v20, 0x3fb8aa3b, v9
	v_exp_f32_e32 v20, v20
	scratch_store_dword off, v17, off offset:16
	v_add_f32_e32 v20, 1.0, v20
	v_cmp_gt_f32_e32 vcc, s13, v20
	s_nop 1
	v_cndmask_b32_e32 v13, 1.0, v13, vcc
	v_mul_f32_e32 v13, v20, v13
	v_log_f32_e32 v13, v13
	v_cndmask_b32_e32 v15, 0, v15, vcc
	v_mul_f32_e32 v20, 0x3f317217, v13
	v_fma_f32 v20, v13, s7, -v20
	v_fmac_f32_e32 v20, 0x3377d1cf, v13
	v_fmac_f32_e32 v20, 0x3f317217, v13
	v_cmp_lt_f32_e64 vcc, |v13|, s12
	s_nop 1
	v_cndmask_b32_e32 v13, v13, v20, vcc
	v_sub_f32_e32 v13, v13, v15
	v_cmp_lt_f32_e32 vcc, s6, v9
	s_nop 1
	v_cndmask_b32_e32 v9, v13, v9, vcc
	v_mul_f32_e32 v13, 0x4f800000, v9
	v_cmp_gt_f32_e32 vcc, s14, v9
	s_nop 1
	v_cndmask_b32_e32 v9, v9, v13, vcc
	v_sqrt_f32_e32 v13, v9
	s_nop 0
	v_add_u32_e32 v15, -1, v13
	v_add_u32_e32 v17, 1, v13
	v_fma_f32 v20, -v15, v13, v9
	v_fma_f32 v21, -v17, v13, v9
	v_cmp_ge_f32_e64 s[4:5], 0, v20
	s_nop 1
	v_cndmask_b32_e64 v13, v13, v15, s[4:5]
	v_cmp_lt_f32_e64 s[4:5], 0, v21
	s_nop 1
	v_cndmask_b32_e64 v13, v13, v17, s[4:5]
	v_mul_f32_e32 v15, 0x37800000, v13
	v_cndmask_b32_e32 v13, v13, v15, vcc
	v_cmp_class_f32_e64 s[4:5], v9, v8
	s_and_b64 vcc, exec, s[2:3]
	s_nop 0
	v_cndmask_b32_e64 v9, v13, v9, s[4:5]
	s_cbranch_vccnz .LBB539_16
; %bb.15:
	global_load_dword v8, v12, s[10:11] offset:640
	s_waitcnt vmcnt(0)
	v_add_f32_e32 v9, v9, v8
.LBB539_16:
	v_mul_f32_e32 v8, 0x3fb8aa3b, v10
	v_exp_f32_e32 v13, v8
	v_mov_b32_e32 v8, 0x4f800000
	scratch_store_dword off, v9, off offset:20
	v_add_f32_e32 v13, 1.0, v13
	v_cmp_gt_f32_e32 vcc, s13, v13
	s_nop 1
	v_cndmask_b32_e32 v15, 1.0, v8, vcc
	v_mul_f32_e32 v13, v13, v15
	v_log_f32_e32 v13, v13
	s_nop 0
	v_mul_f32_e32 v15, 0x3f317217, v13
	v_fma_f32 v15, v13, s7, -v15
	v_fmac_f32_e32 v15, 0x3377d1cf, v13
	v_fmac_f32_e32 v15, 0x3f317217, v13
	v_cmp_lt_f32_e64 s[4:5], |v13|, s12
	s_nop 1
	v_cndmask_b32_e64 v15, v13, v15, s[4:5]
	v_mov_b32_e32 v13, 0x41b17218
	v_cndmask_b32_e32 v17, 0, v13, vcc
	v_sub_f32_e32 v15, v15, v17
	v_cmp_lt_f32_e32 vcc, s6, v10
	s_nop 1
	v_cndmask_b32_e32 v10, v15, v10, vcc
	v_mul_f32_e32 v15, 0x4f800000, v10
	v_cmp_gt_f32_e32 vcc, s14, v10
	s_nop 1
	v_cndmask_b32_e32 v10, v10, v15, vcc
	v_sqrt_f32_e32 v15, v10
	s_nop 0
	v_add_u32_e32 v9, -1, v15
	v_fma_f32 v17, -v9, v15, v10
	v_cmp_ge_f32_e64 s[4:5], 0, v17
	v_add_u32_e32 v17, 1, v15
	s_nop 0
	v_cndmask_b32_e64 v9, v15, v9, s[4:5]
	v_fma_f32 v15, -v17, v15, v10
	v_cmp_lt_f32_e64 s[4:5], 0, v15
	s_nop 1
	v_cndmask_b32_e64 v9, v9, v17, s[4:5]
	v_mul_f32_e32 v15, 0x37800000, v9
	v_cndmask_b32_e32 v15, v9, v15, vcc
	v_mov_b32_e32 v9, 0x260
	v_cmp_class_f32_e64 s[4:5], v10, v9
	s_and_b64 vcc, exec, s[2:3]
	s_nop 0
	v_cndmask_b32_e64 v10, v15, v10, s[4:5]
	s_cbranch_vccnz .LBB539_18
; %bb.17:
	global_load_dword v15, v12, s[10:11] offset:768
	s_waitcnt vmcnt(0)
	v_add_f32_e32 v10, v10, v15
.LBB539_18:
	v_mul_f32_e32 v15, 0x3fb8aa3b, v11
	v_exp_f32_e32 v15, v15
	scratch_store_dword off, v10, off offset:24
	v_add_f32_e32 v15, 1.0, v15
	v_cmp_gt_f32_e32 vcc, s13, v15
	s_nop 1
	v_cndmask_b32_e32 v8, 1.0, v8, vcc
	v_mul_f32_e32 v8, v15, v8
	v_log_f32_e32 v8, v8
	v_cndmask_b32_e32 v13, 0, v13, vcc
	v_mul_f32_e32 v15, 0x3f317217, v8
	v_fma_f32 v15, v8, s7, -v15
	v_fmac_f32_e32 v15, 0x3377d1cf, v8
	v_fmac_f32_e32 v15, 0x3f317217, v8
	v_cmp_lt_f32_e64 vcc, |v8|, s12
	s_nop 1
	v_cndmask_b32_e32 v8, v8, v15, vcc
	v_sub_f32_e32 v8, v8, v13
	v_cmp_lt_f32_e32 vcc, s6, v11
	s_nop 1
	v_cndmask_b32_e32 v8, v8, v11, vcc
	v_mul_f32_e32 v11, 0x4f800000, v8
	v_cmp_gt_f32_e32 vcc, s14, v8
	s_nop 1
	v_cndmask_b32_e32 v8, v8, v11, vcc
	v_sqrt_f32_e32 v11, v8
	s_nop 0
	v_add_u32_e32 v10, -1, v11
	v_add_u32_e32 v13, 1, v11
	v_fma_f32 v15, -v10, v11, v8
	v_fma_f32 v17, -v13, v11, v8
	v_cmp_ge_f32_e64 s[4:5], 0, v15
	s_nop 1
	v_cndmask_b32_e64 v10, v11, v10, s[4:5]
	v_cmp_lt_f32_e64 s[4:5], 0, v17
	s_nop 1
	v_cndmask_b32_e64 v10, v10, v13, s[4:5]
	v_mul_f32_e32 v11, 0x37800000, v10
	v_cndmask_b32_e32 v10, v10, v11, vcc
	v_cmp_class_f32_e64 s[4:5], v8, v9
	s_and_b64 vcc, exec, s[2:3]
	s_nop 0
	v_cndmask_b32_e64 v10, v10, v8, s[4:5]
	s_cbranch_vccnz .LBB539_20
; %bb.19:
	global_load_dword v8, v12, s[10:11] offset:896
	s_waitcnt vmcnt(0)
	v_add_f32_e32 v10, v10, v8
.LBB539_20:
	v_mul_f32_e32 v8, 0x3fb8aa3b, v4
	v_exp_f32_e32 v9, v8
	v_mov_b32_e32 v8, 0x4f800000
	scratch_store_dword off, v10, off offset:28
	v_add_f32_e32 v9, 1.0, v9
	v_cmp_gt_f32_e32 vcc, s13, v9
	s_nop 1
	v_cndmask_b32_e32 v11, 1.0, v8, vcc
	v_mul_f32_e32 v9, v9, v11
	v_log_f32_e32 v9, v9
	s_nop 0
	v_mul_f32_e32 v11, 0x3f317217, v9
	v_fma_f32 v11, v9, s7, -v11
	v_fmac_f32_e32 v11, 0x3377d1cf, v9
	v_fmac_f32_e32 v11, 0x3f317217, v9
	v_cmp_lt_f32_e64 s[4:5], |v9|, s12
	s_nop 1
	v_cndmask_b32_e64 v11, v9, v11, s[4:5]
	v_mov_b32_e32 v9, 0x41b17218
	v_cndmask_b32_e32 v13, 0, v9, vcc
	v_sub_f32_e32 v11, v11, v13
	v_cmp_lt_f32_e32 vcc, s6, v4
	s_nop 1
	v_cndmask_b32_e32 v4, v11, v4, vcc
	v_mul_f32_e32 v11, 0x4f800000, v4
	v_cmp_gt_f32_e32 vcc, s14, v4
	s_nop 1
	v_cndmask_b32_e32 v11, v4, v11, vcc
	v_sqrt_f32_e32 v4, v11
	s_nop 0
	v_add_u32_e32 v10, -1, v4
	v_fma_f32 v13, -v10, v4, v11
	v_cmp_ge_f32_e64 s[4:5], 0, v13
	v_add_u32_e32 v13, 1, v4
	s_nop 0
	v_cndmask_b32_e64 v10, v4, v10, s[4:5]
	v_fma_f32 v4, -v13, v4, v11
	v_cmp_lt_f32_e64 s[4:5], 0, v4
	s_nop 1
	v_cndmask_b32_e64 v4, v10, v13, s[4:5]
	v_mul_f32_e32 v10, 0x37800000, v4
	v_cndmask_b32_e32 v10, v4, v10, vcc
	v_mov_b32_e32 v4, 0x260
	v_cmp_class_f32_e64 s[4:5], v11, v4
	s_and_b64 vcc, exec, s[2:3]
	s_nop 0
	v_cndmask_b32_e64 v10, v10, v11, s[4:5]
	s_cbranch_vccnz .LBB539_22
; %bb.21:
	global_load_dword v11, v12, s[10:11] offset:1024
	s_waitcnt vmcnt(0)
	v_add_f32_e32 v10, v10, v11
.LBB539_22:
	v_mul_f32_e32 v11, 0x3fb8aa3b, v5
	v_exp_f32_e32 v11, v11
	scratch_store_dword off, v10, off offset:32
	v_add_f32_e32 v11, 1.0, v11
	v_cmp_gt_f32_e32 vcc, s13, v11
	s_nop 1
	v_cndmask_b32_e32 v8, 1.0, v8, vcc
	v_mul_f32_e32 v8, v11, v8
	v_log_f32_e32 v8, v8
	v_cndmask_b32_e32 v9, 0, v9, vcc
	v_mul_f32_e32 v11, 0x3f317217, v8
	v_fma_f32 v11, v8, s7, -v11
	v_fmac_f32_e32 v11, 0x3377d1cf, v8
	v_fmac_f32_e32 v11, 0x3f317217, v8
	v_cmp_lt_f32_e64 vcc, |v8|, s12
	s_nop 1
	v_cndmask_b32_e32 v8, v8, v11, vcc
	v_sub_f32_e32 v8, v8, v9
	v_cmp_lt_f32_e32 vcc, s6, v5
	s_nop 1
	v_cndmask_b32_e32 v5, v8, v5, vcc
	v_mul_f32_e32 v8, 0x4f800000, v5
	v_cmp_gt_f32_e32 vcc, s14, v5
	s_nop 1
	v_cndmask_b32_e32 v5, v5, v8, vcc
	v_sqrt_f32_e32 v8, v5
	s_nop 0
	v_add_u32_e32 v9, -1, v8
	v_add_u32_e32 v10, 1, v8
	v_fma_f32 v11, -v9, v8, v5
	v_fma_f32 v13, -v10, v8, v5
	v_cmp_ge_f32_e64 s[4:5], 0, v11
	s_nop 1
	v_cndmask_b32_e64 v8, v8, v9, s[4:5]
	v_cmp_lt_f32_e64 s[4:5], 0, v13
	s_nop 1
	v_cndmask_b32_e64 v8, v8, v10, s[4:5]
	v_mul_f32_e32 v9, 0x37800000, v8
	v_cndmask_b32_e32 v8, v8, v9, vcc
	v_cmp_class_f32_e64 s[4:5], v5, v4
	s_and_b64 vcc, exec, s[2:3]
	s_nop 0
	v_cndmask_b32_e64 v5, v8, v5, s[4:5]
	s_cbranch_vccnz .LBB539_24
; %bb.23:
	global_load_dword v4, v12, s[10:11] offset:1152
	s_waitcnt vmcnt(0)
	v_add_f32_e32 v5, v5, v4
.LBB539_24:
	v_mul_f32_e32 v4, 0x3fb8aa3b, v6
	v_exp_f32_e32 v8, v4
	v_mov_b32_e32 v4, 0x4f800000
	scratch_store_dword off, v5, off offset:36
	v_add_f32_e32 v8, 1.0, v8
	v_cmp_gt_f32_e32 vcc, s13, v8
	s_nop 1
	v_cndmask_b32_e32 v9, 1.0, v4, vcc
	v_mul_f32_e32 v8, v8, v9
	v_log_f32_e32 v8, v8
	s_nop 0
	v_mul_f32_e32 v9, 0x3f317217, v8
	v_fma_f32 v9, v8, s7, -v9
	v_fmac_f32_e32 v9, 0x3377d1cf, v8
	v_fmac_f32_e32 v9, 0x3f317217, v8
	v_cmp_lt_f32_e64 s[4:5], |v8|, s12
	s_nop 1
	v_cndmask_b32_e64 v9, v8, v9, s[4:5]
	v_mov_b32_e32 v8, 0x41b17218
	v_cndmask_b32_e32 v10, 0, v8, vcc
	v_sub_f32_e32 v9, v9, v10
	v_cmp_lt_f32_e32 vcc, s6, v6
	s_nop 1
	v_cndmask_b32_e32 v6, v9, v6, vcc
	v_mul_f32_e32 v9, 0x4f800000, v6
	v_cmp_gt_f32_e32 vcc, s14, v6
	s_nop 1
	v_cndmask_b32_e32 v6, v6, v9, vcc
	v_sqrt_f32_e32 v9, v6
	s_nop 0
	v_add_u32_e32 v5, -1, v9
	v_fma_f32 v10, -v5, v9, v6
	v_cmp_ge_f32_e64 s[4:5], 0, v10
	v_add_u32_e32 v10, 1, v9
	s_nop 0
	v_cndmask_b32_e64 v5, v9, v5, s[4:5]
	v_fma_f32 v9, -v10, v9, v6
	v_cmp_lt_f32_e64 s[4:5], 0, v9
	s_nop 1
	v_cndmask_b32_e64 v5, v5, v10, s[4:5]
	v_mul_f32_e32 v9, 0x37800000, v5
	v_cndmask_b32_e32 v9, v5, v9, vcc
	v_mov_b32_e32 v5, 0x260
	v_cmp_class_f32_e64 s[4:5], v6, v5
	s_and_b64 vcc, exec, s[2:3]
	s_nop 0
	v_cndmask_b32_e64 v6, v9, v6, s[4:5]
	s_cbranch_vccnz .LBB539_26
; %bb.25:
	global_load_dword v9, v12, s[10:11] offset:1280
	s_waitcnt vmcnt(0)
	v_add_f32_e32 v6, v6, v9
.LBB539_26:
	v_mul_f32_e32 v9, 0x3fb8aa3b, v7
	v_exp_f32_e32 v9, v9
	scratch_store_dword off, v6, off offset:40
	v_add_f32_e32 v9, 1.0, v9
	v_cmp_gt_f32_e32 vcc, s13, v9
	s_nop 1
	v_cndmask_b32_e32 v4, 1.0, v4, vcc
	v_mul_f32_e32 v4, v9, v4
	v_log_f32_e32 v4, v4
	v_cndmask_b32_e32 v8, 0, v8, vcc
	v_mul_f32_e32 v9, 0x3f317217, v4
	v_fma_f32 v9, v4, s7, -v9
	v_fmac_f32_e32 v9, 0x3377d1cf, v4
	v_fmac_f32_e32 v9, 0x3f317217, v4
	v_cmp_lt_f32_e64 vcc, |v4|, s12
	s_nop 1
	v_cndmask_b32_e32 v4, v4, v9, vcc
	v_sub_f32_e32 v4, v4, v8
	v_cmp_lt_f32_e32 vcc, s6, v7
	s_nop 1
	v_cndmask_b32_e32 v4, v4, v7, vcc
	v_mul_f32_e32 v7, 0x4f800000, v4
	v_cmp_gt_f32_e32 vcc, s14, v4
	s_nop 1
	v_cndmask_b32_e32 v4, v4, v7, vcc
	v_sqrt_f32_e32 v7, v4
	s_nop 0
	v_add_u32_e32 v6, -1, v7
	v_add_u32_e32 v8, 1, v7
	v_fma_f32 v9, -v6, v7, v4
	v_fma_f32 v10, -v8, v7, v4
	v_cmp_ge_f32_e64 s[4:5], 0, v9
	s_nop 1
	v_cndmask_b32_e64 v6, v7, v6, s[4:5]
	v_cmp_lt_f32_e64 s[4:5], 0, v10
	s_nop 1
	v_cndmask_b32_e64 v6, v6, v8, s[4:5]
	v_mul_f32_e32 v7, 0x37800000, v6
	v_cndmask_b32_e32 v6, v6, v7, vcc
	v_cmp_class_f32_e64 s[4:5], v4, v5
	s_and_b64 vcc, exec, s[2:3]
	s_nop 0
	v_cndmask_b32_e64 v6, v6, v4, s[4:5]
	s_cbranch_vccnz .LBB539_28
; %bb.27:
	global_load_dword v4, v12, s[10:11] offset:1408
	s_waitcnt vmcnt(0)
	v_add_f32_e32 v6, v6, v4
.LBB539_28:
	v_mul_f32_e32 v4, 0x3fb8aa3b, v0
	v_exp_f32_e32 v5, v4
	v_mov_b32_e32 v4, 0x4f800000
	scratch_store_dword off, v6, off offset:44
	v_add_f32_e32 v5, 1.0, v5
	v_cmp_gt_f32_e32 vcc, s13, v5
	s_nop 1
	v_cndmask_b32_e32 v7, 1.0, v4, vcc
	v_mul_f32_e32 v5, v5, v7
	v_log_f32_e32 v5, v5
	s_nop 0
	v_mul_f32_e32 v7, 0x3f317217, v5
	v_fma_f32 v7, v5, s7, -v7
	v_fmac_f32_e32 v7, 0x3377d1cf, v5
	v_fmac_f32_e32 v7, 0x3f317217, v5
	v_cmp_lt_f32_e64 s[4:5], |v5|, s12
	s_nop 1
	v_cndmask_b32_e64 v7, v5, v7, s[4:5]
	v_mov_b32_e32 v5, 0x41b17218
	v_cndmask_b32_e32 v8, 0, v5, vcc
	v_sub_f32_e32 v7, v7, v8
	v_cmp_lt_f32_e32 vcc, s6, v0
	s_nop 1
	v_cndmask_b32_e32 v0, v7, v0, vcc
	v_mul_f32_e32 v7, 0x4f800000, v0
	v_cmp_gt_f32_e32 vcc, s14, v0
	s_nop 1
	v_cndmask_b32_e32 v7, v0, v7, vcc
	v_sqrt_f32_e32 v0, v7
	s_nop 0
	v_add_u32_e32 v6, -1, v0
	v_fma_f32 v8, -v6, v0, v7
	v_cmp_ge_f32_e64 s[4:5], 0, v8
	v_add_u32_e32 v8, 1, v0
	s_nop 0
	v_cndmask_b32_e64 v6, v0, v6, s[4:5]
	v_fma_f32 v0, -v8, v0, v7
	v_cmp_lt_f32_e64 s[4:5], 0, v0
	s_nop 1
	v_cndmask_b32_e64 v0, v6, v8, s[4:5]
	v_mul_f32_e32 v6, 0x37800000, v0
	v_cndmask_b32_e32 v6, v0, v6, vcc
	v_mov_b32_e32 v0, 0x260
	v_cmp_class_f32_e64 s[4:5], v7, v0
	s_and_b64 vcc, exec, s[2:3]
	s_nop 0
	v_cndmask_b32_e64 v6, v6, v7, s[4:5]
	s_cbranch_vccnz .LBB539_30
; %bb.29:
	global_load_dword v7, v12, s[10:11] offset:1536
	s_waitcnt vmcnt(0)
	v_add_f32_e32 v6, v6, v7
.LBB539_30:
	v_mul_f32_e32 v7, 0x3fb8aa3b, v1
	v_exp_f32_e32 v7, v7
	scratch_store_dword off, v6, off offset:48
	v_add_f32_e32 v7, 1.0, v7
	v_cmp_gt_f32_e32 vcc, s13, v7
	s_nop 1
	v_cndmask_b32_e32 v4, 1.0, v4, vcc
	v_mul_f32_e32 v4, v7, v4
	v_log_f32_e32 v4, v4
	v_cndmask_b32_e32 v5, 0, v5, vcc
	v_mul_f32_e32 v7, 0x3f317217, v4
	v_fma_f32 v7, v4, s7, -v7
	v_fmac_f32_e32 v7, 0x3377d1cf, v4
	v_fmac_f32_e32 v7, 0x3f317217, v4
	v_cmp_lt_f32_e64 vcc, |v4|, s12
	s_nop 1
	v_cndmask_b32_e32 v4, v4, v7, vcc
	v_sub_f32_e32 v4, v4, v5
	v_cmp_lt_f32_e32 vcc, s6, v1
	s_nop 1
	v_cndmask_b32_e32 v1, v4, v1, vcc
	v_mul_f32_e32 v4, 0x4f800000, v1
	v_cmp_gt_f32_e32 vcc, s14, v1
	s_nop 1
	v_cndmask_b32_e32 v1, v1, v4, vcc
	v_sqrt_f32_e32 v4, v1
	s_nop 0
	v_add_u32_e32 v5, -1, v4
	v_add_u32_e32 v6, 1, v4
	v_fma_f32 v7, -v5, v4, v1
	v_fma_f32 v8, -v6, v4, v1
	v_cmp_ge_f32_e64 s[4:5], 0, v7
	s_nop 1
	v_cndmask_b32_e64 v4, v4, v5, s[4:5]
	v_cmp_lt_f32_e64 s[4:5], 0, v8
	s_nop 1
	v_cndmask_b32_e64 v4, v4, v6, s[4:5]
	v_mul_f32_e32 v5, 0x37800000, v4
	v_cndmask_b32_e32 v4, v4, v5, vcc
	v_cmp_class_f32_e64 s[4:5], v1, v0
	s_and_b64 vcc, exec, s[2:3]
	s_nop 0
	v_cndmask_b32_e64 v1, v4, v1, s[4:5]
	s_cbranch_vccnz .LBB539_32
; %bb.31:
	global_load_dword v0, v12, s[10:11] offset:1664
	s_waitcnt vmcnt(0)
	v_add_f32_e32 v1, v1, v0
.LBB539_32:
	v_mul_f32_e32 v0, 0x3fb8aa3b, v2
	v_exp_f32_e32 v4, v0
	v_mov_b32_e32 v0, 0x4f800000
	scratch_store_dword off, v1, off offset:52
	v_add_f32_e32 v4, 1.0, v4
	v_cmp_gt_f32_e32 vcc, s13, v4
	s_nop 1
	v_cndmask_b32_e32 v5, 1.0, v0, vcc
	v_mul_f32_e32 v4, v4, v5
	v_log_f32_e32 v4, v4
	s_nop 0
	v_mul_f32_e32 v5, 0x3f317217, v4
	v_fma_f32 v5, v4, s7, -v5
	v_fmac_f32_e32 v5, 0x3377d1cf, v4
	v_fmac_f32_e32 v5, 0x3f317217, v4
	v_cmp_lt_f32_e64 s[4:5], |v4|, s12
	s_nop 1
	v_cndmask_b32_e64 v5, v4, v5, s[4:5]
	v_mov_b32_e32 v4, 0x41b17218
	v_cndmask_b32_e32 v6, 0, v4, vcc
	v_sub_f32_e32 v5, v5, v6
	v_cmp_lt_f32_e32 vcc, s6, v2
	s_nop 1
	v_cndmask_b32_e32 v2, v5, v2, vcc
	v_mul_f32_e32 v5, 0x4f800000, v2
	v_cmp_gt_f32_e32 vcc, s14, v2
	s_nop 1
	v_cndmask_b32_e32 v2, v2, v5, vcc
	v_sqrt_f32_e32 v5, v2
	s_nop 0
	v_add_u32_e32 v1, -1, v5
	v_fma_f32 v6, -v1, v5, v2
	v_cmp_ge_f32_e64 s[4:5], 0, v6
	v_add_u32_e32 v6, 1, v5
	s_nop 0
	v_cndmask_b32_e64 v1, v5, v1, s[4:5]
	v_fma_f32 v5, -v6, v5, v2
	v_cmp_lt_f32_e64 s[4:5], 0, v5
	s_nop 1
	v_cndmask_b32_e64 v1, v1, v6, s[4:5]
	v_mul_f32_e32 v5, 0x37800000, v1
	v_cndmask_b32_e32 v5, v1, v5, vcc
	v_mov_b32_e32 v1, 0x260
	v_cmp_class_f32_e64 s[4:5], v2, v1
	s_and_b64 vcc, exec, s[2:3]
	s_nop 0
	v_cndmask_b32_e64 v2, v5, v2, s[4:5]
	s_cbranch_vccnz .LBB539_34
; %bb.33:
	global_load_dword v5, v12, s[10:11] offset:1792
	s_waitcnt vmcnt(0)
	v_add_f32_e32 v2, v2, v5
.LBB539_34:
	v_mul_f32_e32 v5, 0x3fb8aa3b, v3
	v_exp_f32_e32 v5, v5
	scratch_store_dword off, v2, off offset:56
	v_add_f32_e32 v5, 1.0, v5
	v_cmp_gt_f32_e32 vcc, s13, v5
	s_nop 1
	v_cndmask_b32_e32 v0, 1.0, v0, vcc
	v_mul_f32_e32 v0, v5, v0
	v_log_f32_e32 v0, v0
	v_cndmask_b32_e32 v4, 0, v4, vcc
	v_mul_f32_e32 v5, 0x3f317217, v0
	v_fma_f32 v5, v0, s7, -v5
	v_fmac_f32_e32 v5, 0x3377d1cf, v0
	v_fmac_f32_e32 v5, 0x3f317217, v0
	v_cmp_lt_f32_e64 vcc, |v0|, s12
	s_nop 1
	v_cndmask_b32_e32 v0, v0, v5, vcc
	v_sub_f32_e32 v0, v0, v4
	v_cmp_lt_f32_e32 vcc, s6, v3
	s_nop 1
	v_cndmask_b32_e32 v0, v0, v3, vcc
	v_mul_f32_e32 v3, 0x4f800000, v0
	v_cmp_gt_f32_e32 vcc, s14, v0
	s_nop 1
	v_cndmask_b32_e32 v0, v0, v3, vcc
	v_sqrt_f32_e32 v3, v0
	s_nop 0
	v_add_u32_e32 v2, -1, v3
	v_add_u32_e32 v4, 1, v3
	v_fma_f32 v5, -v2, v3, v0
	v_fma_f32 v6, -v4, v3, v0
	v_cmp_ge_f32_e64 s[4:5], 0, v5
	s_nop 1
	v_cndmask_b32_e64 v2, v3, v2, s[4:5]
	v_cmp_lt_f32_e64 s[4:5], 0, v6
	s_nop 1
	v_cndmask_b32_e64 v2, v2, v4, s[4:5]
	v_mul_f32_e32 v3, 0x37800000, v2
	v_cndmask_b32_e32 v2, v2, v3, vcc
	v_cmp_class_f32_e64 s[4:5], v0, v1
	s_and_b64 vcc, exec, s[2:3]
	s_nop 0
	v_cndmask_b32_e64 v1, v2, v0, s[4:5]
	s_cbranch_vccnz .LBB539_36
; %bb.35:
	global_load_dword v0, v12, s[10:11] offset:1920
	s_waitcnt vmcnt(0)
	v_add_f32_e32 v1, v1, v0
.LBB539_36:
	v_mul_f32_e32 v0, 0x3fb8aa3b, v18
	v_exp_f32_e32 v2, v0
	v_mov_b32_e32 v0, 0x4f800000
	scratch_store_dword off, v1, off offset:60
	v_add_f32_e32 v2, 1.0, v2
	v_cmp_gt_f32_e32 vcc, s13, v2
	s_nop 1
	v_cndmask_b32_e32 v3, 1.0, v0, vcc
	v_mul_f32_e32 v2, v2, v3
	v_log_f32_e32 v2, v2
	s_nop 0
	v_mul_f32_e32 v3, 0x3f317217, v2
	v_fma_f32 v3, v2, s7, -v3
	v_fmac_f32_e32 v3, 0x3377d1cf, v2
	v_fmac_f32_e32 v3, 0x3f317217, v2
	v_cmp_lt_f32_e64 s[4:5], |v2|, s12
	s_nop 1
	v_cndmask_b32_e64 v3, v2, v3, s[4:5]
	v_mov_b32_e32 v2, 0x41b17218
	v_cndmask_b32_e32 v4, 0, v2, vcc
	v_sub_f32_e32 v3, v3, v4
	v_cmp_lt_f32_e32 vcc, s6, v18
	s_nop 1
	v_cndmask_b32_e32 v3, v3, v18, vcc
	v_mul_f32_e32 v4, 0x4f800000, v3
	v_cmp_gt_f32_e32 vcc, s14, v3
	s_nop 1
	v_cndmask_b32_e32 v3, v3, v4, vcc
	v_sqrt_f32_e32 v4, v3
	s_nop 0
	v_add_u32_e32 v1, -1, v4
	v_fma_f32 v5, -v1, v4, v3
	v_cmp_ge_f32_e64 s[4:5], 0, v5
	v_add_u32_e32 v5, 1, v4
	s_nop 0
	v_cndmask_b32_e64 v1, v4, v1, s[4:5]
	v_fma_f32 v4, -v5, v4, v3
	v_cmp_lt_f32_e64 s[4:5], 0, v4
	s_nop 1
	v_cndmask_b32_e64 v1, v1, v5, s[4:5]
	v_mul_f32_e32 v4, 0x37800000, v1
	v_cndmask_b32_e32 v4, v1, v4, vcc
	v_mov_b32_e32 v1, 0x260
	v_cmp_class_f32_e64 s[4:5], v3, v1
	s_and_b64 vcc, exec, s[2:3]
	s_nop 0
	v_cndmask_b32_e64 v3, v4, v3, s[4:5]
	s_cbranch_vccnz .LBB539_38
; %bb.37:
	global_load_dword v4, v12, s[10:11] offset:2048
	s_waitcnt vmcnt(0)
	v_add_f32_e32 v3, v3, v4
.LBB539_38:
	v_mul_f32_e32 v4, 0x3fb8aa3b, v19
	v_exp_f32_e32 v4, v4
	scratch_store_dword off, v3, off offset:64
	v_add_f32_e32 v4, 1.0, v4
	v_cmp_gt_f32_e32 vcc, s13, v4
	s_nop 1
	v_cndmask_b32_e32 v0, 1.0, v0, vcc
	v_mul_f32_e32 v0, v4, v0
	v_log_f32_e32 v0, v0
	v_cndmask_b32_e32 v2, 0, v2, vcc
	v_mul_f32_e32 v4, 0x3f317217, v0
	v_fma_f32 v4, v0, s7, -v4
	v_fmac_f32_e32 v4, 0x3377d1cf, v0
	v_fmac_f32_e32 v4, 0x3f317217, v0
	v_cmp_lt_f32_e64 vcc, |v0|, s12
	s_nop 1
	v_cndmask_b32_e32 v0, v0, v4, vcc
	v_sub_f32_e32 v0, v0, v2
	v_cmp_lt_f32_e32 vcc, s6, v19
	s_nop 1
	v_cndmask_b32_e32 v0, v0, v19, vcc
	v_mul_f32_e32 v2, 0x4f800000, v0
	v_cmp_gt_f32_e32 vcc, s14, v0
	s_nop 1
	v_cndmask_b32_e32 v0, v0, v2, vcc
	v_sqrt_f32_e32 v2, v0
	s_nop 0
	v_add_u32_e32 v3, -1, v2
	v_add_u32_e32 v4, 1, v2
	v_fma_f32 v5, -v3, v2, v0
	v_fma_f32 v6, -v4, v2, v0
	v_cmp_ge_f32_e64 s[4:5], 0, v5
	s_nop 1
	v_cndmask_b32_e64 v2, v2, v3, s[4:5]
	v_cmp_lt_f32_e64 s[4:5], 0, v6
	s_nop 1
	v_cndmask_b32_e64 v2, v2, v4, s[4:5]
	v_mul_f32_e32 v3, 0x37800000, v2
	v_cndmask_b32_e32 v2, v2, v3, vcc
	v_cmp_class_f32_e64 s[4:5], v0, v1
	s_and_b64 vcc, exec, s[2:3]
	s_nop 0
	v_cndmask_b32_e64 v0, v2, v0, s[4:5]
	s_cbranch_vccnz .LBB539_40
; %bb.39:
	global_load_dword v1, v12, s[10:11] offset:2176
	s_waitcnt vmcnt(0)
	v_add_f32_e32 v0, v0, v1
.LBB539_40:
	s_load_dwordx4 s[12:15], s[0:1], 0x30
	s_mov_b32 s31, 0
	v_cmp_eq_u32_e64 s[6:7], 0, v16
	scratch_store_dword off, v0, off offset:68
	s_waitcnt lgkmcnt(0)
	s_bitcmp1_b32 s15, 0
	s_cselect_b64 s[4:5], -1, 0
	s_cmp_gt_i32 s12, 0
	s_cselect_b64 s[24:25], -1, 0
	s_and_b64 vcc, exec, s[24:25]
	s_cbranch_vccz .LBB539_69
; %bb.41:
	v_mbcnt_lo_u32_b32 v0, -1, 0
	v_mbcnt_hi_u32_b32 v0, -1, v0
	v_and_b32_e32 v1, 0x60, v0
	v_add_u32_e32 v1, 32, v1
	v_xor_b32_e32 v12, 16, v0
	v_cmp_lt_i32_e32 vcc, v12, v1
	s_load_dwordx4 s[16:19], s[0:1], 0x20
	v_mul_lo_u32 v2, v14, s12
	v_cndmask_b32_e32 v12, v0, v12, vcc
	v_lshlrev_b32_e32 v23, 2, v12
	v_xor_b32_e32 v12, 8, v0
	v_cmp_lt_i32_e32 vcc, v12, v1
	v_or_b32_e32 v3, 32, v16
	v_or_b32_e32 v4, 64, v16
	v_cndmask_b32_e32 v12, v0, v12, vcc
	v_lshlrev_b32_e32 v24, 2, v12
	v_xor_b32_e32 v12, 4, v0
	v_cmp_lt_i32_e32 vcc, v12, v1
	v_or_b32_e32 v5, 0x60, v16
	v_or_b32_e32 v6, 0x80, v16
	v_cndmask_b32_e32 v12, v0, v12, vcc
	v_lshlrev_b32_e32 v25, 2, v12
	v_xor_b32_e32 v12, 2, v0
	v_cmp_lt_i32_e32 vcc, v12, v1
	v_or_b32_e32 v7, 0xa0, v16
	v_or_b32_e32 v8, 0xc0, v16
	v_cndmask_b32_e32 v12, v0, v12, vcc
	v_lshlrev_b32_e32 v26, 2, v12
	v_xor_b32_e32 v12, 1, v0
	v_cmp_lt_i32_e32 vcc, v12, v1
	v_or_b32_e32 v9, 0xe0, v16
	v_or_b32_e32 v10, 0x100, v16
	v_cndmask_b32_e32 v0, v0, v12, vcc
	v_or_b32_e32 v11, 0x120, v16
	v_or_b32_e32 v13, 0x140, v16
	;; [unrolled: 1-line block ×9, first 2 shown]
	v_lshlrev_b32_e32 v27, 2, v0
	v_mov_b32_e32 v12, 0
	v_mov_b32_e32 v28, 0
	;; [unrolled: 1-line block ×5, first 2 shown]
	s_branch .LBB539_43
.LBB539_42:                             ;   in Loop: Header=BB539_43 Depth=1
	s_or_b64 exec, exec, s[0:1]
	s_cmp_eq_u32 s12, s31
	v_add_u32_e32 v31, s30, v31
	s_cbranch_scc1 .LBB539_70
.LBB539_43:                             ; =>This Inner Loop Header: Depth=1
	s_waitcnt lgkmcnt(0)
	scratch_load_dwordx4 v[32:35], off, off
	scratch_load_dwordx4 v[36:39], off, off offset:16
	scratch_load_dwordx4 v[40:43], off, off offset:32
	;; [unrolled: 1-line block ×3, first 2 shown]
	scratch_load_dwordx2 v[0:1], off, off offset:64
	s_waitcnt vmcnt(4)
	v_cmp_gt_f32_e32 vcc, v33, v32
	s_nop 1
	v_cndmask_b32_e32 v32, v32, v33, vcc
	v_cndmask_b32_e32 v48, v16, v3, vcc
	v_cmp_gt_f32_e32 vcc, v34, v32
	s_nop 1
	v_cndmask_b32_e32 v32, v32, v34, vcc
	v_cndmask_b32_e32 v33, v48, v4, vcc
	v_cmp_gt_f32_e32 vcc, v35, v32
	s_nop 1
	v_cndmask_b32_e32 v32, v32, v35, vcc
	v_cndmask_b32_e32 v33, v33, v5, vcc
	s_waitcnt vmcnt(3)
	v_cmp_gt_f32_e32 vcc, v36, v32
	s_nop 1
	v_cndmask_b32_e32 v32, v32, v36, vcc
	v_cndmask_b32_e32 v33, v33, v6, vcc
	v_cmp_gt_f32_e32 vcc, v37, v32
	s_nop 1
	v_cndmask_b32_e32 v32, v32, v37, vcc
	v_cndmask_b32_e32 v33, v33, v7, vcc
	v_cmp_gt_f32_e32 vcc, v38, v32
	s_nop 1
	v_cndmask_b32_e32 v32, v32, v38, vcc
	v_cndmask_b32_e32 v33, v33, v8, vcc
	v_cmp_gt_f32_e32 vcc, v39, v32
	s_nop 1
	v_cndmask_b32_e32 v32, v32, v39, vcc
	v_cndmask_b32_e32 v33, v33, v9, vcc
	s_waitcnt vmcnt(2)
	v_cmp_gt_f32_e32 vcc, v40, v32
	s_nop 1
	v_cndmask_b32_e32 v32, v32, v40, vcc
	v_cndmask_b32_e32 v33, v33, v10, vcc
	;; [unrolled: 17-line block ×4, first 2 shown]
	v_cmp_gt_f32_e32 vcc, v1, v32
	s_nop 1
	v_cndmask_b32_e32 v32, v32, v1, vcc
	v_cndmask_b32_e32 v0, v33, v22, vcc
	ds_bpermute_b32 v1, v23, v32
	ds_bpermute_b32 v33, v23, v0
	s_waitcnt lgkmcnt(0)
	v_cmp_lt_f32_e64 s[26:27], v32, v1
	v_cmp_nlt_f32_e32 vcc, v32, v1
	s_and_saveexec_b64 s[28:29], vcc
; %bb.44:                               ;   in Loop: Header=BB539_43 Depth=1
	v_cmp_eq_f32_e32 vcc, v32, v1
	v_cmp_lt_i32_e64 s[0:1], v33, v0
	s_and_b64 s[0:1], vcc, s[0:1]
	s_andn2_b64 s[26:27], s[26:27], exec
	s_and_b64 s[0:1], s[0:1], exec
	s_or_b64 s[26:27], s[26:27], s[0:1]
; %bb.45:                               ;   in Loop: Header=BB539_43 Depth=1
	s_or_b64 exec, exec, s[28:29]
	s_and_saveexec_b64 s[0:1], s[26:27]
; %bb.46:                               ;   in Loop: Header=BB539_43 Depth=1
	v_mov_b32_e32 v32, v1
	v_mov_b32_e32 v0, v33
; %bb.47:                               ;   in Loop: Header=BB539_43 Depth=1
	s_or_b64 exec, exec, s[0:1]
	ds_bpermute_b32 v1, v24, v32
	ds_bpermute_b32 v33, v24, v0
	s_waitcnt lgkmcnt(1)
	v_cmp_lt_f32_e64 s[26:27], v32, v1
	v_cmp_nlt_f32_e32 vcc, v32, v1
	s_and_saveexec_b64 s[28:29], vcc
	s_cbranch_execz .LBB539_49
; %bb.48:                               ;   in Loop: Header=BB539_43 Depth=1
	v_cmp_eq_f32_e32 vcc, v32, v1
	s_waitcnt lgkmcnt(0)
	v_cmp_lt_i32_e64 s[0:1], v33, v0
	s_and_b64 s[0:1], vcc, s[0:1]
	s_andn2_b64 s[26:27], s[26:27], exec
	s_and_b64 s[0:1], s[0:1], exec
	s_or_b64 s[26:27], s[26:27], s[0:1]
.LBB539_49:                             ;   in Loop: Header=BB539_43 Depth=1
	s_or_b64 exec, exec, s[28:29]
	s_and_saveexec_b64 s[0:1], s[26:27]
	s_cbranch_execz .LBB539_51
; %bb.50:                               ;   in Loop: Header=BB539_43 Depth=1
	v_mov_b32_e32 v32, v1
	s_waitcnt lgkmcnt(0)
	v_mov_b32_e32 v0, v33
.LBB539_51:                             ;   in Loop: Header=BB539_43 Depth=1
	s_or_b64 exec, exec, s[0:1]
	ds_bpermute_b32 v1, v25, v32
	s_waitcnt lgkmcnt(1)
	ds_bpermute_b32 v33, v25, v0
	s_waitcnt lgkmcnt(1)
	v_cmp_lt_f32_e64 s[26:27], v32, v1
	v_cmp_nlt_f32_e32 vcc, v32, v1
	s_and_saveexec_b64 s[28:29], vcc
	s_cbranch_execz .LBB539_53
; %bb.52:                               ;   in Loop: Header=BB539_43 Depth=1
	v_cmp_eq_f32_e32 vcc, v32, v1
	s_waitcnt lgkmcnt(0)
	v_cmp_lt_i32_e64 s[0:1], v33, v0
	s_and_b64 s[0:1], vcc, s[0:1]
	s_andn2_b64 s[26:27], s[26:27], exec
	s_and_b64 s[0:1], s[0:1], exec
	s_or_b64 s[26:27], s[26:27], s[0:1]
.LBB539_53:                             ;   in Loop: Header=BB539_43 Depth=1
	s_or_b64 exec, exec, s[28:29]
	s_and_saveexec_b64 s[0:1], s[26:27]
	s_cbranch_execz .LBB539_55
; %bb.54:                               ;   in Loop: Header=BB539_43 Depth=1
	v_mov_b32_e32 v32, v1
	s_waitcnt lgkmcnt(0)
	v_mov_b32_e32 v0, v33
.LBB539_55:                             ;   in Loop: Header=BB539_43 Depth=1
	s_or_b64 exec, exec, s[0:1]
	ds_bpermute_b32 v1, v26, v32
	s_waitcnt lgkmcnt(1)
	;; [unrolled: 26-line block ×3, first 2 shown]
	ds_bpermute_b32 v33, v27, v0
	s_waitcnt lgkmcnt(1)
	v_cmp_lt_f32_e64 s[26:27], v32, v1
	v_cmp_nlt_f32_e32 vcc, v32, v1
	s_and_saveexec_b64 s[28:29], vcc
	s_cbranch_execnz .LBB539_62
; %bb.60:                               ;   in Loop: Header=BB539_43 Depth=1
	s_or_b64 exec, exec, s[28:29]
	s_and_saveexec_b64 s[0:1], s[26:27]
	s_cbranch_execnz .LBB539_63
.LBB539_61:                             ;   in Loop: Header=BB539_43 Depth=1
	s_or_b64 exec, exec, s[0:1]
	s_and_saveexec_b64 s[26:27], s[6:7]
	s_cbranch_execnz .LBB539_64
	s_branch .LBB539_67
.LBB539_62:                             ;   in Loop: Header=BB539_43 Depth=1
	v_cmp_eq_f32_e32 vcc, v32, v1
	s_waitcnt lgkmcnt(0)
	v_cmp_lt_i32_e64 s[0:1], v33, v0
	s_and_b64 s[0:1], vcc, s[0:1]
	s_andn2_b64 s[26:27], s[26:27], exec
	s_and_b64 s[0:1], s[0:1], exec
	s_or_b64 s[26:27], s[26:27], s[0:1]
	s_or_b64 exec, exec, s[28:29]
	s_and_saveexec_b64 s[0:1], s[26:27]
	s_cbranch_execz .LBB539_61
.LBB539_63:                             ;   in Loop: Header=BB539_43 Depth=1
	s_waitcnt lgkmcnt(0)
	v_mov_b32_e32 v0, v33
	v_mov_b32_e32 v32, v1
	s_or_b64 exec, exec, s[0:1]
	s_and_saveexec_b64 s[26:27], s[6:7]
	s_cbranch_execz .LBB539_67
.LBB539_64:                             ;   in Loop: Header=BB539_43 Depth=1
	s_and_b64 vcc, exec, s[2:3]
	s_cbranch_vccnz .LBB539_66
; %bb.65:                               ;   in Loop: Header=BB539_43 Depth=1
	v_ashrrev_i32_e32 v1, 31, v0
	v_lshl_add_u64 v[34:35], v[0:1], 2, s[10:11]
	global_load_dword v1, v[34:35], off
	s_waitcnt vmcnt(0)
	v_sub_f32_e32 v32, v32, v1
.LBB539_66:                             ;   in Loop: Header=BB539_43 Depth=1
	v_add_u32_e32 v34, s31, v2
	v_cmp_le_i32_e32 vcc, s13, v0
	v_cmp_gt_i32_e64 s[0:1], s14, v0
	v_ashrrev_i32_e32 v35, 31, v34
	s_and_b64 s[0:1], vcc, s[0:1]
	v_lshlrev_b64 v[36:37], 2, v[34:35]
	v_subrev_u32_e32 v1, s13, v0
	v_lshl_add_u64 v[38:39], s[20:21], 0, v[36:37]
	s_waitcnt lgkmcnt(0)
	v_ashrrev_i32_e32 v33, 31, v1
	s_and_b64 vcc, s[22:23], s[0:1]
	global_store_dword v[38:39], v32, off
	v_cndmask_b32_e32 v39, 0, v33, vcc
	v_cndmask_b32_e32 v38, v30, v1, vcc
	v_lshl_add_u64 v[34:35], v[34:35], 3, s[16:17]
	v_add_f32_e32 v1, v12, v32
	global_store_dwordx2 v[34:35], v[38:39], off
	v_lshl_add_u64 v[34:35], s[18:19], 0, v[36:37]
	v_cndmask_b32_e64 v12, v12, v1, s[4:5]
	global_store_dword v[34:35], v31, off
.LBB539_67:                             ;   in Loop: Header=BB539_43 Depth=1
	s_or_b64 exec, exec, s[26:27]
	v_ashrrev_i32_e32 v1, 31, v0
	v_lshrrev_b32_e32 v1, 27, v1
	v_add_u32_e32 v1, v0, v1
	s_add_i32 s31, s31, 1
	v_and_b32_e32 v32, 0xffffffe0, v1
	s_cmp_lt_i32 s31, s12
	v_sub_u32_e32 v0, v0, v32
	s_cselect_b64 s[0:1], -1, 0
	v_cmp_eq_u32_e32 vcc, v16, v0
	s_and_b64 s[26:27], s[0:1], vcc
	s_and_saveexec_b64 s[0:1], s[26:27]
	s_cbranch_execz .LBB539_42
; %bb.68:                               ;   in Loop: Header=BB539_43 Depth=1
	v_ashrrev_i32_e32 v0, 5, v1
	v_lshl_add_u32 v0, v0, 2, v28
	scratch_store_dword v0, v29, off
	s_branch .LBB539_42
.LBB539_69:
	v_mov_b32_e32 v12, 0
.LBB539_70:
	v_cmp_eq_u32_e32 vcc, 0, v16
	s_and_b64 exec, exec, vcc
	s_cbranch_execz .LBB539_83
; %bb.71:
	s_andn2_b64 vcc, exec, s[4:5]
	v_cvt_f32_f64_e32 v0, s[8:9]
	s_cbranch_vccnz .LBB539_73
; %bb.72:
	v_cmp_lt_f32_e32 vcc, 0, v12
	s_nop 1
	v_cndmask_b32_e32 v1, 1.0, v12, vcc
	v_div_scale_f32 v2, s[0:1], v1, v1, v0
	v_rcp_f32_e32 v3, v2
	s_nop 0
	v_fma_f32 v4, -v2, v3, 1.0
	v_fmac_f32_e32 v3, v4, v3
	v_div_scale_f32 v4, vcc, v0, v1, v0
	v_mul_f32_e32 v5, v4, v3
	v_fma_f32 v6, -v2, v5, v4
	v_fmac_f32_e32 v5, v6, v3
	v_fma_f32 v2, -v2, v5, v4
	v_div_fmas_f32 v2, v2, v3, v5
	v_div_fixup_f32 v0, v2, v1, v0
.LBB539_73:
	s_andn2_b64 vcc, exec, s[24:25]
	s_cbranch_vccnz .LBB539_83
; %bb.74:
	v_mul_lo_u32 v2, v14, s12
	s_cmp_gt_u32 s12, 3
	v_ashrrev_i32_e32 v3, 31, v2
	s_cbranch_scc0 .LBB539_78
; %bb.75:
	s_and_b32 s0, s12, 0x7ffffffc
	v_lshl_add_u64 v[4:5], v[2:3], 2, s[20:21]
	v_mov_b32_e32 v1, v0
	v_lshl_add_u64 v[4:5], v[4:5], 0, 8
	s_mov_b32 s1, s0
.LBB539_76:                             ; =>This Inner Loop Header: Depth=1
	global_load_dwordx4 v[6:9], v[4:5], off offset:-8
	s_add_i32 s1, s1, -4
	s_cmp_lg_u32 s1, 0
	s_waitcnt vmcnt(0)
	v_pk_mul_f32 v[6:7], v[0:1], v[6:7]
	v_pk_mul_f32 v[8:9], v[0:1], v[8:9]
	global_store_dwordx4 v[4:5], v[6:9], off offset:-8
	v_lshl_add_u64 v[4:5], v[4:5], 0, 16
	s_cbranch_scc1 .LBB539_76
; %bb.77:
	s_cmp_lg_u32 s0, s12
	s_cselect_b64 s[2:3], -1, 0
	s_branch .LBB539_80
.LBB539_78:
	s_mov_b64 s[2:3], 0
                                        ; implicit-def: $sgpr0
	s_cbranch_execz .LBB539_80
; %bb.79:
	s_mov_b64 s[2:3], -1
	s_mov_b32 s0, 0
.LBB539_80:
	s_andn2_b64 vcc, exec, s[2:3]
	s_cbranch_vccnz .LBB539_83
; %bb.81:
	s_mov_b32 s1, 0
	v_lshl_add_u64 v[2:3], v[2:3], 0, s[0:1]
	s_sub_i32 s2, s12, s0
	v_lshl_add_u64 v[2:3], v[2:3], 2, s[20:21]
.LBB539_82:                             ; =>This Inner Loop Header: Depth=1
	global_load_dword v1, v[2:3], off
	s_add_i32 s2, s2, -1
	s_cmp_lg_u32 s2, 0
	s_waitcnt vmcnt(0)
	v_mul_f32_e32 v1, v0, v1
	global_store_dword v[2:3], v1, off
	v_lshl_add_u64 v[2:3], v[2:3], 0, 4
	s_cbranch_scc1 .LBB539_82
.LBB539_83:
	s_endpgm
	.section	.rodata,"a",@progbits
	.p2align	6, 0x0
	.amdhsa_kernel _ZN4vllm3moe22topkGatingSoftplusSqrtILi18ELi576ELi4ELi2ELi32ELb0El14__hip_bfloat16EEvPKT6_PKbPfiPT5_PiiiibdPKfPKS9_SF_
		.amdhsa_group_segment_fixed_size 0
		.amdhsa_private_segment_fixed_size 80
		.amdhsa_kernarg_size 96
		.amdhsa_user_sgpr_count 2
		.amdhsa_user_sgpr_dispatch_ptr 0
		.amdhsa_user_sgpr_queue_ptr 0
		.amdhsa_user_sgpr_kernarg_segment_ptr 1
		.amdhsa_user_sgpr_dispatch_id 0
		.amdhsa_user_sgpr_kernarg_preload_length 0
		.amdhsa_user_sgpr_kernarg_preload_offset 0
		.amdhsa_user_sgpr_private_segment_size 0
		.amdhsa_uses_dynamic_stack 0
		.amdhsa_enable_private_segment 1
		.amdhsa_system_sgpr_workgroup_id_x 1
		.amdhsa_system_sgpr_workgroup_id_y 0
		.amdhsa_system_sgpr_workgroup_id_z 0
		.amdhsa_system_sgpr_workgroup_info 0
		.amdhsa_system_vgpr_workitem_id 1
		.amdhsa_next_free_vgpr 49
		.amdhsa_next_free_sgpr 32
		.amdhsa_accum_offset 52
		.amdhsa_reserve_vcc 1
		.amdhsa_float_round_mode_32 0
		.amdhsa_float_round_mode_16_64 0
		.amdhsa_float_denorm_mode_32 3
		.amdhsa_float_denorm_mode_16_64 3
		.amdhsa_dx10_clamp 1
		.amdhsa_ieee_mode 1
		.amdhsa_fp16_overflow 0
		.amdhsa_tg_split 0
		.amdhsa_exception_fp_ieee_invalid_op 0
		.amdhsa_exception_fp_denorm_src 0
		.amdhsa_exception_fp_ieee_div_zero 0
		.amdhsa_exception_fp_ieee_overflow 0
		.amdhsa_exception_fp_ieee_underflow 0
		.amdhsa_exception_fp_ieee_inexact 0
		.amdhsa_exception_int_div_zero 0
	.end_amdhsa_kernel
	.section	.text._ZN4vllm3moe22topkGatingSoftplusSqrtILi18ELi576ELi4ELi2ELi32ELb0El14__hip_bfloat16EEvPKT6_PKbPfiPT5_PiiiibdPKfPKS9_SF_,"axG",@progbits,_ZN4vllm3moe22topkGatingSoftplusSqrtILi18ELi576ELi4ELi2ELi32ELb0El14__hip_bfloat16EEvPKT6_PKbPfiPT5_PiiiibdPKfPKS9_SF_,comdat
.Lfunc_end539:
	.size	_ZN4vllm3moe22topkGatingSoftplusSqrtILi18ELi576ELi4ELi2ELi32ELb0El14__hip_bfloat16EEvPKT6_PKbPfiPT5_PiiiibdPKfPKS9_SF_, .Lfunc_end539-_ZN4vllm3moe22topkGatingSoftplusSqrtILi18ELi576ELi4ELi2ELi32ELb0El14__hip_bfloat16EEvPKT6_PKbPfiPT5_PiiiibdPKfPKS9_SF_
                                        ; -- End function
	.section	.AMDGPU.csdata,"",@progbits
; Kernel info:
; codeLenInByte = 7464
; NumSgprs: 38
; NumVgprs: 49
; NumAgprs: 0
; TotalNumVgprs: 49
; ScratchSize: 80
; MemoryBound: 0
; FloatMode: 240
; IeeeMode: 1
; LDSByteSize: 0 bytes/workgroup (compile time only)
; SGPRBlocks: 4
; VGPRBlocks: 6
; NumSGPRsForWavesPerEU: 38
; NumVGPRsForWavesPerEU: 49
; AccumOffset: 52
; Occupancy: 8
; WaveLimiterHint : 0
; COMPUTE_PGM_RSRC2:SCRATCH_EN: 1
; COMPUTE_PGM_RSRC2:USER_SGPR: 2
; COMPUTE_PGM_RSRC2:TRAP_HANDLER: 0
; COMPUTE_PGM_RSRC2:TGID_X_EN: 1
; COMPUTE_PGM_RSRC2:TGID_Y_EN: 0
; COMPUTE_PGM_RSRC2:TGID_Z_EN: 0
; COMPUTE_PGM_RSRC2:TIDIG_COMP_CNT: 1
; COMPUTE_PGM_RSRC3_GFX90A:ACCUM_OFFSET: 12
; COMPUTE_PGM_RSRC3_GFX90A:TG_SPLIT: 0
	.text
	.p2alignl 6, 3212836864
	.fill 256, 4, 3212836864
	.type	__hip_cuid_9444dde4fd5ef6c3,@object ; @__hip_cuid_9444dde4fd5ef6c3
	.section	.bss,"aw",@nobits
	.globl	__hip_cuid_9444dde4fd5ef6c3
__hip_cuid_9444dde4fd5ef6c3:
	.byte	0                               ; 0x0
	.size	__hip_cuid_9444dde4fd5ef6c3, 1

	.ident	"AMD clang version 19.0.0git (https://github.com/RadeonOpenCompute/llvm-project roc-6.4.0 25133 c7fe45cf4b819c5991fe208aaa96edf142730f1d)"
	.section	".note.GNU-stack","",@progbits
	.addrsig
	.addrsig_sym __hip_cuid_9444dde4fd5ef6c3
	.amdgpu_metadata
---
amdhsa.kernels:
  - .agpr_count:     0
    .args:
      - .address_space:  global
        .offset:         0
        .size:           8
        .value_kind:     global_buffer
      - .address_space:  global
        .offset:         8
        .size:           8
        .value_kind:     global_buffer
      - .address_space:  global
        .offset:         16
        .size:           8
        .value_kind:     global_buffer
      - .offset:         24
        .size:           4
        .value_kind:     by_value
      - .address_space:  global
        .offset:         32
        .size:           8
        .value_kind:     global_buffer
      - .address_space:  global
        .offset:         40
        .size:           8
        .value_kind:     global_buffer
      - .offset:         48
        .size:           4
        .value_kind:     by_value
      - .offset:         52
        .size:           4
        .value_kind:     by_value
      - .offset:         56
        .size:           4
        .value_kind:     by_value
      - .offset:         60
        .size:           1
        .value_kind:     by_value
      - .offset:         64
        .size:           8
        .value_kind:     by_value
      - .address_space:  global
        .offset:         72
        .size:           8
        .value_kind:     global_buffer
      - .address_space:  global
        .offset:         80
        .size:           8
        .value_kind:     global_buffer
      - .address_space:  global
        .offset:         88
        .size:           8
        .value_kind:     global_buffer
    .group_segment_fixed_size: 0
    .kernarg_segment_align: 8
    .kernarg_segment_size: 96
    .language:       OpenCL C
    .language_version:
      - 2
      - 0
    .max_flat_workgroup_size: 256
    .name:           _ZN4vllm3moe22topkGatingSoftplusSqrtILi1ELi1ELi4ELi4ELi64ELb1EifEEvPKT6_PKbPfiPT5_PiiiibdPKfPKS8_SE_
    .private_segment_fixed_size: 0
    .sgpr_count:     21
    .sgpr_spill_count: 0
    .symbol:         _ZN4vllm3moe22topkGatingSoftplusSqrtILi1ELi1ELi4ELi4ELi64ELb1EifEEvPKT6_PKbPfiPT5_PiiiibdPKfPKS8_SE_.kd
    .uniform_work_group_size: 1
    .uses_dynamic_stack: false
    .vgpr_count:     14
    .vgpr_spill_count: 0
    .wavefront_size: 64
  - .agpr_count:     0
    .args:
      - .address_space:  global
        .offset:         0
        .size:           8
        .value_kind:     global_buffer
      - .address_space:  global
        .offset:         8
        .size:           8
        .value_kind:     global_buffer
      - .address_space:  global
        .offset:         16
        .size:           8
        .value_kind:     global_buffer
      - .offset:         24
        .size:           4
        .value_kind:     by_value
      - .address_space:  global
        .offset:         32
        .size:           8
        .value_kind:     global_buffer
      - .address_space:  global
        .offset:         40
        .size:           8
        .value_kind:     global_buffer
      - .offset:         48
        .size:           4
        .value_kind:     by_value
      - .offset:         52
        .size:           4
        .value_kind:     by_value
      - .offset:         56
        .size:           4
        .value_kind:     by_value
      - .offset:         60
        .size:           1
        .value_kind:     by_value
      - .offset:         64
        .size:           8
        .value_kind:     by_value
      - .address_space:  global
        .offset:         72
        .size:           8
        .value_kind:     global_buffer
      - .address_space:  global
        .offset:         80
        .size:           8
        .value_kind:     global_buffer
      - .address_space:  global
        .offset:         88
        .size:           8
        .value_kind:     global_buffer
    .group_segment_fixed_size: 0
    .kernarg_segment_align: 8
    .kernarg_segment_size: 96
    .language:       OpenCL C
    .language_version:
      - 2
      - 0
    .max_flat_workgroup_size: 256
    .name:           _ZN4vllm3moe22topkGatingSoftplusSqrtILi1ELi1ELi4ELi4ELi64ELb0EifEEvPKT6_PKbPfiPT5_PiiiibdPKfPKS8_SE_
    .private_segment_fixed_size: 0
    .sgpr_count:     34
    .sgpr_spill_count: 0
    .symbol:         _ZN4vllm3moe22topkGatingSoftplusSqrtILi1ELi1ELi4ELi4ELi64ELb0EifEEvPKT6_PKbPfiPT5_PiiiibdPKfPKS8_SE_.kd
    .uniform_work_group_size: 1
    .uses_dynamic_stack: false
    .vgpr_count:     12
    .vgpr_spill_count: 0
    .wavefront_size: 64
  - .agpr_count:     0
    .args:
      - .address_space:  global
        .offset:         0
        .size:           8
        .value_kind:     global_buffer
      - .address_space:  global
        .offset:         8
        .size:           8
        .value_kind:     global_buffer
      - .address_space:  global
        .offset:         16
        .size:           8
        .value_kind:     global_buffer
      - .offset:         24
        .size:           4
        .value_kind:     by_value
      - .address_space:  global
        .offset:         32
        .size:           8
        .value_kind:     global_buffer
      - .address_space:  global
        .offset:         40
        .size:           8
        .value_kind:     global_buffer
      - .offset:         48
        .size:           4
        .value_kind:     by_value
      - .offset:         52
        .size:           4
        .value_kind:     by_value
      - .offset:         56
        .size:           4
        .value_kind:     by_value
      - .offset:         60
        .size:           1
        .value_kind:     by_value
      - .offset:         64
        .size:           8
        .value_kind:     by_value
      - .address_space:  global
        .offset:         72
        .size:           8
        .value_kind:     global_buffer
      - .address_space:  global
        .offset:         80
        .size:           8
        .value_kind:     global_buffer
      - .address_space:  global
        .offset:         88
        .size:           8
        .value_kind:     global_buffer
    .group_segment_fixed_size: 0
    .kernarg_segment_align: 8
    .kernarg_segment_size: 96
    .language:       OpenCL C
    .language_version:
      - 2
      - 0
    .max_flat_workgroup_size: 128
    .name:           _ZN4vllm3moe22topkGatingSoftplusSqrtILi1ELi1ELi4ELi4ELi32ELb1EifEEvPKT6_PKbPfiPT5_PiiiibdPKfPKS8_SE_
    .private_segment_fixed_size: 0
    .sgpr_count:     21
    .sgpr_spill_count: 0
    .symbol:         _ZN4vllm3moe22topkGatingSoftplusSqrtILi1ELi1ELi4ELi4ELi32ELb1EifEEvPKT6_PKbPfiPT5_PiiiibdPKfPKS8_SE_.kd
    .uniform_work_group_size: 1
    .uses_dynamic_stack: false
    .vgpr_count:     14
    .vgpr_spill_count: 0
    .wavefront_size: 64
  - .agpr_count:     0
    .args:
      - .address_space:  global
        .offset:         0
        .size:           8
        .value_kind:     global_buffer
      - .address_space:  global
        .offset:         8
        .size:           8
        .value_kind:     global_buffer
      - .address_space:  global
        .offset:         16
        .size:           8
        .value_kind:     global_buffer
      - .offset:         24
        .size:           4
        .value_kind:     by_value
      - .address_space:  global
        .offset:         32
        .size:           8
        .value_kind:     global_buffer
      - .address_space:  global
        .offset:         40
        .size:           8
        .value_kind:     global_buffer
      - .offset:         48
        .size:           4
        .value_kind:     by_value
      - .offset:         52
        .size:           4
        .value_kind:     by_value
      - .offset:         56
        .size:           4
        .value_kind:     by_value
      - .offset:         60
        .size:           1
        .value_kind:     by_value
      - .offset:         64
        .size:           8
        .value_kind:     by_value
      - .address_space:  global
        .offset:         72
        .size:           8
        .value_kind:     global_buffer
      - .address_space:  global
        .offset:         80
        .size:           8
        .value_kind:     global_buffer
      - .address_space:  global
        .offset:         88
        .size:           8
        .value_kind:     global_buffer
    .group_segment_fixed_size: 0
    .kernarg_segment_align: 8
    .kernarg_segment_size: 96
    .language:       OpenCL C
    .language_version:
      - 2
      - 0
    .max_flat_workgroup_size: 128
    .name:           _ZN4vllm3moe22topkGatingSoftplusSqrtILi1ELi1ELi4ELi4ELi32ELb0EifEEvPKT6_PKbPfiPT5_PiiiibdPKfPKS8_SE_
    .private_segment_fixed_size: 0
    .sgpr_count:     34
    .sgpr_spill_count: 0
    .symbol:         _ZN4vllm3moe22topkGatingSoftplusSqrtILi1ELi1ELi4ELi4ELi32ELb0EifEEvPKT6_PKbPfiPT5_PiiiibdPKfPKS8_SE_.kd
    .uniform_work_group_size: 1
    .uses_dynamic_stack: false
    .vgpr_count:     12
    .vgpr_spill_count: 0
    .wavefront_size: 64
  - .agpr_count:     0
    .args:
      - .address_space:  global
        .offset:         0
        .size:           8
        .value_kind:     global_buffer
      - .address_space:  global
        .offset:         8
        .size:           8
        .value_kind:     global_buffer
      - .address_space:  global
        .offset:         16
        .size:           8
        .value_kind:     global_buffer
      - .offset:         24
        .size:           4
        .value_kind:     by_value
      - .address_space:  global
        .offset:         32
        .size:           8
        .value_kind:     global_buffer
      - .address_space:  global
        .offset:         40
        .size:           8
        .value_kind:     global_buffer
      - .offset:         48
        .size:           4
        .value_kind:     by_value
      - .offset:         52
        .size:           4
        .value_kind:     by_value
      - .offset:         56
        .size:           4
        .value_kind:     by_value
      - .offset:         60
        .size:           1
        .value_kind:     by_value
      - .offset:         64
        .size:           8
        .value_kind:     by_value
      - .address_space:  global
        .offset:         72
        .size:           8
        .value_kind:     global_buffer
      - .address_space:  global
        .offset:         80
        .size:           8
        .value_kind:     global_buffer
      - .address_space:  global
        .offset:         88
        .size:           8
        .value_kind:     global_buffer
    .group_segment_fixed_size: 0
    .kernarg_segment_align: 8
    .kernarg_segment_size: 96
    .language:       OpenCL C
    .language_version:
      - 2
      - 0
    .max_flat_workgroup_size: 256
    .name:           _ZN4vllm3moe22topkGatingSoftplusSqrtILi2ELi2ELi4ELi8ELi64ELb1EifEEvPKT6_PKbPfiPT5_PiiiibdPKfPKS8_SE_
    .private_segment_fixed_size: 0
    .sgpr_count:     24
    .sgpr_spill_count: 0
    .symbol:         _ZN4vllm3moe22topkGatingSoftplusSqrtILi2ELi2ELi4ELi8ELi64ELb1EifEEvPKT6_PKbPfiPT5_PiiiibdPKfPKS8_SE_.kd
    .uniform_work_group_size: 1
    .uses_dynamic_stack: false
    .vgpr_count:     19
    .vgpr_spill_count: 0
    .wavefront_size: 64
  - .agpr_count:     0
    .args:
      - .address_space:  global
        .offset:         0
        .size:           8
        .value_kind:     global_buffer
      - .address_space:  global
        .offset:         8
        .size:           8
        .value_kind:     global_buffer
      - .address_space:  global
        .offset:         16
        .size:           8
        .value_kind:     global_buffer
      - .offset:         24
        .size:           4
        .value_kind:     by_value
      - .address_space:  global
        .offset:         32
        .size:           8
        .value_kind:     global_buffer
      - .address_space:  global
        .offset:         40
        .size:           8
        .value_kind:     global_buffer
      - .offset:         48
        .size:           4
        .value_kind:     by_value
      - .offset:         52
        .size:           4
        .value_kind:     by_value
      - .offset:         56
        .size:           4
        .value_kind:     by_value
      - .offset:         60
        .size:           1
        .value_kind:     by_value
      - .offset:         64
        .size:           8
        .value_kind:     by_value
      - .address_space:  global
        .offset:         72
        .size:           8
        .value_kind:     global_buffer
      - .address_space:  global
        .offset:         80
        .size:           8
        .value_kind:     global_buffer
      - .address_space:  global
        .offset:         88
        .size:           8
        .value_kind:     global_buffer
    .group_segment_fixed_size: 0
    .kernarg_segment_align: 8
    .kernarg_segment_size: 96
    .language:       OpenCL C
    .language_version:
      - 2
      - 0
    .max_flat_workgroup_size: 256
    .name:           _ZN4vllm3moe22topkGatingSoftplusSqrtILi2ELi2ELi4ELi8ELi64ELb0EifEEvPKT6_PKbPfiPT5_PiiiibdPKfPKS8_SE_
    .private_segment_fixed_size: 0
    .sgpr_count:     32
    .sgpr_spill_count: 0
    .symbol:         _ZN4vllm3moe22topkGatingSoftplusSqrtILi2ELi2ELi4ELi8ELi64ELb0EifEEvPKT6_PKbPfiPT5_PiiiibdPKfPKS8_SE_.kd
    .uniform_work_group_size: 1
    .uses_dynamic_stack: false
    .vgpr_count:     13
    .vgpr_spill_count: 0
    .wavefront_size: 64
  - .agpr_count:     0
    .args:
      - .address_space:  global
        .offset:         0
        .size:           8
        .value_kind:     global_buffer
      - .address_space:  global
        .offset:         8
        .size:           8
        .value_kind:     global_buffer
      - .address_space:  global
        .offset:         16
        .size:           8
        .value_kind:     global_buffer
      - .offset:         24
        .size:           4
        .value_kind:     by_value
      - .address_space:  global
        .offset:         32
        .size:           8
        .value_kind:     global_buffer
      - .address_space:  global
        .offset:         40
        .size:           8
        .value_kind:     global_buffer
      - .offset:         48
        .size:           4
        .value_kind:     by_value
      - .offset:         52
        .size:           4
        .value_kind:     by_value
      - .offset:         56
        .size:           4
        .value_kind:     by_value
      - .offset:         60
        .size:           1
        .value_kind:     by_value
      - .offset:         64
        .size:           8
        .value_kind:     by_value
      - .address_space:  global
        .offset:         72
        .size:           8
        .value_kind:     global_buffer
      - .address_space:  global
        .offset:         80
        .size:           8
        .value_kind:     global_buffer
      - .address_space:  global
        .offset:         88
        .size:           8
        .value_kind:     global_buffer
    .group_segment_fixed_size: 0
    .kernarg_segment_align: 8
    .kernarg_segment_size: 96
    .language:       OpenCL C
    .language_version:
      - 2
      - 0
    .max_flat_workgroup_size: 128
    .name:           _ZN4vllm3moe22topkGatingSoftplusSqrtILi2ELi2ELi4ELi8ELi32ELb1EifEEvPKT6_PKbPfiPT5_PiiiibdPKfPKS8_SE_
    .private_segment_fixed_size: 0
    .sgpr_count:     24
    .sgpr_spill_count: 0
    .symbol:         _ZN4vllm3moe22topkGatingSoftplusSqrtILi2ELi2ELi4ELi8ELi32ELb1EifEEvPKT6_PKbPfiPT5_PiiiibdPKfPKS8_SE_.kd
    .uniform_work_group_size: 1
    .uses_dynamic_stack: false
    .vgpr_count:     19
    .vgpr_spill_count: 0
    .wavefront_size: 64
  - .agpr_count:     0
    .args:
      - .address_space:  global
        .offset:         0
        .size:           8
        .value_kind:     global_buffer
      - .address_space:  global
        .offset:         8
        .size:           8
        .value_kind:     global_buffer
      - .address_space:  global
        .offset:         16
        .size:           8
        .value_kind:     global_buffer
      - .offset:         24
        .size:           4
        .value_kind:     by_value
      - .address_space:  global
        .offset:         32
        .size:           8
        .value_kind:     global_buffer
      - .address_space:  global
        .offset:         40
        .size:           8
        .value_kind:     global_buffer
      - .offset:         48
        .size:           4
        .value_kind:     by_value
      - .offset:         52
        .size:           4
        .value_kind:     by_value
      - .offset:         56
        .size:           4
        .value_kind:     by_value
      - .offset:         60
        .size:           1
        .value_kind:     by_value
      - .offset:         64
        .size:           8
        .value_kind:     by_value
      - .address_space:  global
        .offset:         72
        .size:           8
        .value_kind:     global_buffer
      - .address_space:  global
        .offset:         80
        .size:           8
        .value_kind:     global_buffer
      - .address_space:  global
        .offset:         88
        .size:           8
        .value_kind:     global_buffer
    .group_segment_fixed_size: 0
    .kernarg_segment_align: 8
    .kernarg_segment_size: 96
    .language:       OpenCL C
    .language_version:
      - 2
      - 0
    .max_flat_workgroup_size: 128
    .name:           _ZN4vllm3moe22topkGatingSoftplusSqrtILi2ELi2ELi4ELi8ELi32ELb0EifEEvPKT6_PKbPfiPT5_PiiiibdPKfPKS8_SE_
    .private_segment_fixed_size: 0
    .sgpr_count:     32
    .sgpr_spill_count: 0
    .symbol:         _ZN4vllm3moe22topkGatingSoftplusSqrtILi2ELi2ELi4ELi8ELi32ELb0EifEEvPKT6_PKbPfiPT5_PiiiibdPKfPKS8_SE_.kd
    .uniform_work_group_size: 1
    .uses_dynamic_stack: false
    .vgpr_count:     13
    .vgpr_spill_count: 0
    .wavefront_size: 64
  - .agpr_count:     0
    .args:
      - .address_space:  global
        .offset:         0
        .size:           8
        .value_kind:     global_buffer
      - .address_space:  global
        .offset:         8
        .size:           8
        .value_kind:     global_buffer
      - .address_space:  global
        .offset:         16
        .size:           8
        .value_kind:     global_buffer
      - .offset:         24
        .size:           4
        .value_kind:     by_value
      - .address_space:  global
        .offset:         32
        .size:           8
        .value_kind:     global_buffer
      - .address_space:  global
        .offset:         40
        .size:           8
        .value_kind:     global_buffer
      - .offset:         48
        .size:           4
        .value_kind:     by_value
      - .offset:         52
        .size:           4
        .value_kind:     by_value
      - .offset:         56
        .size:           4
        .value_kind:     by_value
      - .offset:         60
        .size:           1
        .value_kind:     by_value
      - .offset:         64
        .size:           8
        .value_kind:     by_value
      - .address_space:  global
        .offset:         72
        .size:           8
        .value_kind:     global_buffer
      - .address_space:  global
        .offset:         80
        .size:           8
        .value_kind:     global_buffer
      - .address_space:  global
        .offset:         88
        .size:           8
        .value_kind:     global_buffer
    .group_segment_fixed_size: 4096
    .kernarg_segment_align: 8
    .kernarg_segment_size: 96
    .language:       OpenCL C
    .language_version:
      - 2
      - 0
    .max_flat_workgroup_size: 256
    .name:           _ZN4vllm3moe22topkGatingSoftplusSqrtILi4ELi4ELi4ELi16ELi64ELb1EifEEvPKT6_PKbPfiPT5_PiiiibdPKfPKS8_SE_
    .private_segment_fixed_size: 0
    .sgpr_count:     24
    .sgpr_spill_count: 0
    .symbol:         _ZN4vllm3moe22topkGatingSoftplusSqrtILi4ELi4ELi4ELi16ELi64ELb1EifEEvPKT6_PKbPfiPT5_PiiiibdPKfPKS8_SE_.kd
    .uniform_work_group_size: 1
    .uses_dynamic_stack: false
    .vgpr_count:     24
    .vgpr_spill_count: 0
    .wavefront_size: 64
  - .agpr_count:     0
    .args:
      - .address_space:  global
        .offset:         0
        .size:           8
        .value_kind:     global_buffer
      - .address_space:  global
        .offset:         8
        .size:           8
        .value_kind:     global_buffer
      - .address_space:  global
        .offset:         16
        .size:           8
        .value_kind:     global_buffer
      - .offset:         24
        .size:           4
        .value_kind:     by_value
      - .address_space:  global
        .offset:         32
        .size:           8
        .value_kind:     global_buffer
      - .address_space:  global
        .offset:         40
        .size:           8
        .value_kind:     global_buffer
      - .offset:         48
        .size:           4
        .value_kind:     by_value
      - .offset:         52
        .size:           4
        .value_kind:     by_value
      - .offset:         56
        .size:           4
        .value_kind:     by_value
      - .offset:         60
        .size:           1
        .value_kind:     by_value
      - .offset:         64
        .size:           8
        .value_kind:     by_value
      - .address_space:  global
        .offset:         72
        .size:           8
        .value_kind:     global_buffer
      - .address_space:  global
        .offset:         80
        .size:           8
        .value_kind:     global_buffer
      - .address_space:  global
        .offset:         88
        .size:           8
        .value_kind:     global_buffer
    .group_segment_fixed_size: 4096
    .kernarg_segment_align: 8
    .kernarg_segment_size: 96
    .language:       OpenCL C
    .language_version:
      - 2
      - 0
    .max_flat_workgroup_size: 256
    .name:           _ZN4vllm3moe22topkGatingSoftplusSqrtILi4ELi4ELi4ELi16ELi64ELb0EifEEvPKT6_PKbPfiPT5_PiiiibdPKfPKS8_SE_
    .private_segment_fixed_size: 0
    .sgpr_count:     32
    .sgpr_spill_count: 0
    .symbol:         _ZN4vllm3moe22topkGatingSoftplusSqrtILi4ELi4ELi4ELi16ELi64ELb0EifEEvPKT6_PKbPfiPT5_PiiiibdPKfPKS8_SE_.kd
    .uniform_work_group_size: 1
    .uses_dynamic_stack: false
    .vgpr_count:     12
    .vgpr_spill_count: 0
    .wavefront_size: 64
  - .agpr_count:     0
    .args:
      - .address_space:  global
        .offset:         0
        .size:           8
        .value_kind:     global_buffer
      - .address_space:  global
        .offset:         8
        .size:           8
        .value_kind:     global_buffer
      - .address_space:  global
        .offset:         16
        .size:           8
        .value_kind:     global_buffer
      - .offset:         24
        .size:           4
        .value_kind:     by_value
      - .address_space:  global
        .offset:         32
        .size:           8
        .value_kind:     global_buffer
      - .address_space:  global
        .offset:         40
        .size:           8
        .value_kind:     global_buffer
      - .offset:         48
        .size:           4
        .value_kind:     by_value
      - .offset:         52
        .size:           4
        .value_kind:     by_value
      - .offset:         56
        .size:           4
        .value_kind:     by_value
      - .offset:         60
        .size:           1
        .value_kind:     by_value
      - .offset:         64
        .size:           8
        .value_kind:     by_value
      - .address_space:  global
        .offset:         72
        .size:           8
        .value_kind:     global_buffer
      - .address_space:  global
        .offset:         80
        .size:           8
        .value_kind:     global_buffer
      - .address_space:  global
        .offset:         88
        .size:           8
        .value_kind:     global_buffer
    .group_segment_fixed_size: 2048
    .kernarg_segment_align: 8
    .kernarg_segment_size: 96
    .language:       OpenCL C
    .language_version:
      - 2
      - 0
    .max_flat_workgroup_size: 128
    .name:           _ZN4vllm3moe22topkGatingSoftplusSqrtILi4ELi4ELi4ELi16ELi32ELb1EifEEvPKT6_PKbPfiPT5_PiiiibdPKfPKS8_SE_
    .private_segment_fixed_size: 0
    .sgpr_count:     24
    .sgpr_spill_count: 0
    .symbol:         _ZN4vllm3moe22topkGatingSoftplusSqrtILi4ELi4ELi4ELi16ELi32ELb1EifEEvPKT6_PKbPfiPT5_PiiiibdPKfPKS8_SE_.kd
    .uniform_work_group_size: 1
    .uses_dynamic_stack: false
    .vgpr_count:     24
    .vgpr_spill_count: 0
    .wavefront_size: 64
  - .agpr_count:     0
    .args:
      - .address_space:  global
        .offset:         0
        .size:           8
        .value_kind:     global_buffer
      - .address_space:  global
        .offset:         8
        .size:           8
        .value_kind:     global_buffer
      - .address_space:  global
        .offset:         16
        .size:           8
        .value_kind:     global_buffer
      - .offset:         24
        .size:           4
        .value_kind:     by_value
      - .address_space:  global
        .offset:         32
        .size:           8
        .value_kind:     global_buffer
      - .address_space:  global
        .offset:         40
        .size:           8
        .value_kind:     global_buffer
      - .offset:         48
        .size:           4
        .value_kind:     by_value
      - .offset:         52
        .size:           4
        .value_kind:     by_value
      - .offset:         56
        .size:           4
        .value_kind:     by_value
      - .offset:         60
        .size:           1
        .value_kind:     by_value
      - .offset:         64
        .size:           8
        .value_kind:     by_value
      - .address_space:  global
        .offset:         72
        .size:           8
        .value_kind:     global_buffer
      - .address_space:  global
        .offset:         80
        .size:           8
        .value_kind:     global_buffer
      - .address_space:  global
        .offset:         88
        .size:           8
        .value_kind:     global_buffer
    .group_segment_fixed_size: 2048
    .kernarg_segment_align: 8
    .kernarg_segment_size: 96
    .language:       OpenCL C
    .language_version:
      - 2
      - 0
    .max_flat_workgroup_size: 128
    .name:           _ZN4vllm3moe22topkGatingSoftplusSqrtILi4ELi4ELi4ELi16ELi32ELb0EifEEvPKT6_PKbPfiPT5_PiiiibdPKfPKS8_SE_
    .private_segment_fixed_size: 0
    .sgpr_count:     32
    .sgpr_spill_count: 0
    .symbol:         _ZN4vllm3moe22topkGatingSoftplusSqrtILi4ELi4ELi4ELi16ELi32ELb0EifEEvPKT6_PKbPfiPT5_PiiiibdPKfPKS8_SE_.kd
    .uniform_work_group_size: 1
    .uses_dynamic_stack: false
    .vgpr_count:     12
    .vgpr_spill_count: 0
    .wavefront_size: 64
  - .agpr_count:     0
    .args:
      - .address_space:  global
        .offset:         0
        .size:           8
        .value_kind:     global_buffer
      - .address_space:  global
        .offset:         8
        .size:           8
        .value_kind:     global_buffer
      - .address_space:  global
        .offset:         16
        .size:           8
        .value_kind:     global_buffer
      - .offset:         24
        .size:           4
        .value_kind:     by_value
      - .address_space:  global
        .offset:         32
        .size:           8
        .value_kind:     global_buffer
      - .address_space:  global
        .offset:         40
        .size:           8
        .value_kind:     global_buffer
      - .offset:         48
        .size:           4
        .value_kind:     by_value
      - .offset:         52
        .size:           4
        .value_kind:     by_value
      - .offset:         56
        .size:           4
        .value_kind:     by_value
      - .offset:         60
        .size:           1
        .value_kind:     by_value
      - .offset:         64
        .size:           8
        .value_kind:     by_value
      - .address_space:  global
        .offset:         72
        .size:           8
        .value_kind:     global_buffer
      - .address_space:  global
        .offset:         80
        .size:           8
        .value_kind:     global_buffer
      - .address_space:  global
        .offset:         88
        .size:           8
        .value_kind:     global_buffer
    .group_segment_fixed_size: 0
    .kernarg_segment_align: 8
    .kernarg_segment_size: 96
    .language:       OpenCL C
    .language_version:
      - 2
      - 0
    .max_flat_workgroup_size: 256
    .name:           _ZN4vllm3moe22topkGatingSoftplusSqrtILi4ELi8ELi4ELi16ELi64ELb1EifEEvPKT6_PKbPfiPT5_PiiiibdPKfPKS8_SE_
    .private_segment_fixed_size: 32
    .sgpr_count:     30
    .sgpr_spill_count: 0
    .symbol:         _ZN4vllm3moe22topkGatingSoftplusSqrtILi4ELi8ELi4ELi16ELi64ELb1EifEEvPKT6_PKbPfiPT5_PiiiibdPKfPKS8_SE_.kd
    .uniform_work_group_size: 1
    .uses_dynamic_stack: false
    .vgpr_count:     25
    .vgpr_spill_count: 0
    .wavefront_size: 64
  - .agpr_count:     0
    .args:
      - .address_space:  global
        .offset:         0
        .size:           8
        .value_kind:     global_buffer
      - .address_space:  global
        .offset:         8
        .size:           8
        .value_kind:     global_buffer
      - .address_space:  global
        .offset:         16
        .size:           8
        .value_kind:     global_buffer
      - .offset:         24
        .size:           4
        .value_kind:     by_value
      - .address_space:  global
        .offset:         32
        .size:           8
        .value_kind:     global_buffer
      - .address_space:  global
        .offset:         40
        .size:           8
        .value_kind:     global_buffer
      - .offset:         48
        .size:           4
        .value_kind:     by_value
      - .offset:         52
        .size:           4
        .value_kind:     by_value
      - .offset:         56
        .size:           4
        .value_kind:     by_value
      - .offset:         60
        .size:           1
        .value_kind:     by_value
      - .offset:         64
        .size:           8
        .value_kind:     by_value
      - .address_space:  global
        .offset:         72
        .size:           8
        .value_kind:     global_buffer
      - .address_space:  global
        .offset:         80
        .size:           8
        .value_kind:     global_buffer
      - .address_space:  global
        .offset:         88
        .size:           8
        .value_kind:     global_buffer
    .group_segment_fixed_size: 4096
    .kernarg_segment_align: 8
    .kernarg_segment_size: 96
    .language:       OpenCL C
    .language_version:
      - 2
      - 0
    .max_flat_workgroup_size: 256
    .name:           _ZN4vllm3moe22topkGatingSoftplusSqrtILi4ELi8ELi4ELi16ELi64ELb0EifEEvPKT6_PKbPfiPT5_PiiiibdPKfPKS8_SE_
    .private_segment_fixed_size: 0
    .sgpr_count:     38
    .sgpr_spill_count: 0
    .symbol:         _ZN4vllm3moe22topkGatingSoftplusSqrtILi4ELi8ELi4ELi16ELi64ELb0EifEEvPKT6_PKbPfiPT5_PiiiibdPKfPKS8_SE_.kd
    .uniform_work_group_size: 1
    .uses_dynamic_stack: false
    .vgpr_count:     16
    .vgpr_spill_count: 0
    .wavefront_size: 64
  - .agpr_count:     0
    .args:
      - .address_space:  global
        .offset:         0
        .size:           8
        .value_kind:     global_buffer
      - .address_space:  global
        .offset:         8
        .size:           8
        .value_kind:     global_buffer
      - .address_space:  global
        .offset:         16
        .size:           8
        .value_kind:     global_buffer
      - .offset:         24
        .size:           4
        .value_kind:     by_value
      - .address_space:  global
        .offset:         32
        .size:           8
        .value_kind:     global_buffer
      - .address_space:  global
        .offset:         40
        .size:           8
        .value_kind:     global_buffer
      - .offset:         48
        .size:           4
        .value_kind:     by_value
      - .offset:         52
        .size:           4
        .value_kind:     by_value
      - .offset:         56
        .size:           4
        .value_kind:     by_value
      - .offset:         60
        .size:           1
        .value_kind:     by_value
      - .offset:         64
        .size:           8
        .value_kind:     by_value
      - .address_space:  global
        .offset:         72
        .size:           8
        .value_kind:     global_buffer
      - .address_space:  global
        .offset:         80
        .size:           8
        .value_kind:     global_buffer
      - .address_space:  global
        .offset:         88
        .size:           8
        .value_kind:     global_buffer
    .group_segment_fixed_size: 0
    .kernarg_segment_align: 8
    .kernarg_segment_size: 96
    .language:       OpenCL C
    .language_version:
      - 2
      - 0
    .max_flat_workgroup_size: 128
    .name:           _ZN4vllm3moe22topkGatingSoftplusSqrtILi4ELi8ELi4ELi16ELi32ELb1EifEEvPKT6_PKbPfiPT5_PiiiibdPKfPKS8_SE_
    .private_segment_fixed_size: 32
    .sgpr_count:     30
    .sgpr_spill_count: 0
    .symbol:         _ZN4vllm3moe22topkGatingSoftplusSqrtILi4ELi8ELi4ELi16ELi32ELb1EifEEvPKT6_PKbPfiPT5_PiiiibdPKfPKS8_SE_.kd
    .uniform_work_group_size: 1
    .uses_dynamic_stack: false
    .vgpr_count:     25
    .vgpr_spill_count: 0
    .wavefront_size: 64
  - .agpr_count:     0
    .args:
      - .address_space:  global
        .offset:         0
        .size:           8
        .value_kind:     global_buffer
      - .address_space:  global
        .offset:         8
        .size:           8
        .value_kind:     global_buffer
      - .address_space:  global
        .offset:         16
        .size:           8
        .value_kind:     global_buffer
      - .offset:         24
        .size:           4
        .value_kind:     by_value
      - .address_space:  global
        .offset:         32
        .size:           8
        .value_kind:     global_buffer
      - .address_space:  global
        .offset:         40
        .size:           8
        .value_kind:     global_buffer
      - .offset:         48
        .size:           4
        .value_kind:     by_value
      - .offset:         52
        .size:           4
        .value_kind:     by_value
      - .offset:         56
        .size:           4
        .value_kind:     by_value
      - .offset:         60
        .size:           1
        .value_kind:     by_value
      - .offset:         64
        .size:           8
        .value_kind:     by_value
      - .address_space:  global
        .offset:         72
        .size:           8
        .value_kind:     global_buffer
      - .address_space:  global
        .offset:         80
        .size:           8
        .value_kind:     global_buffer
      - .address_space:  global
        .offset:         88
        .size:           8
        .value_kind:     global_buffer
    .group_segment_fixed_size: 2048
    .kernarg_segment_align: 8
    .kernarg_segment_size: 96
    .language:       OpenCL C
    .language_version:
      - 2
      - 0
    .max_flat_workgroup_size: 128
    .name:           _ZN4vllm3moe22topkGatingSoftplusSqrtILi4ELi8ELi4ELi16ELi32ELb0EifEEvPKT6_PKbPfiPT5_PiiiibdPKfPKS8_SE_
    .private_segment_fixed_size: 0
    .sgpr_count:     38
    .sgpr_spill_count: 0
    .symbol:         _ZN4vllm3moe22topkGatingSoftplusSqrtILi4ELi8ELi4ELi16ELi32ELb0EifEEvPKT6_PKbPfiPT5_PiiiibdPKfPKS8_SE_.kd
    .uniform_work_group_size: 1
    .uses_dynamic_stack: false
    .vgpr_count:     16
    .vgpr_spill_count: 0
    .wavefront_size: 64
  - .agpr_count:     0
    .args:
      - .address_space:  global
        .offset:         0
        .size:           8
        .value_kind:     global_buffer
      - .address_space:  global
        .offset:         8
        .size:           8
        .value_kind:     global_buffer
      - .address_space:  global
        .offset:         16
        .size:           8
        .value_kind:     global_buffer
      - .offset:         24
        .size:           4
        .value_kind:     by_value
      - .address_space:  global
        .offset:         32
        .size:           8
        .value_kind:     global_buffer
      - .address_space:  global
        .offset:         40
        .size:           8
        .value_kind:     global_buffer
      - .offset:         48
        .size:           4
        .value_kind:     by_value
      - .offset:         52
        .size:           4
        .value_kind:     by_value
      - .offset:         56
        .size:           4
        .value_kind:     by_value
      - .offset:         60
        .size:           1
        .value_kind:     by_value
      - .offset:         64
        .size:           8
        .value_kind:     by_value
      - .address_space:  global
        .offset:         72
        .size:           8
        .value_kind:     global_buffer
      - .address_space:  global
        .offset:         80
        .size:           8
        .value_kind:     global_buffer
      - .address_space:  global
        .offset:         88
        .size:           8
        .value_kind:     global_buffer
    .group_segment_fixed_size: 0
    .kernarg_segment_align: 8
    .kernarg_segment_size: 96
    .language:       OpenCL C
    .language_version:
      - 2
      - 0
    .max_flat_workgroup_size: 256
    .name:           _ZN4vllm3moe22topkGatingSoftplusSqrtILi4ELi16ELi4ELi16ELi64ELb1EifEEvPKT6_PKbPfiPT5_PiiiibdPKfPKS8_SE_
    .private_segment_fixed_size: 32
    .sgpr_count:     30
    .sgpr_spill_count: 0
    .symbol:         _ZN4vllm3moe22topkGatingSoftplusSqrtILi4ELi16ELi4ELi16ELi64ELb1EifEEvPKT6_PKbPfiPT5_PiiiibdPKfPKS8_SE_.kd
    .uniform_work_group_size: 1
    .uses_dynamic_stack: false
    .vgpr_count:     25
    .vgpr_spill_count: 0
    .wavefront_size: 64
  - .agpr_count:     0
    .args:
      - .address_space:  global
        .offset:         0
        .size:           8
        .value_kind:     global_buffer
      - .address_space:  global
        .offset:         8
        .size:           8
        .value_kind:     global_buffer
      - .address_space:  global
        .offset:         16
        .size:           8
        .value_kind:     global_buffer
      - .offset:         24
        .size:           4
        .value_kind:     by_value
      - .address_space:  global
        .offset:         32
        .size:           8
        .value_kind:     global_buffer
      - .address_space:  global
        .offset:         40
        .size:           8
        .value_kind:     global_buffer
      - .offset:         48
        .size:           4
        .value_kind:     by_value
      - .offset:         52
        .size:           4
        .value_kind:     by_value
      - .offset:         56
        .size:           4
        .value_kind:     by_value
      - .offset:         60
        .size:           1
        .value_kind:     by_value
      - .offset:         64
        .size:           8
        .value_kind:     by_value
      - .address_space:  global
        .offset:         72
        .size:           8
        .value_kind:     global_buffer
      - .address_space:  global
        .offset:         80
        .size:           8
        .value_kind:     global_buffer
      - .address_space:  global
        .offset:         88
        .size:           8
        .value_kind:     global_buffer
    .group_segment_fixed_size: 4096
    .kernarg_segment_align: 8
    .kernarg_segment_size: 96
    .language:       OpenCL C
    .language_version:
      - 2
      - 0
    .max_flat_workgroup_size: 256
    .name:           _ZN4vllm3moe22topkGatingSoftplusSqrtILi4ELi16ELi4ELi16ELi64ELb0EifEEvPKT6_PKbPfiPT5_PiiiibdPKfPKS8_SE_
    .private_segment_fixed_size: 0
    .sgpr_count:     38
    .sgpr_spill_count: 0
    .symbol:         _ZN4vllm3moe22topkGatingSoftplusSqrtILi4ELi16ELi4ELi16ELi64ELb0EifEEvPKT6_PKbPfiPT5_PiiiibdPKfPKS8_SE_.kd
    .uniform_work_group_size: 1
    .uses_dynamic_stack: false
    .vgpr_count:     18
    .vgpr_spill_count: 0
    .wavefront_size: 64
  - .agpr_count:     0
    .args:
      - .address_space:  global
        .offset:         0
        .size:           8
        .value_kind:     global_buffer
      - .address_space:  global
        .offset:         8
        .size:           8
        .value_kind:     global_buffer
      - .address_space:  global
        .offset:         16
        .size:           8
        .value_kind:     global_buffer
      - .offset:         24
        .size:           4
        .value_kind:     by_value
      - .address_space:  global
        .offset:         32
        .size:           8
        .value_kind:     global_buffer
      - .address_space:  global
        .offset:         40
        .size:           8
        .value_kind:     global_buffer
      - .offset:         48
        .size:           4
        .value_kind:     by_value
      - .offset:         52
        .size:           4
        .value_kind:     by_value
      - .offset:         56
        .size:           4
        .value_kind:     by_value
      - .offset:         60
        .size:           1
        .value_kind:     by_value
      - .offset:         64
        .size:           8
        .value_kind:     by_value
      - .address_space:  global
        .offset:         72
        .size:           8
        .value_kind:     global_buffer
      - .address_space:  global
        .offset:         80
        .size:           8
        .value_kind:     global_buffer
      - .address_space:  global
        .offset:         88
        .size:           8
        .value_kind:     global_buffer
    .group_segment_fixed_size: 0
    .kernarg_segment_align: 8
    .kernarg_segment_size: 96
    .language:       OpenCL C
    .language_version:
      - 2
      - 0
    .max_flat_workgroup_size: 128
    .name:           _ZN4vllm3moe22topkGatingSoftplusSqrtILi4ELi16ELi4ELi16ELi32ELb1EifEEvPKT6_PKbPfiPT5_PiiiibdPKfPKS8_SE_
    .private_segment_fixed_size: 32
    .sgpr_count:     30
    .sgpr_spill_count: 0
    .symbol:         _ZN4vllm3moe22topkGatingSoftplusSqrtILi4ELi16ELi4ELi16ELi32ELb1EifEEvPKT6_PKbPfiPT5_PiiiibdPKfPKS8_SE_.kd
    .uniform_work_group_size: 1
    .uses_dynamic_stack: false
    .vgpr_count:     25
    .vgpr_spill_count: 0
    .wavefront_size: 64
  - .agpr_count:     0
    .args:
      - .address_space:  global
        .offset:         0
        .size:           8
        .value_kind:     global_buffer
      - .address_space:  global
        .offset:         8
        .size:           8
        .value_kind:     global_buffer
      - .address_space:  global
        .offset:         16
        .size:           8
        .value_kind:     global_buffer
      - .offset:         24
        .size:           4
        .value_kind:     by_value
      - .address_space:  global
        .offset:         32
        .size:           8
        .value_kind:     global_buffer
      - .address_space:  global
        .offset:         40
        .size:           8
        .value_kind:     global_buffer
      - .offset:         48
        .size:           4
        .value_kind:     by_value
      - .offset:         52
        .size:           4
        .value_kind:     by_value
      - .offset:         56
        .size:           4
        .value_kind:     by_value
      - .offset:         60
        .size:           1
        .value_kind:     by_value
      - .offset:         64
        .size:           8
        .value_kind:     by_value
      - .address_space:  global
        .offset:         72
        .size:           8
        .value_kind:     global_buffer
      - .address_space:  global
        .offset:         80
        .size:           8
        .value_kind:     global_buffer
      - .address_space:  global
        .offset:         88
        .size:           8
        .value_kind:     global_buffer
    .group_segment_fixed_size: 2048
    .kernarg_segment_align: 8
    .kernarg_segment_size: 96
    .language:       OpenCL C
    .language_version:
      - 2
      - 0
    .max_flat_workgroup_size: 128
    .name:           _ZN4vllm3moe22topkGatingSoftplusSqrtILi4ELi16ELi4ELi16ELi32ELb0EifEEvPKT6_PKbPfiPT5_PiiiibdPKfPKS8_SE_
    .private_segment_fixed_size: 0
    .sgpr_count:     38
    .sgpr_spill_count: 0
    .symbol:         _ZN4vllm3moe22topkGatingSoftplusSqrtILi4ELi16ELi4ELi16ELi32ELb0EifEEvPKT6_PKbPfiPT5_PiiiibdPKfPKS8_SE_.kd
    .uniform_work_group_size: 1
    .uses_dynamic_stack: false
    .vgpr_count:     18
    .vgpr_spill_count: 0
    .wavefront_size: 64
  - .agpr_count:     0
    .args:
      - .address_space:  global
        .offset:         0
        .size:           8
        .value_kind:     global_buffer
      - .address_space:  global
        .offset:         8
        .size:           8
        .value_kind:     global_buffer
      - .address_space:  global
        .offset:         16
        .size:           8
        .value_kind:     global_buffer
      - .offset:         24
        .size:           4
        .value_kind:     by_value
      - .address_space:  global
        .offset:         32
        .size:           8
        .value_kind:     global_buffer
      - .address_space:  global
        .offset:         40
        .size:           8
        .value_kind:     global_buffer
      - .offset:         48
        .size:           4
        .value_kind:     by_value
      - .offset:         52
        .size:           4
        .value_kind:     by_value
      - .offset:         56
        .size:           4
        .value_kind:     by_value
      - .offset:         60
        .size:           1
        .value_kind:     by_value
      - .offset:         64
        .size:           8
        .value_kind:     by_value
      - .address_space:  global
        .offset:         72
        .size:           8
        .value_kind:     global_buffer
      - .address_space:  global
        .offset:         80
        .size:           8
        .value_kind:     global_buffer
      - .address_space:  global
        .offset:         88
        .size:           8
        .value_kind:     global_buffer
    .group_segment_fixed_size: 0
    .kernarg_segment_align: 8
    .kernarg_segment_size: 96
    .language:       OpenCL C
    .language_version:
      - 2
      - 0
    .max_flat_workgroup_size: 256
    .name:           _ZN4vllm3moe22topkGatingSoftplusSqrtILi4ELi32ELi4ELi16ELi64ELb1EifEEvPKT6_PKbPfiPT5_PiiiibdPKfPKS8_SE_
    .private_segment_fixed_size: 32
    .sgpr_count:     30
    .sgpr_spill_count: 0
    .symbol:         _ZN4vllm3moe22topkGatingSoftplusSqrtILi4ELi32ELi4ELi16ELi64ELb1EifEEvPKT6_PKbPfiPT5_PiiiibdPKfPKS8_SE_.kd
    .uniform_work_group_size: 1
    .uses_dynamic_stack: false
    .vgpr_count:     25
    .vgpr_spill_count: 0
    .wavefront_size: 64
  - .agpr_count:     0
    .args:
      - .address_space:  global
        .offset:         0
        .size:           8
        .value_kind:     global_buffer
      - .address_space:  global
        .offset:         8
        .size:           8
        .value_kind:     global_buffer
      - .address_space:  global
        .offset:         16
        .size:           8
        .value_kind:     global_buffer
      - .offset:         24
        .size:           4
        .value_kind:     by_value
      - .address_space:  global
        .offset:         32
        .size:           8
        .value_kind:     global_buffer
      - .address_space:  global
        .offset:         40
        .size:           8
        .value_kind:     global_buffer
      - .offset:         48
        .size:           4
        .value_kind:     by_value
      - .offset:         52
        .size:           4
        .value_kind:     by_value
      - .offset:         56
        .size:           4
        .value_kind:     by_value
      - .offset:         60
        .size:           1
        .value_kind:     by_value
      - .offset:         64
        .size:           8
        .value_kind:     by_value
      - .address_space:  global
        .offset:         72
        .size:           8
        .value_kind:     global_buffer
      - .address_space:  global
        .offset:         80
        .size:           8
        .value_kind:     global_buffer
      - .address_space:  global
        .offset:         88
        .size:           8
        .value_kind:     global_buffer
    .group_segment_fixed_size: 4096
    .kernarg_segment_align: 8
    .kernarg_segment_size: 96
    .language:       OpenCL C
    .language_version:
      - 2
      - 0
    .max_flat_workgroup_size: 256
    .name:           _ZN4vllm3moe22topkGatingSoftplusSqrtILi4ELi32ELi4ELi16ELi64ELb0EifEEvPKT6_PKbPfiPT5_PiiiibdPKfPKS8_SE_
    .private_segment_fixed_size: 0
    .sgpr_count:     38
    .sgpr_spill_count: 0
    .symbol:         _ZN4vllm3moe22topkGatingSoftplusSqrtILi4ELi32ELi4ELi16ELi64ELb0EifEEvPKT6_PKbPfiPT5_PiiiibdPKfPKS8_SE_.kd
    .uniform_work_group_size: 1
    .uses_dynamic_stack: false
    .vgpr_count:     18
    .vgpr_spill_count: 0
    .wavefront_size: 64
  - .agpr_count:     0
    .args:
      - .address_space:  global
        .offset:         0
        .size:           8
        .value_kind:     global_buffer
      - .address_space:  global
        .offset:         8
        .size:           8
        .value_kind:     global_buffer
      - .address_space:  global
        .offset:         16
        .size:           8
        .value_kind:     global_buffer
      - .offset:         24
        .size:           4
        .value_kind:     by_value
      - .address_space:  global
        .offset:         32
        .size:           8
        .value_kind:     global_buffer
      - .address_space:  global
        .offset:         40
        .size:           8
        .value_kind:     global_buffer
      - .offset:         48
        .size:           4
        .value_kind:     by_value
      - .offset:         52
        .size:           4
        .value_kind:     by_value
      - .offset:         56
        .size:           4
        .value_kind:     by_value
      - .offset:         60
        .size:           1
        .value_kind:     by_value
      - .offset:         64
        .size:           8
        .value_kind:     by_value
      - .address_space:  global
        .offset:         72
        .size:           8
        .value_kind:     global_buffer
      - .address_space:  global
        .offset:         80
        .size:           8
        .value_kind:     global_buffer
      - .address_space:  global
        .offset:         88
        .size:           8
        .value_kind:     global_buffer
    .group_segment_fixed_size: 0
    .kernarg_segment_align: 8
    .kernarg_segment_size: 96
    .language:       OpenCL C
    .language_version:
      - 2
      - 0
    .max_flat_workgroup_size: 128
    .name:           _ZN4vllm3moe22topkGatingSoftplusSqrtILi4ELi32ELi4ELi16ELi32ELb1EifEEvPKT6_PKbPfiPT5_PiiiibdPKfPKS8_SE_
    .private_segment_fixed_size: 32
    .sgpr_count:     30
    .sgpr_spill_count: 0
    .symbol:         _ZN4vllm3moe22topkGatingSoftplusSqrtILi4ELi32ELi4ELi16ELi32ELb1EifEEvPKT6_PKbPfiPT5_PiiiibdPKfPKS8_SE_.kd
    .uniform_work_group_size: 1
    .uses_dynamic_stack: false
    .vgpr_count:     25
    .vgpr_spill_count: 0
    .wavefront_size: 64
  - .agpr_count:     0
    .args:
      - .address_space:  global
        .offset:         0
        .size:           8
        .value_kind:     global_buffer
      - .address_space:  global
        .offset:         8
        .size:           8
        .value_kind:     global_buffer
      - .address_space:  global
        .offset:         16
        .size:           8
        .value_kind:     global_buffer
      - .offset:         24
        .size:           4
        .value_kind:     by_value
      - .address_space:  global
        .offset:         32
        .size:           8
        .value_kind:     global_buffer
      - .address_space:  global
        .offset:         40
        .size:           8
        .value_kind:     global_buffer
      - .offset:         48
        .size:           4
        .value_kind:     by_value
      - .offset:         52
        .size:           4
        .value_kind:     by_value
      - .offset:         56
        .size:           4
        .value_kind:     by_value
      - .offset:         60
        .size:           1
        .value_kind:     by_value
      - .offset:         64
        .size:           8
        .value_kind:     by_value
      - .address_space:  global
        .offset:         72
        .size:           8
        .value_kind:     global_buffer
      - .address_space:  global
        .offset:         80
        .size:           8
        .value_kind:     global_buffer
      - .address_space:  global
        .offset:         88
        .size:           8
        .value_kind:     global_buffer
    .group_segment_fixed_size: 2048
    .kernarg_segment_align: 8
    .kernarg_segment_size: 96
    .language:       OpenCL C
    .language_version:
      - 2
      - 0
    .max_flat_workgroup_size: 128
    .name:           _ZN4vllm3moe22topkGatingSoftplusSqrtILi4ELi32ELi4ELi16ELi32ELb0EifEEvPKT6_PKbPfiPT5_PiiiibdPKfPKS8_SE_
    .private_segment_fixed_size: 0
    .sgpr_count:     38
    .sgpr_spill_count: 0
    .symbol:         _ZN4vllm3moe22topkGatingSoftplusSqrtILi4ELi32ELi4ELi16ELi32ELb0EifEEvPKT6_PKbPfiPT5_PiiiibdPKfPKS8_SE_.kd
    .uniform_work_group_size: 1
    .uses_dynamic_stack: false
    .vgpr_count:     18
    .vgpr_spill_count: 0
    .wavefront_size: 64
  - .agpr_count:     0
    .args:
      - .address_space:  global
        .offset:         0
        .size:           8
        .value_kind:     global_buffer
      - .address_space:  global
        .offset:         8
        .size:           8
        .value_kind:     global_buffer
      - .address_space:  global
        .offset:         16
        .size:           8
        .value_kind:     global_buffer
      - .offset:         24
        .size:           4
        .value_kind:     by_value
      - .address_space:  global
        .offset:         32
        .size:           8
        .value_kind:     global_buffer
      - .address_space:  global
        .offset:         40
        .size:           8
        .value_kind:     global_buffer
      - .offset:         48
        .size:           4
        .value_kind:     by_value
      - .offset:         52
        .size:           4
        .value_kind:     by_value
      - .offset:         56
        .size:           4
        .value_kind:     by_value
      - .offset:         60
        .size:           1
        .value_kind:     by_value
      - .offset:         64
        .size:           8
        .value_kind:     by_value
      - .address_space:  global
        .offset:         72
        .size:           8
        .value_kind:     global_buffer
      - .address_space:  global
        .offset:         80
        .size:           8
        .value_kind:     global_buffer
      - .address_space:  global
        .offset:         88
        .size:           8
        .value_kind:     global_buffer
    .group_segment_fixed_size: 0
    .kernarg_segment_align: 8
    .kernarg_segment_size: 96
    .language:       OpenCL C
    .language_version:
      - 2
      - 0
    .max_flat_workgroup_size: 256
    .name:           _ZN4vllm3moe22topkGatingSoftplusSqrtILi4ELi64ELi4ELi16ELi64ELb1EifEEvPKT6_PKbPfiPT5_PiiiibdPKfPKS8_SE_
    .private_segment_fixed_size: 32
    .sgpr_count:     30
    .sgpr_spill_count: 0
    .symbol:         _ZN4vllm3moe22topkGatingSoftplusSqrtILi4ELi64ELi4ELi16ELi64ELb1EifEEvPKT6_PKbPfiPT5_PiiiibdPKfPKS8_SE_.kd
    .uniform_work_group_size: 1
    .uses_dynamic_stack: false
    .vgpr_count:     25
    .vgpr_spill_count: 0
    .wavefront_size: 64
  - .agpr_count:     0
    .args:
      - .address_space:  global
        .offset:         0
        .size:           8
        .value_kind:     global_buffer
      - .address_space:  global
        .offset:         8
        .size:           8
        .value_kind:     global_buffer
      - .address_space:  global
        .offset:         16
        .size:           8
        .value_kind:     global_buffer
      - .offset:         24
        .size:           4
        .value_kind:     by_value
      - .address_space:  global
        .offset:         32
        .size:           8
        .value_kind:     global_buffer
      - .address_space:  global
        .offset:         40
        .size:           8
        .value_kind:     global_buffer
      - .offset:         48
        .size:           4
        .value_kind:     by_value
      - .offset:         52
        .size:           4
        .value_kind:     by_value
      - .offset:         56
        .size:           4
        .value_kind:     by_value
      - .offset:         60
        .size:           1
        .value_kind:     by_value
      - .offset:         64
        .size:           8
        .value_kind:     by_value
      - .address_space:  global
        .offset:         72
        .size:           8
        .value_kind:     global_buffer
      - .address_space:  global
        .offset:         80
        .size:           8
        .value_kind:     global_buffer
      - .address_space:  global
        .offset:         88
        .size:           8
        .value_kind:     global_buffer
    .group_segment_fixed_size: 4096
    .kernarg_segment_align: 8
    .kernarg_segment_size: 96
    .language:       OpenCL C
    .language_version:
      - 2
      - 0
    .max_flat_workgroup_size: 256
    .name:           _ZN4vllm3moe22topkGatingSoftplusSqrtILi4ELi64ELi4ELi16ELi64ELb0EifEEvPKT6_PKbPfiPT5_PiiiibdPKfPKS8_SE_
    .private_segment_fixed_size: 0
    .sgpr_count:     38
    .sgpr_spill_count: 0
    .symbol:         _ZN4vllm3moe22topkGatingSoftplusSqrtILi4ELi64ELi4ELi16ELi64ELb0EifEEvPKT6_PKbPfiPT5_PiiiibdPKfPKS8_SE_.kd
    .uniform_work_group_size: 1
    .uses_dynamic_stack: false
    .vgpr_count:     20
    .vgpr_spill_count: 0
    .wavefront_size: 64
  - .agpr_count:     0
    .args:
      - .address_space:  global
        .offset:         0
        .size:           8
        .value_kind:     global_buffer
      - .address_space:  global
        .offset:         8
        .size:           8
        .value_kind:     global_buffer
      - .address_space:  global
        .offset:         16
        .size:           8
        .value_kind:     global_buffer
      - .offset:         24
        .size:           4
        .value_kind:     by_value
      - .address_space:  global
        .offset:         32
        .size:           8
        .value_kind:     global_buffer
      - .address_space:  global
        .offset:         40
        .size:           8
        .value_kind:     global_buffer
      - .offset:         48
        .size:           4
        .value_kind:     by_value
      - .offset:         52
        .size:           4
        .value_kind:     by_value
      - .offset:         56
        .size:           4
        .value_kind:     by_value
      - .offset:         60
        .size:           1
        .value_kind:     by_value
      - .offset:         64
        .size:           8
        .value_kind:     by_value
      - .address_space:  global
        .offset:         72
        .size:           8
        .value_kind:     global_buffer
      - .address_space:  global
        .offset:         80
        .size:           8
        .value_kind:     global_buffer
      - .address_space:  global
        .offset:         88
        .size:           8
        .value_kind:     global_buffer
    .group_segment_fixed_size: 0
    .kernarg_segment_align: 8
    .kernarg_segment_size: 96
    .language:       OpenCL C
    .language_version:
      - 2
      - 0
    .max_flat_workgroup_size: 128
    .name:           _ZN4vllm3moe22topkGatingSoftplusSqrtILi4ELi64ELi4ELi16ELi32ELb1EifEEvPKT6_PKbPfiPT5_PiiiibdPKfPKS8_SE_
    .private_segment_fixed_size: 32
    .sgpr_count:     30
    .sgpr_spill_count: 0
    .symbol:         _ZN4vllm3moe22topkGatingSoftplusSqrtILi4ELi64ELi4ELi16ELi32ELb1EifEEvPKT6_PKbPfiPT5_PiiiibdPKfPKS8_SE_.kd
    .uniform_work_group_size: 1
    .uses_dynamic_stack: false
    .vgpr_count:     25
    .vgpr_spill_count: 0
    .wavefront_size: 64
  - .agpr_count:     0
    .args:
      - .address_space:  global
        .offset:         0
        .size:           8
        .value_kind:     global_buffer
      - .address_space:  global
        .offset:         8
        .size:           8
        .value_kind:     global_buffer
      - .address_space:  global
        .offset:         16
        .size:           8
        .value_kind:     global_buffer
      - .offset:         24
        .size:           4
        .value_kind:     by_value
      - .address_space:  global
        .offset:         32
        .size:           8
        .value_kind:     global_buffer
      - .address_space:  global
        .offset:         40
        .size:           8
        .value_kind:     global_buffer
      - .offset:         48
        .size:           4
        .value_kind:     by_value
      - .offset:         52
        .size:           4
        .value_kind:     by_value
      - .offset:         56
        .size:           4
        .value_kind:     by_value
      - .offset:         60
        .size:           1
        .value_kind:     by_value
      - .offset:         64
        .size:           8
        .value_kind:     by_value
      - .address_space:  global
        .offset:         72
        .size:           8
        .value_kind:     global_buffer
      - .address_space:  global
        .offset:         80
        .size:           8
        .value_kind:     global_buffer
      - .address_space:  global
        .offset:         88
        .size:           8
        .value_kind:     global_buffer
    .group_segment_fixed_size: 2048
    .kernarg_segment_align: 8
    .kernarg_segment_size: 96
    .language:       OpenCL C
    .language_version:
      - 2
      - 0
    .max_flat_workgroup_size: 128
    .name:           _ZN4vllm3moe22topkGatingSoftplusSqrtILi4ELi64ELi4ELi16ELi32ELb0EifEEvPKT6_PKbPfiPT5_PiiiibdPKfPKS8_SE_
    .private_segment_fixed_size: 0
    .sgpr_count:     38
    .sgpr_spill_count: 0
    .symbol:         _ZN4vllm3moe22topkGatingSoftplusSqrtILi4ELi64ELi4ELi16ELi32ELb0EifEEvPKT6_PKbPfiPT5_PiiiibdPKfPKS8_SE_.kd
    .uniform_work_group_size: 1
    .uses_dynamic_stack: false
    .vgpr_count:     20
    .vgpr_spill_count: 0
    .wavefront_size: 64
  - .agpr_count:     0
    .args:
      - .address_space:  global
        .offset:         0
        .size:           8
        .value_kind:     global_buffer
      - .address_space:  global
        .offset:         8
        .size:           8
        .value_kind:     global_buffer
      - .address_space:  global
        .offset:         16
        .size:           8
        .value_kind:     global_buffer
      - .offset:         24
        .size:           4
        .value_kind:     by_value
      - .address_space:  global
        .offset:         32
        .size:           8
        .value_kind:     global_buffer
      - .address_space:  global
        .offset:         40
        .size:           8
        .value_kind:     global_buffer
      - .offset:         48
        .size:           4
        .value_kind:     by_value
      - .offset:         52
        .size:           4
        .value_kind:     by_value
      - .offset:         56
        .size:           4
        .value_kind:     by_value
      - .offset:         60
        .size:           1
        .value_kind:     by_value
      - .offset:         64
        .size:           8
        .value_kind:     by_value
      - .address_space:  global
        .offset:         72
        .size:           8
        .value_kind:     global_buffer
      - .address_space:  global
        .offset:         80
        .size:           8
        .value_kind:     global_buffer
      - .address_space:  global
        .offset:         88
        .size:           8
        .value_kind:     global_buffer
    .group_segment_fixed_size: 0
    .kernarg_segment_align: 8
    .kernarg_segment_size: 96
    .language:       OpenCL C
    .language_version:
      - 2
      - 0
    .max_flat_workgroup_size: 256
    .name:           _ZN4vllm3moe22topkGatingSoftplusSqrtILi4ELi128ELi4ELi16ELi64ELb1EifEEvPKT6_PKbPfiPT5_PiiiibdPKfPKS8_SE_
    .private_segment_fixed_size: 32
    .sgpr_count:     30
    .sgpr_spill_count: 0
    .symbol:         _ZN4vllm3moe22topkGatingSoftplusSqrtILi4ELi128ELi4ELi16ELi64ELb1EifEEvPKT6_PKbPfiPT5_PiiiibdPKfPKS8_SE_.kd
    .uniform_work_group_size: 1
    .uses_dynamic_stack: false
    .vgpr_count:     25
    .vgpr_spill_count: 0
    .wavefront_size: 64
  - .agpr_count:     0
    .args:
      - .address_space:  global
        .offset:         0
        .size:           8
        .value_kind:     global_buffer
      - .address_space:  global
        .offset:         8
        .size:           8
        .value_kind:     global_buffer
      - .address_space:  global
        .offset:         16
        .size:           8
        .value_kind:     global_buffer
      - .offset:         24
        .size:           4
        .value_kind:     by_value
      - .address_space:  global
        .offset:         32
        .size:           8
        .value_kind:     global_buffer
      - .address_space:  global
        .offset:         40
        .size:           8
        .value_kind:     global_buffer
      - .offset:         48
        .size:           4
        .value_kind:     by_value
      - .offset:         52
        .size:           4
        .value_kind:     by_value
      - .offset:         56
        .size:           4
        .value_kind:     by_value
      - .offset:         60
        .size:           1
        .value_kind:     by_value
      - .offset:         64
        .size:           8
        .value_kind:     by_value
      - .address_space:  global
        .offset:         72
        .size:           8
        .value_kind:     global_buffer
      - .address_space:  global
        .offset:         80
        .size:           8
        .value_kind:     global_buffer
      - .address_space:  global
        .offset:         88
        .size:           8
        .value_kind:     global_buffer
    .group_segment_fixed_size: 4096
    .kernarg_segment_align: 8
    .kernarg_segment_size: 96
    .language:       OpenCL C
    .language_version:
      - 2
      - 0
    .max_flat_workgroup_size: 256
    .name:           _ZN4vllm3moe22topkGatingSoftplusSqrtILi4ELi128ELi4ELi16ELi64ELb0EifEEvPKT6_PKbPfiPT5_PiiiibdPKfPKS8_SE_
    .private_segment_fixed_size: 0
    .sgpr_count:     38
    .sgpr_spill_count: 0
    .symbol:         _ZN4vllm3moe22topkGatingSoftplusSqrtILi4ELi128ELi4ELi16ELi64ELb0EifEEvPKT6_PKbPfiPT5_PiiiibdPKfPKS8_SE_.kd
    .uniform_work_group_size: 1
    .uses_dynamic_stack: false
    .vgpr_count:     22
    .vgpr_spill_count: 0
    .wavefront_size: 64
  - .agpr_count:     0
    .args:
      - .address_space:  global
        .offset:         0
        .size:           8
        .value_kind:     global_buffer
      - .address_space:  global
        .offset:         8
        .size:           8
        .value_kind:     global_buffer
      - .address_space:  global
        .offset:         16
        .size:           8
        .value_kind:     global_buffer
      - .offset:         24
        .size:           4
        .value_kind:     by_value
      - .address_space:  global
        .offset:         32
        .size:           8
        .value_kind:     global_buffer
      - .address_space:  global
        .offset:         40
        .size:           8
        .value_kind:     global_buffer
      - .offset:         48
        .size:           4
        .value_kind:     by_value
      - .offset:         52
        .size:           4
        .value_kind:     by_value
      - .offset:         56
        .size:           4
        .value_kind:     by_value
      - .offset:         60
        .size:           1
        .value_kind:     by_value
      - .offset:         64
        .size:           8
        .value_kind:     by_value
      - .address_space:  global
        .offset:         72
        .size:           8
        .value_kind:     global_buffer
      - .address_space:  global
        .offset:         80
        .size:           8
        .value_kind:     global_buffer
      - .address_space:  global
        .offset:         88
        .size:           8
        .value_kind:     global_buffer
    .group_segment_fixed_size: 0
    .kernarg_segment_align: 8
    .kernarg_segment_size: 96
    .language:       OpenCL C
    .language_version:
      - 2
      - 0
    .max_flat_workgroup_size: 128
    .name:           _ZN4vllm3moe22topkGatingSoftplusSqrtILi4ELi128ELi4ELi16ELi32ELb1EifEEvPKT6_PKbPfiPT5_PiiiibdPKfPKS8_SE_
    .private_segment_fixed_size: 32
    .sgpr_count:     30
    .sgpr_spill_count: 0
    .symbol:         _ZN4vllm3moe22topkGatingSoftplusSqrtILi4ELi128ELi4ELi16ELi32ELb1EifEEvPKT6_PKbPfiPT5_PiiiibdPKfPKS8_SE_.kd
    .uniform_work_group_size: 1
    .uses_dynamic_stack: false
    .vgpr_count:     25
    .vgpr_spill_count: 0
    .wavefront_size: 64
  - .agpr_count:     0
    .args:
      - .address_space:  global
        .offset:         0
        .size:           8
        .value_kind:     global_buffer
      - .address_space:  global
        .offset:         8
        .size:           8
        .value_kind:     global_buffer
      - .address_space:  global
        .offset:         16
        .size:           8
        .value_kind:     global_buffer
      - .offset:         24
        .size:           4
        .value_kind:     by_value
      - .address_space:  global
        .offset:         32
        .size:           8
        .value_kind:     global_buffer
      - .address_space:  global
        .offset:         40
        .size:           8
        .value_kind:     global_buffer
      - .offset:         48
        .size:           4
        .value_kind:     by_value
      - .offset:         52
        .size:           4
        .value_kind:     by_value
      - .offset:         56
        .size:           4
        .value_kind:     by_value
      - .offset:         60
        .size:           1
        .value_kind:     by_value
      - .offset:         64
        .size:           8
        .value_kind:     by_value
      - .address_space:  global
        .offset:         72
        .size:           8
        .value_kind:     global_buffer
      - .address_space:  global
        .offset:         80
        .size:           8
        .value_kind:     global_buffer
      - .address_space:  global
        .offset:         88
        .size:           8
        .value_kind:     global_buffer
    .group_segment_fixed_size: 2048
    .kernarg_segment_align: 8
    .kernarg_segment_size: 96
    .language:       OpenCL C
    .language_version:
      - 2
      - 0
    .max_flat_workgroup_size: 128
    .name:           _ZN4vllm3moe22topkGatingSoftplusSqrtILi4ELi128ELi4ELi16ELi32ELb0EifEEvPKT6_PKbPfiPT5_PiiiibdPKfPKS8_SE_
    .private_segment_fixed_size: 0
    .sgpr_count:     38
    .sgpr_spill_count: 0
    .symbol:         _ZN4vllm3moe22topkGatingSoftplusSqrtILi4ELi128ELi4ELi16ELi32ELb0EifEEvPKT6_PKbPfiPT5_PiiiibdPKfPKS8_SE_.kd
    .uniform_work_group_size: 1
    .uses_dynamic_stack: false
    .vgpr_count:     22
    .vgpr_spill_count: 0
    .wavefront_size: 64
  - .agpr_count:     0
    .args:
      - .address_space:  global
        .offset:         0
        .size:           8
        .value_kind:     global_buffer
      - .address_space:  global
        .offset:         8
        .size:           8
        .value_kind:     global_buffer
      - .address_space:  global
        .offset:         16
        .size:           8
        .value_kind:     global_buffer
      - .offset:         24
        .size:           4
        .value_kind:     by_value
      - .address_space:  global
        .offset:         32
        .size:           8
        .value_kind:     global_buffer
      - .address_space:  global
        .offset:         40
        .size:           8
        .value_kind:     global_buffer
      - .offset:         48
        .size:           4
        .value_kind:     by_value
      - .offset:         52
        .size:           4
        .value_kind:     by_value
      - .offset:         56
        .size:           4
        .value_kind:     by_value
      - .offset:         60
        .size:           1
        .value_kind:     by_value
      - .offset:         64
        .size:           8
        .value_kind:     by_value
      - .address_space:  global
        .offset:         72
        .size:           8
        .value_kind:     global_buffer
      - .address_space:  global
        .offset:         80
        .size:           8
        .value_kind:     global_buffer
      - .address_space:  global
        .offset:         88
        .size:           8
        .value_kind:     global_buffer
    .group_segment_fixed_size: 0
    .kernarg_segment_align: 8
    .kernarg_segment_size: 96
    .language:       OpenCL C
    .language_version:
      - 2
      - 0
    .max_flat_workgroup_size: 256
    .name:           _ZN4vllm3moe22topkGatingSoftplusSqrtILi4ELi256ELi4ELi16ELi64ELb1EifEEvPKT6_PKbPfiPT5_PiiiibdPKfPKS8_SE_
    .private_segment_fixed_size: 32
    .sgpr_count:     30
    .sgpr_spill_count: 0
    .symbol:         _ZN4vllm3moe22topkGatingSoftplusSqrtILi4ELi256ELi4ELi16ELi64ELb1EifEEvPKT6_PKbPfiPT5_PiiiibdPKfPKS8_SE_.kd
    .uniform_work_group_size: 1
    .uses_dynamic_stack: false
    .vgpr_count:     25
    .vgpr_spill_count: 0
    .wavefront_size: 64
  - .agpr_count:     0
    .args:
      - .address_space:  global
        .offset:         0
        .size:           8
        .value_kind:     global_buffer
      - .address_space:  global
        .offset:         8
        .size:           8
        .value_kind:     global_buffer
      - .address_space:  global
        .offset:         16
        .size:           8
        .value_kind:     global_buffer
      - .offset:         24
        .size:           4
        .value_kind:     by_value
      - .address_space:  global
        .offset:         32
        .size:           8
        .value_kind:     global_buffer
      - .address_space:  global
        .offset:         40
        .size:           8
        .value_kind:     global_buffer
      - .offset:         48
        .size:           4
        .value_kind:     by_value
      - .offset:         52
        .size:           4
        .value_kind:     by_value
      - .offset:         56
        .size:           4
        .value_kind:     by_value
      - .offset:         60
        .size:           1
        .value_kind:     by_value
      - .offset:         64
        .size:           8
        .value_kind:     by_value
      - .address_space:  global
        .offset:         72
        .size:           8
        .value_kind:     global_buffer
      - .address_space:  global
        .offset:         80
        .size:           8
        .value_kind:     global_buffer
      - .address_space:  global
        .offset:         88
        .size:           8
        .value_kind:     global_buffer
    .group_segment_fixed_size: 4096
    .kernarg_segment_align: 8
    .kernarg_segment_size: 96
    .language:       OpenCL C
    .language_version:
      - 2
      - 0
    .max_flat_workgroup_size: 256
    .name:           _ZN4vllm3moe22topkGatingSoftplusSqrtILi4ELi256ELi4ELi16ELi64ELb0EifEEvPKT6_PKbPfiPT5_PiiiibdPKfPKS8_SE_
    .private_segment_fixed_size: 0
    .sgpr_count:     38
    .sgpr_spill_count: 0
    .symbol:         _ZN4vllm3moe22topkGatingSoftplusSqrtILi4ELi256ELi4ELi16ELi64ELb0EifEEvPKT6_PKbPfiPT5_PiiiibdPKfPKS8_SE_.kd
    .uniform_work_group_size: 1
    .uses_dynamic_stack: false
    .vgpr_count:     22
    .vgpr_spill_count: 0
    .wavefront_size: 64
  - .agpr_count:     0
    .args:
      - .address_space:  global
        .offset:         0
        .size:           8
        .value_kind:     global_buffer
      - .address_space:  global
        .offset:         8
        .size:           8
        .value_kind:     global_buffer
      - .address_space:  global
        .offset:         16
        .size:           8
        .value_kind:     global_buffer
      - .offset:         24
        .size:           4
        .value_kind:     by_value
      - .address_space:  global
        .offset:         32
        .size:           8
        .value_kind:     global_buffer
      - .address_space:  global
        .offset:         40
        .size:           8
        .value_kind:     global_buffer
      - .offset:         48
        .size:           4
        .value_kind:     by_value
      - .offset:         52
        .size:           4
        .value_kind:     by_value
      - .offset:         56
        .size:           4
        .value_kind:     by_value
      - .offset:         60
        .size:           1
        .value_kind:     by_value
      - .offset:         64
        .size:           8
        .value_kind:     by_value
      - .address_space:  global
        .offset:         72
        .size:           8
        .value_kind:     global_buffer
      - .address_space:  global
        .offset:         80
        .size:           8
        .value_kind:     global_buffer
      - .address_space:  global
        .offset:         88
        .size:           8
        .value_kind:     global_buffer
    .group_segment_fixed_size: 0
    .kernarg_segment_align: 8
    .kernarg_segment_size: 96
    .language:       OpenCL C
    .language_version:
      - 2
      - 0
    .max_flat_workgroup_size: 128
    .name:           _ZN4vllm3moe22topkGatingSoftplusSqrtILi8ELi256ELi4ELi16ELi32ELb1EifEEvPKT6_PKbPfiPT5_PiiiibdPKfPKS8_SE_
    .private_segment_fixed_size: 48
    .sgpr_count:     40
    .sgpr_spill_count: 0
    .symbol:         _ZN4vllm3moe22topkGatingSoftplusSqrtILi8ELi256ELi4ELi16ELi32ELb1EifEEvPKT6_PKbPfiPT5_PiiiibdPKfPKS8_SE_.kd
    .uniform_work_group_size: 1
    .uses_dynamic_stack: false
    .vgpr_count:     30
    .vgpr_spill_count: 0
    .wavefront_size: 64
  - .agpr_count:     0
    .args:
      - .address_space:  global
        .offset:         0
        .size:           8
        .value_kind:     global_buffer
      - .address_space:  global
        .offset:         8
        .size:           8
        .value_kind:     global_buffer
      - .address_space:  global
        .offset:         16
        .size:           8
        .value_kind:     global_buffer
      - .offset:         24
        .size:           4
        .value_kind:     by_value
      - .address_space:  global
        .offset:         32
        .size:           8
        .value_kind:     global_buffer
      - .address_space:  global
        .offset:         40
        .size:           8
        .value_kind:     global_buffer
      - .offset:         48
        .size:           4
        .value_kind:     by_value
      - .offset:         52
        .size:           4
        .value_kind:     by_value
      - .offset:         56
        .size:           4
        .value_kind:     by_value
      - .offset:         60
        .size:           1
        .value_kind:     by_value
      - .offset:         64
        .size:           8
        .value_kind:     by_value
      - .address_space:  global
        .offset:         72
        .size:           8
        .value_kind:     global_buffer
      - .address_space:  global
        .offset:         80
        .size:           8
        .value_kind:     global_buffer
      - .address_space:  global
        .offset:         88
        .size:           8
        .value_kind:     global_buffer
    .group_segment_fixed_size: 4096
    .kernarg_segment_align: 8
    .kernarg_segment_size: 96
    .language:       OpenCL C
    .language_version:
      - 2
      - 0
    .max_flat_workgroup_size: 128
    .name:           _ZN4vllm3moe22topkGatingSoftplusSqrtILi8ELi256ELi4ELi16ELi32ELb0EifEEvPKT6_PKbPfiPT5_PiiiibdPKfPKS8_SE_
    .private_segment_fixed_size: 0
    .sgpr_count:     38
    .sgpr_spill_count: 0
    .symbol:         _ZN4vllm3moe22topkGatingSoftplusSqrtILi8ELi256ELi4ELi16ELi32ELb0EifEEvPKT6_PKbPfiPT5_PiiiibdPKfPKS8_SE_.kd
    .uniform_work_group_size: 1
    .uses_dynamic_stack: false
    .vgpr_count:     28
    .vgpr_spill_count: 0
    .wavefront_size: 64
  - .agpr_count:     0
    .args:
      - .address_space:  global
        .offset:         0
        .size:           8
        .value_kind:     global_buffer
      - .address_space:  global
        .offset:         8
        .size:           8
        .value_kind:     global_buffer
      - .address_space:  global
        .offset:         16
        .size:           8
        .value_kind:     global_buffer
      - .offset:         24
        .size:           4
        .value_kind:     by_value
      - .address_space:  global
        .offset:         32
        .size:           8
        .value_kind:     global_buffer
      - .address_space:  global
        .offset:         40
        .size:           8
        .value_kind:     global_buffer
      - .offset:         48
        .size:           4
        .value_kind:     by_value
      - .offset:         52
        .size:           4
        .value_kind:     by_value
      - .offset:         56
        .size:           4
        .value_kind:     by_value
      - .offset:         60
        .size:           1
        .value_kind:     by_value
      - .offset:         64
        .size:           8
        .value_kind:     by_value
      - .address_space:  global
        .offset:         72
        .size:           8
        .value_kind:     global_buffer
      - .address_space:  global
        .offset:         80
        .size:           8
        .value_kind:     global_buffer
      - .address_space:  global
        .offset:         88
        .size:           8
        .value_kind:     global_buffer
    .group_segment_fixed_size: 0
    .kernarg_segment_align: 8
    .kernarg_segment_size: 96
    .language:       OpenCL C
    .language_version:
      - 2
      - 0
    .max_flat_workgroup_size: 256
    .name:           _ZN4vllm3moe22topkGatingSoftplusSqrtILi8ELi512ELi4ELi16ELi64ELb1EifEEvPKT6_PKbPfiPT5_PiiiibdPKfPKS8_SE_
    .private_segment_fixed_size: 48
    .sgpr_count:     40
    .sgpr_spill_count: 0
    .symbol:         _ZN4vllm3moe22topkGatingSoftplusSqrtILi8ELi512ELi4ELi16ELi64ELb1EifEEvPKT6_PKbPfiPT5_PiiiibdPKfPKS8_SE_.kd
    .uniform_work_group_size: 1
    .uses_dynamic_stack: false
    .vgpr_count:     30
    .vgpr_spill_count: 0
    .wavefront_size: 64
  - .agpr_count:     0
    .args:
      - .address_space:  global
        .offset:         0
        .size:           8
        .value_kind:     global_buffer
      - .address_space:  global
        .offset:         8
        .size:           8
        .value_kind:     global_buffer
      - .address_space:  global
        .offset:         16
        .size:           8
        .value_kind:     global_buffer
      - .offset:         24
        .size:           4
        .value_kind:     by_value
      - .address_space:  global
        .offset:         32
        .size:           8
        .value_kind:     global_buffer
      - .address_space:  global
        .offset:         40
        .size:           8
        .value_kind:     global_buffer
      - .offset:         48
        .size:           4
        .value_kind:     by_value
      - .offset:         52
        .size:           4
        .value_kind:     by_value
      - .offset:         56
        .size:           4
        .value_kind:     by_value
      - .offset:         60
        .size:           1
        .value_kind:     by_value
      - .offset:         64
        .size:           8
        .value_kind:     by_value
      - .address_space:  global
        .offset:         72
        .size:           8
        .value_kind:     global_buffer
      - .address_space:  global
        .offset:         80
        .size:           8
        .value_kind:     global_buffer
      - .address_space:  global
        .offset:         88
        .size:           8
        .value_kind:     global_buffer
    .group_segment_fixed_size: 8192
    .kernarg_segment_align: 8
    .kernarg_segment_size: 96
    .language:       OpenCL C
    .language_version:
      - 2
      - 0
    .max_flat_workgroup_size: 256
    .name:           _ZN4vllm3moe22topkGatingSoftplusSqrtILi8ELi512ELi4ELi16ELi64ELb0EifEEvPKT6_PKbPfiPT5_PiiiibdPKfPKS8_SE_
    .private_segment_fixed_size: 0
    .sgpr_count:     38
    .sgpr_spill_count: 0
    .symbol:         _ZN4vllm3moe22topkGatingSoftplusSqrtILi8ELi512ELi4ELi16ELi64ELb0EifEEvPKT6_PKbPfiPT5_PiiiibdPKfPKS8_SE_.kd
    .uniform_work_group_size: 1
    .uses_dynamic_stack: false
    .vgpr_count:     30
    .vgpr_spill_count: 0
    .wavefront_size: 64
  - .agpr_count:     0
    .args:
      - .address_space:  global
        .offset:         0
        .size:           8
        .value_kind:     global_buffer
      - .address_space:  global
        .offset:         8
        .size:           8
        .value_kind:     global_buffer
      - .address_space:  global
        .offset:         16
        .size:           8
        .value_kind:     global_buffer
      - .offset:         24
        .size:           4
        .value_kind:     by_value
      - .address_space:  global
        .offset:         32
        .size:           8
        .value_kind:     global_buffer
      - .address_space:  global
        .offset:         40
        .size:           8
        .value_kind:     global_buffer
      - .offset:         48
        .size:           4
        .value_kind:     by_value
      - .offset:         52
        .size:           4
        .value_kind:     by_value
      - .offset:         56
        .size:           4
        .value_kind:     by_value
      - .offset:         60
        .size:           1
        .value_kind:     by_value
      - .offset:         64
        .size:           8
        .value_kind:     by_value
      - .address_space:  global
        .offset:         72
        .size:           8
        .value_kind:     global_buffer
      - .address_space:  global
        .offset:         80
        .size:           8
        .value_kind:     global_buffer
      - .address_space:  global
        .offset:         88
        .size:           8
        .value_kind:     global_buffer
    .group_segment_fixed_size: 0
    .kernarg_segment_align: 8
    .kernarg_segment_size: 96
    .language:       OpenCL C
    .language_version:
      - 2
      - 0
    .max_flat_workgroup_size: 128
    .name:           _ZN4vllm3moe22topkGatingSoftplusSqrtILi16ELi512ELi4ELi16ELi32ELb1EifEEvPKT6_PKbPfiPT5_PiiiibdPKfPKS8_SE_
    .private_segment_fixed_size: 80
    .sgpr_count:     70
    .sgpr_spill_count: 0
    .symbol:         _ZN4vllm3moe22topkGatingSoftplusSqrtILi16ELi512ELi4ELi16ELi32ELb1EifEEvPKT6_PKbPfiPT5_PiiiibdPKfPKS8_SE_.kd
    .uniform_work_group_size: 1
    .uses_dynamic_stack: false
    .vgpr_count:     40
    .vgpr_spill_count: 0
    .wavefront_size: 64
  - .agpr_count:     0
    .args:
      - .address_space:  global
        .offset:         0
        .size:           8
        .value_kind:     global_buffer
      - .address_space:  global
        .offset:         8
        .size:           8
        .value_kind:     global_buffer
      - .address_space:  global
        .offset:         16
        .size:           8
        .value_kind:     global_buffer
      - .offset:         24
        .size:           4
        .value_kind:     by_value
      - .address_space:  global
        .offset:         32
        .size:           8
        .value_kind:     global_buffer
      - .address_space:  global
        .offset:         40
        .size:           8
        .value_kind:     global_buffer
      - .offset:         48
        .size:           4
        .value_kind:     by_value
      - .offset:         52
        .size:           4
        .value_kind:     by_value
      - .offset:         56
        .size:           4
        .value_kind:     by_value
      - .offset:         60
        .size:           1
        .value_kind:     by_value
      - .offset:         64
        .size:           8
        .value_kind:     by_value
      - .address_space:  global
        .offset:         72
        .size:           8
        .value_kind:     global_buffer
      - .address_space:  global
        .offset:         80
        .size:           8
        .value_kind:     global_buffer
      - .address_space:  global
        .offset:         88
        .size:           8
        .value_kind:     global_buffer
    .group_segment_fixed_size: 0
    .kernarg_segment_align: 8
    .kernarg_segment_size: 96
    .language:       OpenCL C
    .language_version:
      - 2
      - 0
    .max_flat_workgroup_size: 128
    .name:           _ZN4vllm3moe22topkGatingSoftplusSqrtILi16ELi512ELi4ELi16ELi32ELb0EifEEvPKT6_PKbPfiPT5_PiiiibdPKfPKS8_SE_
    .private_segment_fixed_size: 80
    .sgpr_count:     38
    .sgpr_spill_count: 0
    .symbol:         _ZN4vllm3moe22topkGatingSoftplusSqrtILi16ELi512ELi4ELi16ELi32ELb0EifEEvPKT6_PKbPfiPT5_PiiiibdPKfPKS8_SE_.kd
    .uniform_work_group_size: 1
    .uses_dynamic_stack: false
    .vgpr_count:     44
    .vgpr_spill_count: 0
    .wavefront_size: 64
  - .agpr_count:     0
    .args:
      - .address_space:  global
        .offset:         0
        .size:           8
        .value_kind:     global_buffer
      - .address_space:  global
        .offset:         8
        .size:           8
        .value_kind:     global_buffer
      - .address_space:  global
        .offset:         16
        .size:           8
        .value_kind:     global_buffer
      - .offset:         24
        .size:           4
        .value_kind:     by_value
      - .address_space:  global
        .offset:         32
        .size:           8
        .value_kind:     global_buffer
      - .address_space:  global
        .offset:         40
        .size:           8
        .value_kind:     global_buffer
      - .offset:         48
        .size:           4
        .value_kind:     by_value
      - .offset:         52
        .size:           4
        .value_kind:     by_value
      - .offset:         56
        .size:           4
        .value_kind:     by_value
      - .offset:         60
        .size:           1
        .value_kind:     by_value
      - .offset:         64
        .size:           8
        .value_kind:     by_value
      - .address_space:  global
        .offset:         72
        .size:           8
        .value_kind:     global_buffer
      - .address_space:  global
        .offset:         80
        .size:           8
        .value_kind:     global_buffer
      - .address_space:  global
        .offset:         88
        .size:           8
        .value_kind:     global_buffer
    .group_segment_fixed_size: 0
    .kernarg_segment_align: 8
    .kernarg_segment_size: 96
    .language:       OpenCL C
    .language_version:
      - 2
      - 0
    .max_flat_workgroup_size: 256
    .name:           _ZN4vllm3moe22topkGatingSoftplusSqrtILi3ELi192ELi4ELi4ELi64ELb1EifEEvPKT6_PKbPfiPT5_PiiiibdPKfPKS8_SE_
    .private_segment_fixed_size: 0
    .sgpr_count:     27
    .sgpr_spill_count: 0
    .symbol:         _ZN4vllm3moe22topkGatingSoftplusSqrtILi3ELi192ELi4ELi4ELi64ELb1EifEEvPKT6_PKbPfiPT5_PiiiibdPKfPKS8_SE_.kd
    .uniform_work_group_size: 1
    .uses_dynamic_stack: false
    .vgpr_count:     22
    .vgpr_spill_count: 0
    .wavefront_size: 64
  - .agpr_count:     0
    .args:
      - .address_space:  global
        .offset:         0
        .size:           8
        .value_kind:     global_buffer
      - .address_space:  global
        .offset:         8
        .size:           8
        .value_kind:     global_buffer
      - .address_space:  global
        .offset:         16
        .size:           8
        .value_kind:     global_buffer
      - .offset:         24
        .size:           4
        .value_kind:     by_value
      - .address_space:  global
        .offset:         32
        .size:           8
        .value_kind:     global_buffer
      - .address_space:  global
        .offset:         40
        .size:           8
        .value_kind:     global_buffer
      - .offset:         48
        .size:           4
        .value_kind:     by_value
      - .offset:         52
        .size:           4
        .value_kind:     by_value
      - .offset:         56
        .size:           4
        .value_kind:     by_value
      - .offset:         60
        .size:           1
        .value_kind:     by_value
      - .offset:         64
        .size:           8
        .value_kind:     by_value
      - .address_space:  global
        .offset:         72
        .size:           8
        .value_kind:     global_buffer
      - .address_space:  global
        .offset:         80
        .size:           8
        .value_kind:     global_buffer
      - .address_space:  global
        .offset:         88
        .size:           8
        .value_kind:     global_buffer
    .group_segment_fixed_size: 0
    .kernarg_segment_align: 8
    .kernarg_segment_size: 96
    .language:       OpenCL C
    .language_version:
      - 2
      - 0
    .max_flat_workgroup_size: 256
    .name:           _ZN4vllm3moe22topkGatingSoftplusSqrtILi3ELi192ELi4ELi4ELi64ELb0EifEEvPKT6_PKbPfiPT5_PiiiibdPKfPKS8_SE_
    .private_segment_fixed_size: 0
    .sgpr_count:     37
    .sgpr_spill_count: 0
    .symbol:         _ZN4vllm3moe22topkGatingSoftplusSqrtILi3ELi192ELi4ELi4ELi64ELb0EifEEvPKT6_PKbPfiPT5_PiiiibdPKfPKS8_SE_.kd
    .uniform_work_group_size: 1
    .uses_dynamic_stack: false
    .vgpr_count:     26
    .vgpr_spill_count: 0
    .wavefront_size: 64
  - .agpr_count:     0
    .args:
      - .address_space:  global
        .offset:         0
        .size:           8
        .value_kind:     global_buffer
      - .address_space:  global
        .offset:         8
        .size:           8
        .value_kind:     global_buffer
      - .address_space:  global
        .offset:         16
        .size:           8
        .value_kind:     global_buffer
      - .offset:         24
        .size:           4
        .value_kind:     by_value
      - .address_space:  global
        .offset:         32
        .size:           8
        .value_kind:     global_buffer
      - .address_space:  global
        .offset:         40
        .size:           8
        .value_kind:     global_buffer
      - .offset:         48
        .size:           4
        .value_kind:     by_value
      - .offset:         52
        .size:           4
        .value_kind:     by_value
      - .offset:         56
        .size:           4
        .value_kind:     by_value
      - .offset:         60
        .size:           1
        .value_kind:     by_value
      - .offset:         64
        .size:           8
        .value_kind:     by_value
      - .address_space:  global
        .offset:         72
        .size:           8
        .value_kind:     global_buffer
      - .address_space:  global
        .offset:         80
        .size:           8
        .value_kind:     global_buffer
      - .address_space:  global
        .offset:         88
        .size:           8
        .value_kind:     global_buffer
    .group_segment_fixed_size: 0
    .kernarg_segment_align: 8
    .kernarg_segment_size: 96
    .language:       OpenCL C
    .language_version:
      - 2
      - 0
    .max_flat_workgroup_size: 128
    .name:           _ZN4vllm3moe22topkGatingSoftplusSqrtILi6ELi192ELi4ELi4ELi32ELb1EifEEvPKT6_PKbPfiPT5_PiiiibdPKfPKS8_SE_
    .private_segment_fixed_size: 0
    .sgpr_count:     31
    .sgpr_spill_count: 0
    .symbol:         _ZN4vllm3moe22topkGatingSoftplusSqrtILi6ELi192ELi4ELi4ELi32ELb1EifEEvPKT6_PKbPfiPT5_PiiiibdPKfPKS8_SE_.kd
    .uniform_work_group_size: 1
    .uses_dynamic_stack: false
    .vgpr_count:     26
    .vgpr_spill_count: 0
    .wavefront_size: 64
  - .agpr_count:     0
    .args:
      - .address_space:  global
        .offset:         0
        .size:           8
        .value_kind:     global_buffer
      - .address_space:  global
        .offset:         8
        .size:           8
        .value_kind:     global_buffer
      - .address_space:  global
        .offset:         16
        .size:           8
        .value_kind:     global_buffer
      - .offset:         24
        .size:           4
        .value_kind:     by_value
      - .address_space:  global
        .offset:         32
        .size:           8
        .value_kind:     global_buffer
      - .address_space:  global
        .offset:         40
        .size:           8
        .value_kind:     global_buffer
      - .offset:         48
        .size:           4
        .value_kind:     by_value
      - .offset:         52
        .size:           4
        .value_kind:     by_value
      - .offset:         56
        .size:           4
        .value_kind:     by_value
      - .offset:         60
        .size:           1
        .value_kind:     by_value
      - .offset:         64
        .size:           8
        .value_kind:     by_value
      - .address_space:  global
        .offset:         72
        .size:           8
        .value_kind:     global_buffer
      - .address_space:  global
        .offset:         80
        .size:           8
        .value_kind:     global_buffer
      - .address_space:  global
        .offset:         88
        .size:           8
        .value_kind:     global_buffer
    .group_segment_fixed_size: 0
    .kernarg_segment_align: 8
    .kernarg_segment_size: 96
    .language:       OpenCL C
    .language_version:
      - 2
      - 0
    .max_flat_workgroup_size: 128
    .name:           _ZN4vllm3moe22topkGatingSoftplusSqrtILi6ELi192ELi4ELi4ELi32ELb0EifEEvPKT6_PKbPfiPT5_PiiiibdPKfPKS8_SE_
    .private_segment_fixed_size: 0
    .sgpr_count:     38
    .sgpr_spill_count: 0
    .symbol:         _ZN4vllm3moe22topkGatingSoftplusSqrtILi6ELi192ELi4ELi4ELi32ELb0EifEEvPKT6_PKbPfiPT5_PiiiibdPKfPKS8_SE_.kd
    .uniform_work_group_size: 1
    .uses_dynamic_stack: false
    .vgpr_count:     30
    .vgpr_spill_count: 0
    .wavefront_size: 64
  - .agpr_count:     0
    .args:
      - .address_space:  global
        .offset:         0
        .size:           8
        .value_kind:     global_buffer
      - .address_space:  global
        .offset:         8
        .size:           8
        .value_kind:     global_buffer
      - .address_space:  global
        .offset:         16
        .size:           8
        .value_kind:     global_buffer
      - .offset:         24
        .size:           4
        .value_kind:     by_value
      - .address_space:  global
        .offset:         32
        .size:           8
        .value_kind:     global_buffer
      - .address_space:  global
        .offset:         40
        .size:           8
        .value_kind:     global_buffer
      - .offset:         48
        .size:           4
        .value_kind:     by_value
      - .offset:         52
        .size:           4
        .value_kind:     by_value
      - .offset:         56
        .size:           4
        .value_kind:     by_value
      - .offset:         60
        .size:           1
        .value_kind:     by_value
      - .offset:         64
        .size:           8
        .value_kind:     by_value
      - .address_space:  global
        .offset:         72
        .size:           8
        .value_kind:     global_buffer
      - .address_space:  global
        .offset:         80
        .size:           8
        .value_kind:     global_buffer
      - .address_space:  global
        .offset:         88
        .size:           8
        .value_kind:     global_buffer
    .group_segment_fixed_size: 0
    .kernarg_segment_align: 8
    .kernarg_segment_size: 96
    .language:       OpenCL C
    .language_version:
      - 2
      - 0
    .max_flat_workgroup_size: 256
    .name:           _ZN4vllm3moe22topkGatingSoftplusSqrtILi5ELi320ELi4ELi4ELi64ELb1EifEEvPKT6_PKbPfiPT5_PiiiibdPKfPKS8_SE_
    .private_segment_fixed_size: 0
    .sgpr_count:     27
    .sgpr_spill_count: 0
    .symbol:         _ZN4vllm3moe22topkGatingSoftplusSqrtILi5ELi320ELi4ELi4ELi64ELb1EifEEvPKT6_PKbPfiPT5_PiiiibdPKfPKS8_SE_.kd
    .uniform_work_group_size: 1
    .uses_dynamic_stack: false
    .vgpr_count:     26
    .vgpr_spill_count: 0
    .wavefront_size: 64
  - .agpr_count:     0
    .args:
      - .address_space:  global
        .offset:         0
        .size:           8
        .value_kind:     global_buffer
      - .address_space:  global
        .offset:         8
        .size:           8
        .value_kind:     global_buffer
      - .address_space:  global
        .offset:         16
        .size:           8
        .value_kind:     global_buffer
      - .offset:         24
        .size:           4
        .value_kind:     by_value
      - .address_space:  global
        .offset:         32
        .size:           8
        .value_kind:     global_buffer
      - .address_space:  global
        .offset:         40
        .size:           8
        .value_kind:     global_buffer
      - .offset:         48
        .size:           4
        .value_kind:     by_value
      - .offset:         52
        .size:           4
        .value_kind:     by_value
      - .offset:         56
        .size:           4
        .value_kind:     by_value
      - .offset:         60
        .size:           1
        .value_kind:     by_value
      - .offset:         64
        .size:           8
        .value_kind:     by_value
      - .address_space:  global
        .offset:         72
        .size:           8
        .value_kind:     global_buffer
      - .address_space:  global
        .offset:         80
        .size:           8
        .value_kind:     global_buffer
      - .address_space:  global
        .offset:         88
        .size:           8
        .value_kind:     global_buffer
    .group_segment_fixed_size: 0
    .kernarg_segment_align: 8
    .kernarg_segment_size: 96
    .language:       OpenCL C
    .language_version:
      - 2
      - 0
    .max_flat_workgroup_size: 256
    .name:           _ZN4vllm3moe22topkGatingSoftplusSqrtILi5ELi320ELi4ELi4ELi64ELb0EifEEvPKT6_PKbPfiPT5_PiiiibdPKfPKS8_SE_
    .private_segment_fixed_size: 0
    .sgpr_count:     37
    .sgpr_spill_count: 0
    .symbol:         _ZN4vllm3moe22topkGatingSoftplusSqrtILi5ELi320ELi4ELi4ELi64ELb0EifEEvPKT6_PKbPfiPT5_PiiiibdPKfPKS8_SE_.kd
    .uniform_work_group_size: 1
    .uses_dynamic_stack: false
    .vgpr_count:     30
    .vgpr_spill_count: 0
    .wavefront_size: 64
  - .agpr_count:     0
    .args:
      - .address_space:  global
        .offset:         0
        .size:           8
        .value_kind:     global_buffer
      - .address_space:  global
        .offset:         8
        .size:           8
        .value_kind:     global_buffer
      - .address_space:  global
        .offset:         16
        .size:           8
        .value_kind:     global_buffer
      - .offset:         24
        .size:           4
        .value_kind:     by_value
      - .address_space:  global
        .offset:         32
        .size:           8
        .value_kind:     global_buffer
      - .address_space:  global
        .offset:         40
        .size:           8
        .value_kind:     global_buffer
      - .offset:         48
        .size:           4
        .value_kind:     by_value
      - .offset:         52
        .size:           4
        .value_kind:     by_value
      - .offset:         56
        .size:           4
        .value_kind:     by_value
      - .offset:         60
        .size:           1
        .value_kind:     by_value
      - .offset:         64
        .size:           8
        .value_kind:     by_value
      - .address_space:  global
        .offset:         72
        .size:           8
        .value_kind:     global_buffer
      - .address_space:  global
        .offset:         80
        .size:           8
        .value_kind:     global_buffer
      - .address_space:  global
        .offset:         88
        .size:           8
        .value_kind:     global_buffer
    .group_segment_fixed_size: 0
    .kernarg_segment_align: 8
    .kernarg_segment_size: 96
    .language:       OpenCL C
    .language_version:
      - 2
      - 0
    .max_flat_workgroup_size: 128
    .name:           _ZN4vllm3moe22topkGatingSoftplusSqrtILi10ELi320ELi4ELi4ELi32ELb1EifEEvPKT6_PKbPfiPT5_PiiiibdPKfPKS8_SE_
    .private_segment_fixed_size: 0
    .sgpr_count:     48
    .sgpr_spill_count: 0
    .symbol:         _ZN4vllm3moe22topkGatingSoftplusSqrtILi10ELi320ELi4ELi4ELi32ELb1EifEEvPKT6_PKbPfiPT5_PiiiibdPKfPKS8_SE_.kd
    .uniform_work_group_size: 1
    .uses_dynamic_stack: false
    .vgpr_count:     34
    .vgpr_spill_count: 0
    .wavefront_size: 64
  - .agpr_count:     0
    .args:
      - .address_space:  global
        .offset:         0
        .size:           8
        .value_kind:     global_buffer
      - .address_space:  global
        .offset:         8
        .size:           8
        .value_kind:     global_buffer
      - .address_space:  global
        .offset:         16
        .size:           8
        .value_kind:     global_buffer
      - .offset:         24
        .size:           4
        .value_kind:     by_value
      - .address_space:  global
        .offset:         32
        .size:           8
        .value_kind:     global_buffer
      - .address_space:  global
        .offset:         40
        .size:           8
        .value_kind:     global_buffer
      - .offset:         48
        .size:           4
        .value_kind:     by_value
      - .offset:         52
        .size:           4
        .value_kind:     by_value
      - .offset:         56
        .size:           4
        .value_kind:     by_value
      - .offset:         60
        .size:           1
        .value_kind:     by_value
      - .offset:         64
        .size:           8
        .value_kind:     by_value
      - .address_space:  global
        .offset:         72
        .size:           8
        .value_kind:     global_buffer
      - .address_space:  global
        .offset:         80
        .size:           8
        .value_kind:     global_buffer
      - .address_space:  global
        .offset:         88
        .size:           8
        .value_kind:     global_buffer
    .group_segment_fixed_size: 0
    .kernarg_segment_align: 8
    .kernarg_segment_size: 96
    .language:       OpenCL C
    .language_version:
      - 2
      - 0
    .max_flat_workgroup_size: 128
    .name:           _ZN4vllm3moe22topkGatingSoftplusSqrtILi10ELi320ELi4ELi4ELi32ELb0EifEEvPKT6_PKbPfiPT5_PiiiibdPKfPKS8_SE_
    .private_segment_fixed_size: 0
    .sgpr_count:     38
    .sgpr_spill_count: 0
    .symbol:         _ZN4vllm3moe22topkGatingSoftplusSqrtILi10ELi320ELi4ELi4ELi32ELb0EifEEvPKT6_PKbPfiPT5_PiiiibdPKfPKS8_SE_.kd
    .uniform_work_group_size: 1
    .uses_dynamic_stack: false
    .vgpr_count:     38
    .vgpr_spill_count: 0
    .wavefront_size: 64
  - .agpr_count:     0
    .args:
      - .address_space:  global
        .offset:         0
        .size:           8
        .value_kind:     global_buffer
      - .address_space:  global
        .offset:         8
        .size:           8
        .value_kind:     global_buffer
      - .address_space:  global
        .offset:         16
        .size:           8
        .value_kind:     global_buffer
      - .offset:         24
        .size:           4
        .value_kind:     by_value
      - .address_space:  global
        .offset:         32
        .size:           8
        .value_kind:     global_buffer
      - .address_space:  global
        .offset:         40
        .size:           8
        .value_kind:     global_buffer
      - .offset:         48
        .size:           4
        .value_kind:     by_value
      - .offset:         52
        .size:           4
        .value_kind:     by_value
      - .offset:         56
        .size:           4
        .value_kind:     by_value
      - .offset:         60
        .size:           1
        .value_kind:     by_value
      - .offset:         64
        .size:           8
        .value_kind:     by_value
      - .address_space:  global
        .offset:         72
        .size:           8
        .value_kind:     global_buffer
      - .address_space:  global
        .offset:         80
        .size:           8
        .value_kind:     global_buffer
      - .address_space:  global
        .offset:         88
        .size:           8
        .value_kind:     global_buffer
    .group_segment_fixed_size: 0
    .kernarg_segment_align: 8
    .kernarg_segment_size: 96
    .language:       OpenCL C
    .language_version:
      - 2
      - 0
    .max_flat_workgroup_size: 256
    .name:           _ZN4vllm3moe22topkGatingSoftplusSqrtILi6ELi384ELi4ELi8ELi64ELb1EifEEvPKT6_PKbPfiPT5_PiiiibdPKfPKS8_SE_
    .private_segment_fixed_size: 32
    .sgpr_count:     31
    .sgpr_spill_count: 0
    .symbol:         _ZN4vllm3moe22topkGatingSoftplusSqrtILi6ELi384ELi4ELi8ELi64ELb1EifEEvPKT6_PKbPfiPT5_PiiiibdPKfPKS8_SE_.kd
    .uniform_work_group_size: 1
    .uses_dynamic_stack: false
    .vgpr_count:     27
    .vgpr_spill_count: 0
    .wavefront_size: 64
  - .agpr_count:     0
    .args:
      - .address_space:  global
        .offset:         0
        .size:           8
        .value_kind:     global_buffer
      - .address_space:  global
        .offset:         8
        .size:           8
        .value_kind:     global_buffer
      - .address_space:  global
        .offset:         16
        .size:           8
        .value_kind:     global_buffer
      - .offset:         24
        .size:           4
        .value_kind:     by_value
      - .address_space:  global
        .offset:         32
        .size:           8
        .value_kind:     global_buffer
      - .address_space:  global
        .offset:         40
        .size:           8
        .value_kind:     global_buffer
      - .offset:         48
        .size:           4
        .value_kind:     by_value
      - .offset:         52
        .size:           4
        .value_kind:     by_value
      - .offset:         56
        .size:           4
        .value_kind:     by_value
      - .offset:         60
        .size:           1
        .value_kind:     by_value
      - .offset:         64
        .size:           8
        .value_kind:     by_value
      - .address_space:  global
        .offset:         72
        .size:           8
        .value_kind:     global_buffer
      - .address_space:  global
        .offset:         80
        .size:           8
        .value_kind:     global_buffer
      - .address_space:  global
        .offset:         88
        .size:           8
        .value_kind:     global_buffer
    .group_segment_fixed_size: 0
    .kernarg_segment_align: 8
    .kernarg_segment_size: 96
    .language:       OpenCL C
    .language_version:
      - 2
      - 0
    .max_flat_workgroup_size: 256
    .name:           _ZN4vllm3moe22topkGatingSoftplusSqrtILi6ELi384ELi4ELi8ELi64ELb0EifEEvPKT6_PKbPfiPT5_PiiiibdPKfPKS8_SE_
    .private_segment_fixed_size: 0
    .sgpr_count:     38
    .sgpr_spill_count: 0
    .symbol:         _ZN4vllm3moe22topkGatingSoftplusSqrtILi6ELi384ELi4ELi8ELi64ELb0EifEEvPKT6_PKbPfiPT5_PiiiibdPKfPKS8_SE_.kd
    .uniform_work_group_size: 1
    .uses_dynamic_stack: false
    .vgpr_count:     32
    .vgpr_spill_count: 0
    .wavefront_size: 64
  - .agpr_count:     0
    .args:
      - .address_space:  global
        .offset:         0
        .size:           8
        .value_kind:     global_buffer
      - .address_space:  global
        .offset:         8
        .size:           8
        .value_kind:     global_buffer
      - .address_space:  global
        .offset:         16
        .size:           8
        .value_kind:     global_buffer
      - .offset:         24
        .size:           4
        .value_kind:     by_value
      - .address_space:  global
        .offset:         32
        .size:           8
        .value_kind:     global_buffer
      - .address_space:  global
        .offset:         40
        .size:           8
        .value_kind:     global_buffer
      - .offset:         48
        .size:           4
        .value_kind:     by_value
      - .offset:         52
        .size:           4
        .value_kind:     by_value
      - .offset:         56
        .size:           4
        .value_kind:     by_value
      - .offset:         60
        .size:           1
        .value_kind:     by_value
      - .offset:         64
        .size:           8
        .value_kind:     by_value
      - .address_space:  global
        .offset:         72
        .size:           8
        .value_kind:     global_buffer
      - .address_space:  global
        .offset:         80
        .size:           8
        .value_kind:     global_buffer
      - .address_space:  global
        .offset:         88
        .size:           8
        .value_kind:     global_buffer
    .group_segment_fixed_size: 0
    .kernarg_segment_align: 8
    .kernarg_segment_size: 96
    .language:       OpenCL C
    .language_version:
      - 2
      - 0
    .max_flat_workgroup_size: 128
    .name:           _ZN4vllm3moe22topkGatingSoftplusSqrtILi12ELi384ELi4ELi8ELi32ELb1EifEEvPKT6_PKbPfiPT5_PiiiibdPKfPKS8_SE_
    .private_segment_fixed_size: 64
    .sgpr_count:     54
    .sgpr_spill_count: 0
    .symbol:         _ZN4vllm3moe22topkGatingSoftplusSqrtILi12ELi384ELi4ELi8ELi32ELb1EifEEvPKT6_PKbPfiPT5_PiiiibdPKfPKS8_SE_.kd
    .uniform_work_group_size: 1
    .uses_dynamic_stack: false
    .vgpr_count:     33
    .vgpr_spill_count: 0
    .wavefront_size: 64
  - .agpr_count:     0
    .args:
      - .address_space:  global
        .offset:         0
        .size:           8
        .value_kind:     global_buffer
      - .address_space:  global
        .offset:         8
        .size:           8
        .value_kind:     global_buffer
      - .address_space:  global
        .offset:         16
        .size:           8
        .value_kind:     global_buffer
      - .offset:         24
        .size:           4
        .value_kind:     by_value
      - .address_space:  global
        .offset:         32
        .size:           8
        .value_kind:     global_buffer
      - .address_space:  global
        .offset:         40
        .size:           8
        .value_kind:     global_buffer
      - .offset:         48
        .size:           4
        .value_kind:     by_value
      - .offset:         52
        .size:           4
        .value_kind:     by_value
      - .offset:         56
        .size:           4
        .value_kind:     by_value
      - .offset:         60
        .size:           1
        .value_kind:     by_value
      - .offset:         64
        .size:           8
        .value_kind:     by_value
      - .address_space:  global
        .offset:         72
        .size:           8
        .value_kind:     global_buffer
      - .address_space:  global
        .offset:         80
        .size:           8
        .value_kind:     global_buffer
      - .address_space:  global
        .offset:         88
        .size:           8
        .value_kind:     global_buffer
    .group_segment_fixed_size: 0
    .kernarg_segment_align: 8
    .kernarg_segment_size: 96
    .language:       OpenCL C
    .language_version:
      - 2
      - 0
    .max_flat_workgroup_size: 128
    .name:           _ZN4vllm3moe22topkGatingSoftplusSqrtILi12ELi384ELi4ELi8ELi32ELb0EifEEvPKT6_PKbPfiPT5_PiiiibdPKfPKS8_SE_
    .private_segment_fixed_size: 0
    .sgpr_count:     57
    .sgpr_spill_count: 0
    .symbol:         _ZN4vllm3moe22topkGatingSoftplusSqrtILi12ELi384ELi4ELi8ELi32ELb0EifEEvPKT6_PKbPfiPT5_PiiiibdPKfPKS8_SE_.kd
    .uniform_work_group_size: 1
    .uses_dynamic_stack: false
    .vgpr_count:     42
    .vgpr_spill_count: 0
    .wavefront_size: 64
  - .agpr_count:     0
    .args:
      - .address_space:  global
        .offset:         0
        .size:           8
        .value_kind:     global_buffer
      - .address_space:  global
        .offset:         8
        .size:           8
        .value_kind:     global_buffer
      - .address_space:  global
        .offset:         16
        .size:           8
        .value_kind:     global_buffer
      - .offset:         24
        .size:           4
        .value_kind:     by_value
      - .address_space:  global
        .offset:         32
        .size:           8
        .value_kind:     global_buffer
      - .address_space:  global
        .offset:         40
        .size:           8
        .value_kind:     global_buffer
      - .offset:         48
        .size:           4
        .value_kind:     by_value
      - .offset:         52
        .size:           4
        .value_kind:     by_value
      - .offset:         56
        .size:           4
        .value_kind:     by_value
      - .offset:         60
        .size:           1
        .value_kind:     by_value
      - .offset:         64
        .size:           8
        .value_kind:     by_value
      - .address_space:  global
        .offset:         72
        .size:           8
        .value_kind:     global_buffer
      - .address_space:  global
        .offset:         80
        .size:           8
        .value_kind:     global_buffer
      - .address_space:  global
        .offset:         88
        .size:           8
        .value_kind:     global_buffer
    .group_segment_fixed_size: 0
    .kernarg_segment_align: 8
    .kernarg_segment_size: 96
    .language:       OpenCL C
    .language_version:
      - 2
      - 0
    .max_flat_workgroup_size: 256
    .name:           _ZN4vllm3moe22topkGatingSoftplusSqrtILi7ELi448ELi4ELi4ELi64ELb1EifEEvPKT6_PKbPfiPT5_PiiiibdPKfPKS8_SE_
    .private_segment_fixed_size: 0
    .sgpr_count:     35
    .sgpr_spill_count: 0
    .symbol:         _ZN4vllm3moe22topkGatingSoftplusSqrtILi7ELi448ELi4ELi4ELi64ELb1EifEEvPKT6_PKbPfiPT5_PiiiibdPKfPKS8_SE_.kd
    .uniform_work_group_size: 1
    .uses_dynamic_stack: false
    .vgpr_count:     28
    .vgpr_spill_count: 0
    .wavefront_size: 64
  - .agpr_count:     0
    .args:
      - .address_space:  global
        .offset:         0
        .size:           8
        .value_kind:     global_buffer
      - .address_space:  global
        .offset:         8
        .size:           8
        .value_kind:     global_buffer
      - .address_space:  global
        .offset:         16
        .size:           8
        .value_kind:     global_buffer
      - .offset:         24
        .size:           4
        .value_kind:     by_value
      - .address_space:  global
        .offset:         32
        .size:           8
        .value_kind:     global_buffer
      - .address_space:  global
        .offset:         40
        .size:           8
        .value_kind:     global_buffer
      - .offset:         48
        .size:           4
        .value_kind:     by_value
      - .offset:         52
        .size:           4
        .value_kind:     by_value
      - .offset:         56
        .size:           4
        .value_kind:     by_value
      - .offset:         60
        .size:           1
        .value_kind:     by_value
      - .offset:         64
        .size:           8
        .value_kind:     by_value
      - .address_space:  global
        .offset:         72
        .size:           8
        .value_kind:     global_buffer
      - .address_space:  global
        .offset:         80
        .size:           8
        .value_kind:     global_buffer
      - .address_space:  global
        .offset:         88
        .size:           8
        .value_kind:     global_buffer
    .group_segment_fixed_size: 0
    .kernarg_segment_align: 8
    .kernarg_segment_size: 96
    .language:       OpenCL C
    .language_version:
      - 2
      - 0
    .max_flat_workgroup_size: 256
    .name:           _ZN4vllm3moe22topkGatingSoftplusSqrtILi7ELi448ELi4ELi4ELi64ELb0EifEEvPKT6_PKbPfiPT5_PiiiibdPKfPKS8_SE_
    .private_segment_fixed_size: 0
    .sgpr_count:     37
    .sgpr_spill_count: 0
    .symbol:         _ZN4vllm3moe22topkGatingSoftplusSqrtILi7ELi448ELi4ELi4ELi64ELb0EifEEvPKT6_PKbPfiPT5_PiiiibdPKfPKS8_SE_.kd
    .uniform_work_group_size: 1
    .uses_dynamic_stack: false
    .vgpr_count:     34
    .vgpr_spill_count: 0
    .wavefront_size: 64
  - .agpr_count:     0
    .args:
      - .address_space:  global
        .offset:         0
        .size:           8
        .value_kind:     global_buffer
      - .address_space:  global
        .offset:         8
        .size:           8
        .value_kind:     global_buffer
      - .address_space:  global
        .offset:         16
        .size:           8
        .value_kind:     global_buffer
      - .offset:         24
        .size:           4
        .value_kind:     by_value
      - .address_space:  global
        .offset:         32
        .size:           8
        .value_kind:     global_buffer
      - .address_space:  global
        .offset:         40
        .size:           8
        .value_kind:     global_buffer
      - .offset:         48
        .size:           4
        .value_kind:     by_value
      - .offset:         52
        .size:           4
        .value_kind:     by_value
      - .offset:         56
        .size:           4
        .value_kind:     by_value
      - .offset:         60
        .size:           1
        .value_kind:     by_value
      - .offset:         64
        .size:           8
        .value_kind:     by_value
      - .address_space:  global
        .offset:         72
        .size:           8
        .value_kind:     global_buffer
      - .address_space:  global
        .offset:         80
        .size:           8
        .value_kind:     global_buffer
      - .address_space:  global
        .offset:         88
        .size:           8
        .value_kind:     global_buffer
    .group_segment_fixed_size: 0
    .kernarg_segment_align: 8
    .kernarg_segment_size: 96
    .language:       OpenCL C
    .language_version:
      - 2
      - 0
    .max_flat_workgroup_size: 128
    .name:           _ZN4vllm3moe22topkGatingSoftplusSqrtILi14ELi448ELi4ELi4ELi32ELb1EifEEvPKT6_PKbPfiPT5_PiiiibdPKfPKS8_SE_
    .private_segment_fixed_size: 0
    .sgpr_count:     62
    .sgpr_spill_count: 0
    .symbol:         _ZN4vllm3moe22topkGatingSoftplusSqrtILi14ELi448ELi4ELi4ELi32ELb1EifEEvPKT6_PKbPfiPT5_PiiiibdPKfPKS8_SE_.kd
    .uniform_work_group_size: 1
    .uses_dynamic_stack: false
    .vgpr_count:     37
    .vgpr_spill_count: 0
    .wavefront_size: 64
  - .agpr_count:     0
    .args:
      - .address_space:  global
        .offset:         0
        .size:           8
        .value_kind:     global_buffer
      - .address_space:  global
        .offset:         8
        .size:           8
        .value_kind:     global_buffer
      - .address_space:  global
        .offset:         16
        .size:           8
        .value_kind:     global_buffer
      - .offset:         24
        .size:           4
        .value_kind:     by_value
      - .address_space:  global
        .offset:         32
        .size:           8
        .value_kind:     global_buffer
      - .address_space:  global
        .offset:         40
        .size:           8
        .value_kind:     global_buffer
      - .offset:         48
        .size:           4
        .value_kind:     by_value
      - .offset:         52
        .size:           4
        .value_kind:     by_value
      - .offset:         56
        .size:           4
        .value_kind:     by_value
      - .offset:         60
        .size:           1
        .value_kind:     by_value
      - .offset:         64
        .size:           8
        .value_kind:     by_value
      - .address_space:  global
        .offset:         72
        .size:           8
        .value_kind:     global_buffer
      - .address_space:  global
        .offset:         80
        .size:           8
        .value_kind:     global_buffer
      - .address_space:  global
        .offset:         88
        .size:           8
        .value_kind:     global_buffer
    .group_segment_fixed_size: 0
    .kernarg_segment_align: 8
    .kernarg_segment_size: 96
    .language:       OpenCL C
    .language_version:
      - 2
      - 0
    .max_flat_workgroup_size: 128
    .name:           _ZN4vllm3moe22topkGatingSoftplusSqrtILi14ELi448ELi4ELi4ELi32ELb0EifEEvPKT6_PKbPfiPT5_PiiiibdPKfPKS8_SE_
    .private_segment_fixed_size: 0
    .sgpr_count:     38
    .sgpr_spill_count: 0
    .symbol:         _ZN4vllm3moe22topkGatingSoftplusSqrtILi14ELi448ELi4ELi4ELi32ELb0EifEEvPKT6_PKbPfiPT5_PiiiibdPKfPKS8_SE_.kd
    .uniform_work_group_size: 1
    .uses_dynamic_stack: false
    .vgpr_count:     46
    .vgpr_spill_count: 0
    .wavefront_size: 64
  - .agpr_count:     0
    .args:
      - .address_space:  global
        .offset:         0
        .size:           8
        .value_kind:     global_buffer
      - .address_space:  global
        .offset:         8
        .size:           8
        .value_kind:     global_buffer
      - .address_space:  global
        .offset:         16
        .size:           8
        .value_kind:     global_buffer
      - .offset:         24
        .size:           4
        .value_kind:     by_value
      - .address_space:  global
        .offset:         32
        .size:           8
        .value_kind:     global_buffer
      - .address_space:  global
        .offset:         40
        .size:           8
        .value_kind:     global_buffer
      - .offset:         48
        .size:           4
        .value_kind:     by_value
      - .offset:         52
        .size:           4
        .value_kind:     by_value
      - .offset:         56
        .size:           4
        .value_kind:     by_value
      - .offset:         60
        .size:           1
        .value_kind:     by_value
      - .offset:         64
        .size:           8
        .value_kind:     by_value
      - .address_space:  global
        .offset:         72
        .size:           8
        .value_kind:     global_buffer
      - .address_space:  global
        .offset:         80
        .size:           8
        .value_kind:     global_buffer
      - .address_space:  global
        .offset:         88
        .size:           8
        .value_kind:     global_buffer
    .group_segment_fixed_size: 0
    .kernarg_segment_align: 8
    .kernarg_segment_size: 96
    .language:       OpenCL C
    .language_version:
      - 2
      - 0
    .max_flat_workgroup_size: 256
    .name:           _ZN4vllm3moe22topkGatingSoftplusSqrtILi9ELi576ELi4ELi4ELi64ELb1EifEEvPKT6_PKbPfiPT5_PiiiibdPKfPKS8_SE_
    .private_segment_fixed_size: 0
    .sgpr_count:     44
    .sgpr_spill_count: 0
    .symbol:         _ZN4vllm3moe22topkGatingSoftplusSqrtILi9ELi576ELi4ELi4ELi64ELb1EifEEvPKT6_PKbPfiPT5_PiiiibdPKfPKS8_SE_.kd
    .uniform_work_group_size: 1
    .uses_dynamic_stack: false
    .vgpr_count:     32
    .vgpr_spill_count: 0
    .wavefront_size: 64
  - .agpr_count:     0
    .args:
      - .address_space:  global
        .offset:         0
        .size:           8
        .value_kind:     global_buffer
      - .address_space:  global
        .offset:         8
        .size:           8
        .value_kind:     global_buffer
      - .address_space:  global
        .offset:         16
        .size:           8
        .value_kind:     global_buffer
      - .offset:         24
        .size:           4
        .value_kind:     by_value
      - .address_space:  global
        .offset:         32
        .size:           8
        .value_kind:     global_buffer
      - .address_space:  global
        .offset:         40
        .size:           8
        .value_kind:     global_buffer
      - .offset:         48
        .size:           4
        .value_kind:     by_value
      - .offset:         52
        .size:           4
        .value_kind:     by_value
      - .offset:         56
        .size:           4
        .value_kind:     by_value
      - .offset:         60
        .size:           1
        .value_kind:     by_value
      - .offset:         64
        .size:           8
        .value_kind:     by_value
      - .address_space:  global
        .offset:         72
        .size:           8
        .value_kind:     global_buffer
      - .address_space:  global
        .offset:         80
        .size:           8
        .value_kind:     global_buffer
      - .address_space:  global
        .offset:         88
        .size:           8
        .value_kind:     global_buffer
    .group_segment_fixed_size: 0
    .kernarg_segment_align: 8
    .kernarg_segment_size: 96
    .language:       OpenCL C
    .language_version:
      - 2
      - 0
    .max_flat_workgroup_size: 256
    .name:           _ZN4vllm3moe22topkGatingSoftplusSqrtILi9ELi576ELi4ELi4ELi64ELb0EifEEvPKT6_PKbPfiPT5_PiiiibdPKfPKS8_SE_
    .private_segment_fixed_size: 0
    .sgpr_count:     37
    .sgpr_spill_count: 0
    .symbol:         _ZN4vllm3moe22topkGatingSoftplusSqrtILi9ELi576ELi4ELi4ELi64ELb0EifEEvPKT6_PKbPfiPT5_PiiiibdPKfPKS8_SE_.kd
    .uniform_work_group_size: 1
    .uses_dynamic_stack: false
    .vgpr_count:     38
    .vgpr_spill_count: 0
    .wavefront_size: 64
  - .agpr_count:     0
    .args:
      - .address_space:  global
        .offset:         0
        .size:           8
        .value_kind:     global_buffer
      - .address_space:  global
        .offset:         8
        .size:           8
        .value_kind:     global_buffer
      - .address_space:  global
        .offset:         16
        .size:           8
        .value_kind:     global_buffer
      - .offset:         24
        .size:           4
        .value_kind:     by_value
      - .address_space:  global
        .offset:         32
        .size:           8
        .value_kind:     global_buffer
      - .address_space:  global
        .offset:         40
        .size:           8
        .value_kind:     global_buffer
      - .offset:         48
        .size:           4
        .value_kind:     by_value
      - .offset:         52
        .size:           4
        .value_kind:     by_value
      - .offset:         56
        .size:           4
        .value_kind:     by_value
      - .offset:         60
        .size:           1
        .value_kind:     by_value
      - .offset:         64
        .size:           8
        .value_kind:     by_value
      - .address_space:  global
        .offset:         72
        .size:           8
        .value_kind:     global_buffer
      - .address_space:  global
        .offset:         80
        .size:           8
        .value_kind:     global_buffer
      - .address_space:  global
        .offset:         88
        .size:           8
        .value_kind:     global_buffer
    .group_segment_fixed_size: 0
    .kernarg_segment_align: 8
    .kernarg_segment_size: 96
    .language:       OpenCL C
    .language_version:
      - 2
      - 0
    .max_flat_workgroup_size: 128
    .name:           _ZN4vllm3moe22topkGatingSoftplusSqrtILi18ELi576ELi4ELi4ELi32ELb1EifEEvPKT6_PKbPfiPT5_PiiiibdPKfPKS8_SE_
    .private_segment_fixed_size: 80
    .sgpr_count:     78
    .sgpr_spill_count: 0
    .symbol:         _ZN4vllm3moe22topkGatingSoftplusSqrtILi18ELi576ELi4ELi4ELi32ELb1EifEEvPKT6_PKbPfiPT5_PiiiibdPKfPKS8_SE_.kd
    .uniform_work_group_size: 1
    .uses_dynamic_stack: false
    .vgpr_count:     43
    .vgpr_spill_count: 0
    .wavefront_size: 64
  - .agpr_count:     0
    .args:
      - .address_space:  global
        .offset:         0
        .size:           8
        .value_kind:     global_buffer
      - .address_space:  global
        .offset:         8
        .size:           8
        .value_kind:     global_buffer
      - .address_space:  global
        .offset:         16
        .size:           8
        .value_kind:     global_buffer
      - .offset:         24
        .size:           4
        .value_kind:     by_value
      - .address_space:  global
        .offset:         32
        .size:           8
        .value_kind:     global_buffer
      - .address_space:  global
        .offset:         40
        .size:           8
        .value_kind:     global_buffer
      - .offset:         48
        .size:           4
        .value_kind:     by_value
      - .offset:         52
        .size:           4
        .value_kind:     by_value
      - .offset:         56
        .size:           4
        .value_kind:     by_value
      - .offset:         60
        .size:           1
        .value_kind:     by_value
      - .offset:         64
        .size:           8
        .value_kind:     by_value
      - .address_space:  global
        .offset:         72
        .size:           8
        .value_kind:     global_buffer
      - .address_space:  global
        .offset:         80
        .size:           8
        .value_kind:     global_buffer
      - .address_space:  global
        .offset:         88
        .size:           8
        .value_kind:     global_buffer
    .group_segment_fixed_size: 0
    .kernarg_segment_align: 8
    .kernarg_segment_size: 96
    .language:       OpenCL C
    .language_version:
      - 2
      - 0
    .max_flat_workgroup_size: 128
    .name:           _ZN4vllm3moe22topkGatingSoftplusSqrtILi18ELi576ELi4ELi4ELi32ELb0EifEEvPKT6_PKbPfiPT5_PiiiibdPKfPKS8_SE_
    .private_segment_fixed_size: 80
    .sgpr_count:     38
    .sgpr_spill_count: 0
    .symbol:         _ZN4vllm3moe22topkGatingSoftplusSqrtILi18ELi576ELi4ELi4ELi32ELb0EifEEvPKT6_PKbPfiPT5_PiiiibdPKfPKS8_SE_.kd
    .uniform_work_group_size: 1
    .uses_dynamic_stack: false
    .vgpr_count:     49
    .vgpr_spill_count: 0
    .wavefront_size: 64
  - .agpr_count:     0
    .args:
      - .address_space:  global
        .offset:         0
        .size:           8
        .value_kind:     global_buffer
      - .address_space:  global
        .offset:         8
        .size:           8
        .value_kind:     global_buffer
      - .address_space:  global
        .offset:         16
        .size:           8
        .value_kind:     global_buffer
      - .offset:         24
        .size:           4
        .value_kind:     by_value
      - .address_space:  global
        .offset:         32
        .size:           8
        .value_kind:     global_buffer
      - .address_space:  global
        .offset:         40
        .size:           8
        .value_kind:     global_buffer
      - .offset:         48
        .size:           4
        .value_kind:     by_value
      - .offset:         52
        .size:           4
        .value_kind:     by_value
      - .offset:         56
        .size:           4
        .value_kind:     by_value
      - .offset:         60
        .size:           1
        .value_kind:     by_value
      - .offset:         64
        .size:           8
        .value_kind:     by_value
      - .address_space:  global
        .offset:         72
        .size:           8
        .value_kind:     global_buffer
      - .address_space:  global
        .offset:         80
        .size:           8
        .value_kind:     global_buffer
      - .address_space:  global
        .offset:         88
        .size:           8
        .value_kind:     global_buffer
    .group_segment_fixed_size: 0
    .kernarg_segment_align: 8
    .kernarg_segment_size: 96
    .language:       OpenCL C
    .language_version:
      - 2
      - 0
    .max_flat_workgroup_size: 256
    .name:           _ZN4vllm3moe22topkGatingSoftplusSqrtILi1ELi1ELi4ELi4ELi64ELb1EjfEEvPKT6_PKbPfiPT5_PiiiibdPKfPKS8_SE_
    .private_segment_fixed_size: 0
    .sgpr_count:     21
    .sgpr_spill_count: 0
    .symbol:         _ZN4vllm3moe22topkGatingSoftplusSqrtILi1ELi1ELi4ELi4ELi64ELb1EjfEEvPKT6_PKbPfiPT5_PiiiibdPKfPKS8_SE_.kd
    .uniform_work_group_size: 1
    .uses_dynamic_stack: false
    .vgpr_count:     14
    .vgpr_spill_count: 0
    .wavefront_size: 64
  - .agpr_count:     0
    .args:
      - .address_space:  global
        .offset:         0
        .size:           8
        .value_kind:     global_buffer
      - .address_space:  global
        .offset:         8
        .size:           8
        .value_kind:     global_buffer
      - .address_space:  global
        .offset:         16
        .size:           8
        .value_kind:     global_buffer
      - .offset:         24
        .size:           4
        .value_kind:     by_value
      - .address_space:  global
        .offset:         32
        .size:           8
        .value_kind:     global_buffer
      - .address_space:  global
        .offset:         40
        .size:           8
        .value_kind:     global_buffer
      - .offset:         48
        .size:           4
        .value_kind:     by_value
      - .offset:         52
        .size:           4
        .value_kind:     by_value
      - .offset:         56
        .size:           4
        .value_kind:     by_value
      - .offset:         60
        .size:           1
        .value_kind:     by_value
      - .offset:         64
        .size:           8
        .value_kind:     by_value
      - .address_space:  global
        .offset:         72
        .size:           8
        .value_kind:     global_buffer
      - .address_space:  global
        .offset:         80
        .size:           8
        .value_kind:     global_buffer
      - .address_space:  global
        .offset:         88
        .size:           8
        .value_kind:     global_buffer
    .group_segment_fixed_size: 0
    .kernarg_segment_align: 8
    .kernarg_segment_size: 96
    .language:       OpenCL C
    .language_version:
      - 2
      - 0
    .max_flat_workgroup_size: 256
    .name:           _ZN4vllm3moe22topkGatingSoftplusSqrtILi1ELi1ELi4ELi4ELi64ELb0EjfEEvPKT6_PKbPfiPT5_PiiiibdPKfPKS8_SE_
    .private_segment_fixed_size: 0
    .sgpr_count:     34
    .sgpr_spill_count: 0
    .symbol:         _ZN4vllm3moe22topkGatingSoftplusSqrtILi1ELi1ELi4ELi4ELi64ELb0EjfEEvPKT6_PKbPfiPT5_PiiiibdPKfPKS8_SE_.kd
    .uniform_work_group_size: 1
    .uses_dynamic_stack: false
    .vgpr_count:     12
    .vgpr_spill_count: 0
    .wavefront_size: 64
  - .agpr_count:     0
    .args:
      - .address_space:  global
        .offset:         0
        .size:           8
        .value_kind:     global_buffer
      - .address_space:  global
        .offset:         8
        .size:           8
        .value_kind:     global_buffer
      - .address_space:  global
        .offset:         16
        .size:           8
        .value_kind:     global_buffer
      - .offset:         24
        .size:           4
        .value_kind:     by_value
      - .address_space:  global
        .offset:         32
        .size:           8
        .value_kind:     global_buffer
      - .address_space:  global
        .offset:         40
        .size:           8
        .value_kind:     global_buffer
      - .offset:         48
        .size:           4
        .value_kind:     by_value
      - .offset:         52
        .size:           4
        .value_kind:     by_value
      - .offset:         56
        .size:           4
        .value_kind:     by_value
      - .offset:         60
        .size:           1
        .value_kind:     by_value
      - .offset:         64
        .size:           8
        .value_kind:     by_value
      - .address_space:  global
        .offset:         72
        .size:           8
        .value_kind:     global_buffer
      - .address_space:  global
        .offset:         80
        .size:           8
        .value_kind:     global_buffer
      - .address_space:  global
        .offset:         88
        .size:           8
        .value_kind:     global_buffer
    .group_segment_fixed_size: 0
    .kernarg_segment_align: 8
    .kernarg_segment_size: 96
    .language:       OpenCL C
    .language_version:
      - 2
      - 0
    .max_flat_workgroup_size: 128
    .name:           _ZN4vllm3moe22topkGatingSoftplusSqrtILi1ELi1ELi4ELi4ELi32ELb1EjfEEvPKT6_PKbPfiPT5_PiiiibdPKfPKS8_SE_
    .private_segment_fixed_size: 0
    .sgpr_count:     21
    .sgpr_spill_count: 0
    .symbol:         _ZN4vllm3moe22topkGatingSoftplusSqrtILi1ELi1ELi4ELi4ELi32ELb1EjfEEvPKT6_PKbPfiPT5_PiiiibdPKfPKS8_SE_.kd
    .uniform_work_group_size: 1
    .uses_dynamic_stack: false
    .vgpr_count:     14
    .vgpr_spill_count: 0
    .wavefront_size: 64
  - .agpr_count:     0
    .args:
      - .address_space:  global
        .offset:         0
        .size:           8
        .value_kind:     global_buffer
      - .address_space:  global
        .offset:         8
        .size:           8
        .value_kind:     global_buffer
      - .address_space:  global
        .offset:         16
        .size:           8
        .value_kind:     global_buffer
      - .offset:         24
        .size:           4
        .value_kind:     by_value
      - .address_space:  global
        .offset:         32
        .size:           8
        .value_kind:     global_buffer
      - .address_space:  global
        .offset:         40
        .size:           8
        .value_kind:     global_buffer
      - .offset:         48
        .size:           4
        .value_kind:     by_value
      - .offset:         52
        .size:           4
        .value_kind:     by_value
      - .offset:         56
        .size:           4
        .value_kind:     by_value
      - .offset:         60
        .size:           1
        .value_kind:     by_value
      - .offset:         64
        .size:           8
        .value_kind:     by_value
      - .address_space:  global
        .offset:         72
        .size:           8
        .value_kind:     global_buffer
      - .address_space:  global
        .offset:         80
        .size:           8
        .value_kind:     global_buffer
      - .address_space:  global
        .offset:         88
        .size:           8
        .value_kind:     global_buffer
    .group_segment_fixed_size: 0
    .kernarg_segment_align: 8
    .kernarg_segment_size: 96
    .language:       OpenCL C
    .language_version:
      - 2
      - 0
    .max_flat_workgroup_size: 128
    .name:           _ZN4vllm3moe22topkGatingSoftplusSqrtILi1ELi1ELi4ELi4ELi32ELb0EjfEEvPKT6_PKbPfiPT5_PiiiibdPKfPKS8_SE_
    .private_segment_fixed_size: 0
    .sgpr_count:     34
    .sgpr_spill_count: 0
    .symbol:         _ZN4vllm3moe22topkGatingSoftplusSqrtILi1ELi1ELi4ELi4ELi32ELb0EjfEEvPKT6_PKbPfiPT5_PiiiibdPKfPKS8_SE_.kd
    .uniform_work_group_size: 1
    .uses_dynamic_stack: false
    .vgpr_count:     12
    .vgpr_spill_count: 0
    .wavefront_size: 64
  - .agpr_count:     0
    .args:
      - .address_space:  global
        .offset:         0
        .size:           8
        .value_kind:     global_buffer
      - .address_space:  global
        .offset:         8
        .size:           8
        .value_kind:     global_buffer
      - .address_space:  global
        .offset:         16
        .size:           8
        .value_kind:     global_buffer
      - .offset:         24
        .size:           4
        .value_kind:     by_value
      - .address_space:  global
        .offset:         32
        .size:           8
        .value_kind:     global_buffer
      - .address_space:  global
        .offset:         40
        .size:           8
        .value_kind:     global_buffer
      - .offset:         48
        .size:           4
        .value_kind:     by_value
      - .offset:         52
        .size:           4
        .value_kind:     by_value
      - .offset:         56
        .size:           4
        .value_kind:     by_value
      - .offset:         60
        .size:           1
        .value_kind:     by_value
      - .offset:         64
        .size:           8
        .value_kind:     by_value
      - .address_space:  global
        .offset:         72
        .size:           8
        .value_kind:     global_buffer
      - .address_space:  global
        .offset:         80
        .size:           8
        .value_kind:     global_buffer
      - .address_space:  global
        .offset:         88
        .size:           8
        .value_kind:     global_buffer
    .group_segment_fixed_size: 0
    .kernarg_segment_align: 8
    .kernarg_segment_size: 96
    .language:       OpenCL C
    .language_version:
      - 2
      - 0
    .max_flat_workgroup_size: 256
    .name:           _ZN4vllm3moe22topkGatingSoftplusSqrtILi2ELi2ELi4ELi8ELi64ELb1EjfEEvPKT6_PKbPfiPT5_PiiiibdPKfPKS8_SE_
    .private_segment_fixed_size: 0
    .sgpr_count:     24
    .sgpr_spill_count: 0
    .symbol:         _ZN4vllm3moe22topkGatingSoftplusSqrtILi2ELi2ELi4ELi8ELi64ELb1EjfEEvPKT6_PKbPfiPT5_PiiiibdPKfPKS8_SE_.kd
    .uniform_work_group_size: 1
    .uses_dynamic_stack: false
    .vgpr_count:     18
    .vgpr_spill_count: 0
    .wavefront_size: 64
  - .agpr_count:     0
    .args:
      - .address_space:  global
        .offset:         0
        .size:           8
        .value_kind:     global_buffer
      - .address_space:  global
        .offset:         8
        .size:           8
        .value_kind:     global_buffer
      - .address_space:  global
        .offset:         16
        .size:           8
        .value_kind:     global_buffer
      - .offset:         24
        .size:           4
        .value_kind:     by_value
      - .address_space:  global
        .offset:         32
        .size:           8
        .value_kind:     global_buffer
      - .address_space:  global
        .offset:         40
        .size:           8
        .value_kind:     global_buffer
      - .offset:         48
        .size:           4
        .value_kind:     by_value
      - .offset:         52
        .size:           4
        .value_kind:     by_value
      - .offset:         56
        .size:           4
        .value_kind:     by_value
      - .offset:         60
        .size:           1
        .value_kind:     by_value
      - .offset:         64
        .size:           8
        .value_kind:     by_value
      - .address_space:  global
        .offset:         72
        .size:           8
        .value_kind:     global_buffer
      - .address_space:  global
        .offset:         80
        .size:           8
        .value_kind:     global_buffer
      - .address_space:  global
        .offset:         88
        .size:           8
        .value_kind:     global_buffer
    .group_segment_fixed_size: 0
    .kernarg_segment_align: 8
    .kernarg_segment_size: 96
    .language:       OpenCL C
    .language_version:
      - 2
      - 0
    .max_flat_workgroup_size: 256
    .name:           _ZN4vllm3moe22topkGatingSoftplusSqrtILi2ELi2ELi4ELi8ELi64ELb0EjfEEvPKT6_PKbPfiPT5_PiiiibdPKfPKS8_SE_
    .private_segment_fixed_size: 0
    .sgpr_count:     32
    .sgpr_spill_count: 0
    .symbol:         _ZN4vllm3moe22topkGatingSoftplusSqrtILi2ELi2ELi4ELi8ELi64ELb0EjfEEvPKT6_PKbPfiPT5_PiiiibdPKfPKS8_SE_.kd
    .uniform_work_group_size: 1
    .uses_dynamic_stack: false
    .vgpr_count:     13
    .vgpr_spill_count: 0
    .wavefront_size: 64
  - .agpr_count:     0
    .args:
      - .address_space:  global
        .offset:         0
        .size:           8
        .value_kind:     global_buffer
      - .address_space:  global
        .offset:         8
        .size:           8
        .value_kind:     global_buffer
      - .address_space:  global
        .offset:         16
        .size:           8
        .value_kind:     global_buffer
      - .offset:         24
        .size:           4
        .value_kind:     by_value
      - .address_space:  global
        .offset:         32
        .size:           8
        .value_kind:     global_buffer
      - .address_space:  global
        .offset:         40
        .size:           8
        .value_kind:     global_buffer
      - .offset:         48
        .size:           4
        .value_kind:     by_value
      - .offset:         52
        .size:           4
        .value_kind:     by_value
      - .offset:         56
        .size:           4
        .value_kind:     by_value
      - .offset:         60
        .size:           1
        .value_kind:     by_value
      - .offset:         64
        .size:           8
        .value_kind:     by_value
      - .address_space:  global
        .offset:         72
        .size:           8
        .value_kind:     global_buffer
      - .address_space:  global
        .offset:         80
        .size:           8
        .value_kind:     global_buffer
      - .address_space:  global
        .offset:         88
        .size:           8
        .value_kind:     global_buffer
    .group_segment_fixed_size: 0
    .kernarg_segment_align: 8
    .kernarg_segment_size: 96
    .language:       OpenCL C
    .language_version:
      - 2
      - 0
    .max_flat_workgroup_size: 128
    .name:           _ZN4vllm3moe22topkGatingSoftplusSqrtILi2ELi2ELi4ELi8ELi32ELb1EjfEEvPKT6_PKbPfiPT5_PiiiibdPKfPKS8_SE_
    .private_segment_fixed_size: 0
    .sgpr_count:     24
    .sgpr_spill_count: 0
    .symbol:         _ZN4vllm3moe22topkGatingSoftplusSqrtILi2ELi2ELi4ELi8ELi32ELb1EjfEEvPKT6_PKbPfiPT5_PiiiibdPKfPKS8_SE_.kd
    .uniform_work_group_size: 1
    .uses_dynamic_stack: false
    .vgpr_count:     18
    .vgpr_spill_count: 0
    .wavefront_size: 64
  - .agpr_count:     0
    .args:
      - .address_space:  global
        .offset:         0
        .size:           8
        .value_kind:     global_buffer
      - .address_space:  global
        .offset:         8
        .size:           8
        .value_kind:     global_buffer
      - .address_space:  global
        .offset:         16
        .size:           8
        .value_kind:     global_buffer
      - .offset:         24
        .size:           4
        .value_kind:     by_value
      - .address_space:  global
        .offset:         32
        .size:           8
        .value_kind:     global_buffer
      - .address_space:  global
        .offset:         40
        .size:           8
        .value_kind:     global_buffer
      - .offset:         48
        .size:           4
        .value_kind:     by_value
      - .offset:         52
        .size:           4
        .value_kind:     by_value
      - .offset:         56
        .size:           4
        .value_kind:     by_value
      - .offset:         60
        .size:           1
        .value_kind:     by_value
      - .offset:         64
        .size:           8
        .value_kind:     by_value
      - .address_space:  global
        .offset:         72
        .size:           8
        .value_kind:     global_buffer
      - .address_space:  global
        .offset:         80
        .size:           8
        .value_kind:     global_buffer
      - .address_space:  global
        .offset:         88
        .size:           8
        .value_kind:     global_buffer
    .group_segment_fixed_size: 0
    .kernarg_segment_align: 8
    .kernarg_segment_size: 96
    .language:       OpenCL C
    .language_version:
      - 2
      - 0
    .max_flat_workgroup_size: 128
    .name:           _ZN4vllm3moe22topkGatingSoftplusSqrtILi2ELi2ELi4ELi8ELi32ELb0EjfEEvPKT6_PKbPfiPT5_PiiiibdPKfPKS8_SE_
    .private_segment_fixed_size: 0
    .sgpr_count:     32
    .sgpr_spill_count: 0
    .symbol:         _ZN4vllm3moe22topkGatingSoftplusSqrtILi2ELi2ELi4ELi8ELi32ELb0EjfEEvPKT6_PKbPfiPT5_PiiiibdPKfPKS8_SE_.kd
    .uniform_work_group_size: 1
    .uses_dynamic_stack: false
    .vgpr_count:     13
    .vgpr_spill_count: 0
    .wavefront_size: 64
  - .agpr_count:     0
    .args:
      - .address_space:  global
        .offset:         0
        .size:           8
        .value_kind:     global_buffer
      - .address_space:  global
        .offset:         8
        .size:           8
        .value_kind:     global_buffer
      - .address_space:  global
        .offset:         16
        .size:           8
        .value_kind:     global_buffer
      - .offset:         24
        .size:           4
        .value_kind:     by_value
      - .address_space:  global
        .offset:         32
        .size:           8
        .value_kind:     global_buffer
      - .address_space:  global
        .offset:         40
        .size:           8
        .value_kind:     global_buffer
      - .offset:         48
        .size:           4
        .value_kind:     by_value
      - .offset:         52
        .size:           4
        .value_kind:     by_value
      - .offset:         56
        .size:           4
        .value_kind:     by_value
      - .offset:         60
        .size:           1
        .value_kind:     by_value
      - .offset:         64
        .size:           8
        .value_kind:     by_value
      - .address_space:  global
        .offset:         72
        .size:           8
        .value_kind:     global_buffer
      - .address_space:  global
        .offset:         80
        .size:           8
        .value_kind:     global_buffer
      - .address_space:  global
        .offset:         88
        .size:           8
        .value_kind:     global_buffer
    .group_segment_fixed_size: 4096
    .kernarg_segment_align: 8
    .kernarg_segment_size: 96
    .language:       OpenCL C
    .language_version:
      - 2
      - 0
    .max_flat_workgroup_size: 256
    .name:           _ZN4vllm3moe22topkGatingSoftplusSqrtILi4ELi4ELi4ELi16ELi64ELb1EjfEEvPKT6_PKbPfiPT5_PiiiibdPKfPKS8_SE_
    .private_segment_fixed_size: 0
    .sgpr_count:     24
    .sgpr_spill_count: 0
    .symbol:         _ZN4vllm3moe22topkGatingSoftplusSqrtILi4ELi4ELi4ELi16ELi64ELb1EjfEEvPKT6_PKbPfiPT5_PiiiibdPKfPKS8_SE_.kd
    .uniform_work_group_size: 1
    .uses_dynamic_stack: false
    .vgpr_count:     23
    .vgpr_spill_count: 0
    .wavefront_size: 64
  - .agpr_count:     0
    .args:
      - .address_space:  global
        .offset:         0
        .size:           8
        .value_kind:     global_buffer
      - .address_space:  global
        .offset:         8
        .size:           8
        .value_kind:     global_buffer
      - .address_space:  global
        .offset:         16
        .size:           8
        .value_kind:     global_buffer
      - .offset:         24
        .size:           4
        .value_kind:     by_value
      - .address_space:  global
        .offset:         32
        .size:           8
        .value_kind:     global_buffer
      - .address_space:  global
        .offset:         40
        .size:           8
        .value_kind:     global_buffer
      - .offset:         48
        .size:           4
        .value_kind:     by_value
      - .offset:         52
        .size:           4
        .value_kind:     by_value
      - .offset:         56
        .size:           4
        .value_kind:     by_value
      - .offset:         60
        .size:           1
        .value_kind:     by_value
      - .offset:         64
        .size:           8
        .value_kind:     by_value
      - .address_space:  global
        .offset:         72
        .size:           8
        .value_kind:     global_buffer
      - .address_space:  global
        .offset:         80
        .size:           8
        .value_kind:     global_buffer
      - .address_space:  global
        .offset:         88
        .size:           8
        .value_kind:     global_buffer
    .group_segment_fixed_size: 4096
    .kernarg_segment_align: 8
    .kernarg_segment_size: 96
    .language:       OpenCL C
    .language_version:
      - 2
      - 0
    .max_flat_workgroup_size: 256
    .name:           _ZN4vllm3moe22topkGatingSoftplusSqrtILi4ELi4ELi4ELi16ELi64ELb0EjfEEvPKT6_PKbPfiPT5_PiiiibdPKfPKS8_SE_
    .private_segment_fixed_size: 0
    .sgpr_count:     32
    .sgpr_spill_count: 0
    .symbol:         _ZN4vllm3moe22topkGatingSoftplusSqrtILi4ELi4ELi4ELi16ELi64ELb0EjfEEvPKT6_PKbPfiPT5_PiiiibdPKfPKS8_SE_.kd
    .uniform_work_group_size: 1
    .uses_dynamic_stack: false
    .vgpr_count:     12
    .vgpr_spill_count: 0
    .wavefront_size: 64
  - .agpr_count:     0
    .args:
      - .address_space:  global
        .offset:         0
        .size:           8
        .value_kind:     global_buffer
      - .address_space:  global
        .offset:         8
        .size:           8
        .value_kind:     global_buffer
      - .address_space:  global
        .offset:         16
        .size:           8
        .value_kind:     global_buffer
      - .offset:         24
        .size:           4
        .value_kind:     by_value
      - .address_space:  global
        .offset:         32
        .size:           8
        .value_kind:     global_buffer
      - .address_space:  global
        .offset:         40
        .size:           8
        .value_kind:     global_buffer
      - .offset:         48
        .size:           4
        .value_kind:     by_value
      - .offset:         52
        .size:           4
        .value_kind:     by_value
      - .offset:         56
        .size:           4
        .value_kind:     by_value
      - .offset:         60
        .size:           1
        .value_kind:     by_value
      - .offset:         64
        .size:           8
        .value_kind:     by_value
      - .address_space:  global
        .offset:         72
        .size:           8
        .value_kind:     global_buffer
      - .address_space:  global
        .offset:         80
        .size:           8
        .value_kind:     global_buffer
      - .address_space:  global
        .offset:         88
        .size:           8
        .value_kind:     global_buffer
    .group_segment_fixed_size: 2048
    .kernarg_segment_align: 8
    .kernarg_segment_size: 96
    .language:       OpenCL C
    .language_version:
      - 2
      - 0
    .max_flat_workgroup_size: 128
    .name:           _ZN4vllm3moe22topkGatingSoftplusSqrtILi4ELi4ELi4ELi16ELi32ELb1EjfEEvPKT6_PKbPfiPT5_PiiiibdPKfPKS8_SE_
    .private_segment_fixed_size: 0
    .sgpr_count:     24
    .sgpr_spill_count: 0
    .symbol:         _ZN4vllm3moe22topkGatingSoftplusSqrtILi4ELi4ELi4ELi16ELi32ELb1EjfEEvPKT6_PKbPfiPT5_PiiiibdPKfPKS8_SE_.kd
    .uniform_work_group_size: 1
    .uses_dynamic_stack: false
    .vgpr_count:     23
    .vgpr_spill_count: 0
    .wavefront_size: 64
  - .agpr_count:     0
    .args:
      - .address_space:  global
        .offset:         0
        .size:           8
        .value_kind:     global_buffer
      - .address_space:  global
        .offset:         8
        .size:           8
        .value_kind:     global_buffer
      - .address_space:  global
        .offset:         16
        .size:           8
        .value_kind:     global_buffer
      - .offset:         24
        .size:           4
        .value_kind:     by_value
      - .address_space:  global
        .offset:         32
        .size:           8
        .value_kind:     global_buffer
      - .address_space:  global
        .offset:         40
        .size:           8
        .value_kind:     global_buffer
      - .offset:         48
        .size:           4
        .value_kind:     by_value
      - .offset:         52
        .size:           4
        .value_kind:     by_value
      - .offset:         56
        .size:           4
        .value_kind:     by_value
      - .offset:         60
        .size:           1
        .value_kind:     by_value
      - .offset:         64
        .size:           8
        .value_kind:     by_value
      - .address_space:  global
        .offset:         72
        .size:           8
        .value_kind:     global_buffer
      - .address_space:  global
        .offset:         80
        .size:           8
        .value_kind:     global_buffer
      - .address_space:  global
        .offset:         88
        .size:           8
        .value_kind:     global_buffer
    .group_segment_fixed_size: 2048
    .kernarg_segment_align: 8
    .kernarg_segment_size: 96
    .language:       OpenCL C
    .language_version:
      - 2
      - 0
    .max_flat_workgroup_size: 128
    .name:           _ZN4vllm3moe22topkGatingSoftplusSqrtILi4ELi4ELi4ELi16ELi32ELb0EjfEEvPKT6_PKbPfiPT5_PiiiibdPKfPKS8_SE_
    .private_segment_fixed_size: 0
    .sgpr_count:     32
    .sgpr_spill_count: 0
    .symbol:         _ZN4vllm3moe22topkGatingSoftplusSqrtILi4ELi4ELi4ELi16ELi32ELb0EjfEEvPKT6_PKbPfiPT5_PiiiibdPKfPKS8_SE_.kd
    .uniform_work_group_size: 1
    .uses_dynamic_stack: false
    .vgpr_count:     12
    .vgpr_spill_count: 0
    .wavefront_size: 64
  - .agpr_count:     0
    .args:
      - .address_space:  global
        .offset:         0
        .size:           8
        .value_kind:     global_buffer
      - .address_space:  global
        .offset:         8
        .size:           8
        .value_kind:     global_buffer
      - .address_space:  global
        .offset:         16
        .size:           8
        .value_kind:     global_buffer
      - .offset:         24
        .size:           4
        .value_kind:     by_value
      - .address_space:  global
        .offset:         32
        .size:           8
        .value_kind:     global_buffer
      - .address_space:  global
        .offset:         40
        .size:           8
        .value_kind:     global_buffer
      - .offset:         48
        .size:           4
        .value_kind:     by_value
      - .offset:         52
        .size:           4
        .value_kind:     by_value
      - .offset:         56
        .size:           4
        .value_kind:     by_value
      - .offset:         60
        .size:           1
        .value_kind:     by_value
      - .offset:         64
        .size:           8
        .value_kind:     by_value
      - .address_space:  global
        .offset:         72
        .size:           8
        .value_kind:     global_buffer
      - .address_space:  global
        .offset:         80
        .size:           8
        .value_kind:     global_buffer
      - .address_space:  global
        .offset:         88
        .size:           8
        .value_kind:     global_buffer
    .group_segment_fixed_size: 0
    .kernarg_segment_align: 8
    .kernarg_segment_size: 96
    .language:       OpenCL C
    .language_version:
      - 2
      - 0
    .max_flat_workgroup_size: 256
    .name:           _ZN4vllm3moe22topkGatingSoftplusSqrtILi4ELi8ELi4ELi16ELi64ELb1EjfEEvPKT6_PKbPfiPT5_PiiiibdPKfPKS8_SE_
    .private_segment_fixed_size: 32
    .sgpr_count:     30
    .sgpr_spill_count: 0
    .symbol:         _ZN4vllm3moe22topkGatingSoftplusSqrtILi4ELi8ELi4ELi16ELi64ELb1EjfEEvPKT6_PKbPfiPT5_PiiiibdPKfPKS8_SE_.kd
    .uniform_work_group_size: 1
    .uses_dynamic_stack: false
    .vgpr_count:     23
    .vgpr_spill_count: 0
    .wavefront_size: 64
  - .agpr_count:     0
    .args:
      - .address_space:  global
        .offset:         0
        .size:           8
        .value_kind:     global_buffer
      - .address_space:  global
        .offset:         8
        .size:           8
        .value_kind:     global_buffer
      - .address_space:  global
        .offset:         16
        .size:           8
        .value_kind:     global_buffer
      - .offset:         24
        .size:           4
        .value_kind:     by_value
      - .address_space:  global
        .offset:         32
        .size:           8
        .value_kind:     global_buffer
      - .address_space:  global
        .offset:         40
        .size:           8
        .value_kind:     global_buffer
      - .offset:         48
        .size:           4
        .value_kind:     by_value
      - .offset:         52
        .size:           4
        .value_kind:     by_value
      - .offset:         56
        .size:           4
        .value_kind:     by_value
      - .offset:         60
        .size:           1
        .value_kind:     by_value
      - .offset:         64
        .size:           8
        .value_kind:     by_value
      - .address_space:  global
        .offset:         72
        .size:           8
        .value_kind:     global_buffer
      - .address_space:  global
        .offset:         80
        .size:           8
        .value_kind:     global_buffer
      - .address_space:  global
        .offset:         88
        .size:           8
        .value_kind:     global_buffer
    .group_segment_fixed_size: 4096
    .kernarg_segment_align: 8
    .kernarg_segment_size: 96
    .language:       OpenCL C
    .language_version:
      - 2
      - 0
    .max_flat_workgroup_size: 256
    .name:           _ZN4vllm3moe22topkGatingSoftplusSqrtILi4ELi8ELi4ELi16ELi64ELb0EjfEEvPKT6_PKbPfiPT5_PiiiibdPKfPKS8_SE_
    .private_segment_fixed_size: 0
    .sgpr_count:     38
    .sgpr_spill_count: 0
    .symbol:         _ZN4vllm3moe22topkGatingSoftplusSqrtILi4ELi8ELi4ELi16ELi64ELb0EjfEEvPKT6_PKbPfiPT5_PiiiibdPKfPKS8_SE_.kd
    .uniform_work_group_size: 1
    .uses_dynamic_stack: false
    .vgpr_count:     16
    .vgpr_spill_count: 0
    .wavefront_size: 64
  - .agpr_count:     0
    .args:
      - .address_space:  global
        .offset:         0
        .size:           8
        .value_kind:     global_buffer
      - .address_space:  global
        .offset:         8
        .size:           8
        .value_kind:     global_buffer
      - .address_space:  global
        .offset:         16
        .size:           8
        .value_kind:     global_buffer
      - .offset:         24
        .size:           4
        .value_kind:     by_value
      - .address_space:  global
        .offset:         32
        .size:           8
        .value_kind:     global_buffer
      - .address_space:  global
        .offset:         40
        .size:           8
        .value_kind:     global_buffer
      - .offset:         48
        .size:           4
        .value_kind:     by_value
      - .offset:         52
        .size:           4
        .value_kind:     by_value
      - .offset:         56
        .size:           4
        .value_kind:     by_value
      - .offset:         60
        .size:           1
        .value_kind:     by_value
      - .offset:         64
        .size:           8
        .value_kind:     by_value
      - .address_space:  global
        .offset:         72
        .size:           8
        .value_kind:     global_buffer
      - .address_space:  global
        .offset:         80
        .size:           8
        .value_kind:     global_buffer
      - .address_space:  global
        .offset:         88
        .size:           8
        .value_kind:     global_buffer
    .group_segment_fixed_size: 0
    .kernarg_segment_align: 8
    .kernarg_segment_size: 96
    .language:       OpenCL C
    .language_version:
      - 2
      - 0
    .max_flat_workgroup_size: 128
    .name:           _ZN4vllm3moe22topkGatingSoftplusSqrtILi4ELi8ELi4ELi16ELi32ELb1EjfEEvPKT6_PKbPfiPT5_PiiiibdPKfPKS8_SE_
    .private_segment_fixed_size: 32
    .sgpr_count:     30
    .sgpr_spill_count: 0
    .symbol:         _ZN4vllm3moe22topkGatingSoftplusSqrtILi4ELi8ELi4ELi16ELi32ELb1EjfEEvPKT6_PKbPfiPT5_PiiiibdPKfPKS8_SE_.kd
    .uniform_work_group_size: 1
    .uses_dynamic_stack: false
    .vgpr_count:     23
    .vgpr_spill_count: 0
    .wavefront_size: 64
  - .agpr_count:     0
    .args:
      - .address_space:  global
        .offset:         0
        .size:           8
        .value_kind:     global_buffer
      - .address_space:  global
        .offset:         8
        .size:           8
        .value_kind:     global_buffer
      - .address_space:  global
        .offset:         16
        .size:           8
        .value_kind:     global_buffer
      - .offset:         24
        .size:           4
        .value_kind:     by_value
      - .address_space:  global
        .offset:         32
        .size:           8
        .value_kind:     global_buffer
      - .address_space:  global
        .offset:         40
        .size:           8
        .value_kind:     global_buffer
      - .offset:         48
        .size:           4
        .value_kind:     by_value
      - .offset:         52
        .size:           4
        .value_kind:     by_value
      - .offset:         56
        .size:           4
        .value_kind:     by_value
      - .offset:         60
        .size:           1
        .value_kind:     by_value
      - .offset:         64
        .size:           8
        .value_kind:     by_value
      - .address_space:  global
        .offset:         72
        .size:           8
        .value_kind:     global_buffer
      - .address_space:  global
        .offset:         80
        .size:           8
        .value_kind:     global_buffer
      - .address_space:  global
        .offset:         88
        .size:           8
        .value_kind:     global_buffer
    .group_segment_fixed_size: 2048
    .kernarg_segment_align: 8
    .kernarg_segment_size: 96
    .language:       OpenCL C
    .language_version:
      - 2
      - 0
    .max_flat_workgroup_size: 128
    .name:           _ZN4vllm3moe22topkGatingSoftplusSqrtILi4ELi8ELi4ELi16ELi32ELb0EjfEEvPKT6_PKbPfiPT5_PiiiibdPKfPKS8_SE_
    .private_segment_fixed_size: 0
    .sgpr_count:     38
    .sgpr_spill_count: 0
    .symbol:         _ZN4vllm3moe22topkGatingSoftplusSqrtILi4ELi8ELi4ELi16ELi32ELb0EjfEEvPKT6_PKbPfiPT5_PiiiibdPKfPKS8_SE_.kd
    .uniform_work_group_size: 1
    .uses_dynamic_stack: false
    .vgpr_count:     16
    .vgpr_spill_count: 0
    .wavefront_size: 64
  - .agpr_count:     0
    .args:
      - .address_space:  global
        .offset:         0
        .size:           8
        .value_kind:     global_buffer
      - .address_space:  global
        .offset:         8
        .size:           8
        .value_kind:     global_buffer
      - .address_space:  global
        .offset:         16
        .size:           8
        .value_kind:     global_buffer
      - .offset:         24
        .size:           4
        .value_kind:     by_value
      - .address_space:  global
        .offset:         32
        .size:           8
        .value_kind:     global_buffer
      - .address_space:  global
        .offset:         40
        .size:           8
        .value_kind:     global_buffer
      - .offset:         48
        .size:           4
        .value_kind:     by_value
      - .offset:         52
        .size:           4
        .value_kind:     by_value
      - .offset:         56
        .size:           4
        .value_kind:     by_value
      - .offset:         60
        .size:           1
        .value_kind:     by_value
      - .offset:         64
        .size:           8
        .value_kind:     by_value
      - .address_space:  global
        .offset:         72
        .size:           8
        .value_kind:     global_buffer
      - .address_space:  global
        .offset:         80
        .size:           8
        .value_kind:     global_buffer
      - .address_space:  global
        .offset:         88
        .size:           8
        .value_kind:     global_buffer
    .group_segment_fixed_size: 0
    .kernarg_segment_align: 8
    .kernarg_segment_size: 96
    .language:       OpenCL C
    .language_version:
      - 2
      - 0
    .max_flat_workgroup_size: 256
    .name:           _ZN4vllm3moe22topkGatingSoftplusSqrtILi4ELi16ELi4ELi16ELi64ELb1EjfEEvPKT6_PKbPfiPT5_PiiiibdPKfPKS8_SE_
    .private_segment_fixed_size: 32
    .sgpr_count:     30
    .sgpr_spill_count: 0
    .symbol:         _ZN4vllm3moe22topkGatingSoftplusSqrtILi4ELi16ELi4ELi16ELi64ELb1EjfEEvPKT6_PKbPfiPT5_PiiiibdPKfPKS8_SE_.kd
    .uniform_work_group_size: 1
    .uses_dynamic_stack: false
    .vgpr_count:     23
    .vgpr_spill_count: 0
    .wavefront_size: 64
  - .agpr_count:     0
    .args:
      - .address_space:  global
        .offset:         0
        .size:           8
        .value_kind:     global_buffer
      - .address_space:  global
        .offset:         8
        .size:           8
        .value_kind:     global_buffer
      - .address_space:  global
        .offset:         16
        .size:           8
        .value_kind:     global_buffer
      - .offset:         24
        .size:           4
        .value_kind:     by_value
      - .address_space:  global
        .offset:         32
        .size:           8
        .value_kind:     global_buffer
      - .address_space:  global
        .offset:         40
        .size:           8
        .value_kind:     global_buffer
      - .offset:         48
        .size:           4
        .value_kind:     by_value
      - .offset:         52
        .size:           4
        .value_kind:     by_value
      - .offset:         56
        .size:           4
        .value_kind:     by_value
      - .offset:         60
        .size:           1
        .value_kind:     by_value
      - .offset:         64
        .size:           8
        .value_kind:     by_value
      - .address_space:  global
        .offset:         72
        .size:           8
        .value_kind:     global_buffer
      - .address_space:  global
        .offset:         80
        .size:           8
        .value_kind:     global_buffer
      - .address_space:  global
        .offset:         88
        .size:           8
        .value_kind:     global_buffer
    .group_segment_fixed_size: 4096
    .kernarg_segment_align: 8
    .kernarg_segment_size: 96
    .language:       OpenCL C
    .language_version:
      - 2
      - 0
    .max_flat_workgroup_size: 256
    .name:           _ZN4vllm3moe22topkGatingSoftplusSqrtILi4ELi16ELi4ELi16ELi64ELb0EjfEEvPKT6_PKbPfiPT5_PiiiibdPKfPKS8_SE_
    .private_segment_fixed_size: 0
    .sgpr_count:     38
    .sgpr_spill_count: 0
    .symbol:         _ZN4vllm3moe22topkGatingSoftplusSqrtILi4ELi16ELi4ELi16ELi64ELb0EjfEEvPKT6_PKbPfiPT5_PiiiibdPKfPKS8_SE_.kd
    .uniform_work_group_size: 1
    .uses_dynamic_stack: false
    .vgpr_count:     18
    .vgpr_spill_count: 0
    .wavefront_size: 64
  - .agpr_count:     0
    .args:
      - .address_space:  global
        .offset:         0
        .size:           8
        .value_kind:     global_buffer
      - .address_space:  global
        .offset:         8
        .size:           8
        .value_kind:     global_buffer
      - .address_space:  global
        .offset:         16
        .size:           8
        .value_kind:     global_buffer
      - .offset:         24
        .size:           4
        .value_kind:     by_value
      - .address_space:  global
        .offset:         32
        .size:           8
        .value_kind:     global_buffer
      - .address_space:  global
        .offset:         40
        .size:           8
        .value_kind:     global_buffer
      - .offset:         48
        .size:           4
        .value_kind:     by_value
      - .offset:         52
        .size:           4
        .value_kind:     by_value
      - .offset:         56
        .size:           4
        .value_kind:     by_value
      - .offset:         60
        .size:           1
        .value_kind:     by_value
      - .offset:         64
        .size:           8
        .value_kind:     by_value
      - .address_space:  global
        .offset:         72
        .size:           8
        .value_kind:     global_buffer
      - .address_space:  global
        .offset:         80
        .size:           8
        .value_kind:     global_buffer
      - .address_space:  global
        .offset:         88
        .size:           8
        .value_kind:     global_buffer
    .group_segment_fixed_size: 0
    .kernarg_segment_align: 8
    .kernarg_segment_size: 96
    .language:       OpenCL C
    .language_version:
      - 2
      - 0
    .max_flat_workgroup_size: 128
    .name:           _ZN4vllm3moe22topkGatingSoftplusSqrtILi4ELi16ELi4ELi16ELi32ELb1EjfEEvPKT6_PKbPfiPT5_PiiiibdPKfPKS8_SE_
    .private_segment_fixed_size: 32
    .sgpr_count:     30
    .sgpr_spill_count: 0
    .symbol:         _ZN4vllm3moe22topkGatingSoftplusSqrtILi4ELi16ELi4ELi16ELi32ELb1EjfEEvPKT6_PKbPfiPT5_PiiiibdPKfPKS8_SE_.kd
    .uniform_work_group_size: 1
    .uses_dynamic_stack: false
    .vgpr_count:     23
    .vgpr_spill_count: 0
    .wavefront_size: 64
  - .agpr_count:     0
    .args:
      - .address_space:  global
        .offset:         0
        .size:           8
        .value_kind:     global_buffer
      - .address_space:  global
        .offset:         8
        .size:           8
        .value_kind:     global_buffer
      - .address_space:  global
        .offset:         16
        .size:           8
        .value_kind:     global_buffer
      - .offset:         24
        .size:           4
        .value_kind:     by_value
      - .address_space:  global
        .offset:         32
        .size:           8
        .value_kind:     global_buffer
      - .address_space:  global
        .offset:         40
        .size:           8
        .value_kind:     global_buffer
      - .offset:         48
        .size:           4
        .value_kind:     by_value
      - .offset:         52
        .size:           4
        .value_kind:     by_value
      - .offset:         56
        .size:           4
        .value_kind:     by_value
      - .offset:         60
        .size:           1
        .value_kind:     by_value
      - .offset:         64
        .size:           8
        .value_kind:     by_value
      - .address_space:  global
        .offset:         72
        .size:           8
        .value_kind:     global_buffer
      - .address_space:  global
        .offset:         80
        .size:           8
        .value_kind:     global_buffer
      - .address_space:  global
        .offset:         88
        .size:           8
        .value_kind:     global_buffer
    .group_segment_fixed_size: 2048
    .kernarg_segment_align: 8
    .kernarg_segment_size: 96
    .language:       OpenCL C
    .language_version:
      - 2
      - 0
    .max_flat_workgroup_size: 128
    .name:           _ZN4vllm3moe22topkGatingSoftplusSqrtILi4ELi16ELi4ELi16ELi32ELb0EjfEEvPKT6_PKbPfiPT5_PiiiibdPKfPKS8_SE_
    .private_segment_fixed_size: 0
    .sgpr_count:     38
    .sgpr_spill_count: 0
    .symbol:         _ZN4vllm3moe22topkGatingSoftplusSqrtILi4ELi16ELi4ELi16ELi32ELb0EjfEEvPKT6_PKbPfiPT5_PiiiibdPKfPKS8_SE_.kd
    .uniform_work_group_size: 1
    .uses_dynamic_stack: false
    .vgpr_count:     18
    .vgpr_spill_count: 0
    .wavefront_size: 64
  - .agpr_count:     0
    .args:
      - .address_space:  global
        .offset:         0
        .size:           8
        .value_kind:     global_buffer
      - .address_space:  global
        .offset:         8
        .size:           8
        .value_kind:     global_buffer
      - .address_space:  global
        .offset:         16
        .size:           8
        .value_kind:     global_buffer
      - .offset:         24
        .size:           4
        .value_kind:     by_value
      - .address_space:  global
        .offset:         32
        .size:           8
        .value_kind:     global_buffer
      - .address_space:  global
        .offset:         40
        .size:           8
        .value_kind:     global_buffer
      - .offset:         48
        .size:           4
        .value_kind:     by_value
      - .offset:         52
        .size:           4
        .value_kind:     by_value
      - .offset:         56
        .size:           4
        .value_kind:     by_value
      - .offset:         60
        .size:           1
        .value_kind:     by_value
      - .offset:         64
        .size:           8
        .value_kind:     by_value
      - .address_space:  global
        .offset:         72
        .size:           8
        .value_kind:     global_buffer
      - .address_space:  global
        .offset:         80
        .size:           8
        .value_kind:     global_buffer
      - .address_space:  global
        .offset:         88
        .size:           8
        .value_kind:     global_buffer
    .group_segment_fixed_size: 0
    .kernarg_segment_align: 8
    .kernarg_segment_size: 96
    .language:       OpenCL C
    .language_version:
      - 2
      - 0
    .max_flat_workgroup_size: 256
    .name:           _ZN4vllm3moe22topkGatingSoftplusSqrtILi4ELi32ELi4ELi16ELi64ELb1EjfEEvPKT6_PKbPfiPT5_PiiiibdPKfPKS8_SE_
    .private_segment_fixed_size: 32
    .sgpr_count:     30
    .sgpr_spill_count: 0
    .symbol:         _ZN4vllm3moe22topkGatingSoftplusSqrtILi4ELi32ELi4ELi16ELi64ELb1EjfEEvPKT6_PKbPfiPT5_PiiiibdPKfPKS8_SE_.kd
    .uniform_work_group_size: 1
    .uses_dynamic_stack: false
    .vgpr_count:     23
    .vgpr_spill_count: 0
    .wavefront_size: 64
  - .agpr_count:     0
    .args:
      - .address_space:  global
        .offset:         0
        .size:           8
        .value_kind:     global_buffer
      - .address_space:  global
        .offset:         8
        .size:           8
        .value_kind:     global_buffer
      - .address_space:  global
        .offset:         16
        .size:           8
        .value_kind:     global_buffer
      - .offset:         24
        .size:           4
        .value_kind:     by_value
      - .address_space:  global
        .offset:         32
        .size:           8
        .value_kind:     global_buffer
      - .address_space:  global
        .offset:         40
        .size:           8
        .value_kind:     global_buffer
      - .offset:         48
        .size:           4
        .value_kind:     by_value
      - .offset:         52
        .size:           4
        .value_kind:     by_value
      - .offset:         56
        .size:           4
        .value_kind:     by_value
      - .offset:         60
        .size:           1
        .value_kind:     by_value
      - .offset:         64
        .size:           8
        .value_kind:     by_value
      - .address_space:  global
        .offset:         72
        .size:           8
        .value_kind:     global_buffer
      - .address_space:  global
        .offset:         80
        .size:           8
        .value_kind:     global_buffer
      - .address_space:  global
        .offset:         88
        .size:           8
        .value_kind:     global_buffer
    .group_segment_fixed_size: 4096
    .kernarg_segment_align: 8
    .kernarg_segment_size: 96
    .language:       OpenCL C
    .language_version:
      - 2
      - 0
    .max_flat_workgroup_size: 256
    .name:           _ZN4vllm3moe22topkGatingSoftplusSqrtILi4ELi32ELi4ELi16ELi64ELb0EjfEEvPKT6_PKbPfiPT5_PiiiibdPKfPKS8_SE_
    .private_segment_fixed_size: 0
    .sgpr_count:     38
    .sgpr_spill_count: 0
    .symbol:         _ZN4vllm3moe22topkGatingSoftplusSqrtILi4ELi32ELi4ELi16ELi64ELb0EjfEEvPKT6_PKbPfiPT5_PiiiibdPKfPKS8_SE_.kd
    .uniform_work_group_size: 1
    .uses_dynamic_stack: false
    .vgpr_count:     18
    .vgpr_spill_count: 0
    .wavefront_size: 64
  - .agpr_count:     0
    .args:
      - .address_space:  global
        .offset:         0
        .size:           8
        .value_kind:     global_buffer
      - .address_space:  global
        .offset:         8
        .size:           8
        .value_kind:     global_buffer
      - .address_space:  global
        .offset:         16
        .size:           8
        .value_kind:     global_buffer
      - .offset:         24
        .size:           4
        .value_kind:     by_value
      - .address_space:  global
        .offset:         32
        .size:           8
        .value_kind:     global_buffer
      - .address_space:  global
        .offset:         40
        .size:           8
        .value_kind:     global_buffer
      - .offset:         48
        .size:           4
        .value_kind:     by_value
      - .offset:         52
        .size:           4
        .value_kind:     by_value
      - .offset:         56
        .size:           4
        .value_kind:     by_value
      - .offset:         60
        .size:           1
        .value_kind:     by_value
      - .offset:         64
        .size:           8
        .value_kind:     by_value
      - .address_space:  global
        .offset:         72
        .size:           8
        .value_kind:     global_buffer
      - .address_space:  global
        .offset:         80
        .size:           8
        .value_kind:     global_buffer
      - .address_space:  global
        .offset:         88
        .size:           8
        .value_kind:     global_buffer
    .group_segment_fixed_size: 0
    .kernarg_segment_align: 8
    .kernarg_segment_size: 96
    .language:       OpenCL C
    .language_version:
      - 2
      - 0
    .max_flat_workgroup_size: 128
    .name:           _ZN4vllm3moe22topkGatingSoftplusSqrtILi4ELi32ELi4ELi16ELi32ELb1EjfEEvPKT6_PKbPfiPT5_PiiiibdPKfPKS8_SE_
    .private_segment_fixed_size: 32
    .sgpr_count:     30
    .sgpr_spill_count: 0
    .symbol:         _ZN4vllm3moe22topkGatingSoftplusSqrtILi4ELi32ELi4ELi16ELi32ELb1EjfEEvPKT6_PKbPfiPT5_PiiiibdPKfPKS8_SE_.kd
    .uniform_work_group_size: 1
    .uses_dynamic_stack: false
    .vgpr_count:     23
    .vgpr_spill_count: 0
    .wavefront_size: 64
  - .agpr_count:     0
    .args:
      - .address_space:  global
        .offset:         0
        .size:           8
        .value_kind:     global_buffer
      - .address_space:  global
        .offset:         8
        .size:           8
        .value_kind:     global_buffer
      - .address_space:  global
        .offset:         16
        .size:           8
        .value_kind:     global_buffer
      - .offset:         24
        .size:           4
        .value_kind:     by_value
      - .address_space:  global
        .offset:         32
        .size:           8
        .value_kind:     global_buffer
      - .address_space:  global
        .offset:         40
        .size:           8
        .value_kind:     global_buffer
      - .offset:         48
        .size:           4
        .value_kind:     by_value
      - .offset:         52
        .size:           4
        .value_kind:     by_value
      - .offset:         56
        .size:           4
        .value_kind:     by_value
      - .offset:         60
        .size:           1
        .value_kind:     by_value
      - .offset:         64
        .size:           8
        .value_kind:     by_value
      - .address_space:  global
        .offset:         72
        .size:           8
        .value_kind:     global_buffer
      - .address_space:  global
        .offset:         80
        .size:           8
        .value_kind:     global_buffer
      - .address_space:  global
        .offset:         88
        .size:           8
        .value_kind:     global_buffer
    .group_segment_fixed_size: 2048
    .kernarg_segment_align: 8
    .kernarg_segment_size: 96
    .language:       OpenCL C
    .language_version:
      - 2
      - 0
    .max_flat_workgroup_size: 128
    .name:           _ZN4vllm3moe22topkGatingSoftplusSqrtILi4ELi32ELi4ELi16ELi32ELb0EjfEEvPKT6_PKbPfiPT5_PiiiibdPKfPKS8_SE_
    .private_segment_fixed_size: 0
    .sgpr_count:     38
    .sgpr_spill_count: 0
    .symbol:         _ZN4vllm3moe22topkGatingSoftplusSqrtILi4ELi32ELi4ELi16ELi32ELb0EjfEEvPKT6_PKbPfiPT5_PiiiibdPKfPKS8_SE_.kd
    .uniform_work_group_size: 1
    .uses_dynamic_stack: false
    .vgpr_count:     18
    .vgpr_spill_count: 0
    .wavefront_size: 64
  - .agpr_count:     0
    .args:
      - .address_space:  global
        .offset:         0
        .size:           8
        .value_kind:     global_buffer
      - .address_space:  global
        .offset:         8
        .size:           8
        .value_kind:     global_buffer
      - .address_space:  global
        .offset:         16
        .size:           8
        .value_kind:     global_buffer
      - .offset:         24
        .size:           4
        .value_kind:     by_value
      - .address_space:  global
        .offset:         32
        .size:           8
        .value_kind:     global_buffer
      - .address_space:  global
        .offset:         40
        .size:           8
        .value_kind:     global_buffer
      - .offset:         48
        .size:           4
        .value_kind:     by_value
      - .offset:         52
        .size:           4
        .value_kind:     by_value
      - .offset:         56
        .size:           4
        .value_kind:     by_value
      - .offset:         60
        .size:           1
        .value_kind:     by_value
      - .offset:         64
        .size:           8
        .value_kind:     by_value
      - .address_space:  global
        .offset:         72
        .size:           8
        .value_kind:     global_buffer
      - .address_space:  global
        .offset:         80
        .size:           8
        .value_kind:     global_buffer
      - .address_space:  global
        .offset:         88
        .size:           8
        .value_kind:     global_buffer
    .group_segment_fixed_size: 0
    .kernarg_segment_align: 8
    .kernarg_segment_size: 96
    .language:       OpenCL C
    .language_version:
      - 2
      - 0
    .max_flat_workgroup_size: 256
    .name:           _ZN4vllm3moe22topkGatingSoftplusSqrtILi4ELi64ELi4ELi16ELi64ELb1EjfEEvPKT6_PKbPfiPT5_PiiiibdPKfPKS8_SE_
    .private_segment_fixed_size: 32
    .sgpr_count:     30
    .sgpr_spill_count: 0
    .symbol:         _ZN4vllm3moe22topkGatingSoftplusSqrtILi4ELi64ELi4ELi16ELi64ELb1EjfEEvPKT6_PKbPfiPT5_PiiiibdPKfPKS8_SE_.kd
    .uniform_work_group_size: 1
    .uses_dynamic_stack: false
    .vgpr_count:     23
    .vgpr_spill_count: 0
    .wavefront_size: 64
  - .agpr_count:     0
    .args:
      - .address_space:  global
        .offset:         0
        .size:           8
        .value_kind:     global_buffer
      - .address_space:  global
        .offset:         8
        .size:           8
        .value_kind:     global_buffer
      - .address_space:  global
        .offset:         16
        .size:           8
        .value_kind:     global_buffer
      - .offset:         24
        .size:           4
        .value_kind:     by_value
      - .address_space:  global
        .offset:         32
        .size:           8
        .value_kind:     global_buffer
      - .address_space:  global
        .offset:         40
        .size:           8
        .value_kind:     global_buffer
      - .offset:         48
        .size:           4
        .value_kind:     by_value
      - .offset:         52
        .size:           4
        .value_kind:     by_value
      - .offset:         56
        .size:           4
        .value_kind:     by_value
      - .offset:         60
        .size:           1
        .value_kind:     by_value
      - .offset:         64
        .size:           8
        .value_kind:     by_value
      - .address_space:  global
        .offset:         72
        .size:           8
        .value_kind:     global_buffer
      - .address_space:  global
        .offset:         80
        .size:           8
        .value_kind:     global_buffer
      - .address_space:  global
        .offset:         88
        .size:           8
        .value_kind:     global_buffer
    .group_segment_fixed_size: 4096
    .kernarg_segment_align: 8
    .kernarg_segment_size: 96
    .language:       OpenCL C
    .language_version:
      - 2
      - 0
    .max_flat_workgroup_size: 256
    .name:           _ZN4vllm3moe22topkGatingSoftplusSqrtILi4ELi64ELi4ELi16ELi64ELb0EjfEEvPKT6_PKbPfiPT5_PiiiibdPKfPKS8_SE_
    .private_segment_fixed_size: 0
    .sgpr_count:     38
    .sgpr_spill_count: 0
    .symbol:         _ZN4vllm3moe22topkGatingSoftplusSqrtILi4ELi64ELi4ELi16ELi64ELb0EjfEEvPKT6_PKbPfiPT5_PiiiibdPKfPKS8_SE_.kd
    .uniform_work_group_size: 1
    .uses_dynamic_stack: false
    .vgpr_count:     20
    .vgpr_spill_count: 0
    .wavefront_size: 64
  - .agpr_count:     0
    .args:
      - .address_space:  global
        .offset:         0
        .size:           8
        .value_kind:     global_buffer
      - .address_space:  global
        .offset:         8
        .size:           8
        .value_kind:     global_buffer
      - .address_space:  global
        .offset:         16
        .size:           8
        .value_kind:     global_buffer
      - .offset:         24
        .size:           4
        .value_kind:     by_value
      - .address_space:  global
        .offset:         32
        .size:           8
        .value_kind:     global_buffer
      - .address_space:  global
        .offset:         40
        .size:           8
        .value_kind:     global_buffer
      - .offset:         48
        .size:           4
        .value_kind:     by_value
      - .offset:         52
        .size:           4
        .value_kind:     by_value
      - .offset:         56
        .size:           4
        .value_kind:     by_value
      - .offset:         60
        .size:           1
        .value_kind:     by_value
      - .offset:         64
        .size:           8
        .value_kind:     by_value
      - .address_space:  global
        .offset:         72
        .size:           8
        .value_kind:     global_buffer
      - .address_space:  global
        .offset:         80
        .size:           8
        .value_kind:     global_buffer
      - .address_space:  global
        .offset:         88
        .size:           8
        .value_kind:     global_buffer
    .group_segment_fixed_size: 0
    .kernarg_segment_align: 8
    .kernarg_segment_size: 96
    .language:       OpenCL C
    .language_version:
      - 2
      - 0
    .max_flat_workgroup_size: 128
    .name:           _ZN4vllm3moe22topkGatingSoftplusSqrtILi4ELi64ELi4ELi16ELi32ELb1EjfEEvPKT6_PKbPfiPT5_PiiiibdPKfPKS8_SE_
    .private_segment_fixed_size: 32
    .sgpr_count:     30
    .sgpr_spill_count: 0
    .symbol:         _ZN4vllm3moe22topkGatingSoftplusSqrtILi4ELi64ELi4ELi16ELi32ELb1EjfEEvPKT6_PKbPfiPT5_PiiiibdPKfPKS8_SE_.kd
    .uniform_work_group_size: 1
    .uses_dynamic_stack: false
    .vgpr_count:     23
    .vgpr_spill_count: 0
    .wavefront_size: 64
  - .agpr_count:     0
    .args:
      - .address_space:  global
        .offset:         0
        .size:           8
        .value_kind:     global_buffer
      - .address_space:  global
        .offset:         8
        .size:           8
        .value_kind:     global_buffer
      - .address_space:  global
        .offset:         16
        .size:           8
        .value_kind:     global_buffer
      - .offset:         24
        .size:           4
        .value_kind:     by_value
      - .address_space:  global
        .offset:         32
        .size:           8
        .value_kind:     global_buffer
      - .address_space:  global
        .offset:         40
        .size:           8
        .value_kind:     global_buffer
      - .offset:         48
        .size:           4
        .value_kind:     by_value
      - .offset:         52
        .size:           4
        .value_kind:     by_value
      - .offset:         56
        .size:           4
        .value_kind:     by_value
      - .offset:         60
        .size:           1
        .value_kind:     by_value
      - .offset:         64
        .size:           8
        .value_kind:     by_value
      - .address_space:  global
        .offset:         72
        .size:           8
        .value_kind:     global_buffer
      - .address_space:  global
        .offset:         80
        .size:           8
        .value_kind:     global_buffer
      - .address_space:  global
        .offset:         88
        .size:           8
        .value_kind:     global_buffer
    .group_segment_fixed_size: 2048
    .kernarg_segment_align: 8
    .kernarg_segment_size: 96
    .language:       OpenCL C
    .language_version:
      - 2
      - 0
    .max_flat_workgroup_size: 128
    .name:           _ZN4vllm3moe22topkGatingSoftplusSqrtILi4ELi64ELi4ELi16ELi32ELb0EjfEEvPKT6_PKbPfiPT5_PiiiibdPKfPKS8_SE_
    .private_segment_fixed_size: 0
    .sgpr_count:     38
    .sgpr_spill_count: 0
    .symbol:         _ZN4vllm3moe22topkGatingSoftplusSqrtILi4ELi64ELi4ELi16ELi32ELb0EjfEEvPKT6_PKbPfiPT5_PiiiibdPKfPKS8_SE_.kd
    .uniform_work_group_size: 1
    .uses_dynamic_stack: false
    .vgpr_count:     20
    .vgpr_spill_count: 0
    .wavefront_size: 64
  - .agpr_count:     0
    .args:
      - .address_space:  global
        .offset:         0
        .size:           8
        .value_kind:     global_buffer
      - .address_space:  global
        .offset:         8
        .size:           8
        .value_kind:     global_buffer
      - .address_space:  global
        .offset:         16
        .size:           8
        .value_kind:     global_buffer
      - .offset:         24
        .size:           4
        .value_kind:     by_value
      - .address_space:  global
        .offset:         32
        .size:           8
        .value_kind:     global_buffer
      - .address_space:  global
        .offset:         40
        .size:           8
        .value_kind:     global_buffer
      - .offset:         48
        .size:           4
        .value_kind:     by_value
      - .offset:         52
        .size:           4
        .value_kind:     by_value
      - .offset:         56
        .size:           4
        .value_kind:     by_value
      - .offset:         60
        .size:           1
        .value_kind:     by_value
      - .offset:         64
        .size:           8
        .value_kind:     by_value
      - .address_space:  global
        .offset:         72
        .size:           8
        .value_kind:     global_buffer
      - .address_space:  global
        .offset:         80
        .size:           8
        .value_kind:     global_buffer
      - .address_space:  global
        .offset:         88
        .size:           8
        .value_kind:     global_buffer
    .group_segment_fixed_size: 0
    .kernarg_segment_align: 8
    .kernarg_segment_size: 96
    .language:       OpenCL C
    .language_version:
      - 2
      - 0
    .max_flat_workgroup_size: 256
    .name:           _ZN4vllm3moe22topkGatingSoftplusSqrtILi4ELi128ELi4ELi16ELi64ELb1EjfEEvPKT6_PKbPfiPT5_PiiiibdPKfPKS8_SE_
    .private_segment_fixed_size: 32
    .sgpr_count:     30
    .sgpr_spill_count: 0
    .symbol:         _ZN4vllm3moe22topkGatingSoftplusSqrtILi4ELi128ELi4ELi16ELi64ELb1EjfEEvPKT6_PKbPfiPT5_PiiiibdPKfPKS8_SE_.kd
    .uniform_work_group_size: 1
    .uses_dynamic_stack: false
    .vgpr_count:     23
    .vgpr_spill_count: 0
    .wavefront_size: 64
  - .agpr_count:     0
    .args:
      - .address_space:  global
        .offset:         0
        .size:           8
        .value_kind:     global_buffer
      - .address_space:  global
        .offset:         8
        .size:           8
        .value_kind:     global_buffer
      - .address_space:  global
        .offset:         16
        .size:           8
        .value_kind:     global_buffer
      - .offset:         24
        .size:           4
        .value_kind:     by_value
      - .address_space:  global
        .offset:         32
        .size:           8
        .value_kind:     global_buffer
      - .address_space:  global
        .offset:         40
        .size:           8
        .value_kind:     global_buffer
      - .offset:         48
        .size:           4
        .value_kind:     by_value
      - .offset:         52
        .size:           4
        .value_kind:     by_value
      - .offset:         56
        .size:           4
        .value_kind:     by_value
      - .offset:         60
        .size:           1
        .value_kind:     by_value
      - .offset:         64
        .size:           8
        .value_kind:     by_value
      - .address_space:  global
        .offset:         72
        .size:           8
        .value_kind:     global_buffer
      - .address_space:  global
        .offset:         80
        .size:           8
        .value_kind:     global_buffer
      - .address_space:  global
        .offset:         88
        .size:           8
        .value_kind:     global_buffer
    .group_segment_fixed_size: 4096
    .kernarg_segment_align: 8
    .kernarg_segment_size: 96
    .language:       OpenCL C
    .language_version:
      - 2
      - 0
    .max_flat_workgroup_size: 256
    .name:           _ZN4vllm3moe22topkGatingSoftplusSqrtILi4ELi128ELi4ELi16ELi64ELb0EjfEEvPKT6_PKbPfiPT5_PiiiibdPKfPKS8_SE_
    .private_segment_fixed_size: 0
    .sgpr_count:     38
    .sgpr_spill_count: 0
    .symbol:         _ZN4vllm3moe22topkGatingSoftplusSqrtILi4ELi128ELi4ELi16ELi64ELb0EjfEEvPKT6_PKbPfiPT5_PiiiibdPKfPKS8_SE_.kd
    .uniform_work_group_size: 1
    .uses_dynamic_stack: false
    .vgpr_count:     22
    .vgpr_spill_count: 0
    .wavefront_size: 64
  - .agpr_count:     0
    .args:
      - .address_space:  global
        .offset:         0
        .size:           8
        .value_kind:     global_buffer
      - .address_space:  global
        .offset:         8
        .size:           8
        .value_kind:     global_buffer
      - .address_space:  global
        .offset:         16
        .size:           8
        .value_kind:     global_buffer
      - .offset:         24
        .size:           4
        .value_kind:     by_value
      - .address_space:  global
        .offset:         32
        .size:           8
        .value_kind:     global_buffer
      - .address_space:  global
        .offset:         40
        .size:           8
        .value_kind:     global_buffer
      - .offset:         48
        .size:           4
        .value_kind:     by_value
      - .offset:         52
        .size:           4
        .value_kind:     by_value
      - .offset:         56
        .size:           4
        .value_kind:     by_value
      - .offset:         60
        .size:           1
        .value_kind:     by_value
      - .offset:         64
        .size:           8
        .value_kind:     by_value
      - .address_space:  global
        .offset:         72
        .size:           8
        .value_kind:     global_buffer
      - .address_space:  global
        .offset:         80
        .size:           8
        .value_kind:     global_buffer
      - .address_space:  global
        .offset:         88
        .size:           8
        .value_kind:     global_buffer
    .group_segment_fixed_size: 0
    .kernarg_segment_align: 8
    .kernarg_segment_size: 96
    .language:       OpenCL C
    .language_version:
      - 2
      - 0
    .max_flat_workgroup_size: 128
    .name:           _ZN4vllm3moe22topkGatingSoftplusSqrtILi4ELi128ELi4ELi16ELi32ELb1EjfEEvPKT6_PKbPfiPT5_PiiiibdPKfPKS8_SE_
    .private_segment_fixed_size: 32
    .sgpr_count:     30
    .sgpr_spill_count: 0
    .symbol:         _ZN4vllm3moe22topkGatingSoftplusSqrtILi4ELi128ELi4ELi16ELi32ELb1EjfEEvPKT6_PKbPfiPT5_PiiiibdPKfPKS8_SE_.kd
    .uniform_work_group_size: 1
    .uses_dynamic_stack: false
    .vgpr_count:     23
    .vgpr_spill_count: 0
    .wavefront_size: 64
  - .agpr_count:     0
    .args:
      - .address_space:  global
        .offset:         0
        .size:           8
        .value_kind:     global_buffer
      - .address_space:  global
        .offset:         8
        .size:           8
        .value_kind:     global_buffer
      - .address_space:  global
        .offset:         16
        .size:           8
        .value_kind:     global_buffer
      - .offset:         24
        .size:           4
        .value_kind:     by_value
      - .address_space:  global
        .offset:         32
        .size:           8
        .value_kind:     global_buffer
      - .address_space:  global
        .offset:         40
        .size:           8
        .value_kind:     global_buffer
      - .offset:         48
        .size:           4
        .value_kind:     by_value
      - .offset:         52
        .size:           4
        .value_kind:     by_value
      - .offset:         56
        .size:           4
        .value_kind:     by_value
      - .offset:         60
        .size:           1
        .value_kind:     by_value
      - .offset:         64
        .size:           8
        .value_kind:     by_value
      - .address_space:  global
        .offset:         72
        .size:           8
        .value_kind:     global_buffer
      - .address_space:  global
        .offset:         80
        .size:           8
        .value_kind:     global_buffer
      - .address_space:  global
        .offset:         88
        .size:           8
        .value_kind:     global_buffer
    .group_segment_fixed_size: 2048
    .kernarg_segment_align: 8
    .kernarg_segment_size: 96
    .language:       OpenCL C
    .language_version:
      - 2
      - 0
    .max_flat_workgroup_size: 128
    .name:           _ZN4vllm3moe22topkGatingSoftplusSqrtILi4ELi128ELi4ELi16ELi32ELb0EjfEEvPKT6_PKbPfiPT5_PiiiibdPKfPKS8_SE_
    .private_segment_fixed_size: 0
    .sgpr_count:     38
    .sgpr_spill_count: 0
    .symbol:         _ZN4vllm3moe22topkGatingSoftplusSqrtILi4ELi128ELi4ELi16ELi32ELb0EjfEEvPKT6_PKbPfiPT5_PiiiibdPKfPKS8_SE_.kd
    .uniform_work_group_size: 1
    .uses_dynamic_stack: false
    .vgpr_count:     22
    .vgpr_spill_count: 0
    .wavefront_size: 64
  - .agpr_count:     0
    .args:
      - .address_space:  global
        .offset:         0
        .size:           8
        .value_kind:     global_buffer
      - .address_space:  global
        .offset:         8
        .size:           8
        .value_kind:     global_buffer
      - .address_space:  global
        .offset:         16
        .size:           8
        .value_kind:     global_buffer
      - .offset:         24
        .size:           4
        .value_kind:     by_value
      - .address_space:  global
        .offset:         32
        .size:           8
        .value_kind:     global_buffer
      - .address_space:  global
        .offset:         40
        .size:           8
        .value_kind:     global_buffer
      - .offset:         48
        .size:           4
        .value_kind:     by_value
      - .offset:         52
        .size:           4
        .value_kind:     by_value
      - .offset:         56
        .size:           4
        .value_kind:     by_value
      - .offset:         60
        .size:           1
        .value_kind:     by_value
      - .offset:         64
        .size:           8
        .value_kind:     by_value
      - .address_space:  global
        .offset:         72
        .size:           8
        .value_kind:     global_buffer
      - .address_space:  global
        .offset:         80
        .size:           8
        .value_kind:     global_buffer
      - .address_space:  global
        .offset:         88
        .size:           8
        .value_kind:     global_buffer
    .group_segment_fixed_size: 0
    .kernarg_segment_align: 8
    .kernarg_segment_size: 96
    .language:       OpenCL C
    .language_version:
      - 2
      - 0
    .max_flat_workgroup_size: 256
    .name:           _ZN4vllm3moe22topkGatingSoftplusSqrtILi4ELi256ELi4ELi16ELi64ELb1EjfEEvPKT6_PKbPfiPT5_PiiiibdPKfPKS8_SE_
    .private_segment_fixed_size: 32
    .sgpr_count:     30
    .sgpr_spill_count: 0
    .symbol:         _ZN4vllm3moe22topkGatingSoftplusSqrtILi4ELi256ELi4ELi16ELi64ELb1EjfEEvPKT6_PKbPfiPT5_PiiiibdPKfPKS8_SE_.kd
    .uniform_work_group_size: 1
    .uses_dynamic_stack: false
    .vgpr_count:     23
    .vgpr_spill_count: 0
    .wavefront_size: 64
  - .agpr_count:     0
    .args:
      - .address_space:  global
        .offset:         0
        .size:           8
        .value_kind:     global_buffer
      - .address_space:  global
        .offset:         8
        .size:           8
        .value_kind:     global_buffer
      - .address_space:  global
        .offset:         16
        .size:           8
        .value_kind:     global_buffer
      - .offset:         24
        .size:           4
        .value_kind:     by_value
      - .address_space:  global
        .offset:         32
        .size:           8
        .value_kind:     global_buffer
      - .address_space:  global
        .offset:         40
        .size:           8
        .value_kind:     global_buffer
      - .offset:         48
        .size:           4
        .value_kind:     by_value
      - .offset:         52
        .size:           4
        .value_kind:     by_value
      - .offset:         56
        .size:           4
        .value_kind:     by_value
      - .offset:         60
        .size:           1
        .value_kind:     by_value
      - .offset:         64
        .size:           8
        .value_kind:     by_value
      - .address_space:  global
        .offset:         72
        .size:           8
        .value_kind:     global_buffer
      - .address_space:  global
        .offset:         80
        .size:           8
        .value_kind:     global_buffer
      - .address_space:  global
        .offset:         88
        .size:           8
        .value_kind:     global_buffer
    .group_segment_fixed_size: 4096
    .kernarg_segment_align: 8
    .kernarg_segment_size: 96
    .language:       OpenCL C
    .language_version:
      - 2
      - 0
    .max_flat_workgroup_size: 256
    .name:           _ZN4vllm3moe22topkGatingSoftplusSqrtILi4ELi256ELi4ELi16ELi64ELb0EjfEEvPKT6_PKbPfiPT5_PiiiibdPKfPKS8_SE_
    .private_segment_fixed_size: 0
    .sgpr_count:     38
    .sgpr_spill_count: 0
    .symbol:         _ZN4vllm3moe22topkGatingSoftplusSqrtILi4ELi256ELi4ELi16ELi64ELb0EjfEEvPKT6_PKbPfiPT5_PiiiibdPKfPKS8_SE_.kd
    .uniform_work_group_size: 1
    .uses_dynamic_stack: false
    .vgpr_count:     22
    .vgpr_spill_count: 0
    .wavefront_size: 64
  - .agpr_count:     0
    .args:
      - .address_space:  global
        .offset:         0
        .size:           8
        .value_kind:     global_buffer
      - .address_space:  global
        .offset:         8
        .size:           8
        .value_kind:     global_buffer
      - .address_space:  global
        .offset:         16
        .size:           8
        .value_kind:     global_buffer
      - .offset:         24
        .size:           4
        .value_kind:     by_value
      - .address_space:  global
        .offset:         32
        .size:           8
        .value_kind:     global_buffer
      - .address_space:  global
        .offset:         40
        .size:           8
        .value_kind:     global_buffer
      - .offset:         48
        .size:           4
        .value_kind:     by_value
      - .offset:         52
        .size:           4
        .value_kind:     by_value
      - .offset:         56
        .size:           4
        .value_kind:     by_value
      - .offset:         60
        .size:           1
        .value_kind:     by_value
      - .offset:         64
        .size:           8
        .value_kind:     by_value
      - .address_space:  global
        .offset:         72
        .size:           8
        .value_kind:     global_buffer
      - .address_space:  global
        .offset:         80
        .size:           8
        .value_kind:     global_buffer
      - .address_space:  global
        .offset:         88
        .size:           8
        .value_kind:     global_buffer
    .group_segment_fixed_size: 0
    .kernarg_segment_align: 8
    .kernarg_segment_size: 96
    .language:       OpenCL C
    .language_version:
      - 2
      - 0
    .max_flat_workgroup_size: 128
    .name:           _ZN4vllm3moe22topkGatingSoftplusSqrtILi8ELi256ELi4ELi16ELi32ELb1EjfEEvPKT6_PKbPfiPT5_PiiiibdPKfPKS8_SE_
    .private_segment_fixed_size: 48
    .sgpr_count:     40
    .sgpr_spill_count: 0
    .symbol:         _ZN4vllm3moe22topkGatingSoftplusSqrtILi8ELi256ELi4ELi16ELi32ELb1EjfEEvPKT6_PKbPfiPT5_PiiiibdPKfPKS8_SE_.kd
    .uniform_work_group_size: 1
    .uses_dynamic_stack: false
    .vgpr_count:     29
    .vgpr_spill_count: 0
    .wavefront_size: 64
  - .agpr_count:     0
    .args:
      - .address_space:  global
        .offset:         0
        .size:           8
        .value_kind:     global_buffer
      - .address_space:  global
        .offset:         8
        .size:           8
        .value_kind:     global_buffer
      - .address_space:  global
        .offset:         16
        .size:           8
        .value_kind:     global_buffer
      - .offset:         24
        .size:           4
        .value_kind:     by_value
      - .address_space:  global
        .offset:         32
        .size:           8
        .value_kind:     global_buffer
      - .address_space:  global
        .offset:         40
        .size:           8
        .value_kind:     global_buffer
      - .offset:         48
        .size:           4
        .value_kind:     by_value
      - .offset:         52
        .size:           4
        .value_kind:     by_value
      - .offset:         56
        .size:           4
        .value_kind:     by_value
      - .offset:         60
        .size:           1
        .value_kind:     by_value
      - .offset:         64
        .size:           8
        .value_kind:     by_value
      - .address_space:  global
        .offset:         72
        .size:           8
        .value_kind:     global_buffer
      - .address_space:  global
        .offset:         80
        .size:           8
        .value_kind:     global_buffer
      - .address_space:  global
        .offset:         88
        .size:           8
        .value_kind:     global_buffer
    .group_segment_fixed_size: 4096
    .kernarg_segment_align: 8
    .kernarg_segment_size: 96
    .language:       OpenCL C
    .language_version:
      - 2
      - 0
    .max_flat_workgroup_size: 128
    .name:           _ZN4vllm3moe22topkGatingSoftplusSqrtILi8ELi256ELi4ELi16ELi32ELb0EjfEEvPKT6_PKbPfiPT5_PiiiibdPKfPKS8_SE_
    .private_segment_fixed_size: 0
    .sgpr_count:     38
    .sgpr_spill_count: 0
    .symbol:         _ZN4vllm3moe22topkGatingSoftplusSqrtILi8ELi256ELi4ELi16ELi32ELb0EjfEEvPKT6_PKbPfiPT5_PiiiibdPKfPKS8_SE_.kd
    .uniform_work_group_size: 1
    .uses_dynamic_stack: false
    .vgpr_count:     28
    .vgpr_spill_count: 0
    .wavefront_size: 64
  - .agpr_count:     0
    .args:
      - .address_space:  global
        .offset:         0
        .size:           8
        .value_kind:     global_buffer
      - .address_space:  global
        .offset:         8
        .size:           8
        .value_kind:     global_buffer
      - .address_space:  global
        .offset:         16
        .size:           8
        .value_kind:     global_buffer
      - .offset:         24
        .size:           4
        .value_kind:     by_value
      - .address_space:  global
        .offset:         32
        .size:           8
        .value_kind:     global_buffer
      - .address_space:  global
        .offset:         40
        .size:           8
        .value_kind:     global_buffer
      - .offset:         48
        .size:           4
        .value_kind:     by_value
      - .offset:         52
        .size:           4
        .value_kind:     by_value
      - .offset:         56
        .size:           4
        .value_kind:     by_value
      - .offset:         60
        .size:           1
        .value_kind:     by_value
      - .offset:         64
        .size:           8
        .value_kind:     by_value
      - .address_space:  global
        .offset:         72
        .size:           8
        .value_kind:     global_buffer
      - .address_space:  global
        .offset:         80
        .size:           8
        .value_kind:     global_buffer
      - .address_space:  global
        .offset:         88
        .size:           8
        .value_kind:     global_buffer
    .group_segment_fixed_size: 0
    .kernarg_segment_align: 8
    .kernarg_segment_size: 96
    .language:       OpenCL C
    .language_version:
      - 2
      - 0
    .max_flat_workgroup_size: 256
    .name:           _ZN4vllm3moe22topkGatingSoftplusSqrtILi8ELi512ELi4ELi16ELi64ELb1EjfEEvPKT6_PKbPfiPT5_PiiiibdPKfPKS8_SE_
    .private_segment_fixed_size: 48
    .sgpr_count:     40
    .sgpr_spill_count: 0
    .symbol:         _ZN4vllm3moe22topkGatingSoftplusSqrtILi8ELi512ELi4ELi16ELi64ELb1EjfEEvPKT6_PKbPfiPT5_PiiiibdPKfPKS8_SE_.kd
    .uniform_work_group_size: 1
    .uses_dynamic_stack: false
    .vgpr_count:     29
    .vgpr_spill_count: 0
    .wavefront_size: 64
  - .agpr_count:     0
    .args:
      - .address_space:  global
        .offset:         0
        .size:           8
        .value_kind:     global_buffer
      - .address_space:  global
        .offset:         8
        .size:           8
        .value_kind:     global_buffer
      - .address_space:  global
        .offset:         16
        .size:           8
        .value_kind:     global_buffer
      - .offset:         24
        .size:           4
        .value_kind:     by_value
      - .address_space:  global
        .offset:         32
        .size:           8
        .value_kind:     global_buffer
      - .address_space:  global
        .offset:         40
        .size:           8
        .value_kind:     global_buffer
      - .offset:         48
        .size:           4
        .value_kind:     by_value
      - .offset:         52
        .size:           4
        .value_kind:     by_value
      - .offset:         56
        .size:           4
        .value_kind:     by_value
      - .offset:         60
        .size:           1
        .value_kind:     by_value
      - .offset:         64
        .size:           8
        .value_kind:     by_value
      - .address_space:  global
        .offset:         72
        .size:           8
        .value_kind:     global_buffer
      - .address_space:  global
        .offset:         80
        .size:           8
        .value_kind:     global_buffer
      - .address_space:  global
        .offset:         88
        .size:           8
        .value_kind:     global_buffer
    .group_segment_fixed_size: 8192
    .kernarg_segment_align: 8
    .kernarg_segment_size: 96
    .language:       OpenCL C
    .language_version:
      - 2
      - 0
    .max_flat_workgroup_size: 256
    .name:           _ZN4vllm3moe22topkGatingSoftplusSqrtILi8ELi512ELi4ELi16ELi64ELb0EjfEEvPKT6_PKbPfiPT5_PiiiibdPKfPKS8_SE_
    .private_segment_fixed_size: 0
    .sgpr_count:     38
    .sgpr_spill_count: 0
    .symbol:         _ZN4vllm3moe22topkGatingSoftplusSqrtILi8ELi512ELi4ELi16ELi64ELb0EjfEEvPKT6_PKbPfiPT5_PiiiibdPKfPKS8_SE_.kd
    .uniform_work_group_size: 1
    .uses_dynamic_stack: false
    .vgpr_count:     30
    .vgpr_spill_count: 0
    .wavefront_size: 64
  - .agpr_count:     0
    .args:
      - .address_space:  global
        .offset:         0
        .size:           8
        .value_kind:     global_buffer
      - .address_space:  global
        .offset:         8
        .size:           8
        .value_kind:     global_buffer
      - .address_space:  global
        .offset:         16
        .size:           8
        .value_kind:     global_buffer
      - .offset:         24
        .size:           4
        .value_kind:     by_value
      - .address_space:  global
        .offset:         32
        .size:           8
        .value_kind:     global_buffer
      - .address_space:  global
        .offset:         40
        .size:           8
        .value_kind:     global_buffer
      - .offset:         48
        .size:           4
        .value_kind:     by_value
      - .offset:         52
        .size:           4
        .value_kind:     by_value
      - .offset:         56
        .size:           4
        .value_kind:     by_value
      - .offset:         60
        .size:           1
        .value_kind:     by_value
      - .offset:         64
        .size:           8
        .value_kind:     by_value
      - .address_space:  global
        .offset:         72
        .size:           8
        .value_kind:     global_buffer
      - .address_space:  global
        .offset:         80
        .size:           8
        .value_kind:     global_buffer
      - .address_space:  global
        .offset:         88
        .size:           8
        .value_kind:     global_buffer
    .group_segment_fixed_size: 0
    .kernarg_segment_align: 8
    .kernarg_segment_size: 96
    .language:       OpenCL C
    .language_version:
      - 2
      - 0
    .max_flat_workgroup_size: 128
    .name:           _ZN4vllm3moe22topkGatingSoftplusSqrtILi16ELi512ELi4ELi16ELi32ELb1EjfEEvPKT6_PKbPfiPT5_PiiiibdPKfPKS8_SE_
    .private_segment_fixed_size: 80
    .sgpr_count:     70
    .sgpr_spill_count: 0
    .symbol:         _ZN4vllm3moe22topkGatingSoftplusSqrtILi16ELi512ELi4ELi16ELi32ELb1EjfEEvPKT6_PKbPfiPT5_PiiiibdPKfPKS8_SE_.kd
    .uniform_work_group_size: 1
    .uses_dynamic_stack: false
    .vgpr_count:     39
    .vgpr_spill_count: 0
    .wavefront_size: 64
  - .agpr_count:     0
    .args:
      - .address_space:  global
        .offset:         0
        .size:           8
        .value_kind:     global_buffer
      - .address_space:  global
        .offset:         8
        .size:           8
        .value_kind:     global_buffer
      - .address_space:  global
        .offset:         16
        .size:           8
        .value_kind:     global_buffer
      - .offset:         24
        .size:           4
        .value_kind:     by_value
      - .address_space:  global
        .offset:         32
        .size:           8
        .value_kind:     global_buffer
      - .address_space:  global
        .offset:         40
        .size:           8
        .value_kind:     global_buffer
      - .offset:         48
        .size:           4
        .value_kind:     by_value
      - .offset:         52
        .size:           4
        .value_kind:     by_value
      - .offset:         56
        .size:           4
        .value_kind:     by_value
      - .offset:         60
        .size:           1
        .value_kind:     by_value
      - .offset:         64
        .size:           8
        .value_kind:     by_value
      - .address_space:  global
        .offset:         72
        .size:           8
        .value_kind:     global_buffer
      - .address_space:  global
        .offset:         80
        .size:           8
        .value_kind:     global_buffer
      - .address_space:  global
        .offset:         88
        .size:           8
        .value_kind:     global_buffer
    .group_segment_fixed_size: 0
    .kernarg_segment_align: 8
    .kernarg_segment_size: 96
    .language:       OpenCL C
    .language_version:
      - 2
      - 0
    .max_flat_workgroup_size: 128
    .name:           _ZN4vllm3moe22topkGatingSoftplusSqrtILi16ELi512ELi4ELi16ELi32ELb0EjfEEvPKT6_PKbPfiPT5_PiiiibdPKfPKS8_SE_
    .private_segment_fixed_size: 80
    .sgpr_count:     38
    .sgpr_spill_count: 0
    .symbol:         _ZN4vllm3moe22topkGatingSoftplusSqrtILi16ELi512ELi4ELi16ELi32ELb0EjfEEvPKT6_PKbPfiPT5_PiiiibdPKfPKS8_SE_.kd
    .uniform_work_group_size: 1
    .uses_dynamic_stack: false
    .vgpr_count:     44
    .vgpr_spill_count: 0
    .wavefront_size: 64
  - .agpr_count:     0
    .args:
      - .address_space:  global
        .offset:         0
        .size:           8
        .value_kind:     global_buffer
      - .address_space:  global
        .offset:         8
        .size:           8
        .value_kind:     global_buffer
      - .address_space:  global
        .offset:         16
        .size:           8
        .value_kind:     global_buffer
      - .offset:         24
        .size:           4
        .value_kind:     by_value
      - .address_space:  global
        .offset:         32
        .size:           8
        .value_kind:     global_buffer
      - .address_space:  global
        .offset:         40
        .size:           8
        .value_kind:     global_buffer
      - .offset:         48
        .size:           4
        .value_kind:     by_value
      - .offset:         52
        .size:           4
        .value_kind:     by_value
      - .offset:         56
        .size:           4
        .value_kind:     by_value
      - .offset:         60
        .size:           1
        .value_kind:     by_value
      - .offset:         64
        .size:           8
        .value_kind:     by_value
      - .address_space:  global
        .offset:         72
        .size:           8
        .value_kind:     global_buffer
      - .address_space:  global
        .offset:         80
        .size:           8
        .value_kind:     global_buffer
      - .address_space:  global
        .offset:         88
        .size:           8
        .value_kind:     global_buffer
    .group_segment_fixed_size: 0
    .kernarg_segment_align: 8
    .kernarg_segment_size: 96
    .language:       OpenCL C
    .language_version:
      - 2
      - 0
    .max_flat_workgroup_size: 256
    .name:           _ZN4vllm3moe22topkGatingSoftplusSqrtILi3ELi192ELi4ELi4ELi64ELb1EjfEEvPKT6_PKbPfiPT5_PiiiibdPKfPKS8_SE_
    .private_segment_fixed_size: 0
    .sgpr_count:     27
    .sgpr_spill_count: 0
    .symbol:         _ZN4vllm3moe22topkGatingSoftplusSqrtILi3ELi192ELi4ELi4ELi64ELb1EjfEEvPKT6_PKbPfiPT5_PiiiibdPKfPKS8_SE_.kd
    .uniform_work_group_size: 1
    .uses_dynamic_stack: false
    .vgpr_count:     22
    .vgpr_spill_count: 0
    .wavefront_size: 64
  - .agpr_count:     0
    .args:
      - .address_space:  global
        .offset:         0
        .size:           8
        .value_kind:     global_buffer
      - .address_space:  global
        .offset:         8
        .size:           8
        .value_kind:     global_buffer
      - .address_space:  global
        .offset:         16
        .size:           8
        .value_kind:     global_buffer
      - .offset:         24
        .size:           4
        .value_kind:     by_value
      - .address_space:  global
        .offset:         32
        .size:           8
        .value_kind:     global_buffer
      - .address_space:  global
        .offset:         40
        .size:           8
        .value_kind:     global_buffer
      - .offset:         48
        .size:           4
        .value_kind:     by_value
      - .offset:         52
        .size:           4
        .value_kind:     by_value
      - .offset:         56
        .size:           4
        .value_kind:     by_value
      - .offset:         60
        .size:           1
        .value_kind:     by_value
      - .offset:         64
        .size:           8
        .value_kind:     by_value
      - .address_space:  global
        .offset:         72
        .size:           8
        .value_kind:     global_buffer
      - .address_space:  global
        .offset:         80
        .size:           8
        .value_kind:     global_buffer
      - .address_space:  global
        .offset:         88
        .size:           8
        .value_kind:     global_buffer
    .group_segment_fixed_size: 0
    .kernarg_segment_align: 8
    .kernarg_segment_size: 96
    .language:       OpenCL C
    .language_version:
      - 2
      - 0
    .max_flat_workgroup_size: 256
    .name:           _ZN4vllm3moe22topkGatingSoftplusSqrtILi3ELi192ELi4ELi4ELi64ELb0EjfEEvPKT6_PKbPfiPT5_PiiiibdPKfPKS8_SE_
    .private_segment_fixed_size: 0
    .sgpr_count:     37
    .sgpr_spill_count: 0
    .symbol:         _ZN4vllm3moe22topkGatingSoftplusSqrtILi3ELi192ELi4ELi4ELi64ELb0EjfEEvPKT6_PKbPfiPT5_PiiiibdPKfPKS8_SE_.kd
    .uniform_work_group_size: 1
    .uses_dynamic_stack: false
    .vgpr_count:     26
    .vgpr_spill_count: 0
    .wavefront_size: 64
  - .agpr_count:     0
    .args:
      - .address_space:  global
        .offset:         0
        .size:           8
        .value_kind:     global_buffer
      - .address_space:  global
        .offset:         8
        .size:           8
        .value_kind:     global_buffer
      - .address_space:  global
        .offset:         16
        .size:           8
        .value_kind:     global_buffer
      - .offset:         24
        .size:           4
        .value_kind:     by_value
      - .address_space:  global
        .offset:         32
        .size:           8
        .value_kind:     global_buffer
      - .address_space:  global
        .offset:         40
        .size:           8
        .value_kind:     global_buffer
      - .offset:         48
        .size:           4
        .value_kind:     by_value
      - .offset:         52
        .size:           4
        .value_kind:     by_value
      - .offset:         56
        .size:           4
        .value_kind:     by_value
      - .offset:         60
        .size:           1
        .value_kind:     by_value
      - .offset:         64
        .size:           8
        .value_kind:     by_value
      - .address_space:  global
        .offset:         72
        .size:           8
        .value_kind:     global_buffer
      - .address_space:  global
        .offset:         80
        .size:           8
        .value_kind:     global_buffer
      - .address_space:  global
        .offset:         88
        .size:           8
        .value_kind:     global_buffer
    .group_segment_fixed_size: 0
    .kernarg_segment_align: 8
    .kernarg_segment_size: 96
    .language:       OpenCL C
    .language_version:
      - 2
      - 0
    .max_flat_workgroup_size: 128
    .name:           _ZN4vllm3moe22topkGatingSoftplusSqrtILi6ELi192ELi4ELi4ELi32ELb1EjfEEvPKT6_PKbPfiPT5_PiiiibdPKfPKS8_SE_
    .private_segment_fixed_size: 0
    .sgpr_count:     31
    .sgpr_spill_count: 0
    .symbol:         _ZN4vllm3moe22topkGatingSoftplusSqrtILi6ELi192ELi4ELi4ELi32ELb1EjfEEvPKT6_PKbPfiPT5_PiiiibdPKfPKS8_SE_.kd
    .uniform_work_group_size: 1
    .uses_dynamic_stack: false
    .vgpr_count:     26
    .vgpr_spill_count: 0
    .wavefront_size: 64
  - .agpr_count:     0
    .args:
      - .address_space:  global
        .offset:         0
        .size:           8
        .value_kind:     global_buffer
      - .address_space:  global
        .offset:         8
        .size:           8
        .value_kind:     global_buffer
      - .address_space:  global
        .offset:         16
        .size:           8
        .value_kind:     global_buffer
      - .offset:         24
        .size:           4
        .value_kind:     by_value
      - .address_space:  global
        .offset:         32
        .size:           8
        .value_kind:     global_buffer
      - .address_space:  global
        .offset:         40
        .size:           8
        .value_kind:     global_buffer
      - .offset:         48
        .size:           4
        .value_kind:     by_value
      - .offset:         52
        .size:           4
        .value_kind:     by_value
      - .offset:         56
        .size:           4
        .value_kind:     by_value
      - .offset:         60
        .size:           1
        .value_kind:     by_value
      - .offset:         64
        .size:           8
        .value_kind:     by_value
      - .address_space:  global
        .offset:         72
        .size:           8
        .value_kind:     global_buffer
      - .address_space:  global
        .offset:         80
        .size:           8
        .value_kind:     global_buffer
      - .address_space:  global
        .offset:         88
        .size:           8
        .value_kind:     global_buffer
    .group_segment_fixed_size: 0
    .kernarg_segment_align: 8
    .kernarg_segment_size: 96
    .language:       OpenCL C
    .language_version:
      - 2
      - 0
    .max_flat_workgroup_size: 128
    .name:           _ZN4vllm3moe22topkGatingSoftplusSqrtILi6ELi192ELi4ELi4ELi32ELb0EjfEEvPKT6_PKbPfiPT5_PiiiibdPKfPKS8_SE_
    .private_segment_fixed_size: 0
    .sgpr_count:     38
    .sgpr_spill_count: 0
    .symbol:         _ZN4vllm3moe22topkGatingSoftplusSqrtILi6ELi192ELi4ELi4ELi32ELb0EjfEEvPKT6_PKbPfiPT5_PiiiibdPKfPKS8_SE_.kd
    .uniform_work_group_size: 1
    .uses_dynamic_stack: false
    .vgpr_count:     30
    .vgpr_spill_count: 0
    .wavefront_size: 64
  - .agpr_count:     0
    .args:
      - .address_space:  global
        .offset:         0
        .size:           8
        .value_kind:     global_buffer
      - .address_space:  global
        .offset:         8
        .size:           8
        .value_kind:     global_buffer
      - .address_space:  global
        .offset:         16
        .size:           8
        .value_kind:     global_buffer
      - .offset:         24
        .size:           4
        .value_kind:     by_value
      - .address_space:  global
        .offset:         32
        .size:           8
        .value_kind:     global_buffer
      - .address_space:  global
        .offset:         40
        .size:           8
        .value_kind:     global_buffer
      - .offset:         48
        .size:           4
        .value_kind:     by_value
      - .offset:         52
        .size:           4
        .value_kind:     by_value
      - .offset:         56
        .size:           4
        .value_kind:     by_value
      - .offset:         60
        .size:           1
        .value_kind:     by_value
      - .offset:         64
        .size:           8
        .value_kind:     by_value
      - .address_space:  global
        .offset:         72
        .size:           8
        .value_kind:     global_buffer
      - .address_space:  global
        .offset:         80
        .size:           8
        .value_kind:     global_buffer
      - .address_space:  global
        .offset:         88
        .size:           8
        .value_kind:     global_buffer
    .group_segment_fixed_size: 0
    .kernarg_segment_align: 8
    .kernarg_segment_size: 96
    .language:       OpenCL C
    .language_version:
      - 2
      - 0
    .max_flat_workgroup_size: 256
    .name:           _ZN4vllm3moe22topkGatingSoftplusSqrtILi5ELi320ELi4ELi4ELi64ELb1EjfEEvPKT6_PKbPfiPT5_PiiiibdPKfPKS8_SE_
    .private_segment_fixed_size: 0
    .sgpr_count:     27
    .sgpr_spill_count: 0
    .symbol:         _ZN4vllm3moe22topkGatingSoftplusSqrtILi5ELi320ELi4ELi4ELi64ELb1EjfEEvPKT6_PKbPfiPT5_PiiiibdPKfPKS8_SE_.kd
    .uniform_work_group_size: 1
    .uses_dynamic_stack: false
    .vgpr_count:     25
    .vgpr_spill_count: 0
    .wavefront_size: 64
  - .agpr_count:     0
    .args:
      - .address_space:  global
        .offset:         0
        .size:           8
        .value_kind:     global_buffer
      - .address_space:  global
        .offset:         8
        .size:           8
        .value_kind:     global_buffer
      - .address_space:  global
        .offset:         16
        .size:           8
        .value_kind:     global_buffer
      - .offset:         24
        .size:           4
        .value_kind:     by_value
      - .address_space:  global
        .offset:         32
        .size:           8
        .value_kind:     global_buffer
      - .address_space:  global
        .offset:         40
        .size:           8
        .value_kind:     global_buffer
      - .offset:         48
        .size:           4
        .value_kind:     by_value
      - .offset:         52
        .size:           4
        .value_kind:     by_value
      - .offset:         56
        .size:           4
        .value_kind:     by_value
      - .offset:         60
        .size:           1
        .value_kind:     by_value
      - .offset:         64
        .size:           8
        .value_kind:     by_value
      - .address_space:  global
        .offset:         72
        .size:           8
        .value_kind:     global_buffer
      - .address_space:  global
        .offset:         80
        .size:           8
        .value_kind:     global_buffer
      - .address_space:  global
        .offset:         88
        .size:           8
        .value_kind:     global_buffer
    .group_segment_fixed_size: 0
    .kernarg_segment_align: 8
    .kernarg_segment_size: 96
    .language:       OpenCL C
    .language_version:
      - 2
      - 0
    .max_flat_workgroup_size: 256
    .name:           _ZN4vllm3moe22topkGatingSoftplusSqrtILi5ELi320ELi4ELi4ELi64ELb0EjfEEvPKT6_PKbPfiPT5_PiiiibdPKfPKS8_SE_
    .private_segment_fixed_size: 0
    .sgpr_count:     37
    .sgpr_spill_count: 0
    .symbol:         _ZN4vllm3moe22topkGatingSoftplusSqrtILi5ELi320ELi4ELi4ELi64ELb0EjfEEvPKT6_PKbPfiPT5_PiiiibdPKfPKS8_SE_.kd
    .uniform_work_group_size: 1
    .uses_dynamic_stack: false
    .vgpr_count:     30
    .vgpr_spill_count: 0
    .wavefront_size: 64
  - .agpr_count:     0
    .args:
      - .address_space:  global
        .offset:         0
        .size:           8
        .value_kind:     global_buffer
      - .address_space:  global
        .offset:         8
        .size:           8
        .value_kind:     global_buffer
      - .address_space:  global
        .offset:         16
        .size:           8
        .value_kind:     global_buffer
      - .offset:         24
        .size:           4
        .value_kind:     by_value
      - .address_space:  global
        .offset:         32
        .size:           8
        .value_kind:     global_buffer
      - .address_space:  global
        .offset:         40
        .size:           8
        .value_kind:     global_buffer
      - .offset:         48
        .size:           4
        .value_kind:     by_value
      - .offset:         52
        .size:           4
        .value_kind:     by_value
      - .offset:         56
        .size:           4
        .value_kind:     by_value
      - .offset:         60
        .size:           1
        .value_kind:     by_value
      - .offset:         64
        .size:           8
        .value_kind:     by_value
      - .address_space:  global
        .offset:         72
        .size:           8
        .value_kind:     global_buffer
      - .address_space:  global
        .offset:         80
        .size:           8
        .value_kind:     global_buffer
      - .address_space:  global
        .offset:         88
        .size:           8
        .value_kind:     global_buffer
    .group_segment_fixed_size: 0
    .kernarg_segment_align: 8
    .kernarg_segment_size: 96
    .language:       OpenCL C
    .language_version:
      - 2
      - 0
    .max_flat_workgroup_size: 128
    .name:           _ZN4vllm3moe22topkGatingSoftplusSqrtILi10ELi320ELi4ELi4ELi32ELb1EjfEEvPKT6_PKbPfiPT5_PiiiibdPKfPKS8_SE_
    .private_segment_fixed_size: 0
    .sgpr_count:     48
    .sgpr_spill_count: 0
    .symbol:         _ZN4vllm3moe22topkGatingSoftplusSqrtILi10ELi320ELi4ELi4ELi32ELb1EjfEEvPKT6_PKbPfiPT5_PiiiibdPKfPKS8_SE_.kd
    .uniform_work_group_size: 1
    .uses_dynamic_stack: false
    .vgpr_count:     34
    .vgpr_spill_count: 0
    .wavefront_size: 64
  - .agpr_count:     0
    .args:
      - .address_space:  global
        .offset:         0
        .size:           8
        .value_kind:     global_buffer
      - .address_space:  global
        .offset:         8
        .size:           8
        .value_kind:     global_buffer
      - .address_space:  global
        .offset:         16
        .size:           8
        .value_kind:     global_buffer
      - .offset:         24
        .size:           4
        .value_kind:     by_value
      - .address_space:  global
        .offset:         32
        .size:           8
        .value_kind:     global_buffer
      - .address_space:  global
        .offset:         40
        .size:           8
        .value_kind:     global_buffer
      - .offset:         48
        .size:           4
        .value_kind:     by_value
      - .offset:         52
        .size:           4
        .value_kind:     by_value
      - .offset:         56
        .size:           4
        .value_kind:     by_value
      - .offset:         60
        .size:           1
        .value_kind:     by_value
      - .offset:         64
        .size:           8
        .value_kind:     by_value
      - .address_space:  global
        .offset:         72
        .size:           8
        .value_kind:     global_buffer
      - .address_space:  global
        .offset:         80
        .size:           8
        .value_kind:     global_buffer
      - .address_space:  global
        .offset:         88
        .size:           8
        .value_kind:     global_buffer
    .group_segment_fixed_size: 0
    .kernarg_segment_align: 8
    .kernarg_segment_size: 96
    .language:       OpenCL C
    .language_version:
      - 2
      - 0
    .max_flat_workgroup_size: 128
    .name:           _ZN4vllm3moe22topkGatingSoftplusSqrtILi10ELi320ELi4ELi4ELi32ELb0EjfEEvPKT6_PKbPfiPT5_PiiiibdPKfPKS8_SE_
    .private_segment_fixed_size: 0
    .sgpr_count:     38
    .sgpr_spill_count: 0
    .symbol:         _ZN4vllm3moe22topkGatingSoftplusSqrtILi10ELi320ELi4ELi4ELi32ELb0EjfEEvPKT6_PKbPfiPT5_PiiiibdPKfPKS8_SE_.kd
    .uniform_work_group_size: 1
    .uses_dynamic_stack: false
    .vgpr_count:     38
    .vgpr_spill_count: 0
    .wavefront_size: 64
  - .agpr_count:     0
    .args:
      - .address_space:  global
        .offset:         0
        .size:           8
        .value_kind:     global_buffer
      - .address_space:  global
        .offset:         8
        .size:           8
        .value_kind:     global_buffer
      - .address_space:  global
        .offset:         16
        .size:           8
        .value_kind:     global_buffer
      - .offset:         24
        .size:           4
        .value_kind:     by_value
      - .address_space:  global
        .offset:         32
        .size:           8
        .value_kind:     global_buffer
      - .address_space:  global
        .offset:         40
        .size:           8
        .value_kind:     global_buffer
      - .offset:         48
        .size:           4
        .value_kind:     by_value
      - .offset:         52
        .size:           4
        .value_kind:     by_value
      - .offset:         56
        .size:           4
        .value_kind:     by_value
      - .offset:         60
        .size:           1
        .value_kind:     by_value
      - .offset:         64
        .size:           8
        .value_kind:     by_value
      - .address_space:  global
        .offset:         72
        .size:           8
        .value_kind:     global_buffer
      - .address_space:  global
        .offset:         80
        .size:           8
        .value_kind:     global_buffer
      - .address_space:  global
        .offset:         88
        .size:           8
        .value_kind:     global_buffer
    .group_segment_fixed_size: 0
    .kernarg_segment_align: 8
    .kernarg_segment_size: 96
    .language:       OpenCL C
    .language_version:
      - 2
      - 0
    .max_flat_workgroup_size: 256
    .name:           _ZN4vllm3moe22topkGatingSoftplusSqrtILi6ELi384ELi4ELi8ELi64ELb1EjfEEvPKT6_PKbPfiPT5_PiiiibdPKfPKS8_SE_
    .private_segment_fixed_size: 32
    .sgpr_count:     31
    .sgpr_spill_count: 0
    .symbol:         _ZN4vllm3moe22topkGatingSoftplusSqrtILi6ELi384ELi4ELi8ELi64ELb1EjfEEvPKT6_PKbPfiPT5_PiiiibdPKfPKS8_SE_.kd
    .uniform_work_group_size: 1
    .uses_dynamic_stack: false
    .vgpr_count:     26
    .vgpr_spill_count: 0
    .wavefront_size: 64
  - .agpr_count:     0
    .args:
      - .address_space:  global
        .offset:         0
        .size:           8
        .value_kind:     global_buffer
      - .address_space:  global
        .offset:         8
        .size:           8
        .value_kind:     global_buffer
      - .address_space:  global
        .offset:         16
        .size:           8
        .value_kind:     global_buffer
      - .offset:         24
        .size:           4
        .value_kind:     by_value
      - .address_space:  global
        .offset:         32
        .size:           8
        .value_kind:     global_buffer
      - .address_space:  global
        .offset:         40
        .size:           8
        .value_kind:     global_buffer
      - .offset:         48
        .size:           4
        .value_kind:     by_value
      - .offset:         52
        .size:           4
        .value_kind:     by_value
      - .offset:         56
        .size:           4
        .value_kind:     by_value
      - .offset:         60
        .size:           1
        .value_kind:     by_value
      - .offset:         64
        .size:           8
        .value_kind:     by_value
      - .address_space:  global
        .offset:         72
        .size:           8
        .value_kind:     global_buffer
      - .address_space:  global
        .offset:         80
        .size:           8
        .value_kind:     global_buffer
      - .address_space:  global
        .offset:         88
        .size:           8
        .value_kind:     global_buffer
    .group_segment_fixed_size: 0
    .kernarg_segment_align: 8
    .kernarg_segment_size: 96
    .language:       OpenCL C
    .language_version:
      - 2
      - 0
    .max_flat_workgroup_size: 256
    .name:           _ZN4vllm3moe22topkGatingSoftplusSqrtILi6ELi384ELi4ELi8ELi64ELb0EjfEEvPKT6_PKbPfiPT5_PiiiibdPKfPKS8_SE_
    .private_segment_fixed_size: 0
    .sgpr_count:     38
    .sgpr_spill_count: 0
    .symbol:         _ZN4vllm3moe22topkGatingSoftplusSqrtILi6ELi384ELi4ELi8ELi64ELb0EjfEEvPKT6_PKbPfiPT5_PiiiibdPKfPKS8_SE_.kd
    .uniform_work_group_size: 1
    .uses_dynamic_stack: false
    .vgpr_count:     32
    .vgpr_spill_count: 0
    .wavefront_size: 64
  - .agpr_count:     0
    .args:
      - .address_space:  global
        .offset:         0
        .size:           8
        .value_kind:     global_buffer
      - .address_space:  global
        .offset:         8
        .size:           8
        .value_kind:     global_buffer
      - .address_space:  global
        .offset:         16
        .size:           8
        .value_kind:     global_buffer
      - .offset:         24
        .size:           4
        .value_kind:     by_value
      - .address_space:  global
        .offset:         32
        .size:           8
        .value_kind:     global_buffer
      - .address_space:  global
        .offset:         40
        .size:           8
        .value_kind:     global_buffer
      - .offset:         48
        .size:           4
        .value_kind:     by_value
      - .offset:         52
        .size:           4
        .value_kind:     by_value
      - .offset:         56
        .size:           4
        .value_kind:     by_value
      - .offset:         60
        .size:           1
        .value_kind:     by_value
      - .offset:         64
        .size:           8
        .value_kind:     by_value
      - .address_space:  global
        .offset:         72
        .size:           8
        .value_kind:     global_buffer
      - .address_space:  global
        .offset:         80
        .size:           8
        .value_kind:     global_buffer
      - .address_space:  global
        .offset:         88
        .size:           8
        .value_kind:     global_buffer
    .group_segment_fixed_size: 0
    .kernarg_segment_align: 8
    .kernarg_segment_size: 96
    .language:       OpenCL C
    .language_version:
      - 2
      - 0
    .max_flat_workgroup_size: 128
    .name:           _ZN4vllm3moe22topkGatingSoftplusSqrtILi12ELi384ELi4ELi8ELi32ELb1EjfEEvPKT6_PKbPfiPT5_PiiiibdPKfPKS8_SE_
    .private_segment_fixed_size: 64
    .sgpr_count:     54
    .sgpr_spill_count: 0
    .symbol:         _ZN4vllm3moe22topkGatingSoftplusSqrtILi12ELi384ELi4ELi8ELi32ELb1EjfEEvPKT6_PKbPfiPT5_PiiiibdPKfPKS8_SE_.kd
    .uniform_work_group_size: 1
    .uses_dynamic_stack: false
    .vgpr_count:     32
    .vgpr_spill_count: 0
    .wavefront_size: 64
  - .agpr_count:     0
    .args:
      - .address_space:  global
        .offset:         0
        .size:           8
        .value_kind:     global_buffer
      - .address_space:  global
        .offset:         8
        .size:           8
        .value_kind:     global_buffer
      - .address_space:  global
        .offset:         16
        .size:           8
        .value_kind:     global_buffer
      - .offset:         24
        .size:           4
        .value_kind:     by_value
      - .address_space:  global
        .offset:         32
        .size:           8
        .value_kind:     global_buffer
      - .address_space:  global
        .offset:         40
        .size:           8
        .value_kind:     global_buffer
      - .offset:         48
        .size:           4
        .value_kind:     by_value
      - .offset:         52
        .size:           4
        .value_kind:     by_value
      - .offset:         56
        .size:           4
        .value_kind:     by_value
      - .offset:         60
        .size:           1
        .value_kind:     by_value
      - .offset:         64
        .size:           8
        .value_kind:     by_value
      - .address_space:  global
        .offset:         72
        .size:           8
        .value_kind:     global_buffer
      - .address_space:  global
        .offset:         80
        .size:           8
        .value_kind:     global_buffer
      - .address_space:  global
        .offset:         88
        .size:           8
        .value_kind:     global_buffer
    .group_segment_fixed_size: 0
    .kernarg_segment_align: 8
    .kernarg_segment_size: 96
    .language:       OpenCL C
    .language_version:
      - 2
      - 0
    .max_flat_workgroup_size: 128
    .name:           _ZN4vllm3moe22topkGatingSoftplusSqrtILi12ELi384ELi4ELi8ELi32ELb0EjfEEvPKT6_PKbPfiPT5_PiiiibdPKfPKS8_SE_
    .private_segment_fixed_size: 0
    .sgpr_count:     57
    .sgpr_spill_count: 0
    .symbol:         _ZN4vllm3moe22topkGatingSoftplusSqrtILi12ELi384ELi4ELi8ELi32ELb0EjfEEvPKT6_PKbPfiPT5_PiiiibdPKfPKS8_SE_.kd
    .uniform_work_group_size: 1
    .uses_dynamic_stack: false
    .vgpr_count:     42
    .vgpr_spill_count: 0
    .wavefront_size: 64
  - .agpr_count:     0
    .args:
      - .address_space:  global
        .offset:         0
        .size:           8
        .value_kind:     global_buffer
      - .address_space:  global
        .offset:         8
        .size:           8
        .value_kind:     global_buffer
      - .address_space:  global
        .offset:         16
        .size:           8
        .value_kind:     global_buffer
      - .offset:         24
        .size:           4
        .value_kind:     by_value
      - .address_space:  global
        .offset:         32
        .size:           8
        .value_kind:     global_buffer
      - .address_space:  global
        .offset:         40
        .size:           8
        .value_kind:     global_buffer
      - .offset:         48
        .size:           4
        .value_kind:     by_value
      - .offset:         52
        .size:           4
        .value_kind:     by_value
      - .offset:         56
        .size:           4
        .value_kind:     by_value
      - .offset:         60
        .size:           1
        .value_kind:     by_value
      - .offset:         64
        .size:           8
        .value_kind:     by_value
      - .address_space:  global
        .offset:         72
        .size:           8
        .value_kind:     global_buffer
      - .address_space:  global
        .offset:         80
        .size:           8
        .value_kind:     global_buffer
      - .address_space:  global
        .offset:         88
        .size:           8
        .value_kind:     global_buffer
    .group_segment_fixed_size: 0
    .kernarg_segment_align: 8
    .kernarg_segment_size: 96
    .language:       OpenCL C
    .language_version:
      - 2
      - 0
    .max_flat_workgroup_size: 256
    .name:           _ZN4vllm3moe22topkGatingSoftplusSqrtILi7ELi448ELi4ELi4ELi64ELb1EjfEEvPKT6_PKbPfiPT5_PiiiibdPKfPKS8_SE_
    .private_segment_fixed_size: 0
    .sgpr_count:     35
    .sgpr_spill_count: 0
    .symbol:         _ZN4vllm3moe22topkGatingSoftplusSqrtILi7ELi448ELi4ELi4ELi64ELb1EjfEEvPKT6_PKbPfiPT5_PiiiibdPKfPKS8_SE_.kd
    .uniform_work_group_size: 1
    .uses_dynamic_stack: false
    .vgpr_count:     28
    .vgpr_spill_count: 0
    .wavefront_size: 64
  - .agpr_count:     0
    .args:
      - .address_space:  global
        .offset:         0
        .size:           8
        .value_kind:     global_buffer
      - .address_space:  global
        .offset:         8
        .size:           8
        .value_kind:     global_buffer
      - .address_space:  global
        .offset:         16
        .size:           8
        .value_kind:     global_buffer
      - .offset:         24
        .size:           4
        .value_kind:     by_value
      - .address_space:  global
        .offset:         32
        .size:           8
        .value_kind:     global_buffer
      - .address_space:  global
        .offset:         40
        .size:           8
        .value_kind:     global_buffer
      - .offset:         48
        .size:           4
        .value_kind:     by_value
      - .offset:         52
        .size:           4
        .value_kind:     by_value
      - .offset:         56
        .size:           4
        .value_kind:     by_value
      - .offset:         60
        .size:           1
        .value_kind:     by_value
      - .offset:         64
        .size:           8
        .value_kind:     by_value
      - .address_space:  global
        .offset:         72
        .size:           8
        .value_kind:     global_buffer
      - .address_space:  global
        .offset:         80
        .size:           8
        .value_kind:     global_buffer
      - .address_space:  global
        .offset:         88
        .size:           8
        .value_kind:     global_buffer
    .group_segment_fixed_size: 0
    .kernarg_segment_align: 8
    .kernarg_segment_size: 96
    .language:       OpenCL C
    .language_version:
      - 2
      - 0
    .max_flat_workgroup_size: 256
    .name:           _ZN4vllm3moe22topkGatingSoftplusSqrtILi7ELi448ELi4ELi4ELi64ELb0EjfEEvPKT6_PKbPfiPT5_PiiiibdPKfPKS8_SE_
    .private_segment_fixed_size: 0
    .sgpr_count:     37
    .sgpr_spill_count: 0
    .symbol:         _ZN4vllm3moe22topkGatingSoftplusSqrtILi7ELi448ELi4ELi4ELi64ELb0EjfEEvPKT6_PKbPfiPT5_PiiiibdPKfPKS8_SE_.kd
    .uniform_work_group_size: 1
    .uses_dynamic_stack: false
    .vgpr_count:     34
    .vgpr_spill_count: 0
    .wavefront_size: 64
  - .agpr_count:     0
    .args:
      - .address_space:  global
        .offset:         0
        .size:           8
        .value_kind:     global_buffer
      - .address_space:  global
        .offset:         8
        .size:           8
        .value_kind:     global_buffer
      - .address_space:  global
        .offset:         16
        .size:           8
        .value_kind:     global_buffer
      - .offset:         24
        .size:           4
        .value_kind:     by_value
      - .address_space:  global
        .offset:         32
        .size:           8
        .value_kind:     global_buffer
      - .address_space:  global
        .offset:         40
        .size:           8
        .value_kind:     global_buffer
      - .offset:         48
        .size:           4
        .value_kind:     by_value
      - .offset:         52
        .size:           4
        .value_kind:     by_value
      - .offset:         56
        .size:           4
        .value_kind:     by_value
      - .offset:         60
        .size:           1
        .value_kind:     by_value
      - .offset:         64
        .size:           8
        .value_kind:     by_value
      - .address_space:  global
        .offset:         72
        .size:           8
        .value_kind:     global_buffer
      - .address_space:  global
        .offset:         80
        .size:           8
        .value_kind:     global_buffer
      - .address_space:  global
        .offset:         88
        .size:           8
        .value_kind:     global_buffer
    .group_segment_fixed_size: 0
    .kernarg_segment_align: 8
    .kernarg_segment_size: 96
    .language:       OpenCL C
    .language_version:
      - 2
      - 0
    .max_flat_workgroup_size: 128
    .name:           _ZN4vllm3moe22topkGatingSoftplusSqrtILi14ELi448ELi4ELi4ELi32ELb1EjfEEvPKT6_PKbPfiPT5_PiiiibdPKfPKS8_SE_
    .private_segment_fixed_size: 0
    .sgpr_count:     62
    .sgpr_spill_count: 0
    .symbol:         _ZN4vllm3moe22topkGatingSoftplusSqrtILi14ELi448ELi4ELi4ELi32ELb1EjfEEvPKT6_PKbPfiPT5_PiiiibdPKfPKS8_SE_.kd
    .uniform_work_group_size: 1
    .uses_dynamic_stack: false
    .vgpr_count:     36
    .vgpr_spill_count: 0
    .wavefront_size: 64
  - .agpr_count:     0
    .args:
      - .address_space:  global
        .offset:         0
        .size:           8
        .value_kind:     global_buffer
      - .address_space:  global
        .offset:         8
        .size:           8
        .value_kind:     global_buffer
      - .address_space:  global
        .offset:         16
        .size:           8
        .value_kind:     global_buffer
      - .offset:         24
        .size:           4
        .value_kind:     by_value
      - .address_space:  global
        .offset:         32
        .size:           8
        .value_kind:     global_buffer
      - .address_space:  global
        .offset:         40
        .size:           8
        .value_kind:     global_buffer
      - .offset:         48
        .size:           4
        .value_kind:     by_value
      - .offset:         52
        .size:           4
        .value_kind:     by_value
      - .offset:         56
        .size:           4
        .value_kind:     by_value
      - .offset:         60
        .size:           1
        .value_kind:     by_value
      - .offset:         64
        .size:           8
        .value_kind:     by_value
      - .address_space:  global
        .offset:         72
        .size:           8
        .value_kind:     global_buffer
      - .address_space:  global
        .offset:         80
        .size:           8
        .value_kind:     global_buffer
      - .address_space:  global
        .offset:         88
        .size:           8
        .value_kind:     global_buffer
    .group_segment_fixed_size: 0
    .kernarg_segment_align: 8
    .kernarg_segment_size: 96
    .language:       OpenCL C
    .language_version:
      - 2
      - 0
    .max_flat_workgroup_size: 128
    .name:           _ZN4vllm3moe22topkGatingSoftplusSqrtILi14ELi448ELi4ELi4ELi32ELb0EjfEEvPKT6_PKbPfiPT5_PiiiibdPKfPKS8_SE_
    .private_segment_fixed_size: 0
    .sgpr_count:     38
    .sgpr_spill_count: 0
    .symbol:         _ZN4vllm3moe22topkGatingSoftplusSqrtILi14ELi448ELi4ELi4ELi32ELb0EjfEEvPKT6_PKbPfiPT5_PiiiibdPKfPKS8_SE_.kd
    .uniform_work_group_size: 1
    .uses_dynamic_stack: false
    .vgpr_count:     46
    .vgpr_spill_count: 0
    .wavefront_size: 64
  - .agpr_count:     0
    .args:
      - .address_space:  global
        .offset:         0
        .size:           8
        .value_kind:     global_buffer
      - .address_space:  global
        .offset:         8
        .size:           8
        .value_kind:     global_buffer
      - .address_space:  global
        .offset:         16
        .size:           8
        .value_kind:     global_buffer
      - .offset:         24
        .size:           4
        .value_kind:     by_value
      - .address_space:  global
        .offset:         32
        .size:           8
        .value_kind:     global_buffer
      - .address_space:  global
        .offset:         40
        .size:           8
        .value_kind:     global_buffer
      - .offset:         48
        .size:           4
        .value_kind:     by_value
      - .offset:         52
        .size:           4
        .value_kind:     by_value
      - .offset:         56
        .size:           4
        .value_kind:     by_value
      - .offset:         60
        .size:           1
        .value_kind:     by_value
      - .offset:         64
        .size:           8
        .value_kind:     by_value
      - .address_space:  global
        .offset:         72
        .size:           8
        .value_kind:     global_buffer
      - .address_space:  global
        .offset:         80
        .size:           8
        .value_kind:     global_buffer
      - .address_space:  global
        .offset:         88
        .size:           8
        .value_kind:     global_buffer
    .group_segment_fixed_size: 0
    .kernarg_segment_align: 8
    .kernarg_segment_size: 96
    .language:       OpenCL C
    .language_version:
      - 2
      - 0
    .max_flat_workgroup_size: 256
    .name:           _ZN4vllm3moe22topkGatingSoftplusSqrtILi9ELi576ELi4ELi4ELi64ELb1EjfEEvPKT6_PKbPfiPT5_PiiiibdPKfPKS8_SE_
    .private_segment_fixed_size: 0
    .sgpr_count:     44
    .sgpr_spill_count: 0
    .symbol:         _ZN4vllm3moe22topkGatingSoftplusSqrtILi9ELi576ELi4ELi4ELi64ELb1EjfEEvPKT6_PKbPfiPT5_PiiiibdPKfPKS8_SE_.kd
    .uniform_work_group_size: 1
    .uses_dynamic_stack: false
    .vgpr_count:     32
    .vgpr_spill_count: 0
    .wavefront_size: 64
  - .agpr_count:     0
    .args:
      - .address_space:  global
        .offset:         0
        .size:           8
        .value_kind:     global_buffer
      - .address_space:  global
        .offset:         8
        .size:           8
        .value_kind:     global_buffer
      - .address_space:  global
        .offset:         16
        .size:           8
        .value_kind:     global_buffer
      - .offset:         24
        .size:           4
        .value_kind:     by_value
      - .address_space:  global
        .offset:         32
        .size:           8
        .value_kind:     global_buffer
      - .address_space:  global
        .offset:         40
        .size:           8
        .value_kind:     global_buffer
      - .offset:         48
        .size:           4
        .value_kind:     by_value
      - .offset:         52
        .size:           4
        .value_kind:     by_value
      - .offset:         56
        .size:           4
        .value_kind:     by_value
      - .offset:         60
        .size:           1
        .value_kind:     by_value
      - .offset:         64
        .size:           8
        .value_kind:     by_value
      - .address_space:  global
        .offset:         72
        .size:           8
        .value_kind:     global_buffer
      - .address_space:  global
        .offset:         80
        .size:           8
        .value_kind:     global_buffer
      - .address_space:  global
        .offset:         88
        .size:           8
        .value_kind:     global_buffer
    .group_segment_fixed_size: 0
    .kernarg_segment_align: 8
    .kernarg_segment_size: 96
    .language:       OpenCL C
    .language_version:
      - 2
      - 0
    .max_flat_workgroup_size: 256
    .name:           _ZN4vllm3moe22topkGatingSoftplusSqrtILi9ELi576ELi4ELi4ELi64ELb0EjfEEvPKT6_PKbPfiPT5_PiiiibdPKfPKS8_SE_
    .private_segment_fixed_size: 0
    .sgpr_count:     37
    .sgpr_spill_count: 0
    .symbol:         _ZN4vllm3moe22topkGatingSoftplusSqrtILi9ELi576ELi4ELi4ELi64ELb0EjfEEvPKT6_PKbPfiPT5_PiiiibdPKfPKS8_SE_.kd
    .uniform_work_group_size: 1
    .uses_dynamic_stack: false
    .vgpr_count:     38
    .vgpr_spill_count: 0
    .wavefront_size: 64
  - .agpr_count:     0
    .args:
      - .address_space:  global
        .offset:         0
        .size:           8
        .value_kind:     global_buffer
      - .address_space:  global
        .offset:         8
        .size:           8
        .value_kind:     global_buffer
      - .address_space:  global
        .offset:         16
        .size:           8
        .value_kind:     global_buffer
      - .offset:         24
        .size:           4
        .value_kind:     by_value
      - .address_space:  global
        .offset:         32
        .size:           8
        .value_kind:     global_buffer
      - .address_space:  global
        .offset:         40
        .size:           8
        .value_kind:     global_buffer
      - .offset:         48
        .size:           4
        .value_kind:     by_value
      - .offset:         52
        .size:           4
        .value_kind:     by_value
      - .offset:         56
        .size:           4
        .value_kind:     by_value
      - .offset:         60
        .size:           1
        .value_kind:     by_value
      - .offset:         64
        .size:           8
        .value_kind:     by_value
      - .address_space:  global
        .offset:         72
        .size:           8
        .value_kind:     global_buffer
      - .address_space:  global
        .offset:         80
        .size:           8
        .value_kind:     global_buffer
      - .address_space:  global
        .offset:         88
        .size:           8
        .value_kind:     global_buffer
    .group_segment_fixed_size: 0
    .kernarg_segment_align: 8
    .kernarg_segment_size: 96
    .language:       OpenCL C
    .language_version:
      - 2
      - 0
    .max_flat_workgroup_size: 128
    .name:           _ZN4vllm3moe22topkGatingSoftplusSqrtILi18ELi576ELi4ELi4ELi32ELb1EjfEEvPKT6_PKbPfiPT5_PiiiibdPKfPKS8_SE_
    .private_segment_fixed_size: 80
    .sgpr_count:     78
    .sgpr_spill_count: 0
    .symbol:         _ZN4vllm3moe22topkGatingSoftplusSqrtILi18ELi576ELi4ELi4ELi32ELb1EjfEEvPKT6_PKbPfiPT5_PiiiibdPKfPKS8_SE_.kd
    .uniform_work_group_size: 1
    .uses_dynamic_stack: false
    .vgpr_count:     43
    .vgpr_spill_count: 0
    .wavefront_size: 64
  - .agpr_count:     0
    .args:
      - .address_space:  global
        .offset:         0
        .size:           8
        .value_kind:     global_buffer
      - .address_space:  global
        .offset:         8
        .size:           8
        .value_kind:     global_buffer
      - .address_space:  global
        .offset:         16
        .size:           8
        .value_kind:     global_buffer
      - .offset:         24
        .size:           4
        .value_kind:     by_value
      - .address_space:  global
        .offset:         32
        .size:           8
        .value_kind:     global_buffer
      - .address_space:  global
        .offset:         40
        .size:           8
        .value_kind:     global_buffer
      - .offset:         48
        .size:           4
        .value_kind:     by_value
      - .offset:         52
        .size:           4
        .value_kind:     by_value
      - .offset:         56
        .size:           4
        .value_kind:     by_value
      - .offset:         60
        .size:           1
        .value_kind:     by_value
      - .offset:         64
        .size:           8
        .value_kind:     by_value
      - .address_space:  global
        .offset:         72
        .size:           8
        .value_kind:     global_buffer
      - .address_space:  global
        .offset:         80
        .size:           8
        .value_kind:     global_buffer
      - .address_space:  global
        .offset:         88
        .size:           8
        .value_kind:     global_buffer
    .group_segment_fixed_size: 0
    .kernarg_segment_align: 8
    .kernarg_segment_size: 96
    .language:       OpenCL C
    .language_version:
      - 2
      - 0
    .max_flat_workgroup_size: 128
    .name:           _ZN4vllm3moe22topkGatingSoftplusSqrtILi18ELi576ELi4ELi4ELi32ELb0EjfEEvPKT6_PKbPfiPT5_PiiiibdPKfPKS8_SE_
    .private_segment_fixed_size: 80
    .sgpr_count:     38
    .sgpr_spill_count: 0
    .symbol:         _ZN4vllm3moe22topkGatingSoftplusSqrtILi18ELi576ELi4ELi4ELi32ELb0EjfEEvPKT6_PKbPfiPT5_PiiiibdPKfPKS8_SE_.kd
    .uniform_work_group_size: 1
    .uses_dynamic_stack: false
    .vgpr_count:     49
    .vgpr_spill_count: 0
    .wavefront_size: 64
  - .agpr_count:     0
    .args:
      - .address_space:  global
        .offset:         0
        .size:           8
        .value_kind:     global_buffer
      - .address_space:  global
        .offset:         8
        .size:           8
        .value_kind:     global_buffer
      - .address_space:  global
        .offset:         16
        .size:           8
        .value_kind:     global_buffer
      - .offset:         24
        .size:           4
        .value_kind:     by_value
      - .address_space:  global
        .offset:         32
        .size:           8
        .value_kind:     global_buffer
      - .address_space:  global
        .offset:         40
        .size:           8
        .value_kind:     global_buffer
      - .offset:         48
        .size:           4
        .value_kind:     by_value
      - .offset:         52
        .size:           4
        .value_kind:     by_value
      - .offset:         56
        .size:           4
        .value_kind:     by_value
      - .offset:         60
        .size:           1
        .value_kind:     by_value
      - .offset:         64
        .size:           8
        .value_kind:     by_value
      - .address_space:  global
        .offset:         72
        .size:           8
        .value_kind:     global_buffer
      - .address_space:  global
        .offset:         80
        .size:           8
        .value_kind:     global_buffer
      - .address_space:  global
        .offset:         88
        .size:           8
        .value_kind:     global_buffer
    .group_segment_fixed_size: 0
    .kernarg_segment_align: 8
    .kernarg_segment_size: 96
    .language:       OpenCL C
    .language_version:
      - 2
      - 0
    .max_flat_workgroup_size: 256
    .name:           _ZN4vllm3moe22topkGatingSoftplusSqrtILi1ELi1ELi4ELi4ELi64ELb1ElfEEvPKT6_PKbPfiPT5_PiiiibdPKfPKS8_SE_
    .private_segment_fixed_size: 0
    .sgpr_count:     22
    .sgpr_spill_count: 0
    .symbol:         _ZN4vllm3moe22topkGatingSoftplusSqrtILi1ELi1ELi4ELi4ELi64ELb1ElfEEvPKT6_PKbPfiPT5_PiiiibdPKfPKS8_SE_.kd
    .uniform_work_group_size: 1
    .uses_dynamic_stack: false
    .vgpr_count:     16
    .vgpr_spill_count: 0
    .wavefront_size: 64
  - .agpr_count:     0
    .args:
      - .address_space:  global
        .offset:         0
        .size:           8
        .value_kind:     global_buffer
      - .address_space:  global
        .offset:         8
        .size:           8
        .value_kind:     global_buffer
      - .address_space:  global
        .offset:         16
        .size:           8
        .value_kind:     global_buffer
      - .offset:         24
        .size:           4
        .value_kind:     by_value
      - .address_space:  global
        .offset:         32
        .size:           8
        .value_kind:     global_buffer
      - .address_space:  global
        .offset:         40
        .size:           8
        .value_kind:     global_buffer
      - .offset:         48
        .size:           4
        .value_kind:     by_value
      - .offset:         52
        .size:           4
        .value_kind:     by_value
      - .offset:         56
        .size:           4
        .value_kind:     by_value
      - .offset:         60
        .size:           1
        .value_kind:     by_value
      - .offset:         64
        .size:           8
        .value_kind:     by_value
      - .address_space:  global
        .offset:         72
        .size:           8
        .value_kind:     global_buffer
      - .address_space:  global
        .offset:         80
        .size:           8
        .value_kind:     global_buffer
      - .address_space:  global
        .offset:         88
        .size:           8
        .value_kind:     global_buffer
    .group_segment_fixed_size: 0
    .kernarg_segment_align: 8
    .kernarg_segment_size: 96
    .language:       OpenCL C
    .language_version:
      - 2
      - 0
    .max_flat_workgroup_size: 256
    .name:           _ZN4vllm3moe22topkGatingSoftplusSqrtILi1ELi1ELi4ELi4ELi64ELb0ElfEEvPKT6_PKbPfiPT5_PiiiibdPKfPKS8_SE_
    .private_segment_fixed_size: 0
    .sgpr_count:     34
    .sgpr_spill_count: 0
    .symbol:         _ZN4vllm3moe22topkGatingSoftplusSqrtILi1ELi1ELi4ELi4ELi64ELb0ElfEEvPKT6_PKbPfiPT5_PiiiibdPKfPKS8_SE_.kd
    .uniform_work_group_size: 1
    .uses_dynamic_stack: false
    .vgpr_count:     16
    .vgpr_spill_count: 0
    .wavefront_size: 64
  - .agpr_count:     0
    .args:
      - .address_space:  global
        .offset:         0
        .size:           8
        .value_kind:     global_buffer
      - .address_space:  global
        .offset:         8
        .size:           8
        .value_kind:     global_buffer
      - .address_space:  global
        .offset:         16
        .size:           8
        .value_kind:     global_buffer
      - .offset:         24
        .size:           4
        .value_kind:     by_value
      - .address_space:  global
        .offset:         32
        .size:           8
        .value_kind:     global_buffer
      - .address_space:  global
        .offset:         40
        .size:           8
        .value_kind:     global_buffer
      - .offset:         48
        .size:           4
        .value_kind:     by_value
      - .offset:         52
        .size:           4
        .value_kind:     by_value
      - .offset:         56
        .size:           4
        .value_kind:     by_value
      - .offset:         60
        .size:           1
        .value_kind:     by_value
      - .offset:         64
        .size:           8
        .value_kind:     by_value
      - .address_space:  global
        .offset:         72
        .size:           8
        .value_kind:     global_buffer
      - .address_space:  global
        .offset:         80
        .size:           8
        .value_kind:     global_buffer
      - .address_space:  global
        .offset:         88
        .size:           8
        .value_kind:     global_buffer
    .group_segment_fixed_size: 0
    .kernarg_segment_align: 8
    .kernarg_segment_size: 96
    .language:       OpenCL C
    .language_version:
      - 2
      - 0
    .max_flat_workgroup_size: 128
    .name:           _ZN4vllm3moe22topkGatingSoftplusSqrtILi1ELi1ELi4ELi4ELi32ELb1ElfEEvPKT6_PKbPfiPT5_PiiiibdPKfPKS8_SE_
    .private_segment_fixed_size: 0
    .sgpr_count:     22
    .sgpr_spill_count: 0
    .symbol:         _ZN4vllm3moe22topkGatingSoftplusSqrtILi1ELi1ELi4ELi4ELi32ELb1ElfEEvPKT6_PKbPfiPT5_PiiiibdPKfPKS8_SE_.kd
    .uniform_work_group_size: 1
    .uses_dynamic_stack: false
    .vgpr_count:     16
    .vgpr_spill_count: 0
    .wavefront_size: 64
  - .agpr_count:     0
    .args:
      - .address_space:  global
        .offset:         0
        .size:           8
        .value_kind:     global_buffer
      - .address_space:  global
        .offset:         8
        .size:           8
        .value_kind:     global_buffer
      - .address_space:  global
        .offset:         16
        .size:           8
        .value_kind:     global_buffer
      - .offset:         24
        .size:           4
        .value_kind:     by_value
      - .address_space:  global
        .offset:         32
        .size:           8
        .value_kind:     global_buffer
      - .address_space:  global
        .offset:         40
        .size:           8
        .value_kind:     global_buffer
      - .offset:         48
        .size:           4
        .value_kind:     by_value
      - .offset:         52
        .size:           4
        .value_kind:     by_value
      - .offset:         56
        .size:           4
        .value_kind:     by_value
      - .offset:         60
        .size:           1
        .value_kind:     by_value
      - .offset:         64
        .size:           8
        .value_kind:     by_value
      - .address_space:  global
        .offset:         72
        .size:           8
        .value_kind:     global_buffer
      - .address_space:  global
        .offset:         80
        .size:           8
        .value_kind:     global_buffer
      - .address_space:  global
        .offset:         88
        .size:           8
        .value_kind:     global_buffer
    .group_segment_fixed_size: 0
    .kernarg_segment_align: 8
    .kernarg_segment_size: 96
    .language:       OpenCL C
    .language_version:
      - 2
      - 0
    .max_flat_workgroup_size: 128
    .name:           _ZN4vllm3moe22topkGatingSoftplusSqrtILi1ELi1ELi4ELi4ELi32ELb0ElfEEvPKT6_PKbPfiPT5_PiiiibdPKfPKS8_SE_
    .private_segment_fixed_size: 0
    .sgpr_count:     34
    .sgpr_spill_count: 0
    .symbol:         _ZN4vllm3moe22topkGatingSoftplusSqrtILi1ELi1ELi4ELi4ELi32ELb0ElfEEvPKT6_PKbPfiPT5_PiiiibdPKfPKS8_SE_.kd
    .uniform_work_group_size: 1
    .uses_dynamic_stack: false
    .vgpr_count:     16
    .vgpr_spill_count: 0
    .wavefront_size: 64
  - .agpr_count:     0
    .args:
      - .address_space:  global
        .offset:         0
        .size:           8
        .value_kind:     global_buffer
      - .address_space:  global
        .offset:         8
        .size:           8
        .value_kind:     global_buffer
      - .address_space:  global
        .offset:         16
        .size:           8
        .value_kind:     global_buffer
      - .offset:         24
        .size:           4
        .value_kind:     by_value
      - .address_space:  global
        .offset:         32
        .size:           8
        .value_kind:     global_buffer
      - .address_space:  global
        .offset:         40
        .size:           8
        .value_kind:     global_buffer
      - .offset:         48
        .size:           4
        .value_kind:     by_value
      - .offset:         52
        .size:           4
        .value_kind:     by_value
      - .offset:         56
        .size:           4
        .value_kind:     by_value
      - .offset:         60
        .size:           1
        .value_kind:     by_value
      - .offset:         64
        .size:           8
        .value_kind:     by_value
      - .address_space:  global
        .offset:         72
        .size:           8
        .value_kind:     global_buffer
      - .address_space:  global
        .offset:         80
        .size:           8
        .value_kind:     global_buffer
      - .address_space:  global
        .offset:         88
        .size:           8
        .value_kind:     global_buffer
    .group_segment_fixed_size: 0
    .kernarg_segment_align: 8
    .kernarg_segment_size: 96
    .language:       OpenCL C
    .language_version:
      - 2
      - 0
    .max_flat_workgroup_size: 256
    .name:           _ZN4vllm3moe22topkGatingSoftplusSqrtILi2ELi2ELi4ELi8ELi64ELb1ElfEEvPKT6_PKbPfiPT5_PiiiibdPKfPKS8_SE_
    .private_segment_fixed_size: 0
    .sgpr_count:     24
    .sgpr_spill_count: 0
    .symbol:         _ZN4vllm3moe22topkGatingSoftplusSqrtILi2ELi2ELi4ELi8ELi64ELb1ElfEEvPKT6_PKbPfiPT5_PiiiibdPKfPKS8_SE_.kd
    .uniform_work_group_size: 1
    .uses_dynamic_stack: false
    .vgpr_count:     18
    .vgpr_spill_count: 0
    .wavefront_size: 64
  - .agpr_count:     0
    .args:
      - .address_space:  global
        .offset:         0
        .size:           8
        .value_kind:     global_buffer
      - .address_space:  global
        .offset:         8
        .size:           8
        .value_kind:     global_buffer
      - .address_space:  global
        .offset:         16
        .size:           8
        .value_kind:     global_buffer
      - .offset:         24
        .size:           4
        .value_kind:     by_value
      - .address_space:  global
        .offset:         32
        .size:           8
        .value_kind:     global_buffer
      - .address_space:  global
        .offset:         40
        .size:           8
        .value_kind:     global_buffer
      - .offset:         48
        .size:           4
        .value_kind:     by_value
      - .offset:         52
        .size:           4
        .value_kind:     by_value
      - .offset:         56
        .size:           4
        .value_kind:     by_value
      - .offset:         60
        .size:           1
        .value_kind:     by_value
      - .offset:         64
        .size:           8
        .value_kind:     by_value
      - .address_space:  global
        .offset:         72
        .size:           8
        .value_kind:     global_buffer
      - .address_space:  global
        .offset:         80
        .size:           8
        .value_kind:     global_buffer
      - .address_space:  global
        .offset:         88
        .size:           8
        .value_kind:     global_buffer
    .group_segment_fixed_size: 0
    .kernarg_segment_align: 8
    .kernarg_segment_size: 96
    .language:       OpenCL C
    .language_version:
      - 2
      - 0
    .max_flat_workgroup_size: 256
    .name:           _ZN4vllm3moe22topkGatingSoftplusSqrtILi2ELi2ELi4ELi8ELi64ELb0ElfEEvPKT6_PKbPfiPT5_PiiiibdPKfPKS8_SE_
    .private_segment_fixed_size: 0
    .sgpr_count:     32
    .sgpr_spill_count: 0
    .symbol:         _ZN4vllm3moe22topkGatingSoftplusSqrtILi2ELi2ELi4ELi8ELi64ELb0ElfEEvPKT6_PKbPfiPT5_PiiiibdPKfPKS8_SE_.kd
    .uniform_work_group_size: 1
    .uses_dynamic_stack: false
    .vgpr_count:     14
    .vgpr_spill_count: 0
    .wavefront_size: 64
  - .agpr_count:     0
    .args:
      - .address_space:  global
        .offset:         0
        .size:           8
        .value_kind:     global_buffer
      - .address_space:  global
        .offset:         8
        .size:           8
        .value_kind:     global_buffer
      - .address_space:  global
        .offset:         16
        .size:           8
        .value_kind:     global_buffer
      - .offset:         24
        .size:           4
        .value_kind:     by_value
      - .address_space:  global
        .offset:         32
        .size:           8
        .value_kind:     global_buffer
      - .address_space:  global
        .offset:         40
        .size:           8
        .value_kind:     global_buffer
      - .offset:         48
        .size:           4
        .value_kind:     by_value
      - .offset:         52
        .size:           4
        .value_kind:     by_value
      - .offset:         56
        .size:           4
        .value_kind:     by_value
      - .offset:         60
        .size:           1
        .value_kind:     by_value
      - .offset:         64
        .size:           8
        .value_kind:     by_value
      - .address_space:  global
        .offset:         72
        .size:           8
        .value_kind:     global_buffer
      - .address_space:  global
        .offset:         80
        .size:           8
        .value_kind:     global_buffer
      - .address_space:  global
        .offset:         88
        .size:           8
        .value_kind:     global_buffer
    .group_segment_fixed_size: 0
    .kernarg_segment_align: 8
    .kernarg_segment_size: 96
    .language:       OpenCL C
    .language_version:
      - 2
      - 0
    .max_flat_workgroup_size: 128
    .name:           _ZN4vllm3moe22topkGatingSoftplusSqrtILi2ELi2ELi4ELi8ELi32ELb1ElfEEvPKT6_PKbPfiPT5_PiiiibdPKfPKS8_SE_
    .private_segment_fixed_size: 0
    .sgpr_count:     24
    .sgpr_spill_count: 0
    .symbol:         _ZN4vllm3moe22topkGatingSoftplusSqrtILi2ELi2ELi4ELi8ELi32ELb1ElfEEvPKT6_PKbPfiPT5_PiiiibdPKfPKS8_SE_.kd
    .uniform_work_group_size: 1
    .uses_dynamic_stack: false
    .vgpr_count:     18
    .vgpr_spill_count: 0
    .wavefront_size: 64
  - .agpr_count:     0
    .args:
      - .address_space:  global
        .offset:         0
        .size:           8
        .value_kind:     global_buffer
      - .address_space:  global
        .offset:         8
        .size:           8
        .value_kind:     global_buffer
      - .address_space:  global
        .offset:         16
        .size:           8
        .value_kind:     global_buffer
      - .offset:         24
        .size:           4
        .value_kind:     by_value
      - .address_space:  global
        .offset:         32
        .size:           8
        .value_kind:     global_buffer
      - .address_space:  global
        .offset:         40
        .size:           8
        .value_kind:     global_buffer
      - .offset:         48
        .size:           4
        .value_kind:     by_value
      - .offset:         52
        .size:           4
        .value_kind:     by_value
      - .offset:         56
        .size:           4
        .value_kind:     by_value
      - .offset:         60
        .size:           1
        .value_kind:     by_value
      - .offset:         64
        .size:           8
        .value_kind:     by_value
      - .address_space:  global
        .offset:         72
        .size:           8
        .value_kind:     global_buffer
      - .address_space:  global
        .offset:         80
        .size:           8
        .value_kind:     global_buffer
      - .address_space:  global
        .offset:         88
        .size:           8
        .value_kind:     global_buffer
    .group_segment_fixed_size: 0
    .kernarg_segment_align: 8
    .kernarg_segment_size: 96
    .language:       OpenCL C
    .language_version:
      - 2
      - 0
    .max_flat_workgroup_size: 128
    .name:           _ZN4vllm3moe22topkGatingSoftplusSqrtILi2ELi2ELi4ELi8ELi32ELb0ElfEEvPKT6_PKbPfiPT5_PiiiibdPKfPKS8_SE_
    .private_segment_fixed_size: 0
    .sgpr_count:     32
    .sgpr_spill_count: 0
    .symbol:         _ZN4vllm3moe22topkGatingSoftplusSqrtILi2ELi2ELi4ELi8ELi32ELb0ElfEEvPKT6_PKbPfiPT5_PiiiibdPKfPKS8_SE_.kd
    .uniform_work_group_size: 1
    .uses_dynamic_stack: false
    .vgpr_count:     14
    .vgpr_spill_count: 0
    .wavefront_size: 64
  - .agpr_count:     0
    .args:
      - .address_space:  global
        .offset:         0
        .size:           8
        .value_kind:     global_buffer
      - .address_space:  global
        .offset:         8
        .size:           8
        .value_kind:     global_buffer
      - .address_space:  global
        .offset:         16
        .size:           8
        .value_kind:     global_buffer
      - .offset:         24
        .size:           4
        .value_kind:     by_value
      - .address_space:  global
        .offset:         32
        .size:           8
        .value_kind:     global_buffer
      - .address_space:  global
        .offset:         40
        .size:           8
        .value_kind:     global_buffer
      - .offset:         48
        .size:           4
        .value_kind:     by_value
      - .offset:         52
        .size:           4
        .value_kind:     by_value
      - .offset:         56
        .size:           4
        .value_kind:     by_value
      - .offset:         60
        .size:           1
        .value_kind:     by_value
      - .offset:         64
        .size:           8
        .value_kind:     by_value
      - .address_space:  global
        .offset:         72
        .size:           8
        .value_kind:     global_buffer
      - .address_space:  global
        .offset:         80
        .size:           8
        .value_kind:     global_buffer
      - .address_space:  global
        .offset:         88
        .size:           8
        .value_kind:     global_buffer
    .group_segment_fixed_size: 4096
    .kernarg_segment_align: 8
    .kernarg_segment_size: 96
    .language:       OpenCL C
    .language_version:
      - 2
      - 0
    .max_flat_workgroup_size: 256
    .name:           _ZN4vllm3moe22topkGatingSoftplusSqrtILi4ELi4ELi4ELi16ELi64ELb1ElfEEvPKT6_PKbPfiPT5_PiiiibdPKfPKS8_SE_
    .private_segment_fixed_size: 0
    .sgpr_count:     29
    .sgpr_spill_count: 0
    .symbol:         _ZN4vllm3moe22topkGatingSoftplusSqrtILi4ELi4ELi4ELi16ELi64ELb1ElfEEvPKT6_PKbPfiPT5_PiiiibdPKfPKS8_SE_.kd
    .uniform_work_group_size: 1
    .uses_dynamic_stack: false
    .vgpr_count:     24
    .vgpr_spill_count: 0
    .wavefront_size: 64
  - .agpr_count:     0
    .args:
      - .address_space:  global
        .offset:         0
        .size:           8
        .value_kind:     global_buffer
      - .address_space:  global
        .offset:         8
        .size:           8
        .value_kind:     global_buffer
      - .address_space:  global
        .offset:         16
        .size:           8
        .value_kind:     global_buffer
      - .offset:         24
        .size:           4
        .value_kind:     by_value
      - .address_space:  global
        .offset:         32
        .size:           8
        .value_kind:     global_buffer
      - .address_space:  global
        .offset:         40
        .size:           8
        .value_kind:     global_buffer
      - .offset:         48
        .size:           4
        .value_kind:     by_value
      - .offset:         52
        .size:           4
        .value_kind:     by_value
      - .offset:         56
        .size:           4
        .value_kind:     by_value
      - .offset:         60
        .size:           1
        .value_kind:     by_value
      - .offset:         64
        .size:           8
        .value_kind:     by_value
      - .address_space:  global
        .offset:         72
        .size:           8
        .value_kind:     global_buffer
      - .address_space:  global
        .offset:         80
        .size:           8
        .value_kind:     global_buffer
      - .address_space:  global
        .offset:         88
        .size:           8
        .value_kind:     global_buffer
    .group_segment_fixed_size: 4096
    .kernarg_segment_align: 8
    .kernarg_segment_size: 96
    .language:       OpenCL C
    .language_version:
      - 2
      - 0
    .max_flat_workgroup_size: 256
    .name:           _ZN4vllm3moe22topkGatingSoftplusSqrtILi4ELi4ELi4ELi16ELi64ELb0ElfEEvPKT6_PKbPfiPT5_PiiiibdPKfPKS8_SE_
    .private_segment_fixed_size: 0
    .sgpr_count:     32
    .sgpr_spill_count: 0
    .symbol:         _ZN4vllm3moe22topkGatingSoftplusSqrtILi4ELi4ELi4ELi16ELi64ELb0ElfEEvPKT6_PKbPfiPT5_PiiiibdPKfPKS8_SE_.kd
    .uniform_work_group_size: 1
    .uses_dynamic_stack: false
    .vgpr_count:     14
    .vgpr_spill_count: 0
    .wavefront_size: 64
  - .agpr_count:     0
    .args:
      - .address_space:  global
        .offset:         0
        .size:           8
        .value_kind:     global_buffer
      - .address_space:  global
        .offset:         8
        .size:           8
        .value_kind:     global_buffer
      - .address_space:  global
        .offset:         16
        .size:           8
        .value_kind:     global_buffer
      - .offset:         24
        .size:           4
        .value_kind:     by_value
      - .address_space:  global
        .offset:         32
        .size:           8
        .value_kind:     global_buffer
      - .address_space:  global
        .offset:         40
        .size:           8
        .value_kind:     global_buffer
      - .offset:         48
        .size:           4
        .value_kind:     by_value
      - .offset:         52
        .size:           4
        .value_kind:     by_value
      - .offset:         56
        .size:           4
        .value_kind:     by_value
      - .offset:         60
        .size:           1
        .value_kind:     by_value
      - .offset:         64
        .size:           8
        .value_kind:     by_value
      - .address_space:  global
        .offset:         72
        .size:           8
        .value_kind:     global_buffer
      - .address_space:  global
        .offset:         80
        .size:           8
        .value_kind:     global_buffer
      - .address_space:  global
        .offset:         88
        .size:           8
        .value_kind:     global_buffer
    .group_segment_fixed_size: 2048
    .kernarg_segment_align: 8
    .kernarg_segment_size: 96
    .language:       OpenCL C
    .language_version:
      - 2
      - 0
    .max_flat_workgroup_size: 128
    .name:           _ZN4vllm3moe22topkGatingSoftplusSqrtILi4ELi4ELi4ELi16ELi32ELb1ElfEEvPKT6_PKbPfiPT5_PiiiibdPKfPKS8_SE_
    .private_segment_fixed_size: 0
    .sgpr_count:     29
    .sgpr_spill_count: 0
    .symbol:         _ZN4vllm3moe22topkGatingSoftplusSqrtILi4ELi4ELi4ELi16ELi32ELb1ElfEEvPKT6_PKbPfiPT5_PiiiibdPKfPKS8_SE_.kd
    .uniform_work_group_size: 1
    .uses_dynamic_stack: false
    .vgpr_count:     24
    .vgpr_spill_count: 0
    .wavefront_size: 64
  - .agpr_count:     0
    .args:
      - .address_space:  global
        .offset:         0
        .size:           8
        .value_kind:     global_buffer
      - .address_space:  global
        .offset:         8
        .size:           8
        .value_kind:     global_buffer
      - .address_space:  global
        .offset:         16
        .size:           8
        .value_kind:     global_buffer
      - .offset:         24
        .size:           4
        .value_kind:     by_value
      - .address_space:  global
        .offset:         32
        .size:           8
        .value_kind:     global_buffer
      - .address_space:  global
        .offset:         40
        .size:           8
        .value_kind:     global_buffer
      - .offset:         48
        .size:           4
        .value_kind:     by_value
      - .offset:         52
        .size:           4
        .value_kind:     by_value
      - .offset:         56
        .size:           4
        .value_kind:     by_value
      - .offset:         60
        .size:           1
        .value_kind:     by_value
      - .offset:         64
        .size:           8
        .value_kind:     by_value
      - .address_space:  global
        .offset:         72
        .size:           8
        .value_kind:     global_buffer
      - .address_space:  global
        .offset:         80
        .size:           8
        .value_kind:     global_buffer
      - .address_space:  global
        .offset:         88
        .size:           8
        .value_kind:     global_buffer
    .group_segment_fixed_size: 2048
    .kernarg_segment_align: 8
    .kernarg_segment_size: 96
    .language:       OpenCL C
    .language_version:
      - 2
      - 0
    .max_flat_workgroup_size: 128
    .name:           _ZN4vllm3moe22topkGatingSoftplusSqrtILi4ELi4ELi4ELi16ELi32ELb0ElfEEvPKT6_PKbPfiPT5_PiiiibdPKfPKS8_SE_
    .private_segment_fixed_size: 0
    .sgpr_count:     32
    .sgpr_spill_count: 0
    .symbol:         _ZN4vllm3moe22topkGatingSoftplusSqrtILi4ELi4ELi4ELi16ELi32ELb0ElfEEvPKT6_PKbPfiPT5_PiiiibdPKfPKS8_SE_.kd
    .uniform_work_group_size: 1
    .uses_dynamic_stack: false
    .vgpr_count:     14
    .vgpr_spill_count: 0
    .wavefront_size: 64
  - .agpr_count:     0
    .args:
      - .address_space:  global
        .offset:         0
        .size:           8
        .value_kind:     global_buffer
      - .address_space:  global
        .offset:         8
        .size:           8
        .value_kind:     global_buffer
      - .address_space:  global
        .offset:         16
        .size:           8
        .value_kind:     global_buffer
      - .offset:         24
        .size:           4
        .value_kind:     by_value
      - .address_space:  global
        .offset:         32
        .size:           8
        .value_kind:     global_buffer
      - .address_space:  global
        .offset:         40
        .size:           8
        .value_kind:     global_buffer
      - .offset:         48
        .size:           4
        .value_kind:     by_value
      - .offset:         52
        .size:           4
        .value_kind:     by_value
      - .offset:         56
        .size:           4
        .value_kind:     by_value
      - .offset:         60
        .size:           1
        .value_kind:     by_value
      - .offset:         64
        .size:           8
        .value_kind:     by_value
      - .address_space:  global
        .offset:         72
        .size:           8
        .value_kind:     global_buffer
      - .address_space:  global
        .offset:         80
        .size:           8
        .value_kind:     global_buffer
      - .address_space:  global
        .offset:         88
        .size:           8
        .value_kind:     global_buffer
    .group_segment_fixed_size: 0
    .kernarg_segment_align: 8
    .kernarg_segment_size: 96
    .language:       OpenCL C
    .language_version:
      - 2
      - 0
    .max_flat_workgroup_size: 256
    .name:           _ZN4vllm3moe22topkGatingSoftplusSqrtILi4ELi8ELi4ELi16ELi64ELb1ElfEEvPKT6_PKbPfiPT5_PiiiibdPKfPKS8_SE_
    .private_segment_fixed_size: 32
    .sgpr_count:     28
    .sgpr_spill_count: 0
    .symbol:         _ZN4vllm3moe22topkGatingSoftplusSqrtILi4ELi8ELi4ELi16ELi64ELb1ElfEEvPKT6_PKbPfiPT5_PiiiibdPKfPKS8_SE_.kd
    .uniform_work_group_size: 1
    .uses_dynamic_stack: false
    .vgpr_count:     25
    .vgpr_spill_count: 0
    .wavefront_size: 64
  - .agpr_count:     0
    .args:
      - .address_space:  global
        .offset:         0
        .size:           8
        .value_kind:     global_buffer
      - .address_space:  global
        .offset:         8
        .size:           8
        .value_kind:     global_buffer
      - .address_space:  global
        .offset:         16
        .size:           8
        .value_kind:     global_buffer
      - .offset:         24
        .size:           4
        .value_kind:     by_value
      - .address_space:  global
        .offset:         32
        .size:           8
        .value_kind:     global_buffer
      - .address_space:  global
        .offset:         40
        .size:           8
        .value_kind:     global_buffer
      - .offset:         48
        .size:           4
        .value_kind:     by_value
      - .offset:         52
        .size:           4
        .value_kind:     by_value
      - .offset:         56
        .size:           4
        .value_kind:     by_value
      - .offset:         60
        .size:           1
        .value_kind:     by_value
      - .offset:         64
        .size:           8
        .value_kind:     by_value
      - .address_space:  global
        .offset:         72
        .size:           8
        .value_kind:     global_buffer
      - .address_space:  global
        .offset:         80
        .size:           8
        .value_kind:     global_buffer
      - .address_space:  global
        .offset:         88
        .size:           8
        .value_kind:     global_buffer
    .group_segment_fixed_size: 4096
    .kernarg_segment_align: 8
    .kernarg_segment_size: 96
    .language:       OpenCL C
    .language_version:
      - 2
      - 0
    .max_flat_workgroup_size: 256
    .name:           _ZN4vllm3moe22topkGatingSoftplusSqrtILi4ELi8ELi4ELi16ELi64ELb0ElfEEvPKT6_PKbPfiPT5_PiiiibdPKfPKS8_SE_
    .private_segment_fixed_size: 0
    .sgpr_count:     38
    .sgpr_spill_count: 0
    .symbol:         _ZN4vllm3moe22topkGatingSoftplusSqrtILi4ELi8ELi4ELi16ELi64ELb0ElfEEvPKT6_PKbPfiPT5_PiiiibdPKfPKS8_SE_.kd
    .uniform_work_group_size: 1
    .uses_dynamic_stack: false
    .vgpr_count:     18
    .vgpr_spill_count: 0
    .wavefront_size: 64
  - .agpr_count:     0
    .args:
      - .address_space:  global
        .offset:         0
        .size:           8
        .value_kind:     global_buffer
      - .address_space:  global
        .offset:         8
        .size:           8
        .value_kind:     global_buffer
      - .address_space:  global
        .offset:         16
        .size:           8
        .value_kind:     global_buffer
      - .offset:         24
        .size:           4
        .value_kind:     by_value
      - .address_space:  global
        .offset:         32
        .size:           8
        .value_kind:     global_buffer
      - .address_space:  global
        .offset:         40
        .size:           8
        .value_kind:     global_buffer
      - .offset:         48
        .size:           4
        .value_kind:     by_value
      - .offset:         52
        .size:           4
        .value_kind:     by_value
      - .offset:         56
        .size:           4
        .value_kind:     by_value
      - .offset:         60
        .size:           1
        .value_kind:     by_value
      - .offset:         64
        .size:           8
        .value_kind:     by_value
      - .address_space:  global
        .offset:         72
        .size:           8
        .value_kind:     global_buffer
      - .address_space:  global
        .offset:         80
        .size:           8
        .value_kind:     global_buffer
      - .address_space:  global
        .offset:         88
        .size:           8
        .value_kind:     global_buffer
    .group_segment_fixed_size: 0
    .kernarg_segment_align: 8
    .kernarg_segment_size: 96
    .language:       OpenCL C
    .language_version:
      - 2
      - 0
    .max_flat_workgroup_size: 128
    .name:           _ZN4vllm3moe22topkGatingSoftplusSqrtILi4ELi8ELi4ELi16ELi32ELb1ElfEEvPKT6_PKbPfiPT5_PiiiibdPKfPKS8_SE_
    .private_segment_fixed_size: 32
    .sgpr_count:     28
    .sgpr_spill_count: 0
    .symbol:         _ZN4vllm3moe22topkGatingSoftplusSqrtILi4ELi8ELi4ELi16ELi32ELb1ElfEEvPKT6_PKbPfiPT5_PiiiibdPKfPKS8_SE_.kd
    .uniform_work_group_size: 1
    .uses_dynamic_stack: false
    .vgpr_count:     25
    .vgpr_spill_count: 0
    .wavefront_size: 64
  - .agpr_count:     0
    .args:
      - .address_space:  global
        .offset:         0
        .size:           8
        .value_kind:     global_buffer
      - .address_space:  global
        .offset:         8
        .size:           8
        .value_kind:     global_buffer
      - .address_space:  global
        .offset:         16
        .size:           8
        .value_kind:     global_buffer
      - .offset:         24
        .size:           4
        .value_kind:     by_value
      - .address_space:  global
        .offset:         32
        .size:           8
        .value_kind:     global_buffer
      - .address_space:  global
        .offset:         40
        .size:           8
        .value_kind:     global_buffer
      - .offset:         48
        .size:           4
        .value_kind:     by_value
      - .offset:         52
        .size:           4
        .value_kind:     by_value
      - .offset:         56
        .size:           4
        .value_kind:     by_value
      - .offset:         60
        .size:           1
        .value_kind:     by_value
      - .offset:         64
        .size:           8
        .value_kind:     by_value
      - .address_space:  global
        .offset:         72
        .size:           8
        .value_kind:     global_buffer
      - .address_space:  global
        .offset:         80
        .size:           8
        .value_kind:     global_buffer
      - .address_space:  global
        .offset:         88
        .size:           8
        .value_kind:     global_buffer
    .group_segment_fixed_size: 2048
    .kernarg_segment_align: 8
    .kernarg_segment_size: 96
    .language:       OpenCL C
    .language_version:
      - 2
      - 0
    .max_flat_workgroup_size: 128
    .name:           _ZN4vllm3moe22topkGatingSoftplusSqrtILi4ELi8ELi4ELi16ELi32ELb0ElfEEvPKT6_PKbPfiPT5_PiiiibdPKfPKS8_SE_
    .private_segment_fixed_size: 0
    .sgpr_count:     38
    .sgpr_spill_count: 0
    .symbol:         _ZN4vllm3moe22topkGatingSoftplusSqrtILi4ELi8ELi4ELi16ELi32ELb0ElfEEvPKT6_PKbPfiPT5_PiiiibdPKfPKS8_SE_.kd
    .uniform_work_group_size: 1
    .uses_dynamic_stack: false
    .vgpr_count:     18
    .vgpr_spill_count: 0
    .wavefront_size: 64
  - .agpr_count:     0
    .args:
      - .address_space:  global
        .offset:         0
        .size:           8
        .value_kind:     global_buffer
      - .address_space:  global
        .offset:         8
        .size:           8
        .value_kind:     global_buffer
      - .address_space:  global
        .offset:         16
        .size:           8
        .value_kind:     global_buffer
      - .offset:         24
        .size:           4
        .value_kind:     by_value
      - .address_space:  global
        .offset:         32
        .size:           8
        .value_kind:     global_buffer
      - .address_space:  global
        .offset:         40
        .size:           8
        .value_kind:     global_buffer
      - .offset:         48
        .size:           4
        .value_kind:     by_value
      - .offset:         52
        .size:           4
        .value_kind:     by_value
      - .offset:         56
        .size:           4
        .value_kind:     by_value
      - .offset:         60
        .size:           1
        .value_kind:     by_value
      - .offset:         64
        .size:           8
        .value_kind:     by_value
      - .address_space:  global
        .offset:         72
        .size:           8
        .value_kind:     global_buffer
      - .address_space:  global
        .offset:         80
        .size:           8
        .value_kind:     global_buffer
      - .address_space:  global
        .offset:         88
        .size:           8
        .value_kind:     global_buffer
    .group_segment_fixed_size: 0
    .kernarg_segment_align: 8
    .kernarg_segment_size: 96
    .language:       OpenCL C
    .language_version:
      - 2
      - 0
    .max_flat_workgroup_size: 256
    .name:           _ZN4vllm3moe22topkGatingSoftplusSqrtILi4ELi16ELi4ELi16ELi64ELb1ElfEEvPKT6_PKbPfiPT5_PiiiibdPKfPKS8_SE_
    .private_segment_fixed_size: 32
    .sgpr_count:     28
    .sgpr_spill_count: 0
    .symbol:         _ZN4vllm3moe22topkGatingSoftplusSqrtILi4ELi16ELi4ELi16ELi64ELb1ElfEEvPKT6_PKbPfiPT5_PiiiibdPKfPKS8_SE_.kd
    .uniform_work_group_size: 1
    .uses_dynamic_stack: false
    .vgpr_count:     25
    .vgpr_spill_count: 0
    .wavefront_size: 64
  - .agpr_count:     0
    .args:
      - .address_space:  global
        .offset:         0
        .size:           8
        .value_kind:     global_buffer
      - .address_space:  global
        .offset:         8
        .size:           8
        .value_kind:     global_buffer
      - .address_space:  global
        .offset:         16
        .size:           8
        .value_kind:     global_buffer
      - .offset:         24
        .size:           4
        .value_kind:     by_value
      - .address_space:  global
        .offset:         32
        .size:           8
        .value_kind:     global_buffer
      - .address_space:  global
        .offset:         40
        .size:           8
        .value_kind:     global_buffer
      - .offset:         48
        .size:           4
        .value_kind:     by_value
      - .offset:         52
        .size:           4
        .value_kind:     by_value
      - .offset:         56
        .size:           4
        .value_kind:     by_value
      - .offset:         60
        .size:           1
        .value_kind:     by_value
      - .offset:         64
        .size:           8
        .value_kind:     by_value
      - .address_space:  global
        .offset:         72
        .size:           8
        .value_kind:     global_buffer
      - .address_space:  global
        .offset:         80
        .size:           8
        .value_kind:     global_buffer
      - .address_space:  global
        .offset:         88
        .size:           8
        .value_kind:     global_buffer
    .group_segment_fixed_size: 4096
    .kernarg_segment_align: 8
    .kernarg_segment_size: 96
    .language:       OpenCL C
    .language_version:
      - 2
      - 0
    .max_flat_workgroup_size: 256
    .name:           _ZN4vllm3moe22topkGatingSoftplusSqrtILi4ELi16ELi4ELi16ELi64ELb0ElfEEvPKT6_PKbPfiPT5_PiiiibdPKfPKS8_SE_
    .private_segment_fixed_size: 0
    .sgpr_count:     38
    .sgpr_spill_count: 0
    .symbol:         _ZN4vllm3moe22topkGatingSoftplusSqrtILi4ELi16ELi4ELi16ELi64ELb0ElfEEvPKT6_PKbPfiPT5_PiiiibdPKfPKS8_SE_.kd
    .uniform_work_group_size: 1
    .uses_dynamic_stack: false
    .vgpr_count:     20
    .vgpr_spill_count: 0
    .wavefront_size: 64
  - .agpr_count:     0
    .args:
      - .address_space:  global
        .offset:         0
        .size:           8
        .value_kind:     global_buffer
      - .address_space:  global
        .offset:         8
        .size:           8
        .value_kind:     global_buffer
      - .address_space:  global
        .offset:         16
        .size:           8
        .value_kind:     global_buffer
      - .offset:         24
        .size:           4
        .value_kind:     by_value
      - .address_space:  global
        .offset:         32
        .size:           8
        .value_kind:     global_buffer
      - .address_space:  global
        .offset:         40
        .size:           8
        .value_kind:     global_buffer
      - .offset:         48
        .size:           4
        .value_kind:     by_value
      - .offset:         52
        .size:           4
        .value_kind:     by_value
      - .offset:         56
        .size:           4
        .value_kind:     by_value
      - .offset:         60
        .size:           1
        .value_kind:     by_value
      - .offset:         64
        .size:           8
        .value_kind:     by_value
      - .address_space:  global
        .offset:         72
        .size:           8
        .value_kind:     global_buffer
      - .address_space:  global
        .offset:         80
        .size:           8
        .value_kind:     global_buffer
      - .address_space:  global
        .offset:         88
        .size:           8
        .value_kind:     global_buffer
    .group_segment_fixed_size: 0
    .kernarg_segment_align: 8
    .kernarg_segment_size: 96
    .language:       OpenCL C
    .language_version:
      - 2
      - 0
    .max_flat_workgroup_size: 128
    .name:           _ZN4vllm3moe22topkGatingSoftplusSqrtILi4ELi16ELi4ELi16ELi32ELb1ElfEEvPKT6_PKbPfiPT5_PiiiibdPKfPKS8_SE_
    .private_segment_fixed_size: 32
    .sgpr_count:     28
    .sgpr_spill_count: 0
    .symbol:         _ZN4vllm3moe22topkGatingSoftplusSqrtILi4ELi16ELi4ELi16ELi32ELb1ElfEEvPKT6_PKbPfiPT5_PiiiibdPKfPKS8_SE_.kd
    .uniform_work_group_size: 1
    .uses_dynamic_stack: false
    .vgpr_count:     25
    .vgpr_spill_count: 0
    .wavefront_size: 64
  - .agpr_count:     0
    .args:
      - .address_space:  global
        .offset:         0
        .size:           8
        .value_kind:     global_buffer
      - .address_space:  global
        .offset:         8
        .size:           8
        .value_kind:     global_buffer
      - .address_space:  global
        .offset:         16
        .size:           8
        .value_kind:     global_buffer
      - .offset:         24
        .size:           4
        .value_kind:     by_value
      - .address_space:  global
        .offset:         32
        .size:           8
        .value_kind:     global_buffer
      - .address_space:  global
        .offset:         40
        .size:           8
        .value_kind:     global_buffer
      - .offset:         48
        .size:           4
        .value_kind:     by_value
      - .offset:         52
        .size:           4
        .value_kind:     by_value
      - .offset:         56
        .size:           4
        .value_kind:     by_value
      - .offset:         60
        .size:           1
        .value_kind:     by_value
      - .offset:         64
        .size:           8
        .value_kind:     by_value
      - .address_space:  global
        .offset:         72
        .size:           8
        .value_kind:     global_buffer
      - .address_space:  global
        .offset:         80
        .size:           8
        .value_kind:     global_buffer
      - .address_space:  global
        .offset:         88
        .size:           8
        .value_kind:     global_buffer
    .group_segment_fixed_size: 2048
    .kernarg_segment_align: 8
    .kernarg_segment_size: 96
    .language:       OpenCL C
    .language_version:
      - 2
      - 0
    .max_flat_workgroup_size: 128
    .name:           _ZN4vllm3moe22topkGatingSoftplusSqrtILi4ELi16ELi4ELi16ELi32ELb0ElfEEvPKT6_PKbPfiPT5_PiiiibdPKfPKS8_SE_
    .private_segment_fixed_size: 0
    .sgpr_count:     38
    .sgpr_spill_count: 0
    .symbol:         _ZN4vllm3moe22topkGatingSoftplusSqrtILi4ELi16ELi4ELi16ELi32ELb0ElfEEvPKT6_PKbPfiPT5_PiiiibdPKfPKS8_SE_.kd
    .uniform_work_group_size: 1
    .uses_dynamic_stack: false
    .vgpr_count:     20
    .vgpr_spill_count: 0
    .wavefront_size: 64
  - .agpr_count:     0
    .args:
      - .address_space:  global
        .offset:         0
        .size:           8
        .value_kind:     global_buffer
      - .address_space:  global
        .offset:         8
        .size:           8
        .value_kind:     global_buffer
      - .address_space:  global
        .offset:         16
        .size:           8
        .value_kind:     global_buffer
      - .offset:         24
        .size:           4
        .value_kind:     by_value
      - .address_space:  global
        .offset:         32
        .size:           8
        .value_kind:     global_buffer
      - .address_space:  global
        .offset:         40
        .size:           8
        .value_kind:     global_buffer
      - .offset:         48
        .size:           4
        .value_kind:     by_value
      - .offset:         52
        .size:           4
        .value_kind:     by_value
      - .offset:         56
        .size:           4
        .value_kind:     by_value
      - .offset:         60
        .size:           1
        .value_kind:     by_value
      - .offset:         64
        .size:           8
        .value_kind:     by_value
      - .address_space:  global
        .offset:         72
        .size:           8
        .value_kind:     global_buffer
      - .address_space:  global
        .offset:         80
        .size:           8
        .value_kind:     global_buffer
      - .address_space:  global
        .offset:         88
        .size:           8
        .value_kind:     global_buffer
    .group_segment_fixed_size: 0
    .kernarg_segment_align: 8
    .kernarg_segment_size: 96
    .language:       OpenCL C
    .language_version:
      - 2
      - 0
    .max_flat_workgroup_size: 256
    .name:           _ZN4vllm3moe22topkGatingSoftplusSqrtILi4ELi32ELi4ELi16ELi64ELb1ElfEEvPKT6_PKbPfiPT5_PiiiibdPKfPKS8_SE_
    .private_segment_fixed_size: 32
    .sgpr_count:     28
    .sgpr_spill_count: 0
    .symbol:         _ZN4vllm3moe22topkGatingSoftplusSqrtILi4ELi32ELi4ELi16ELi64ELb1ElfEEvPKT6_PKbPfiPT5_PiiiibdPKfPKS8_SE_.kd
    .uniform_work_group_size: 1
    .uses_dynamic_stack: false
    .vgpr_count:     25
    .vgpr_spill_count: 0
    .wavefront_size: 64
  - .agpr_count:     0
    .args:
      - .address_space:  global
        .offset:         0
        .size:           8
        .value_kind:     global_buffer
      - .address_space:  global
        .offset:         8
        .size:           8
        .value_kind:     global_buffer
      - .address_space:  global
        .offset:         16
        .size:           8
        .value_kind:     global_buffer
      - .offset:         24
        .size:           4
        .value_kind:     by_value
      - .address_space:  global
        .offset:         32
        .size:           8
        .value_kind:     global_buffer
      - .address_space:  global
        .offset:         40
        .size:           8
        .value_kind:     global_buffer
      - .offset:         48
        .size:           4
        .value_kind:     by_value
      - .offset:         52
        .size:           4
        .value_kind:     by_value
      - .offset:         56
        .size:           4
        .value_kind:     by_value
      - .offset:         60
        .size:           1
        .value_kind:     by_value
      - .offset:         64
        .size:           8
        .value_kind:     by_value
      - .address_space:  global
        .offset:         72
        .size:           8
        .value_kind:     global_buffer
      - .address_space:  global
        .offset:         80
        .size:           8
        .value_kind:     global_buffer
      - .address_space:  global
        .offset:         88
        .size:           8
        .value_kind:     global_buffer
    .group_segment_fixed_size: 4096
    .kernarg_segment_align: 8
    .kernarg_segment_size: 96
    .language:       OpenCL C
    .language_version:
      - 2
      - 0
    .max_flat_workgroup_size: 256
    .name:           _ZN4vllm3moe22topkGatingSoftplusSqrtILi4ELi32ELi4ELi16ELi64ELb0ElfEEvPKT6_PKbPfiPT5_PiiiibdPKfPKS8_SE_
    .private_segment_fixed_size: 0
    .sgpr_count:     38
    .sgpr_spill_count: 0
    .symbol:         _ZN4vllm3moe22topkGatingSoftplusSqrtILi4ELi32ELi4ELi16ELi64ELb0ElfEEvPKT6_PKbPfiPT5_PiiiibdPKfPKS8_SE_.kd
    .uniform_work_group_size: 1
    .uses_dynamic_stack: false
    .vgpr_count:     20
    .vgpr_spill_count: 0
    .wavefront_size: 64
  - .agpr_count:     0
    .args:
      - .address_space:  global
        .offset:         0
        .size:           8
        .value_kind:     global_buffer
      - .address_space:  global
        .offset:         8
        .size:           8
        .value_kind:     global_buffer
      - .address_space:  global
        .offset:         16
        .size:           8
        .value_kind:     global_buffer
      - .offset:         24
        .size:           4
        .value_kind:     by_value
      - .address_space:  global
        .offset:         32
        .size:           8
        .value_kind:     global_buffer
      - .address_space:  global
        .offset:         40
        .size:           8
        .value_kind:     global_buffer
      - .offset:         48
        .size:           4
        .value_kind:     by_value
      - .offset:         52
        .size:           4
        .value_kind:     by_value
      - .offset:         56
        .size:           4
        .value_kind:     by_value
      - .offset:         60
        .size:           1
        .value_kind:     by_value
      - .offset:         64
        .size:           8
        .value_kind:     by_value
      - .address_space:  global
        .offset:         72
        .size:           8
        .value_kind:     global_buffer
      - .address_space:  global
        .offset:         80
        .size:           8
        .value_kind:     global_buffer
      - .address_space:  global
        .offset:         88
        .size:           8
        .value_kind:     global_buffer
    .group_segment_fixed_size: 0
    .kernarg_segment_align: 8
    .kernarg_segment_size: 96
    .language:       OpenCL C
    .language_version:
      - 2
      - 0
    .max_flat_workgroup_size: 128
    .name:           _ZN4vllm3moe22topkGatingSoftplusSqrtILi4ELi32ELi4ELi16ELi32ELb1ElfEEvPKT6_PKbPfiPT5_PiiiibdPKfPKS8_SE_
    .private_segment_fixed_size: 32
    .sgpr_count:     28
    .sgpr_spill_count: 0
    .symbol:         _ZN4vllm3moe22topkGatingSoftplusSqrtILi4ELi32ELi4ELi16ELi32ELb1ElfEEvPKT6_PKbPfiPT5_PiiiibdPKfPKS8_SE_.kd
    .uniform_work_group_size: 1
    .uses_dynamic_stack: false
    .vgpr_count:     25
    .vgpr_spill_count: 0
    .wavefront_size: 64
  - .agpr_count:     0
    .args:
      - .address_space:  global
        .offset:         0
        .size:           8
        .value_kind:     global_buffer
      - .address_space:  global
        .offset:         8
        .size:           8
        .value_kind:     global_buffer
      - .address_space:  global
        .offset:         16
        .size:           8
        .value_kind:     global_buffer
      - .offset:         24
        .size:           4
        .value_kind:     by_value
      - .address_space:  global
        .offset:         32
        .size:           8
        .value_kind:     global_buffer
      - .address_space:  global
        .offset:         40
        .size:           8
        .value_kind:     global_buffer
      - .offset:         48
        .size:           4
        .value_kind:     by_value
      - .offset:         52
        .size:           4
        .value_kind:     by_value
      - .offset:         56
        .size:           4
        .value_kind:     by_value
      - .offset:         60
        .size:           1
        .value_kind:     by_value
      - .offset:         64
        .size:           8
        .value_kind:     by_value
      - .address_space:  global
        .offset:         72
        .size:           8
        .value_kind:     global_buffer
      - .address_space:  global
        .offset:         80
        .size:           8
        .value_kind:     global_buffer
      - .address_space:  global
        .offset:         88
        .size:           8
        .value_kind:     global_buffer
    .group_segment_fixed_size: 2048
    .kernarg_segment_align: 8
    .kernarg_segment_size: 96
    .language:       OpenCL C
    .language_version:
      - 2
      - 0
    .max_flat_workgroup_size: 128
    .name:           _ZN4vllm3moe22topkGatingSoftplusSqrtILi4ELi32ELi4ELi16ELi32ELb0ElfEEvPKT6_PKbPfiPT5_PiiiibdPKfPKS8_SE_
    .private_segment_fixed_size: 0
    .sgpr_count:     38
    .sgpr_spill_count: 0
    .symbol:         _ZN4vllm3moe22topkGatingSoftplusSqrtILi4ELi32ELi4ELi16ELi32ELb0ElfEEvPKT6_PKbPfiPT5_PiiiibdPKfPKS8_SE_.kd
    .uniform_work_group_size: 1
    .uses_dynamic_stack: false
    .vgpr_count:     20
    .vgpr_spill_count: 0
    .wavefront_size: 64
  - .agpr_count:     0
    .args:
      - .address_space:  global
        .offset:         0
        .size:           8
        .value_kind:     global_buffer
      - .address_space:  global
        .offset:         8
        .size:           8
        .value_kind:     global_buffer
      - .address_space:  global
        .offset:         16
        .size:           8
        .value_kind:     global_buffer
      - .offset:         24
        .size:           4
        .value_kind:     by_value
      - .address_space:  global
        .offset:         32
        .size:           8
        .value_kind:     global_buffer
      - .address_space:  global
        .offset:         40
        .size:           8
        .value_kind:     global_buffer
      - .offset:         48
        .size:           4
        .value_kind:     by_value
      - .offset:         52
        .size:           4
        .value_kind:     by_value
      - .offset:         56
        .size:           4
        .value_kind:     by_value
      - .offset:         60
        .size:           1
        .value_kind:     by_value
      - .offset:         64
        .size:           8
        .value_kind:     by_value
      - .address_space:  global
        .offset:         72
        .size:           8
        .value_kind:     global_buffer
      - .address_space:  global
        .offset:         80
        .size:           8
        .value_kind:     global_buffer
      - .address_space:  global
        .offset:         88
        .size:           8
        .value_kind:     global_buffer
    .group_segment_fixed_size: 0
    .kernarg_segment_align: 8
    .kernarg_segment_size: 96
    .language:       OpenCL C
    .language_version:
      - 2
      - 0
    .max_flat_workgroup_size: 256
    .name:           _ZN4vllm3moe22topkGatingSoftplusSqrtILi4ELi64ELi4ELi16ELi64ELb1ElfEEvPKT6_PKbPfiPT5_PiiiibdPKfPKS8_SE_
    .private_segment_fixed_size: 32
    .sgpr_count:     28
    .sgpr_spill_count: 0
    .symbol:         _ZN4vllm3moe22topkGatingSoftplusSqrtILi4ELi64ELi4ELi16ELi64ELb1ElfEEvPKT6_PKbPfiPT5_PiiiibdPKfPKS8_SE_.kd
    .uniform_work_group_size: 1
    .uses_dynamic_stack: false
    .vgpr_count:     25
    .vgpr_spill_count: 0
    .wavefront_size: 64
  - .agpr_count:     0
    .args:
      - .address_space:  global
        .offset:         0
        .size:           8
        .value_kind:     global_buffer
      - .address_space:  global
        .offset:         8
        .size:           8
        .value_kind:     global_buffer
      - .address_space:  global
        .offset:         16
        .size:           8
        .value_kind:     global_buffer
      - .offset:         24
        .size:           4
        .value_kind:     by_value
      - .address_space:  global
        .offset:         32
        .size:           8
        .value_kind:     global_buffer
      - .address_space:  global
        .offset:         40
        .size:           8
        .value_kind:     global_buffer
      - .offset:         48
        .size:           4
        .value_kind:     by_value
      - .offset:         52
        .size:           4
        .value_kind:     by_value
      - .offset:         56
        .size:           4
        .value_kind:     by_value
      - .offset:         60
        .size:           1
        .value_kind:     by_value
      - .offset:         64
        .size:           8
        .value_kind:     by_value
      - .address_space:  global
        .offset:         72
        .size:           8
        .value_kind:     global_buffer
      - .address_space:  global
        .offset:         80
        .size:           8
        .value_kind:     global_buffer
      - .address_space:  global
        .offset:         88
        .size:           8
        .value_kind:     global_buffer
    .group_segment_fixed_size: 4096
    .kernarg_segment_align: 8
    .kernarg_segment_size: 96
    .language:       OpenCL C
    .language_version:
      - 2
      - 0
    .max_flat_workgroup_size: 256
    .name:           _ZN4vllm3moe22topkGatingSoftplusSqrtILi4ELi64ELi4ELi16ELi64ELb0ElfEEvPKT6_PKbPfiPT5_PiiiibdPKfPKS8_SE_
    .private_segment_fixed_size: 0
    .sgpr_count:     38
    .sgpr_spill_count: 0
    .symbol:         _ZN4vllm3moe22topkGatingSoftplusSqrtILi4ELi64ELi4ELi16ELi64ELb0ElfEEvPKT6_PKbPfiPT5_PiiiibdPKfPKS8_SE_.kd
    .uniform_work_group_size: 1
    .uses_dynamic_stack: false
    .vgpr_count:     22
    .vgpr_spill_count: 0
    .wavefront_size: 64
  - .agpr_count:     0
    .args:
      - .address_space:  global
        .offset:         0
        .size:           8
        .value_kind:     global_buffer
      - .address_space:  global
        .offset:         8
        .size:           8
        .value_kind:     global_buffer
      - .address_space:  global
        .offset:         16
        .size:           8
        .value_kind:     global_buffer
      - .offset:         24
        .size:           4
        .value_kind:     by_value
      - .address_space:  global
        .offset:         32
        .size:           8
        .value_kind:     global_buffer
      - .address_space:  global
        .offset:         40
        .size:           8
        .value_kind:     global_buffer
      - .offset:         48
        .size:           4
        .value_kind:     by_value
      - .offset:         52
        .size:           4
        .value_kind:     by_value
      - .offset:         56
        .size:           4
        .value_kind:     by_value
      - .offset:         60
        .size:           1
        .value_kind:     by_value
      - .offset:         64
        .size:           8
        .value_kind:     by_value
      - .address_space:  global
        .offset:         72
        .size:           8
        .value_kind:     global_buffer
      - .address_space:  global
        .offset:         80
        .size:           8
        .value_kind:     global_buffer
      - .address_space:  global
        .offset:         88
        .size:           8
        .value_kind:     global_buffer
    .group_segment_fixed_size: 0
    .kernarg_segment_align: 8
    .kernarg_segment_size: 96
    .language:       OpenCL C
    .language_version:
      - 2
      - 0
    .max_flat_workgroup_size: 128
    .name:           _ZN4vllm3moe22topkGatingSoftplusSqrtILi4ELi64ELi4ELi16ELi32ELb1ElfEEvPKT6_PKbPfiPT5_PiiiibdPKfPKS8_SE_
    .private_segment_fixed_size: 32
    .sgpr_count:     28
    .sgpr_spill_count: 0
    .symbol:         _ZN4vllm3moe22topkGatingSoftplusSqrtILi4ELi64ELi4ELi16ELi32ELb1ElfEEvPKT6_PKbPfiPT5_PiiiibdPKfPKS8_SE_.kd
    .uniform_work_group_size: 1
    .uses_dynamic_stack: false
    .vgpr_count:     25
    .vgpr_spill_count: 0
    .wavefront_size: 64
  - .agpr_count:     0
    .args:
      - .address_space:  global
        .offset:         0
        .size:           8
        .value_kind:     global_buffer
      - .address_space:  global
        .offset:         8
        .size:           8
        .value_kind:     global_buffer
      - .address_space:  global
        .offset:         16
        .size:           8
        .value_kind:     global_buffer
      - .offset:         24
        .size:           4
        .value_kind:     by_value
      - .address_space:  global
        .offset:         32
        .size:           8
        .value_kind:     global_buffer
      - .address_space:  global
        .offset:         40
        .size:           8
        .value_kind:     global_buffer
      - .offset:         48
        .size:           4
        .value_kind:     by_value
      - .offset:         52
        .size:           4
        .value_kind:     by_value
      - .offset:         56
        .size:           4
        .value_kind:     by_value
      - .offset:         60
        .size:           1
        .value_kind:     by_value
      - .offset:         64
        .size:           8
        .value_kind:     by_value
      - .address_space:  global
        .offset:         72
        .size:           8
        .value_kind:     global_buffer
      - .address_space:  global
        .offset:         80
        .size:           8
        .value_kind:     global_buffer
      - .address_space:  global
        .offset:         88
        .size:           8
        .value_kind:     global_buffer
    .group_segment_fixed_size: 2048
    .kernarg_segment_align: 8
    .kernarg_segment_size: 96
    .language:       OpenCL C
    .language_version:
      - 2
      - 0
    .max_flat_workgroup_size: 128
    .name:           _ZN4vllm3moe22topkGatingSoftplusSqrtILi4ELi64ELi4ELi16ELi32ELb0ElfEEvPKT6_PKbPfiPT5_PiiiibdPKfPKS8_SE_
    .private_segment_fixed_size: 0
    .sgpr_count:     38
    .sgpr_spill_count: 0
    .symbol:         _ZN4vllm3moe22topkGatingSoftplusSqrtILi4ELi64ELi4ELi16ELi32ELb0ElfEEvPKT6_PKbPfiPT5_PiiiibdPKfPKS8_SE_.kd
    .uniform_work_group_size: 1
    .uses_dynamic_stack: false
    .vgpr_count:     22
    .vgpr_spill_count: 0
    .wavefront_size: 64
  - .agpr_count:     0
    .args:
      - .address_space:  global
        .offset:         0
        .size:           8
        .value_kind:     global_buffer
      - .address_space:  global
        .offset:         8
        .size:           8
        .value_kind:     global_buffer
      - .address_space:  global
        .offset:         16
        .size:           8
        .value_kind:     global_buffer
      - .offset:         24
        .size:           4
        .value_kind:     by_value
      - .address_space:  global
        .offset:         32
        .size:           8
        .value_kind:     global_buffer
      - .address_space:  global
        .offset:         40
        .size:           8
        .value_kind:     global_buffer
      - .offset:         48
        .size:           4
        .value_kind:     by_value
      - .offset:         52
        .size:           4
        .value_kind:     by_value
      - .offset:         56
        .size:           4
        .value_kind:     by_value
      - .offset:         60
        .size:           1
        .value_kind:     by_value
      - .offset:         64
        .size:           8
        .value_kind:     by_value
      - .address_space:  global
        .offset:         72
        .size:           8
        .value_kind:     global_buffer
      - .address_space:  global
        .offset:         80
        .size:           8
        .value_kind:     global_buffer
      - .address_space:  global
        .offset:         88
        .size:           8
        .value_kind:     global_buffer
    .group_segment_fixed_size: 0
    .kernarg_segment_align: 8
    .kernarg_segment_size: 96
    .language:       OpenCL C
    .language_version:
      - 2
      - 0
    .max_flat_workgroup_size: 256
    .name:           _ZN4vllm3moe22topkGatingSoftplusSqrtILi4ELi128ELi4ELi16ELi64ELb1ElfEEvPKT6_PKbPfiPT5_PiiiibdPKfPKS8_SE_
    .private_segment_fixed_size: 32
    .sgpr_count:     28
    .sgpr_spill_count: 0
    .symbol:         _ZN4vllm3moe22topkGatingSoftplusSqrtILi4ELi128ELi4ELi16ELi64ELb1ElfEEvPKT6_PKbPfiPT5_PiiiibdPKfPKS8_SE_.kd
    .uniform_work_group_size: 1
    .uses_dynamic_stack: false
    .vgpr_count:     25
    .vgpr_spill_count: 0
    .wavefront_size: 64
  - .agpr_count:     0
    .args:
      - .address_space:  global
        .offset:         0
        .size:           8
        .value_kind:     global_buffer
      - .address_space:  global
        .offset:         8
        .size:           8
        .value_kind:     global_buffer
      - .address_space:  global
        .offset:         16
        .size:           8
        .value_kind:     global_buffer
      - .offset:         24
        .size:           4
        .value_kind:     by_value
      - .address_space:  global
        .offset:         32
        .size:           8
        .value_kind:     global_buffer
      - .address_space:  global
        .offset:         40
        .size:           8
        .value_kind:     global_buffer
      - .offset:         48
        .size:           4
        .value_kind:     by_value
      - .offset:         52
        .size:           4
        .value_kind:     by_value
      - .offset:         56
        .size:           4
        .value_kind:     by_value
      - .offset:         60
        .size:           1
        .value_kind:     by_value
      - .offset:         64
        .size:           8
        .value_kind:     by_value
      - .address_space:  global
        .offset:         72
        .size:           8
        .value_kind:     global_buffer
      - .address_space:  global
        .offset:         80
        .size:           8
        .value_kind:     global_buffer
      - .address_space:  global
        .offset:         88
        .size:           8
        .value_kind:     global_buffer
    .group_segment_fixed_size: 4096
    .kernarg_segment_align: 8
    .kernarg_segment_size: 96
    .language:       OpenCL C
    .language_version:
      - 2
      - 0
    .max_flat_workgroup_size: 256
    .name:           _ZN4vllm3moe22topkGatingSoftplusSqrtILi4ELi128ELi4ELi16ELi64ELb0ElfEEvPKT6_PKbPfiPT5_PiiiibdPKfPKS8_SE_
    .private_segment_fixed_size: 0
    .sgpr_count:     38
    .sgpr_spill_count: 0
    .symbol:         _ZN4vllm3moe22topkGatingSoftplusSqrtILi4ELi128ELi4ELi16ELi64ELb0ElfEEvPKT6_PKbPfiPT5_PiiiibdPKfPKS8_SE_.kd
    .uniform_work_group_size: 1
    .uses_dynamic_stack: false
    .vgpr_count:     24
    .vgpr_spill_count: 0
    .wavefront_size: 64
  - .agpr_count:     0
    .args:
      - .address_space:  global
        .offset:         0
        .size:           8
        .value_kind:     global_buffer
      - .address_space:  global
        .offset:         8
        .size:           8
        .value_kind:     global_buffer
      - .address_space:  global
        .offset:         16
        .size:           8
        .value_kind:     global_buffer
      - .offset:         24
        .size:           4
        .value_kind:     by_value
      - .address_space:  global
        .offset:         32
        .size:           8
        .value_kind:     global_buffer
      - .address_space:  global
        .offset:         40
        .size:           8
        .value_kind:     global_buffer
      - .offset:         48
        .size:           4
        .value_kind:     by_value
      - .offset:         52
        .size:           4
        .value_kind:     by_value
      - .offset:         56
        .size:           4
        .value_kind:     by_value
      - .offset:         60
        .size:           1
        .value_kind:     by_value
      - .offset:         64
        .size:           8
        .value_kind:     by_value
      - .address_space:  global
        .offset:         72
        .size:           8
        .value_kind:     global_buffer
      - .address_space:  global
        .offset:         80
        .size:           8
        .value_kind:     global_buffer
      - .address_space:  global
        .offset:         88
        .size:           8
        .value_kind:     global_buffer
    .group_segment_fixed_size: 0
    .kernarg_segment_align: 8
    .kernarg_segment_size: 96
    .language:       OpenCL C
    .language_version:
      - 2
      - 0
    .max_flat_workgroup_size: 128
    .name:           _ZN4vllm3moe22topkGatingSoftplusSqrtILi4ELi128ELi4ELi16ELi32ELb1ElfEEvPKT6_PKbPfiPT5_PiiiibdPKfPKS8_SE_
    .private_segment_fixed_size: 32
    .sgpr_count:     28
    .sgpr_spill_count: 0
    .symbol:         _ZN4vllm3moe22topkGatingSoftplusSqrtILi4ELi128ELi4ELi16ELi32ELb1ElfEEvPKT6_PKbPfiPT5_PiiiibdPKfPKS8_SE_.kd
    .uniform_work_group_size: 1
    .uses_dynamic_stack: false
    .vgpr_count:     25
    .vgpr_spill_count: 0
    .wavefront_size: 64
  - .agpr_count:     0
    .args:
      - .address_space:  global
        .offset:         0
        .size:           8
        .value_kind:     global_buffer
      - .address_space:  global
        .offset:         8
        .size:           8
        .value_kind:     global_buffer
      - .address_space:  global
        .offset:         16
        .size:           8
        .value_kind:     global_buffer
      - .offset:         24
        .size:           4
        .value_kind:     by_value
      - .address_space:  global
        .offset:         32
        .size:           8
        .value_kind:     global_buffer
      - .address_space:  global
        .offset:         40
        .size:           8
        .value_kind:     global_buffer
      - .offset:         48
        .size:           4
        .value_kind:     by_value
      - .offset:         52
        .size:           4
        .value_kind:     by_value
      - .offset:         56
        .size:           4
        .value_kind:     by_value
      - .offset:         60
        .size:           1
        .value_kind:     by_value
      - .offset:         64
        .size:           8
        .value_kind:     by_value
      - .address_space:  global
        .offset:         72
        .size:           8
        .value_kind:     global_buffer
      - .address_space:  global
        .offset:         80
        .size:           8
        .value_kind:     global_buffer
      - .address_space:  global
        .offset:         88
        .size:           8
        .value_kind:     global_buffer
    .group_segment_fixed_size: 2048
    .kernarg_segment_align: 8
    .kernarg_segment_size: 96
    .language:       OpenCL C
    .language_version:
      - 2
      - 0
    .max_flat_workgroup_size: 128
    .name:           _ZN4vllm3moe22topkGatingSoftplusSqrtILi4ELi128ELi4ELi16ELi32ELb0ElfEEvPKT6_PKbPfiPT5_PiiiibdPKfPKS8_SE_
    .private_segment_fixed_size: 0
    .sgpr_count:     38
    .sgpr_spill_count: 0
    .symbol:         _ZN4vllm3moe22topkGatingSoftplusSqrtILi4ELi128ELi4ELi16ELi32ELb0ElfEEvPKT6_PKbPfiPT5_PiiiibdPKfPKS8_SE_.kd
    .uniform_work_group_size: 1
    .uses_dynamic_stack: false
    .vgpr_count:     24
    .vgpr_spill_count: 0
    .wavefront_size: 64
  - .agpr_count:     0
    .args:
      - .address_space:  global
        .offset:         0
        .size:           8
        .value_kind:     global_buffer
      - .address_space:  global
        .offset:         8
        .size:           8
        .value_kind:     global_buffer
      - .address_space:  global
        .offset:         16
        .size:           8
        .value_kind:     global_buffer
      - .offset:         24
        .size:           4
        .value_kind:     by_value
      - .address_space:  global
        .offset:         32
        .size:           8
        .value_kind:     global_buffer
      - .address_space:  global
        .offset:         40
        .size:           8
        .value_kind:     global_buffer
      - .offset:         48
        .size:           4
        .value_kind:     by_value
      - .offset:         52
        .size:           4
        .value_kind:     by_value
      - .offset:         56
        .size:           4
        .value_kind:     by_value
      - .offset:         60
        .size:           1
        .value_kind:     by_value
      - .offset:         64
        .size:           8
        .value_kind:     by_value
      - .address_space:  global
        .offset:         72
        .size:           8
        .value_kind:     global_buffer
      - .address_space:  global
        .offset:         80
        .size:           8
        .value_kind:     global_buffer
      - .address_space:  global
        .offset:         88
        .size:           8
        .value_kind:     global_buffer
    .group_segment_fixed_size: 0
    .kernarg_segment_align: 8
    .kernarg_segment_size: 96
    .language:       OpenCL C
    .language_version:
      - 2
      - 0
    .max_flat_workgroup_size: 256
    .name:           _ZN4vllm3moe22topkGatingSoftplusSqrtILi4ELi256ELi4ELi16ELi64ELb1ElfEEvPKT6_PKbPfiPT5_PiiiibdPKfPKS8_SE_
    .private_segment_fixed_size: 32
    .sgpr_count:     28
    .sgpr_spill_count: 0
    .symbol:         _ZN4vllm3moe22topkGatingSoftplusSqrtILi4ELi256ELi4ELi16ELi64ELb1ElfEEvPKT6_PKbPfiPT5_PiiiibdPKfPKS8_SE_.kd
    .uniform_work_group_size: 1
    .uses_dynamic_stack: false
    .vgpr_count:     25
    .vgpr_spill_count: 0
    .wavefront_size: 64
  - .agpr_count:     0
    .args:
      - .address_space:  global
        .offset:         0
        .size:           8
        .value_kind:     global_buffer
      - .address_space:  global
        .offset:         8
        .size:           8
        .value_kind:     global_buffer
      - .address_space:  global
        .offset:         16
        .size:           8
        .value_kind:     global_buffer
      - .offset:         24
        .size:           4
        .value_kind:     by_value
      - .address_space:  global
        .offset:         32
        .size:           8
        .value_kind:     global_buffer
      - .address_space:  global
        .offset:         40
        .size:           8
        .value_kind:     global_buffer
      - .offset:         48
        .size:           4
        .value_kind:     by_value
      - .offset:         52
        .size:           4
        .value_kind:     by_value
      - .offset:         56
        .size:           4
        .value_kind:     by_value
      - .offset:         60
        .size:           1
        .value_kind:     by_value
      - .offset:         64
        .size:           8
        .value_kind:     by_value
      - .address_space:  global
        .offset:         72
        .size:           8
        .value_kind:     global_buffer
      - .address_space:  global
        .offset:         80
        .size:           8
        .value_kind:     global_buffer
      - .address_space:  global
        .offset:         88
        .size:           8
        .value_kind:     global_buffer
    .group_segment_fixed_size: 4096
    .kernarg_segment_align: 8
    .kernarg_segment_size: 96
    .language:       OpenCL C
    .language_version:
      - 2
      - 0
    .max_flat_workgroup_size: 256
    .name:           _ZN4vllm3moe22topkGatingSoftplusSqrtILi4ELi256ELi4ELi16ELi64ELb0ElfEEvPKT6_PKbPfiPT5_PiiiibdPKfPKS8_SE_
    .private_segment_fixed_size: 0
    .sgpr_count:     38
    .sgpr_spill_count: 0
    .symbol:         _ZN4vllm3moe22topkGatingSoftplusSqrtILi4ELi256ELi4ELi16ELi64ELb0ElfEEvPKT6_PKbPfiPT5_PiiiibdPKfPKS8_SE_.kd
    .uniform_work_group_size: 1
    .uses_dynamic_stack: false
    .vgpr_count:     24
    .vgpr_spill_count: 0
    .wavefront_size: 64
  - .agpr_count:     0
    .args:
      - .address_space:  global
        .offset:         0
        .size:           8
        .value_kind:     global_buffer
      - .address_space:  global
        .offset:         8
        .size:           8
        .value_kind:     global_buffer
      - .address_space:  global
        .offset:         16
        .size:           8
        .value_kind:     global_buffer
      - .offset:         24
        .size:           4
        .value_kind:     by_value
      - .address_space:  global
        .offset:         32
        .size:           8
        .value_kind:     global_buffer
      - .address_space:  global
        .offset:         40
        .size:           8
        .value_kind:     global_buffer
      - .offset:         48
        .size:           4
        .value_kind:     by_value
      - .offset:         52
        .size:           4
        .value_kind:     by_value
      - .offset:         56
        .size:           4
        .value_kind:     by_value
      - .offset:         60
        .size:           1
        .value_kind:     by_value
      - .offset:         64
        .size:           8
        .value_kind:     by_value
      - .address_space:  global
        .offset:         72
        .size:           8
        .value_kind:     global_buffer
      - .address_space:  global
        .offset:         80
        .size:           8
        .value_kind:     global_buffer
      - .address_space:  global
        .offset:         88
        .size:           8
        .value_kind:     global_buffer
    .group_segment_fixed_size: 0
    .kernarg_segment_align: 8
    .kernarg_segment_size: 96
    .language:       OpenCL C
    .language_version:
      - 2
      - 0
    .max_flat_workgroup_size: 128
    .name:           _ZN4vllm3moe22topkGatingSoftplusSqrtILi8ELi256ELi4ELi16ELi32ELb1ElfEEvPKT6_PKbPfiPT5_PiiiibdPKfPKS8_SE_
    .private_segment_fixed_size: 48
    .sgpr_count:     42
    .sgpr_spill_count: 0
    .symbol:         _ZN4vllm3moe22topkGatingSoftplusSqrtILi8ELi256ELi4ELi16ELi32ELb1ElfEEvPKT6_PKbPfiPT5_PiiiibdPKfPKS8_SE_.kd
    .uniform_work_group_size: 1
    .uses_dynamic_stack: false
    .vgpr_count:     30
    .vgpr_spill_count: 0
    .wavefront_size: 64
  - .agpr_count:     0
    .args:
      - .address_space:  global
        .offset:         0
        .size:           8
        .value_kind:     global_buffer
      - .address_space:  global
        .offset:         8
        .size:           8
        .value_kind:     global_buffer
      - .address_space:  global
        .offset:         16
        .size:           8
        .value_kind:     global_buffer
      - .offset:         24
        .size:           4
        .value_kind:     by_value
      - .address_space:  global
        .offset:         32
        .size:           8
        .value_kind:     global_buffer
      - .address_space:  global
        .offset:         40
        .size:           8
        .value_kind:     global_buffer
      - .offset:         48
        .size:           4
        .value_kind:     by_value
      - .offset:         52
        .size:           4
        .value_kind:     by_value
      - .offset:         56
        .size:           4
        .value_kind:     by_value
      - .offset:         60
        .size:           1
        .value_kind:     by_value
      - .offset:         64
        .size:           8
        .value_kind:     by_value
      - .address_space:  global
        .offset:         72
        .size:           8
        .value_kind:     global_buffer
      - .address_space:  global
        .offset:         80
        .size:           8
        .value_kind:     global_buffer
      - .address_space:  global
        .offset:         88
        .size:           8
        .value_kind:     global_buffer
    .group_segment_fixed_size: 4096
    .kernarg_segment_align: 8
    .kernarg_segment_size: 96
    .language:       OpenCL C
    .language_version:
      - 2
      - 0
    .max_flat_workgroup_size: 128
    .name:           _ZN4vllm3moe22topkGatingSoftplusSqrtILi8ELi256ELi4ELi16ELi32ELb0ElfEEvPKT6_PKbPfiPT5_PiiiibdPKfPKS8_SE_
    .private_segment_fixed_size: 0
    .sgpr_count:     38
    .sgpr_spill_count: 0
    .symbol:         _ZN4vllm3moe22topkGatingSoftplusSqrtILi8ELi256ELi4ELi16ELi32ELb0ElfEEvPKT6_PKbPfiPT5_PiiiibdPKfPKS8_SE_.kd
    .uniform_work_group_size: 1
    .uses_dynamic_stack: false
    .vgpr_count:     28
    .vgpr_spill_count: 0
    .wavefront_size: 64
  - .agpr_count:     0
    .args:
      - .address_space:  global
        .offset:         0
        .size:           8
        .value_kind:     global_buffer
      - .address_space:  global
        .offset:         8
        .size:           8
        .value_kind:     global_buffer
      - .address_space:  global
        .offset:         16
        .size:           8
        .value_kind:     global_buffer
      - .offset:         24
        .size:           4
        .value_kind:     by_value
      - .address_space:  global
        .offset:         32
        .size:           8
        .value_kind:     global_buffer
      - .address_space:  global
        .offset:         40
        .size:           8
        .value_kind:     global_buffer
      - .offset:         48
        .size:           4
        .value_kind:     by_value
      - .offset:         52
        .size:           4
        .value_kind:     by_value
      - .offset:         56
        .size:           4
        .value_kind:     by_value
      - .offset:         60
        .size:           1
        .value_kind:     by_value
      - .offset:         64
        .size:           8
        .value_kind:     by_value
      - .address_space:  global
        .offset:         72
        .size:           8
        .value_kind:     global_buffer
      - .address_space:  global
        .offset:         80
        .size:           8
        .value_kind:     global_buffer
      - .address_space:  global
        .offset:         88
        .size:           8
        .value_kind:     global_buffer
    .group_segment_fixed_size: 0
    .kernarg_segment_align: 8
    .kernarg_segment_size: 96
    .language:       OpenCL C
    .language_version:
      - 2
      - 0
    .max_flat_workgroup_size: 256
    .name:           _ZN4vllm3moe22topkGatingSoftplusSqrtILi8ELi512ELi4ELi16ELi64ELb1ElfEEvPKT6_PKbPfiPT5_PiiiibdPKfPKS8_SE_
    .private_segment_fixed_size: 48
    .sgpr_count:     42
    .sgpr_spill_count: 0
    .symbol:         _ZN4vllm3moe22topkGatingSoftplusSqrtILi8ELi512ELi4ELi16ELi64ELb1ElfEEvPKT6_PKbPfiPT5_PiiiibdPKfPKS8_SE_.kd
    .uniform_work_group_size: 1
    .uses_dynamic_stack: false
    .vgpr_count:     30
    .vgpr_spill_count: 0
    .wavefront_size: 64
  - .agpr_count:     0
    .args:
      - .address_space:  global
        .offset:         0
        .size:           8
        .value_kind:     global_buffer
      - .address_space:  global
        .offset:         8
        .size:           8
        .value_kind:     global_buffer
      - .address_space:  global
        .offset:         16
        .size:           8
        .value_kind:     global_buffer
      - .offset:         24
        .size:           4
        .value_kind:     by_value
      - .address_space:  global
        .offset:         32
        .size:           8
        .value_kind:     global_buffer
      - .address_space:  global
        .offset:         40
        .size:           8
        .value_kind:     global_buffer
      - .offset:         48
        .size:           4
        .value_kind:     by_value
      - .offset:         52
        .size:           4
        .value_kind:     by_value
      - .offset:         56
        .size:           4
        .value_kind:     by_value
      - .offset:         60
        .size:           1
        .value_kind:     by_value
      - .offset:         64
        .size:           8
        .value_kind:     by_value
      - .address_space:  global
        .offset:         72
        .size:           8
        .value_kind:     global_buffer
      - .address_space:  global
        .offset:         80
        .size:           8
        .value_kind:     global_buffer
      - .address_space:  global
        .offset:         88
        .size:           8
        .value_kind:     global_buffer
    .group_segment_fixed_size: 8192
    .kernarg_segment_align: 8
    .kernarg_segment_size: 96
    .language:       OpenCL C
    .language_version:
      - 2
      - 0
    .max_flat_workgroup_size: 256
    .name:           _ZN4vllm3moe22topkGatingSoftplusSqrtILi8ELi512ELi4ELi16ELi64ELb0ElfEEvPKT6_PKbPfiPT5_PiiiibdPKfPKS8_SE_
    .private_segment_fixed_size: 0
    .sgpr_count:     38
    .sgpr_spill_count: 0
    .symbol:         _ZN4vllm3moe22topkGatingSoftplusSqrtILi8ELi512ELi4ELi16ELi64ELb0ElfEEvPKT6_PKbPfiPT5_PiiiibdPKfPKS8_SE_.kd
    .uniform_work_group_size: 1
    .uses_dynamic_stack: false
    .vgpr_count:     30
    .vgpr_spill_count: 0
    .wavefront_size: 64
  - .agpr_count:     0
    .args:
      - .address_space:  global
        .offset:         0
        .size:           8
        .value_kind:     global_buffer
      - .address_space:  global
        .offset:         8
        .size:           8
        .value_kind:     global_buffer
      - .address_space:  global
        .offset:         16
        .size:           8
        .value_kind:     global_buffer
      - .offset:         24
        .size:           4
        .value_kind:     by_value
      - .address_space:  global
        .offset:         32
        .size:           8
        .value_kind:     global_buffer
      - .address_space:  global
        .offset:         40
        .size:           8
        .value_kind:     global_buffer
      - .offset:         48
        .size:           4
        .value_kind:     by_value
      - .offset:         52
        .size:           4
        .value_kind:     by_value
      - .offset:         56
        .size:           4
        .value_kind:     by_value
      - .offset:         60
        .size:           1
        .value_kind:     by_value
      - .offset:         64
        .size:           8
        .value_kind:     by_value
      - .address_space:  global
        .offset:         72
        .size:           8
        .value_kind:     global_buffer
      - .address_space:  global
        .offset:         80
        .size:           8
        .value_kind:     global_buffer
      - .address_space:  global
        .offset:         88
        .size:           8
        .value_kind:     global_buffer
    .group_segment_fixed_size: 0
    .kernarg_segment_align: 8
    .kernarg_segment_size: 96
    .language:       OpenCL C
    .language_version:
      - 2
      - 0
    .max_flat_workgroup_size: 128
    .name:           _ZN4vllm3moe22topkGatingSoftplusSqrtILi16ELi512ELi4ELi16ELi32ELb1ElfEEvPKT6_PKbPfiPT5_PiiiibdPKfPKS8_SE_
    .private_segment_fixed_size: 80
    .sgpr_count:     72
    .sgpr_spill_count: 0
    .symbol:         _ZN4vllm3moe22topkGatingSoftplusSqrtILi16ELi512ELi4ELi16ELi32ELb1ElfEEvPKT6_PKbPfiPT5_PiiiibdPKfPKS8_SE_.kd
    .uniform_work_group_size: 1
    .uses_dynamic_stack: false
    .vgpr_count:     40
    .vgpr_spill_count: 0
    .wavefront_size: 64
  - .agpr_count:     0
    .args:
      - .address_space:  global
        .offset:         0
        .size:           8
        .value_kind:     global_buffer
      - .address_space:  global
        .offset:         8
        .size:           8
        .value_kind:     global_buffer
      - .address_space:  global
        .offset:         16
        .size:           8
        .value_kind:     global_buffer
      - .offset:         24
        .size:           4
        .value_kind:     by_value
      - .address_space:  global
        .offset:         32
        .size:           8
        .value_kind:     global_buffer
      - .address_space:  global
        .offset:         40
        .size:           8
        .value_kind:     global_buffer
      - .offset:         48
        .size:           4
        .value_kind:     by_value
      - .offset:         52
        .size:           4
        .value_kind:     by_value
      - .offset:         56
        .size:           4
        .value_kind:     by_value
      - .offset:         60
        .size:           1
        .value_kind:     by_value
      - .offset:         64
        .size:           8
        .value_kind:     by_value
      - .address_space:  global
        .offset:         72
        .size:           8
        .value_kind:     global_buffer
      - .address_space:  global
        .offset:         80
        .size:           8
        .value_kind:     global_buffer
      - .address_space:  global
        .offset:         88
        .size:           8
        .value_kind:     global_buffer
    .group_segment_fixed_size: 0
    .kernarg_segment_align: 8
    .kernarg_segment_size: 96
    .language:       OpenCL C
    .language_version:
      - 2
      - 0
    .max_flat_workgroup_size: 128
    .name:           _ZN4vllm3moe22topkGatingSoftplusSqrtILi16ELi512ELi4ELi16ELi32ELb0ElfEEvPKT6_PKbPfiPT5_PiiiibdPKfPKS8_SE_
    .private_segment_fixed_size: 80
    .sgpr_count:     38
    .sgpr_spill_count: 0
    .symbol:         _ZN4vllm3moe22topkGatingSoftplusSqrtILi16ELi512ELi4ELi16ELi32ELb0ElfEEvPKT6_PKbPfiPT5_PiiiibdPKfPKS8_SE_.kd
    .uniform_work_group_size: 1
    .uses_dynamic_stack: false
    .vgpr_count:     44
    .vgpr_spill_count: 0
    .wavefront_size: 64
  - .agpr_count:     0
    .args:
      - .address_space:  global
        .offset:         0
        .size:           8
        .value_kind:     global_buffer
      - .address_space:  global
        .offset:         8
        .size:           8
        .value_kind:     global_buffer
      - .address_space:  global
        .offset:         16
        .size:           8
        .value_kind:     global_buffer
      - .offset:         24
        .size:           4
        .value_kind:     by_value
      - .address_space:  global
        .offset:         32
        .size:           8
        .value_kind:     global_buffer
      - .address_space:  global
        .offset:         40
        .size:           8
        .value_kind:     global_buffer
      - .offset:         48
        .size:           4
        .value_kind:     by_value
      - .offset:         52
        .size:           4
        .value_kind:     by_value
      - .offset:         56
        .size:           4
        .value_kind:     by_value
      - .offset:         60
        .size:           1
        .value_kind:     by_value
      - .offset:         64
        .size:           8
        .value_kind:     by_value
      - .address_space:  global
        .offset:         72
        .size:           8
        .value_kind:     global_buffer
      - .address_space:  global
        .offset:         80
        .size:           8
        .value_kind:     global_buffer
      - .address_space:  global
        .offset:         88
        .size:           8
        .value_kind:     global_buffer
    .group_segment_fixed_size: 0
    .kernarg_segment_align: 8
    .kernarg_segment_size: 96
    .language:       OpenCL C
    .language_version:
      - 2
      - 0
    .max_flat_workgroup_size: 256
    .name:           _ZN4vllm3moe22topkGatingSoftplusSqrtILi3ELi192ELi4ELi4ELi64ELb1ElfEEvPKT6_PKbPfiPT5_PiiiibdPKfPKS8_SE_
    .private_segment_fixed_size: 0
    .sgpr_count:     28
    .sgpr_spill_count: 0
    .symbol:         _ZN4vllm3moe22topkGatingSoftplusSqrtILi3ELi192ELi4ELi4ELi64ELb1ElfEEvPKT6_PKbPfiPT5_PiiiibdPKfPKS8_SE_.kd
    .uniform_work_group_size: 1
    .uses_dynamic_stack: false
    .vgpr_count:     20
    .vgpr_spill_count: 0
    .wavefront_size: 64
  - .agpr_count:     0
    .args:
      - .address_space:  global
        .offset:         0
        .size:           8
        .value_kind:     global_buffer
      - .address_space:  global
        .offset:         8
        .size:           8
        .value_kind:     global_buffer
      - .address_space:  global
        .offset:         16
        .size:           8
        .value_kind:     global_buffer
      - .offset:         24
        .size:           4
        .value_kind:     by_value
      - .address_space:  global
        .offset:         32
        .size:           8
        .value_kind:     global_buffer
      - .address_space:  global
        .offset:         40
        .size:           8
        .value_kind:     global_buffer
      - .offset:         48
        .size:           4
        .value_kind:     by_value
      - .offset:         52
        .size:           4
        .value_kind:     by_value
      - .offset:         56
        .size:           4
        .value_kind:     by_value
      - .offset:         60
        .size:           1
        .value_kind:     by_value
      - .offset:         64
        .size:           8
        .value_kind:     by_value
      - .address_space:  global
        .offset:         72
        .size:           8
        .value_kind:     global_buffer
      - .address_space:  global
        .offset:         80
        .size:           8
        .value_kind:     global_buffer
      - .address_space:  global
        .offset:         88
        .size:           8
        .value_kind:     global_buffer
    .group_segment_fixed_size: 0
    .kernarg_segment_align: 8
    .kernarg_segment_size: 96
    .language:       OpenCL C
    .language_version:
      - 2
      - 0
    .max_flat_workgroup_size: 256
    .name:           _ZN4vllm3moe22topkGatingSoftplusSqrtILi3ELi192ELi4ELi4ELi64ELb0ElfEEvPKT6_PKbPfiPT5_PiiiibdPKfPKS8_SE_
    .private_segment_fixed_size: 0
    .sgpr_count:     37
    .sgpr_spill_count: 0
    .symbol:         _ZN4vllm3moe22topkGatingSoftplusSqrtILi3ELi192ELi4ELi4ELi64ELb0ElfEEvPKT6_PKbPfiPT5_PiiiibdPKfPKS8_SE_.kd
    .uniform_work_group_size: 1
    .uses_dynamic_stack: false
    .vgpr_count:     28
    .vgpr_spill_count: 0
    .wavefront_size: 64
  - .agpr_count:     0
    .args:
      - .address_space:  global
        .offset:         0
        .size:           8
        .value_kind:     global_buffer
      - .address_space:  global
        .offset:         8
        .size:           8
        .value_kind:     global_buffer
      - .address_space:  global
        .offset:         16
        .size:           8
        .value_kind:     global_buffer
      - .offset:         24
        .size:           4
        .value_kind:     by_value
      - .address_space:  global
        .offset:         32
        .size:           8
        .value_kind:     global_buffer
      - .address_space:  global
        .offset:         40
        .size:           8
        .value_kind:     global_buffer
      - .offset:         48
        .size:           4
        .value_kind:     by_value
      - .offset:         52
        .size:           4
        .value_kind:     by_value
      - .offset:         56
        .size:           4
        .value_kind:     by_value
      - .offset:         60
        .size:           1
        .value_kind:     by_value
      - .offset:         64
        .size:           8
        .value_kind:     by_value
      - .address_space:  global
        .offset:         72
        .size:           8
        .value_kind:     global_buffer
      - .address_space:  global
        .offset:         80
        .size:           8
        .value_kind:     global_buffer
      - .address_space:  global
        .offset:         88
        .size:           8
        .value_kind:     global_buffer
    .group_segment_fixed_size: 0
    .kernarg_segment_align: 8
    .kernarg_segment_size: 96
    .language:       OpenCL C
    .language_version:
      - 2
      - 0
    .max_flat_workgroup_size: 128
    .name:           _ZN4vllm3moe22topkGatingSoftplusSqrtILi6ELi192ELi4ELi4ELi32ELb1ElfEEvPKT6_PKbPfiPT5_PiiiibdPKfPKS8_SE_
    .private_segment_fixed_size: 0
    .sgpr_count:     32
    .sgpr_spill_count: 0
    .symbol:         _ZN4vllm3moe22topkGatingSoftplusSqrtILi6ELi192ELi4ELi4ELi32ELb1ElfEEvPKT6_PKbPfiPT5_PiiiibdPKfPKS8_SE_.kd
    .uniform_work_group_size: 1
    .uses_dynamic_stack: false
    .vgpr_count:     28
    .vgpr_spill_count: 0
    .wavefront_size: 64
  - .agpr_count:     0
    .args:
      - .address_space:  global
        .offset:         0
        .size:           8
        .value_kind:     global_buffer
      - .address_space:  global
        .offset:         8
        .size:           8
        .value_kind:     global_buffer
      - .address_space:  global
        .offset:         16
        .size:           8
        .value_kind:     global_buffer
      - .offset:         24
        .size:           4
        .value_kind:     by_value
      - .address_space:  global
        .offset:         32
        .size:           8
        .value_kind:     global_buffer
      - .address_space:  global
        .offset:         40
        .size:           8
        .value_kind:     global_buffer
      - .offset:         48
        .size:           4
        .value_kind:     by_value
      - .offset:         52
        .size:           4
        .value_kind:     by_value
      - .offset:         56
        .size:           4
        .value_kind:     by_value
      - .offset:         60
        .size:           1
        .value_kind:     by_value
      - .offset:         64
        .size:           8
        .value_kind:     by_value
      - .address_space:  global
        .offset:         72
        .size:           8
        .value_kind:     global_buffer
      - .address_space:  global
        .offset:         80
        .size:           8
        .value_kind:     global_buffer
      - .address_space:  global
        .offset:         88
        .size:           8
        .value_kind:     global_buffer
    .group_segment_fixed_size: 0
    .kernarg_segment_align: 8
    .kernarg_segment_size: 96
    .language:       OpenCL C
    .language_version:
      - 2
      - 0
    .max_flat_workgroup_size: 128
    .name:           _ZN4vllm3moe22topkGatingSoftplusSqrtILi6ELi192ELi4ELi4ELi32ELb0ElfEEvPKT6_PKbPfiPT5_PiiiibdPKfPKS8_SE_
    .private_segment_fixed_size: 0
    .sgpr_count:     38
    .sgpr_spill_count: 0
    .symbol:         _ZN4vllm3moe22topkGatingSoftplusSqrtILi6ELi192ELi4ELi4ELi32ELb0ElfEEvPKT6_PKbPfiPT5_PiiiibdPKfPKS8_SE_.kd
    .uniform_work_group_size: 1
    .uses_dynamic_stack: false
    .vgpr_count:     32
    .vgpr_spill_count: 0
    .wavefront_size: 64
  - .agpr_count:     0
    .args:
      - .address_space:  global
        .offset:         0
        .size:           8
        .value_kind:     global_buffer
      - .address_space:  global
        .offset:         8
        .size:           8
        .value_kind:     global_buffer
      - .address_space:  global
        .offset:         16
        .size:           8
        .value_kind:     global_buffer
      - .offset:         24
        .size:           4
        .value_kind:     by_value
      - .address_space:  global
        .offset:         32
        .size:           8
        .value_kind:     global_buffer
      - .address_space:  global
        .offset:         40
        .size:           8
        .value_kind:     global_buffer
      - .offset:         48
        .size:           4
        .value_kind:     by_value
      - .offset:         52
        .size:           4
        .value_kind:     by_value
      - .offset:         56
        .size:           4
        .value_kind:     by_value
      - .offset:         60
        .size:           1
        .value_kind:     by_value
      - .offset:         64
        .size:           8
        .value_kind:     by_value
      - .address_space:  global
        .offset:         72
        .size:           8
        .value_kind:     global_buffer
      - .address_space:  global
        .offset:         80
        .size:           8
        .value_kind:     global_buffer
      - .address_space:  global
        .offset:         88
        .size:           8
        .value_kind:     global_buffer
    .group_segment_fixed_size: 0
    .kernarg_segment_align: 8
    .kernarg_segment_size: 96
    .language:       OpenCL C
    .language_version:
      - 2
      - 0
    .max_flat_workgroup_size: 256
    .name:           _ZN4vllm3moe22topkGatingSoftplusSqrtILi5ELi320ELi4ELi4ELi64ELb1ElfEEvPKT6_PKbPfiPT5_PiiiibdPKfPKS8_SE_
    .private_segment_fixed_size: 0
    .sgpr_count:     30
    .sgpr_spill_count: 0
    .symbol:         _ZN4vllm3moe22topkGatingSoftplusSqrtILi5ELi320ELi4ELi4ELi64ELb1ElfEEvPKT6_PKbPfiPT5_PiiiibdPKfPKS8_SE_.kd
    .uniform_work_group_size: 1
    .uses_dynamic_stack: false
    .vgpr_count:     26
    .vgpr_spill_count: 0
    .wavefront_size: 64
  - .agpr_count:     0
    .args:
      - .address_space:  global
        .offset:         0
        .size:           8
        .value_kind:     global_buffer
      - .address_space:  global
        .offset:         8
        .size:           8
        .value_kind:     global_buffer
      - .address_space:  global
        .offset:         16
        .size:           8
        .value_kind:     global_buffer
      - .offset:         24
        .size:           4
        .value_kind:     by_value
      - .address_space:  global
        .offset:         32
        .size:           8
        .value_kind:     global_buffer
      - .address_space:  global
        .offset:         40
        .size:           8
        .value_kind:     global_buffer
      - .offset:         48
        .size:           4
        .value_kind:     by_value
      - .offset:         52
        .size:           4
        .value_kind:     by_value
      - .offset:         56
        .size:           4
        .value_kind:     by_value
      - .offset:         60
        .size:           1
        .value_kind:     by_value
      - .offset:         64
        .size:           8
        .value_kind:     by_value
      - .address_space:  global
        .offset:         72
        .size:           8
        .value_kind:     global_buffer
      - .address_space:  global
        .offset:         80
        .size:           8
        .value_kind:     global_buffer
      - .address_space:  global
        .offset:         88
        .size:           8
        .value_kind:     global_buffer
    .group_segment_fixed_size: 0
    .kernarg_segment_align: 8
    .kernarg_segment_size: 96
    .language:       OpenCL C
    .language_version:
      - 2
      - 0
    .max_flat_workgroup_size: 256
    .name:           _ZN4vllm3moe22topkGatingSoftplusSqrtILi5ELi320ELi4ELi4ELi64ELb0ElfEEvPKT6_PKbPfiPT5_PiiiibdPKfPKS8_SE_
    .private_segment_fixed_size: 0
    .sgpr_count:     37
    .sgpr_spill_count: 0
    .symbol:         _ZN4vllm3moe22topkGatingSoftplusSqrtILi5ELi320ELi4ELi4ELi64ELb0ElfEEvPKT6_PKbPfiPT5_PiiiibdPKfPKS8_SE_.kd
    .uniform_work_group_size: 1
    .uses_dynamic_stack: false
    .vgpr_count:     32
    .vgpr_spill_count: 0
    .wavefront_size: 64
  - .agpr_count:     0
    .args:
      - .address_space:  global
        .offset:         0
        .size:           8
        .value_kind:     global_buffer
      - .address_space:  global
        .offset:         8
        .size:           8
        .value_kind:     global_buffer
      - .address_space:  global
        .offset:         16
        .size:           8
        .value_kind:     global_buffer
      - .offset:         24
        .size:           4
        .value_kind:     by_value
      - .address_space:  global
        .offset:         32
        .size:           8
        .value_kind:     global_buffer
      - .address_space:  global
        .offset:         40
        .size:           8
        .value_kind:     global_buffer
      - .offset:         48
        .size:           4
        .value_kind:     by_value
      - .offset:         52
        .size:           4
        .value_kind:     by_value
      - .offset:         56
        .size:           4
        .value_kind:     by_value
      - .offset:         60
        .size:           1
        .value_kind:     by_value
      - .offset:         64
        .size:           8
        .value_kind:     by_value
      - .address_space:  global
        .offset:         72
        .size:           8
        .value_kind:     global_buffer
      - .address_space:  global
        .offset:         80
        .size:           8
        .value_kind:     global_buffer
      - .address_space:  global
        .offset:         88
        .size:           8
        .value_kind:     global_buffer
    .group_segment_fixed_size: 0
    .kernarg_segment_align: 8
    .kernarg_segment_size: 96
    .language:       OpenCL C
    .language_version:
      - 2
      - 0
    .max_flat_workgroup_size: 128
    .name:           _ZN4vllm3moe22topkGatingSoftplusSqrtILi10ELi320ELi4ELi4ELi32ELb1ElfEEvPKT6_PKbPfiPT5_PiiiibdPKfPKS8_SE_
    .private_segment_fixed_size: 0
    .sgpr_count:     50
    .sgpr_spill_count: 0
    .symbol:         _ZN4vllm3moe22topkGatingSoftplusSqrtILi10ELi320ELi4ELi4ELi32ELb1ElfEEvPKT6_PKbPfiPT5_PiiiibdPKfPKS8_SE_.kd
    .uniform_work_group_size: 1
    .uses_dynamic_stack: false
    .vgpr_count:     34
    .vgpr_spill_count: 0
    .wavefront_size: 64
  - .agpr_count:     0
    .args:
      - .address_space:  global
        .offset:         0
        .size:           8
        .value_kind:     global_buffer
      - .address_space:  global
        .offset:         8
        .size:           8
        .value_kind:     global_buffer
      - .address_space:  global
        .offset:         16
        .size:           8
        .value_kind:     global_buffer
      - .offset:         24
        .size:           4
        .value_kind:     by_value
      - .address_space:  global
        .offset:         32
        .size:           8
        .value_kind:     global_buffer
      - .address_space:  global
        .offset:         40
        .size:           8
        .value_kind:     global_buffer
      - .offset:         48
        .size:           4
        .value_kind:     by_value
      - .offset:         52
        .size:           4
        .value_kind:     by_value
      - .offset:         56
        .size:           4
        .value_kind:     by_value
      - .offset:         60
        .size:           1
        .value_kind:     by_value
      - .offset:         64
        .size:           8
        .value_kind:     by_value
      - .address_space:  global
        .offset:         72
        .size:           8
        .value_kind:     global_buffer
      - .address_space:  global
        .offset:         80
        .size:           8
        .value_kind:     global_buffer
      - .address_space:  global
        .offset:         88
        .size:           8
        .value_kind:     global_buffer
    .group_segment_fixed_size: 0
    .kernarg_segment_align: 8
    .kernarg_segment_size: 96
    .language:       OpenCL C
    .language_version:
      - 2
      - 0
    .max_flat_workgroup_size: 128
    .name:           _ZN4vllm3moe22topkGatingSoftplusSqrtILi10ELi320ELi4ELi4ELi32ELb0ElfEEvPKT6_PKbPfiPT5_PiiiibdPKfPKS8_SE_
    .private_segment_fixed_size: 0
    .sgpr_count:     38
    .sgpr_spill_count: 0
    .symbol:         _ZN4vllm3moe22topkGatingSoftplusSqrtILi10ELi320ELi4ELi4ELi32ELb0ElfEEvPKT6_PKbPfiPT5_PiiiibdPKfPKS8_SE_.kd
    .uniform_work_group_size: 1
    .uses_dynamic_stack: false
    .vgpr_count:     40
    .vgpr_spill_count: 0
    .wavefront_size: 64
  - .agpr_count:     0
    .args:
      - .address_space:  global
        .offset:         0
        .size:           8
        .value_kind:     global_buffer
      - .address_space:  global
        .offset:         8
        .size:           8
        .value_kind:     global_buffer
      - .address_space:  global
        .offset:         16
        .size:           8
        .value_kind:     global_buffer
      - .offset:         24
        .size:           4
        .value_kind:     by_value
      - .address_space:  global
        .offset:         32
        .size:           8
        .value_kind:     global_buffer
      - .address_space:  global
        .offset:         40
        .size:           8
        .value_kind:     global_buffer
      - .offset:         48
        .size:           4
        .value_kind:     by_value
      - .offset:         52
        .size:           4
        .value_kind:     by_value
      - .offset:         56
        .size:           4
        .value_kind:     by_value
      - .offset:         60
        .size:           1
        .value_kind:     by_value
      - .offset:         64
        .size:           8
        .value_kind:     by_value
      - .address_space:  global
        .offset:         72
        .size:           8
        .value_kind:     global_buffer
      - .address_space:  global
        .offset:         80
        .size:           8
        .value_kind:     global_buffer
      - .address_space:  global
        .offset:         88
        .size:           8
        .value_kind:     global_buffer
    .group_segment_fixed_size: 0
    .kernarg_segment_align: 8
    .kernarg_segment_size: 96
    .language:       OpenCL C
    .language_version:
      - 2
      - 0
    .max_flat_workgroup_size: 256
    .name:           _ZN4vllm3moe22topkGatingSoftplusSqrtILi6ELi384ELi4ELi8ELi64ELb1ElfEEvPKT6_PKbPfiPT5_PiiiibdPKfPKS8_SE_
    .private_segment_fixed_size: 32
    .sgpr_count:     32
    .sgpr_spill_count: 0
    .symbol:         _ZN4vllm3moe22topkGatingSoftplusSqrtILi6ELi384ELi4ELi8ELi64ELb1ElfEEvPKT6_PKbPfiPT5_PiiiibdPKfPKS8_SE_.kd
    .uniform_work_group_size: 1
    .uses_dynamic_stack: false
    .vgpr_count:     27
    .vgpr_spill_count: 0
    .wavefront_size: 64
  - .agpr_count:     0
    .args:
      - .address_space:  global
        .offset:         0
        .size:           8
        .value_kind:     global_buffer
      - .address_space:  global
        .offset:         8
        .size:           8
        .value_kind:     global_buffer
      - .address_space:  global
        .offset:         16
        .size:           8
        .value_kind:     global_buffer
      - .offset:         24
        .size:           4
        .value_kind:     by_value
      - .address_space:  global
        .offset:         32
        .size:           8
        .value_kind:     global_buffer
      - .address_space:  global
        .offset:         40
        .size:           8
        .value_kind:     global_buffer
      - .offset:         48
        .size:           4
        .value_kind:     by_value
      - .offset:         52
        .size:           4
        .value_kind:     by_value
      - .offset:         56
        .size:           4
        .value_kind:     by_value
      - .offset:         60
        .size:           1
        .value_kind:     by_value
      - .offset:         64
        .size:           8
        .value_kind:     by_value
      - .address_space:  global
        .offset:         72
        .size:           8
        .value_kind:     global_buffer
      - .address_space:  global
        .offset:         80
        .size:           8
        .value_kind:     global_buffer
      - .address_space:  global
        .offset:         88
        .size:           8
        .value_kind:     global_buffer
    .group_segment_fixed_size: 0
    .kernarg_segment_align: 8
    .kernarg_segment_size: 96
    .language:       OpenCL C
    .language_version:
      - 2
      - 0
    .max_flat_workgroup_size: 256
    .name:           _ZN4vllm3moe22topkGatingSoftplusSqrtILi6ELi384ELi4ELi8ELi64ELb0ElfEEvPKT6_PKbPfiPT5_PiiiibdPKfPKS8_SE_
    .private_segment_fixed_size: 0
    .sgpr_count:     38
    .sgpr_spill_count: 0
    .symbol:         _ZN4vllm3moe22topkGatingSoftplusSqrtILi6ELi384ELi4ELi8ELi64ELb0ElfEEvPKT6_PKbPfiPT5_PiiiibdPKfPKS8_SE_.kd
    .uniform_work_group_size: 1
    .uses_dynamic_stack: false
    .vgpr_count:     34
    .vgpr_spill_count: 0
    .wavefront_size: 64
  - .agpr_count:     0
    .args:
      - .address_space:  global
        .offset:         0
        .size:           8
        .value_kind:     global_buffer
      - .address_space:  global
        .offset:         8
        .size:           8
        .value_kind:     global_buffer
      - .address_space:  global
        .offset:         16
        .size:           8
        .value_kind:     global_buffer
      - .offset:         24
        .size:           4
        .value_kind:     by_value
      - .address_space:  global
        .offset:         32
        .size:           8
        .value_kind:     global_buffer
      - .address_space:  global
        .offset:         40
        .size:           8
        .value_kind:     global_buffer
      - .offset:         48
        .size:           4
        .value_kind:     by_value
      - .offset:         52
        .size:           4
        .value_kind:     by_value
      - .offset:         56
        .size:           4
        .value_kind:     by_value
      - .offset:         60
        .size:           1
        .value_kind:     by_value
      - .offset:         64
        .size:           8
        .value_kind:     by_value
      - .address_space:  global
        .offset:         72
        .size:           8
        .value_kind:     global_buffer
      - .address_space:  global
        .offset:         80
        .size:           8
        .value_kind:     global_buffer
      - .address_space:  global
        .offset:         88
        .size:           8
        .value_kind:     global_buffer
    .group_segment_fixed_size: 0
    .kernarg_segment_align: 8
    .kernarg_segment_size: 96
    .language:       OpenCL C
    .language_version:
      - 2
      - 0
    .max_flat_workgroup_size: 128
    .name:           _ZN4vllm3moe22topkGatingSoftplusSqrtILi12ELi384ELi4ELi8ELi32ELb1ElfEEvPKT6_PKbPfiPT5_PiiiibdPKfPKS8_SE_
    .private_segment_fixed_size: 64
    .sgpr_count:     56
    .sgpr_spill_count: 0
    .symbol:         _ZN4vllm3moe22topkGatingSoftplusSqrtILi12ELi384ELi4ELi8ELi32ELb1ElfEEvPKT6_PKbPfiPT5_PiiiibdPKfPKS8_SE_.kd
    .uniform_work_group_size: 1
    .uses_dynamic_stack: false
    .vgpr_count:     33
    .vgpr_spill_count: 0
    .wavefront_size: 64
  - .agpr_count:     0
    .args:
      - .address_space:  global
        .offset:         0
        .size:           8
        .value_kind:     global_buffer
      - .address_space:  global
        .offset:         8
        .size:           8
        .value_kind:     global_buffer
      - .address_space:  global
        .offset:         16
        .size:           8
        .value_kind:     global_buffer
      - .offset:         24
        .size:           4
        .value_kind:     by_value
      - .address_space:  global
        .offset:         32
        .size:           8
        .value_kind:     global_buffer
      - .address_space:  global
        .offset:         40
        .size:           8
        .value_kind:     global_buffer
      - .offset:         48
        .size:           4
        .value_kind:     by_value
      - .offset:         52
        .size:           4
        .value_kind:     by_value
      - .offset:         56
        .size:           4
        .value_kind:     by_value
      - .offset:         60
        .size:           1
        .value_kind:     by_value
      - .offset:         64
        .size:           8
        .value_kind:     by_value
      - .address_space:  global
        .offset:         72
        .size:           8
        .value_kind:     global_buffer
      - .address_space:  global
        .offset:         80
        .size:           8
        .value_kind:     global_buffer
      - .address_space:  global
        .offset:         88
        .size:           8
        .value_kind:     global_buffer
    .group_segment_fixed_size: 0
    .kernarg_segment_align: 8
    .kernarg_segment_size: 96
    .language:       OpenCL C
    .language_version:
      - 2
      - 0
    .max_flat_workgroup_size: 128
    .name:           _ZN4vllm3moe22topkGatingSoftplusSqrtILi12ELi384ELi4ELi8ELi32ELb0ElfEEvPKT6_PKbPfiPT5_PiiiibdPKfPKS8_SE_
    .private_segment_fixed_size: 0
    .sgpr_count:     57
    .sgpr_spill_count: 0
    .symbol:         _ZN4vllm3moe22topkGatingSoftplusSqrtILi12ELi384ELi4ELi8ELi32ELb0ElfEEvPKT6_PKbPfiPT5_PiiiibdPKfPKS8_SE_.kd
    .uniform_work_group_size: 1
    .uses_dynamic_stack: false
    .vgpr_count:     44
    .vgpr_spill_count: 0
    .wavefront_size: 64
  - .agpr_count:     0
    .args:
      - .address_space:  global
        .offset:         0
        .size:           8
        .value_kind:     global_buffer
      - .address_space:  global
        .offset:         8
        .size:           8
        .value_kind:     global_buffer
      - .address_space:  global
        .offset:         16
        .size:           8
        .value_kind:     global_buffer
      - .offset:         24
        .size:           4
        .value_kind:     by_value
      - .address_space:  global
        .offset:         32
        .size:           8
        .value_kind:     global_buffer
      - .address_space:  global
        .offset:         40
        .size:           8
        .value_kind:     global_buffer
      - .offset:         48
        .size:           4
        .value_kind:     by_value
      - .offset:         52
        .size:           4
        .value_kind:     by_value
      - .offset:         56
        .size:           4
        .value_kind:     by_value
      - .offset:         60
        .size:           1
        .value_kind:     by_value
      - .offset:         64
        .size:           8
        .value_kind:     by_value
      - .address_space:  global
        .offset:         72
        .size:           8
        .value_kind:     global_buffer
      - .address_space:  global
        .offset:         80
        .size:           8
        .value_kind:     global_buffer
      - .address_space:  global
        .offset:         88
        .size:           8
        .value_kind:     global_buffer
    .group_segment_fixed_size: 0
    .kernarg_segment_align: 8
    .kernarg_segment_size: 96
    .language:       OpenCL C
    .language_version:
      - 2
      - 0
    .max_flat_workgroup_size: 256
    .name:           _ZN4vllm3moe22topkGatingSoftplusSqrtILi7ELi448ELi4ELi4ELi64ELb1ElfEEvPKT6_PKbPfiPT5_PiiiibdPKfPKS8_SE_
    .private_segment_fixed_size: 0
    .sgpr_count:     36
    .sgpr_spill_count: 0
    .symbol:         _ZN4vllm3moe22topkGatingSoftplusSqrtILi7ELi448ELi4ELi4ELi64ELb1ElfEEvPKT6_PKbPfiPT5_PiiiibdPKfPKS8_SE_.kd
    .uniform_work_group_size: 1
    .uses_dynamic_stack: false
    .vgpr_count:     28
    .vgpr_spill_count: 0
    .wavefront_size: 64
  - .agpr_count:     0
    .args:
      - .address_space:  global
        .offset:         0
        .size:           8
        .value_kind:     global_buffer
      - .address_space:  global
        .offset:         8
        .size:           8
        .value_kind:     global_buffer
      - .address_space:  global
        .offset:         16
        .size:           8
        .value_kind:     global_buffer
      - .offset:         24
        .size:           4
        .value_kind:     by_value
      - .address_space:  global
        .offset:         32
        .size:           8
        .value_kind:     global_buffer
      - .address_space:  global
        .offset:         40
        .size:           8
        .value_kind:     global_buffer
      - .offset:         48
        .size:           4
        .value_kind:     by_value
      - .offset:         52
        .size:           4
        .value_kind:     by_value
      - .offset:         56
        .size:           4
        .value_kind:     by_value
      - .offset:         60
        .size:           1
        .value_kind:     by_value
      - .offset:         64
        .size:           8
        .value_kind:     by_value
      - .address_space:  global
        .offset:         72
        .size:           8
        .value_kind:     global_buffer
      - .address_space:  global
        .offset:         80
        .size:           8
        .value_kind:     global_buffer
      - .address_space:  global
        .offset:         88
        .size:           8
        .value_kind:     global_buffer
    .group_segment_fixed_size: 0
    .kernarg_segment_align: 8
    .kernarg_segment_size: 96
    .language:       OpenCL C
    .language_version:
      - 2
      - 0
    .max_flat_workgroup_size: 256
    .name:           _ZN4vllm3moe22topkGatingSoftplusSqrtILi7ELi448ELi4ELi4ELi64ELb0ElfEEvPKT6_PKbPfiPT5_PiiiibdPKfPKS8_SE_
    .private_segment_fixed_size: 0
    .sgpr_count:     37
    .sgpr_spill_count: 0
    .symbol:         _ZN4vllm3moe22topkGatingSoftplusSqrtILi7ELi448ELi4ELi4ELi64ELb0ElfEEvPKT6_PKbPfiPT5_PiiiibdPKfPKS8_SE_.kd
    .uniform_work_group_size: 1
    .uses_dynamic_stack: false
    .vgpr_count:     36
    .vgpr_spill_count: 0
    .wavefront_size: 64
  - .agpr_count:     0
    .args:
      - .address_space:  global
        .offset:         0
        .size:           8
        .value_kind:     global_buffer
      - .address_space:  global
        .offset:         8
        .size:           8
        .value_kind:     global_buffer
      - .address_space:  global
        .offset:         16
        .size:           8
        .value_kind:     global_buffer
      - .offset:         24
        .size:           4
        .value_kind:     by_value
      - .address_space:  global
        .offset:         32
        .size:           8
        .value_kind:     global_buffer
      - .address_space:  global
        .offset:         40
        .size:           8
        .value_kind:     global_buffer
      - .offset:         48
        .size:           4
        .value_kind:     by_value
      - .offset:         52
        .size:           4
        .value_kind:     by_value
      - .offset:         56
        .size:           4
        .value_kind:     by_value
      - .offset:         60
        .size:           1
        .value_kind:     by_value
      - .offset:         64
        .size:           8
        .value_kind:     by_value
      - .address_space:  global
        .offset:         72
        .size:           8
        .value_kind:     global_buffer
      - .address_space:  global
        .offset:         80
        .size:           8
        .value_kind:     global_buffer
      - .address_space:  global
        .offset:         88
        .size:           8
        .value_kind:     global_buffer
    .group_segment_fixed_size: 0
    .kernarg_segment_align: 8
    .kernarg_segment_size: 96
    .language:       OpenCL C
    .language_version:
      - 2
      - 0
    .max_flat_workgroup_size: 128
    .name:           _ZN4vllm3moe22topkGatingSoftplusSqrtILi14ELi448ELi4ELi4ELi32ELb1ElfEEvPKT6_PKbPfiPT5_PiiiibdPKfPKS8_SE_
    .private_segment_fixed_size: 0
    .sgpr_count:     64
    .sgpr_spill_count: 0
    .symbol:         _ZN4vllm3moe22topkGatingSoftplusSqrtILi14ELi448ELi4ELi4ELi32ELb1ElfEEvPKT6_PKbPfiPT5_PiiiibdPKfPKS8_SE_.kd
    .uniform_work_group_size: 1
    .uses_dynamic_stack: false
    .vgpr_count:     36
    .vgpr_spill_count: 0
    .wavefront_size: 64
  - .agpr_count:     0
    .args:
      - .address_space:  global
        .offset:         0
        .size:           8
        .value_kind:     global_buffer
      - .address_space:  global
        .offset:         8
        .size:           8
        .value_kind:     global_buffer
      - .address_space:  global
        .offset:         16
        .size:           8
        .value_kind:     global_buffer
      - .offset:         24
        .size:           4
        .value_kind:     by_value
      - .address_space:  global
        .offset:         32
        .size:           8
        .value_kind:     global_buffer
      - .address_space:  global
        .offset:         40
        .size:           8
        .value_kind:     global_buffer
      - .offset:         48
        .size:           4
        .value_kind:     by_value
      - .offset:         52
        .size:           4
        .value_kind:     by_value
      - .offset:         56
        .size:           4
        .value_kind:     by_value
      - .offset:         60
        .size:           1
        .value_kind:     by_value
      - .offset:         64
        .size:           8
        .value_kind:     by_value
      - .address_space:  global
        .offset:         72
        .size:           8
        .value_kind:     global_buffer
      - .address_space:  global
        .offset:         80
        .size:           8
        .value_kind:     global_buffer
      - .address_space:  global
        .offset:         88
        .size:           8
        .value_kind:     global_buffer
    .group_segment_fixed_size: 0
    .kernarg_segment_align: 8
    .kernarg_segment_size: 96
    .language:       OpenCL C
    .language_version:
      - 2
      - 0
    .max_flat_workgroup_size: 128
    .name:           _ZN4vllm3moe22topkGatingSoftplusSqrtILi14ELi448ELi4ELi4ELi32ELb0ElfEEvPKT6_PKbPfiPT5_PiiiibdPKfPKS8_SE_
    .private_segment_fixed_size: 0
    .sgpr_count:     38
    .sgpr_spill_count: 0
    .symbol:         _ZN4vllm3moe22topkGatingSoftplusSqrtILi14ELi448ELi4ELi4ELi32ELb0ElfEEvPKT6_PKbPfiPT5_PiiiibdPKfPKS8_SE_.kd
    .uniform_work_group_size: 1
    .uses_dynamic_stack: false
    .vgpr_count:     48
    .vgpr_spill_count: 0
    .wavefront_size: 64
  - .agpr_count:     0
    .args:
      - .address_space:  global
        .offset:         0
        .size:           8
        .value_kind:     global_buffer
      - .address_space:  global
        .offset:         8
        .size:           8
        .value_kind:     global_buffer
      - .address_space:  global
        .offset:         16
        .size:           8
        .value_kind:     global_buffer
      - .offset:         24
        .size:           4
        .value_kind:     by_value
      - .address_space:  global
        .offset:         32
        .size:           8
        .value_kind:     global_buffer
      - .address_space:  global
        .offset:         40
        .size:           8
        .value_kind:     global_buffer
      - .offset:         48
        .size:           4
        .value_kind:     by_value
      - .offset:         52
        .size:           4
        .value_kind:     by_value
      - .offset:         56
        .size:           4
        .value_kind:     by_value
      - .offset:         60
        .size:           1
        .value_kind:     by_value
      - .offset:         64
        .size:           8
        .value_kind:     by_value
      - .address_space:  global
        .offset:         72
        .size:           8
        .value_kind:     global_buffer
      - .address_space:  global
        .offset:         80
        .size:           8
        .value_kind:     global_buffer
      - .address_space:  global
        .offset:         88
        .size:           8
        .value_kind:     global_buffer
    .group_segment_fixed_size: 0
    .kernarg_segment_align: 8
    .kernarg_segment_size: 96
    .language:       OpenCL C
    .language_version:
      - 2
      - 0
    .max_flat_workgroup_size: 256
    .name:           _ZN4vllm3moe22topkGatingSoftplusSqrtILi9ELi576ELi4ELi4ELi64ELb1ElfEEvPKT6_PKbPfiPT5_PiiiibdPKfPKS8_SE_
    .private_segment_fixed_size: 0
    .sgpr_count:     46
    .sgpr_spill_count: 0
    .symbol:         _ZN4vllm3moe22topkGatingSoftplusSqrtILi9ELi576ELi4ELi4ELi64ELb1ElfEEvPKT6_PKbPfiPT5_PiiiibdPKfPKS8_SE_.kd
    .uniform_work_group_size: 1
    .uses_dynamic_stack: false
    .vgpr_count:     32
    .vgpr_spill_count: 0
    .wavefront_size: 64
  - .agpr_count:     0
    .args:
      - .address_space:  global
        .offset:         0
        .size:           8
        .value_kind:     global_buffer
      - .address_space:  global
        .offset:         8
        .size:           8
        .value_kind:     global_buffer
      - .address_space:  global
        .offset:         16
        .size:           8
        .value_kind:     global_buffer
      - .offset:         24
        .size:           4
        .value_kind:     by_value
      - .address_space:  global
        .offset:         32
        .size:           8
        .value_kind:     global_buffer
      - .address_space:  global
        .offset:         40
        .size:           8
        .value_kind:     global_buffer
      - .offset:         48
        .size:           4
        .value_kind:     by_value
      - .offset:         52
        .size:           4
        .value_kind:     by_value
      - .offset:         56
        .size:           4
        .value_kind:     by_value
      - .offset:         60
        .size:           1
        .value_kind:     by_value
      - .offset:         64
        .size:           8
        .value_kind:     by_value
      - .address_space:  global
        .offset:         72
        .size:           8
        .value_kind:     global_buffer
      - .address_space:  global
        .offset:         80
        .size:           8
        .value_kind:     global_buffer
      - .address_space:  global
        .offset:         88
        .size:           8
        .value_kind:     global_buffer
    .group_segment_fixed_size: 0
    .kernarg_segment_align: 8
    .kernarg_segment_size: 96
    .language:       OpenCL C
    .language_version:
      - 2
      - 0
    .max_flat_workgroup_size: 256
    .name:           _ZN4vllm3moe22topkGatingSoftplusSqrtILi9ELi576ELi4ELi4ELi64ELb0ElfEEvPKT6_PKbPfiPT5_PiiiibdPKfPKS8_SE_
    .private_segment_fixed_size: 0
    .sgpr_count:     37
    .sgpr_spill_count: 0
    .symbol:         _ZN4vllm3moe22topkGatingSoftplusSqrtILi9ELi576ELi4ELi4ELi64ELb0ElfEEvPKT6_PKbPfiPT5_PiiiibdPKfPKS8_SE_.kd
    .uniform_work_group_size: 1
    .uses_dynamic_stack: false
    .vgpr_count:     40
    .vgpr_spill_count: 0
    .wavefront_size: 64
  - .agpr_count:     0
    .args:
      - .address_space:  global
        .offset:         0
        .size:           8
        .value_kind:     global_buffer
      - .address_space:  global
        .offset:         8
        .size:           8
        .value_kind:     global_buffer
      - .address_space:  global
        .offset:         16
        .size:           8
        .value_kind:     global_buffer
      - .offset:         24
        .size:           4
        .value_kind:     by_value
      - .address_space:  global
        .offset:         32
        .size:           8
        .value_kind:     global_buffer
      - .address_space:  global
        .offset:         40
        .size:           8
        .value_kind:     global_buffer
      - .offset:         48
        .size:           4
        .value_kind:     by_value
      - .offset:         52
        .size:           4
        .value_kind:     by_value
      - .offset:         56
        .size:           4
        .value_kind:     by_value
      - .offset:         60
        .size:           1
        .value_kind:     by_value
      - .offset:         64
        .size:           8
        .value_kind:     by_value
      - .address_space:  global
        .offset:         72
        .size:           8
        .value_kind:     global_buffer
      - .address_space:  global
        .offset:         80
        .size:           8
        .value_kind:     global_buffer
      - .address_space:  global
        .offset:         88
        .size:           8
        .value_kind:     global_buffer
    .group_segment_fixed_size: 0
    .kernarg_segment_align: 8
    .kernarg_segment_size: 96
    .language:       OpenCL C
    .language_version:
      - 2
      - 0
    .max_flat_workgroup_size: 128
    .name:           _ZN4vllm3moe22topkGatingSoftplusSqrtILi18ELi576ELi4ELi4ELi32ELb1ElfEEvPKT6_PKbPfiPT5_PiiiibdPKfPKS8_SE_
    .private_segment_fixed_size: 80
    .sgpr_count:     80
    .sgpr_spill_count: 0
    .symbol:         _ZN4vllm3moe22topkGatingSoftplusSqrtILi18ELi576ELi4ELi4ELi32ELb1ElfEEvPKT6_PKbPfiPT5_PiiiibdPKfPKS8_SE_.kd
    .uniform_work_group_size: 1
    .uses_dynamic_stack: false
    .vgpr_count:     43
    .vgpr_spill_count: 0
    .wavefront_size: 64
  - .agpr_count:     0
    .args:
      - .address_space:  global
        .offset:         0
        .size:           8
        .value_kind:     global_buffer
      - .address_space:  global
        .offset:         8
        .size:           8
        .value_kind:     global_buffer
      - .address_space:  global
        .offset:         16
        .size:           8
        .value_kind:     global_buffer
      - .offset:         24
        .size:           4
        .value_kind:     by_value
      - .address_space:  global
        .offset:         32
        .size:           8
        .value_kind:     global_buffer
      - .address_space:  global
        .offset:         40
        .size:           8
        .value_kind:     global_buffer
      - .offset:         48
        .size:           4
        .value_kind:     by_value
      - .offset:         52
        .size:           4
        .value_kind:     by_value
      - .offset:         56
        .size:           4
        .value_kind:     by_value
      - .offset:         60
        .size:           1
        .value_kind:     by_value
      - .offset:         64
        .size:           8
        .value_kind:     by_value
      - .address_space:  global
        .offset:         72
        .size:           8
        .value_kind:     global_buffer
      - .address_space:  global
        .offset:         80
        .size:           8
        .value_kind:     global_buffer
      - .address_space:  global
        .offset:         88
        .size:           8
        .value_kind:     global_buffer
    .group_segment_fixed_size: 0
    .kernarg_segment_align: 8
    .kernarg_segment_size: 96
    .language:       OpenCL C
    .language_version:
      - 2
      - 0
    .max_flat_workgroup_size: 128
    .name:           _ZN4vllm3moe22topkGatingSoftplusSqrtILi18ELi576ELi4ELi4ELi32ELb0ElfEEvPKT6_PKbPfiPT5_PiiiibdPKfPKS8_SE_
    .private_segment_fixed_size: 80
    .sgpr_count:     38
    .sgpr_spill_count: 0
    .symbol:         _ZN4vllm3moe22topkGatingSoftplusSqrtILi18ELi576ELi4ELi4ELi32ELb0ElfEEvPKT6_PKbPfiPT5_PiiiibdPKfPKS8_SE_.kd
    .uniform_work_group_size: 1
    .uses_dynamic_stack: false
    .vgpr_count:     49
    .vgpr_spill_count: 0
    .wavefront_size: 64
  - .agpr_count:     0
    .args:
      - .address_space:  global
        .offset:         0
        .size:           8
        .value_kind:     global_buffer
      - .address_space:  global
        .offset:         8
        .size:           8
        .value_kind:     global_buffer
      - .address_space:  global
        .offset:         16
        .size:           8
        .value_kind:     global_buffer
      - .offset:         24
        .size:           4
        .value_kind:     by_value
      - .address_space:  global
        .offset:         32
        .size:           8
        .value_kind:     global_buffer
      - .address_space:  global
        .offset:         40
        .size:           8
        .value_kind:     global_buffer
      - .offset:         48
        .size:           4
        .value_kind:     by_value
      - .offset:         52
        .size:           4
        .value_kind:     by_value
      - .offset:         56
        .size:           4
        .value_kind:     by_value
      - .offset:         60
        .size:           1
        .value_kind:     by_value
      - .offset:         64
        .size:           8
        .value_kind:     by_value
      - .address_space:  global
        .offset:         72
        .size:           8
        .value_kind:     global_buffer
      - .address_space:  global
        .offset:         80
        .size:           8
        .value_kind:     global_buffer
      - .address_space:  global
        .offset:         88
        .size:           8
        .value_kind:     global_buffer
    .group_segment_fixed_size: 0
    .kernarg_segment_align: 8
    .kernarg_segment_size: 96
    .language:       OpenCL C
    .language_version:
      - 2
      - 0
    .max_flat_workgroup_size: 256
    .name:           _ZN4vllm3moe22topkGatingSoftplusSqrtILi1ELi1ELi4ELi2ELi64ELb1Ei6__halfEEvPKT6_PKbPfiPT5_PiiiibdPKfPKS9_SF_
    .private_segment_fixed_size: 0
    .sgpr_count:     21
    .sgpr_spill_count: 0
    .symbol:         _ZN4vllm3moe22topkGatingSoftplusSqrtILi1ELi1ELi4ELi2ELi64ELb1Ei6__halfEEvPKT6_PKbPfiPT5_PiiiibdPKfPKS9_SF_.kd
    .uniform_work_group_size: 1
    .uses_dynamic_stack: false
    .vgpr_count:     14
    .vgpr_spill_count: 0
    .wavefront_size: 64
  - .agpr_count:     0
    .args:
      - .address_space:  global
        .offset:         0
        .size:           8
        .value_kind:     global_buffer
      - .address_space:  global
        .offset:         8
        .size:           8
        .value_kind:     global_buffer
      - .address_space:  global
        .offset:         16
        .size:           8
        .value_kind:     global_buffer
      - .offset:         24
        .size:           4
        .value_kind:     by_value
      - .address_space:  global
        .offset:         32
        .size:           8
        .value_kind:     global_buffer
      - .address_space:  global
        .offset:         40
        .size:           8
        .value_kind:     global_buffer
      - .offset:         48
        .size:           4
        .value_kind:     by_value
      - .offset:         52
        .size:           4
        .value_kind:     by_value
      - .offset:         56
        .size:           4
        .value_kind:     by_value
      - .offset:         60
        .size:           1
        .value_kind:     by_value
      - .offset:         64
        .size:           8
        .value_kind:     by_value
      - .address_space:  global
        .offset:         72
        .size:           8
        .value_kind:     global_buffer
      - .address_space:  global
        .offset:         80
        .size:           8
        .value_kind:     global_buffer
      - .address_space:  global
        .offset:         88
        .size:           8
        .value_kind:     global_buffer
    .group_segment_fixed_size: 0
    .kernarg_segment_align: 8
    .kernarg_segment_size: 96
    .language:       OpenCL C
    .language_version:
      - 2
      - 0
    .max_flat_workgroup_size: 256
    .name:           _ZN4vllm3moe22topkGatingSoftplusSqrtILi1ELi1ELi4ELi2ELi64ELb0Ei6__halfEEvPKT6_PKbPfiPT5_PiiiibdPKfPKS9_SF_
    .private_segment_fixed_size: 0
    .sgpr_count:     34
    .sgpr_spill_count: 0
    .symbol:         _ZN4vllm3moe22topkGatingSoftplusSqrtILi1ELi1ELi4ELi2ELi64ELb0Ei6__halfEEvPKT6_PKbPfiPT5_PiiiibdPKfPKS9_SF_.kd
    .uniform_work_group_size: 1
    .uses_dynamic_stack: false
    .vgpr_count:     12
    .vgpr_spill_count: 0
    .wavefront_size: 64
  - .agpr_count:     0
    .args:
      - .address_space:  global
        .offset:         0
        .size:           8
        .value_kind:     global_buffer
      - .address_space:  global
        .offset:         8
        .size:           8
        .value_kind:     global_buffer
      - .address_space:  global
        .offset:         16
        .size:           8
        .value_kind:     global_buffer
      - .offset:         24
        .size:           4
        .value_kind:     by_value
      - .address_space:  global
        .offset:         32
        .size:           8
        .value_kind:     global_buffer
      - .address_space:  global
        .offset:         40
        .size:           8
        .value_kind:     global_buffer
      - .offset:         48
        .size:           4
        .value_kind:     by_value
      - .offset:         52
        .size:           4
        .value_kind:     by_value
      - .offset:         56
        .size:           4
        .value_kind:     by_value
      - .offset:         60
        .size:           1
        .value_kind:     by_value
      - .offset:         64
        .size:           8
        .value_kind:     by_value
      - .address_space:  global
        .offset:         72
        .size:           8
        .value_kind:     global_buffer
      - .address_space:  global
        .offset:         80
        .size:           8
        .value_kind:     global_buffer
      - .address_space:  global
        .offset:         88
        .size:           8
        .value_kind:     global_buffer
    .group_segment_fixed_size: 0
    .kernarg_segment_align: 8
    .kernarg_segment_size: 96
    .language:       OpenCL C
    .language_version:
      - 2
      - 0
    .max_flat_workgroup_size: 128
    .name:           _ZN4vllm3moe22topkGatingSoftplusSqrtILi1ELi1ELi4ELi2ELi32ELb1Ei6__halfEEvPKT6_PKbPfiPT5_PiiiibdPKfPKS9_SF_
    .private_segment_fixed_size: 0
    .sgpr_count:     21
    .sgpr_spill_count: 0
    .symbol:         _ZN4vllm3moe22topkGatingSoftplusSqrtILi1ELi1ELi4ELi2ELi32ELb1Ei6__halfEEvPKT6_PKbPfiPT5_PiiiibdPKfPKS9_SF_.kd
    .uniform_work_group_size: 1
    .uses_dynamic_stack: false
    .vgpr_count:     14
    .vgpr_spill_count: 0
    .wavefront_size: 64
  - .agpr_count:     0
    .args:
      - .address_space:  global
        .offset:         0
        .size:           8
        .value_kind:     global_buffer
      - .address_space:  global
        .offset:         8
        .size:           8
        .value_kind:     global_buffer
      - .address_space:  global
        .offset:         16
        .size:           8
        .value_kind:     global_buffer
      - .offset:         24
        .size:           4
        .value_kind:     by_value
      - .address_space:  global
        .offset:         32
        .size:           8
        .value_kind:     global_buffer
      - .address_space:  global
        .offset:         40
        .size:           8
        .value_kind:     global_buffer
      - .offset:         48
        .size:           4
        .value_kind:     by_value
      - .offset:         52
        .size:           4
        .value_kind:     by_value
      - .offset:         56
        .size:           4
        .value_kind:     by_value
      - .offset:         60
        .size:           1
        .value_kind:     by_value
      - .offset:         64
        .size:           8
        .value_kind:     by_value
      - .address_space:  global
        .offset:         72
        .size:           8
        .value_kind:     global_buffer
      - .address_space:  global
        .offset:         80
        .size:           8
        .value_kind:     global_buffer
      - .address_space:  global
        .offset:         88
        .size:           8
        .value_kind:     global_buffer
    .group_segment_fixed_size: 0
    .kernarg_segment_align: 8
    .kernarg_segment_size: 96
    .language:       OpenCL C
    .language_version:
      - 2
      - 0
    .max_flat_workgroup_size: 128
    .name:           _ZN4vllm3moe22topkGatingSoftplusSqrtILi1ELi1ELi4ELi2ELi32ELb0Ei6__halfEEvPKT6_PKbPfiPT5_PiiiibdPKfPKS9_SF_
    .private_segment_fixed_size: 0
    .sgpr_count:     34
    .sgpr_spill_count: 0
    .symbol:         _ZN4vllm3moe22topkGatingSoftplusSqrtILi1ELi1ELi4ELi2ELi32ELb0Ei6__halfEEvPKT6_PKbPfiPT5_PiiiibdPKfPKS9_SF_.kd
    .uniform_work_group_size: 1
    .uses_dynamic_stack: false
    .vgpr_count:     12
    .vgpr_spill_count: 0
    .wavefront_size: 64
  - .agpr_count:     0
    .args:
      - .address_space:  global
        .offset:         0
        .size:           8
        .value_kind:     global_buffer
      - .address_space:  global
        .offset:         8
        .size:           8
        .value_kind:     global_buffer
      - .address_space:  global
        .offset:         16
        .size:           8
        .value_kind:     global_buffer
      - .offset:         24
        .size:           4
        .value_kind:     by_value
      - .address_space:  global
        .offset:         32
        .size:           8
        .value_kind:     global_buffer
      - .address_space:  global
        .offset:         40
        .size:           8
        .value_kind:     global_buffer
      - .offset:         48
        .size:           4
        .value_kind:     by_value
      - .offset:         52
        .size:           4
        .value_kind:     by_value
      - .offset:         56
        .size:           4
        .value_kind:     by_value
      - .offset:         60
        .size:           1
        .value_kind:     by_value
      - .offset:         64
        .size:           8
        .value_kind:     by_value
      - .address_space:  global
        .offset:         72
        .size:           8
        .value_kind:     global_buffer
      - .address_space:  global
        .offset:         80
        .size:           8
        .value_kind:     global_buffer
      - .address_space:  global
        .offset:         88
        .size:           8
        .value_kind:     global_buffer
    .group_segment_fixed_size: 0
    .kernarg_segment_align: 8
    .kernarg_segment_size: 96
    .language:       OpenCL C
    .language_version:
      - 2
      - 0
    .max_flat_workgroup_size: 256
    .name:           _ZN4vllm3moe22topkGatingSoftplusSqrtILi2ELi2ELi4ELi4ELi64ELb1Ei6__halfEEvPKT6_PKbPfiPT5_PiiiibdPKfPKS9_SF_
    .private_segment_fixed_size: 0
    .sgpr_count:     24
    .sgpr_spill_count: 0
    .symbol:         _ZN4vllm3moe22topkGatingSoftplusSqrtILi2ELi2ELi4ELi4ELi64ELb1Ei6__halfEEvPKT6_PKbPfiPT5_PiiiibdPKfPKS9_SF_.kd
    .uniform_work_group_size: 1
    .uses_dynamic_stack: false
    .vgpr_count:     19
    .vgpr_spill_count: 0
    .wavefront_size: 64
  - .agpr_count:     0
    .args:
      - .address_space:  global
        .offset:         0
        .size:           8
        .value_kind:     global_buffer
      - .address_space:  global
        .offset:         8
        .size:           8
        .value_kind:     global_buffer
      - .address_space:  global
        .offset:         16
        .size:           8
        .value_kind:     global_buffer
      - .offset:         24
        .size:           4
        .value_kind:     by_value
      - .address_space:  global
        .offset:         32
        .size:           8
        .value_kind:     global_buffer
      - .address_space:  global
        .offset:         40
        .size:           8
        .value_kind:     global_buffer
      - .offset:         48
        .size:           4
        .value_kind:     by_value
      - .offset:         52
        .size:           4
        .value_kind:     by_value
      - .offset:         56
        .size:           4
        .value_kind:     by_value
      - .offset:         60
        .size:           1
        .value_kind:     by_value
      - .offset:         64
        .size:           8
        .value_kind:     by_value
      - .address_space:  global
        .offset:         72
        .size:           8
        .value_kind:     global_buffer
      - .address_space:  global
        .offset:         80
        .size:           8
        .value_kind:     global_buffer
      - .address_space:  global
        .offset:         88
        .size:           8
        .value_kind:     global_buffer
    .group_segment_fixed_size: 0
    .kernarg_segment_align: 8
    .kernarg_segment_size: 96
    .language:       OpenCL C
    .language_version:
      - 2
      - 0
    .max_flat_workgroup_size: 256
    .name:           _ZN4vllm3moe22topkGatingSoftplusSqrtILi2ELi2ELi4ELi4ELi64ELb0Ei6__halfEEvPKT6_PKbPfiPT5_PiiiibdPKfPKS9_SF_
    .private_segment_fixed_size: 0
    .sgpr_count:     32
    .sgpr_spill_count: 0
    .symbol:         _ZN4vllm3moe22topkGatingSoftplusSqrtILi2ELi2ELi4ELi4ELi64ELb0Ei6__halfEEvPKT6_PKbPfiPT5_PiiiibdPKfPKS9_SF_.kd
    .uniform_work_group_size: 1
    .uses_dynamic_stack: false
    .vgpr_count:     13
    .vgpr_spill_count: 0
    .wavefront_size: 64
  - .agpr_count:     0
    .args:
      - .address_space:  global
        .offset:         0
        .size:           8
        .value_kind:     global_buffer
      - .address_space:  global
        .offset:         8
        .size:           8
        .value_kind:     global_buffer
      - .address_space:  global
        .offset:         16
        .size:           8
        .value_kind:     global_buffer
      - .offset:         24
        .size:           4
        .value_kind:     by_value
      - .address_space:  global
        .offset:         32
        .size:           8
        .value_kind:     global_buffer
      - .address_space:  global
        .offset:         40
        .size:           8
        .value_kind:     global_buffer
      - .offset:         48
        .size:           4
        .value_kind:     by_value
      - .offset:         52
        .size:           4
        .value_kind:     by_value
      - .offset:         56
        .size:           4
        .value_kind:     by_value
      - .offset:         60
        .size:           1
        .value_kind:     by_value
      - .offset:         64
        .size:           8
        .value_kind:     by_value
      - .address_space:  global
        .offset:         72
        .size:           8
        .value_kind:     global_buffer
      - .address_space:  global
        .offset:         80
        .size:           8
        .value_kind:     global_buffer
      - .address_space:  global
        .offset:         88
        .size:           8
        .value_kind:     global_buffer
    .group_segment_fixed_size: 0
    .kernarg_segment_align: 8
    .kernarg_segment_size: 96
    .language:       OpenCL C
    .language_version:
      - 2
      - 0
    .max_flat_workgroup_size: 128
    .name:           _ZN4vllm3moe22topkGatingSoftplusSqrtILi2ELi2ELi4ELi4ELi32ELb1Ei6__halfEEvPKT6_PKbPfiPT5_PiiiibdPKfPKS9_SF_
    .private_segment_fixed_size: 0
    .sgpr_count:     24
    .sgpr_spill_count: 0
    .symbol:         _ZN4vllm3moe22topkGatingSoftplusSqrtILi2ELi2ELi4ELi4ELi32ELb1Ei6__halfEEvPKT6_PKbPfiPT5_PiiiibdPKfPKS9_SF_.kd
    .uniform_work_group_size: 1
    .uses_dynamic_stack: false
    .vgpr_count:     19
    .vgpr_spill_count: 0
    .wavefront_size: 64
  - .agpr_count:     0
    .args:
      - .address_space:  global
        .offset:         0
        .size:           8
        .value_kind:     global_buffer
      - .address_space:  global
        .offset:         8
        .size:           8
        .value_kind:     global_buffer
      - .address_space:  global
        .offset:         16
        .size:           8
        .value_kind:     global_buffer
      - .offset:         24
        .size:           4
        .value_kind:     by_value
      - .address_space:  global
        .offset:         32
        .size:           8
        .value_kind:     global_buffer
      - .address_space:  global
        .offset:         40
        .size:           8
        .value_kind:     global_buffer
      - .offset:         48
        .size:           4
        .value_kind:     by_value
      - .offset:         52
        .size:           4
        .value_kind:     by_value
      - .offset:         56
        .size:           4
        .value_kind:     by_value
      - .offset:         60
        .size:           1
        .value_kind:     by_value
      - .offset:         64
        .size:           8
        .value_kind:     by_value
      - .address_space:  global
        .offset:         72
        .size:           8
        .value_kind:     global_buffer
      - .address_space:  global
        .offset:         80
        .size:           8
        .value_kind:     global_buffer
      - .address_space:  global
        .offset:         88
        .size:           8
        .value_kind:     global_buffer
    .group_segment_fixed_size: 0
    .kernarg_segment_align: 8
    .kernarg_segment_size: 96
    .language:       OpenCL C
    .language_version:
      - 2
      - 0
    .max_flat_workgroup_size: 128
    .name:           _ZN4vllm3moe22topkGatingSoftplusSqrtILi2ELi2ELi4ELi4ELi32ELb0Ei6__halfEEvPKT6_PKbPfiPT5_PiiiibdPKfPKS9_SF_
    .private_segment_fixed_size: 0
    .sgpr_count:     32
    .sgpr_spill_count: 0
    .symbol:         _ZN4vllm3moe22topkGatingSoftplusSqrtILi2ELi2ELi4ELi4ELi32ELb0Ei6__halfEEvPKT6_PKbPfiPT5_PiiiibdPKfPKS9_SF_.kd
    .uniform_work_group_size: 1
    .uses_dynamic_stack: false
    .vgpr_count:     13
    .vgpr_spill_count: 0
    .wavefront_size: 64
  - .agpr_count:     0
    .args:
      - .address_space:  global
        .offset:         0
        .size:           8
        .value_kind:     global_buffer
      - .address_space:  global
        .offset:         8
        .size:           8
        .value_kind:     global_buffer
      - .address_space:  global
        .offset:         16
        .size:           8
        .value_kind:     global_buffer
      - .offset:         24
        .size:           4
        .value_kind:     by_value
      - .address_space:  global
        .offset:         32
        .size:           8
        .value_kind:     global_buffer
      - .address_space:  global
        .offset:         40
        .size:           8
        .value_kind:     global_buffer
      - .offset:         48
        .size:           4
        .value_kind:     by_value
      - .offset:         52
        .size:           4
        .value_kind:     by_value
      - .offset:         56
        .size:           4
        .value_kind:     by_value
      - .offset:         60
        .size:           1
        .value_kind:     by_value
      - .offset:         64
        .size:           8
        .value_kind:     by_value
      - .address_space:  global
        .offset:         72
        .size:           8
        .value_kind:     global_buffer
      - .address_space:  global
        .offset:         80
        .size:           8
        .value_kind:     global_buffer
      - .address_space:  global
        .offset:         88
        .size:           8
        .value_kind:     global_buffer
    .group_segment_fixed_size: 0
    .kernarg_segment_align: 8
    .kernarg_segment_size: 96
    .language:       OpenCL C
    .language_version:
      - 2
      - 0
    .max_flat_workgroup_size: 256
    .name:           _ZN4vllm3moe22topkGatingSoftplusSqrtILi4ELi4ELi4ELi8ELi64ELb1Ei6__halfEEvPKT6_PKbPfiPT5_PiiiibdPKfPKS9_SF_
    .private_segment_fixed_size: 0
    .sgpr_count:     24
    .sgpr_spill_count: 0
    .symbol:         _ZN4vllm3moe22topkGatingSoftplusSqrtILi4ELi4ELi4ELi8ELi64ELb1Ei6__halfEEvPKT6_PKbPfiPT5_PiiiibdPKfPKS9_SF_.kd
    .uniform_work_group_size: 1
    .uses_dynamic_stack: false
    .vgpr_count:     23
    .vgpr_spill_count: 0
    .wavefront_size: 64
  - .agpr_count:     0
    .args:
      - .address_space:  global
        .offset:         0
        .size:           8
        .value_kind:     global_buffer
      - .address_space:  global
        .offset:         8
        .size:           8
        .value_kind:     global_buffer
      - .address_space:  global
        .offset:         16
        .size:           8
        .value_kind:     global_buffer
      - .offset:         24
        .size:           4
        .value_kind:     by_value
      - .address_space:  global
        .offset:         32
        .size:           8
        .value_kind:     global_buffer
      - .address_space:  global
        .offset:         40
        .size:           8
        .value_kind:     global_buffer
      - .offset:         48
        .size:           4
        .value_kind:     by_value
      - .offset:         52
        .size:           4
        .value_kind:     by_value
      - .offset:         56
        .size:           4
        .value_kind:     by_value
      - .offset:         60
        .size:           1
        .value_kind:     by_value
      - .offset:         64
        .size:           8
        .value_kind:     by_value
      - .address_space:  global
        .offset:         72
        .size:           8
        .value_kind:     global_buffer
      - .address_space:  global
        .offset:         80
        .size:           8
        .value_kind:     global_buffer
      - .address_space:  global
        .offset:         88
        .size:           8
        .value_kind:     global_buffer
    .group_segment_fixed_size: 0
    .kernarg_segment_align: 8
    .kernarg_segment_size: 96
    .language:       OpenCL C
    .language_version:
      - 2
      - 0
    .max_flat_workgroup_size: 256
    .name:           _ZN4vllm3moe22topkGatingSoftplusSqrtILi4ELi4ELi4ELi8ELi64ELb0Ei6__halfEEvPKT6_PKbPfiPT5_PiiiibdPKfPKS9_SF_
    .private_segment_fixed_size: 0
    .sgpr_count:     32
    .sgpr_spill_count: 0
    .symbol:         _ZN4vllm3moe22topkGatingSoftplusSqrtILi4ELi4ELi4ELi8ELi64ELb0Ei6__halfEEvPKT6_PKbPfiPT5_PiiiibdPKfPKS9_SF_.kd
    .uniform_work_group_size: 1
    .uses_dynamic_stack: false
    .vgpr_count:     15
    .vgpr_spill_count: 0
    .wavefront_size: 64
  - .agpr_count:     0
    .args:
      - .address_space:  global
        .offset:         0
        .size:           8
        .value_kind:     global_buffer
      - .address_space:  global
        .offset:         8
        .size:           8
        .value_kind:     global_buffer
      - .address_space:  global
        .offset:         16
        .size:           8
        .value_kind:     global_buffer
      - .offset:         24
        .size:           4
        .value_kind:     by_value
      - .address_space:  global
        .offset:         32
        .size:           8
        .value_kind:     global_buffer
      - .address_space:  global
        .offset:         40
        .size:           8
        .value_kind:     global_buffer
      - .offset:         48
        .size:           4
        .value_kind:     by_value
      - .offset:         52
        .size:           4
        .value_kind:     by_value
      - .offset:         56
        .size:           4
        .value_kind:     by_value
      - .offset:         60
        .size:           1
        .value_kind:     by_value
      - .offset:         64
        .size:           8
        .value_kind:     by_value
      - .address_space:  global
        .offset:         72
        .size:           8
        .value_kind:     global_buffer
      - .address_space:  global
        .offset:         80
        .size:           8
        .value_kind:     global_buffer
      - .address_space:  global
        .offset:         88
        .size:           8
        .value_kind:     global_buffer
    .group_segment_fixed_size: 0
    .kernarg_segment_align: 8
    .kernarg_segment_size: 96
    .language:       OpenCL C
    .language_version:
      - 2
      - 0
    .max_flat_workgroup_size: 128
    .name:           _ZN4vllm3moe22topkGatingSoftplusSqrtILi4ELi4ELi4ELi8ELi32ELb1Ei6__halfEEvPKT6_PKbPfiPT5_PiiiibdPKfPKS9_SF_
    .private_segment_fixed_size: 0
    .sgpr_count:     24
    .sgpr_spill_count: 0
    .symbol:         _ZN4vllm3moe22topkGatingSoftplusSqrtILi4ELi4ELi4ELi8ELi32ELb1Ei6__halfEEvPKT6_PKbPfiPT5_PiiiibdPKfPKS9_SF_.kd
    .uniform_work_group_size: 1
    .uses_dynamic_stack: false
    .vgpr_count:     23
    .vgpr_spill_count: 0
    .wavefront_size: 64
  - .agpr_count:     0
    .args:
      - .address_space:  global
        .offset:         0
        .size:           8
        .value_kind:     global_buffer
      - .address_space:  global
        .offset:         8
        .size:           8
        .value_kind:     global_buffer
      - .address_space:  global
        .offset:         16
        .size:           8
        .value_kind:     global_buffer
      - .offset:         24
        .size:           4
        .value_kind:     by_value
      - .address_space:  global
        .offset:         32
        .size:           8
        .value_kind:     global_buffer
      - .address_space:  global
        .offset:         40
        .size:           8
        .value_kind:     global_buffer
      - .offset:         48
        .size:           4
        .value_kind:     by_value
      - .offset:         52
        .size:           4
        .value_kind:     by_value
      - .offset:         56
        .size:           4
        .value_kind:     by_value
      - .offset:         60
        .size:           1
        .value_kind:     by_value
      - .offset:         64
        .size:           8
        .value_kind:     by_value
      - .address_space:  global
        .offset:         72
        .size:           8
        .value_kind:     global_buffer
      - .address_space:  global
        .offset:         80
        .size:           8
        .value_kind:     global_buffer
      - .address_space:  global
        .offset:         88
        .size:           8
        .value_kind:     global_buffer
    .group_segment_fixed_size: 0
    .kernarg_segment_align: 8
    .kernarg_segment_size: 96
    .language:       OpenCL C
    .language_version:
      - 2
      - 0
    .max_flat_workgroup_size: 128
    .name:           _ZN4vllm3moe22topkGatingSoftplusSqrtILi4ELi4ELi4ELi8ELi32ELb0Ei6__halfEEvPKT6_PKbPfiPT5_PiiiibdPKfPKS9_SF_
    .private_segment_fixed_size: 0
    .sgpr_count:     32
    .sgpr_spill_count: 0
    .symbol:         _ZN4vllm3moe22topkGatingSoftplusSqrtILi4ELi4ELi4ELi8ELi32ELb0Ei6__halfEEvPKT6_PKbPfiPT5_PiiiibdPKfPKS9_SF_.kd
    .uniform_work_group_size: 1
    .uses_dynamic_stack: false
    .vgpr_count:     15
    .vgpr_spill_count: 0
    .wavefront_size: 64
  - .agpr_count:     0
    .args:
      - .address_space:  global
        .offset:         0
        .size:           8
        .value_kind:     global_buffer
      - .address_space:  global
        .offset:         8
        .size:           8
        .value_kind:     global_buffer
      - .address_space:  global
        .offset:         16
        .size:           8
        .value_kind:     global_buffer
      - .offset:         24
        .size:           4
        .value_kind:     by_value
      - .address_space:  global
        .offset:         32
        .size:           8
        .value_kind:     global_buffer
      - .address_space:  global
        .offset:         40
        .size:           8
        .value_kind:     global_buffer
      - .offset:         48
        .size:           4
        .value_kind:     by_value
      - .offset:         52
        .size:           4
        .value_kind:     by_value
      - .offset:         56
        .size:           4
        .value_kind:     by_value
      - .offset:         60
        .size:           1
        .value_kind:     by_value
      - .offset:         64
        .size:           8
        .value_kind:     by_value
      - .address_space:  global
        .offset:         72
        .size:           8
        .value_kind:     global_buffer
      - .address_space:  global
        .offset:         80
        .size:           8
        .value_kind:     global_buffer
      - .address_space:  global
        .offset:         88
        .size:           8
        .value_kind:     global_buffer
    .group_segment_fixed_size: 0
    .kernarg_segment_align: 8
    .kernarg_segment_size: 96
    .language:       OpenCL C
    .language_version:
      - 2
      - 0
    .max_flat_workgroup_size: 256
    .name:           _ZN4vllm3moe22topkGatingSoftplusSqrtILi8ELi8ELi4ELi16ELi64ELb1Ei6__halfEEvPKT6_PKbPfiPT5_PiiiibdPKfPKS9_SF_
    .private_segment_fixed_size: 0
    .sgpr_count:     24
    .sgpr_spill_count: 0
    .symbol:         _ZN4vllm3moe22topkGatingSoftplusSqrtILi8ELi8ELi4ELi16ELi64ELb1Ei6__halfEEvPKT6_PKbPfiPT5_PiiiibdPKfPKS9_SF_.kd
    .uniform_work_group_size: 1
    .uses_dynamic_stack: false
    .vgpr_count:     27
    .vgpr_spill_count: 0
    .wavefront_size: 64
  - .agpr_count:     0
    .args:
      - .address_space:  global
        .offset:         0
        .size:           8
        .value_kind:     global_buffer
      - .address_space:  global
        .offset:         8
        .size:           8
        .value_kind:     global_buffer
      - .address_space:  global
        .offset:         16
        .size:           8
        .value_kind:     global_buffer
      - .offset:         24
        .size:           4
        .value_kind:     by_value
      - .address_space:  global
        .offset:         32
        .size:           8
        .value_kind:     global_buffer
      - .address_space:  global
        .offset:         40
        .size:           8
        .value_kind:     global_buffer
      - .offset:         48
        .size:           4
        .value_kind:     by_value
      - .offset:         52
        .size:           4
        .value_kind:     by_value
      - .offset:         56
        .size:           4
        .value_kind:     by_value
      - .offset:         60
        .size:           1
        .value_kind:     by_value
      - .offset:         64
        .size:           8
        .value_kind:     by_value
      - .address_space:  global
        .offset:         72
        .size:           8
        .value_kind:     global_buffer
      - .address_space:  global
        .offset:         80
        .size:           8
        .value_kind:     global_buffer
      - .address_space:  global
        .offset:         88
        .size:           8
        .value_kind:     global_buffer
    .group_segment_fixed_size: 0
    .kernarg_segment_align: 8
    .kernarg_segment_size: 96
    .language:       OpenCL C
    .language_version:
      - 2
      - 0
    .max_flat_workgroup_size: 256
    .name:           _ZN4vllm3moe22topkGatingSoftplusSqrtILi8ELi8ELi4ELi16ELi64ELb0Ei6__halfEEvPKT6_PKbPfiPT5_PiiiibdPKfPKS9_SF_
    .private_segment_fixed_size: 0
    .sgpr_count:     32
    .sgpr_spill_count: 0
    .symbol:         _ZN4vllm3moe22topkGatingSoftplusSqrtILi8ELi8ELi4ELi16ELi64ELb0Ei6__halfEEvPKT6_PKbPfiPT5_PiiiibdPKfPKS9_SF_.kd
    .uniform_work_group_size: 1
    .uses_dynamic_stack: false
    .vgpr_count:     20
    .vgpr_spill_count: 0
    .wavefront_size: 64
  - .agpr_count:     0
    .args:
      - .address_space:  global
        .offset:         0
        .size:           8
        .value_kind:     global_buffer
      - .address_space:  global
        .offset:         8
        .size:           8
        .value_kind:     global_buffer
      - .address_space:  global
        .offset:         16
        .size:           8
        .value_kind:     global_buffer
      - .offset:         24
        .size:           4
        .value_kind:     by_value
      - .address_space:  global
        .offset:         32
        .size:           8
        .value_kind:     global_buffer
      - .address_space:  global
        .offset:         40
        .size:           8
        .value_kind:     global_buffer
      - .offset:         48
        .size:           4
        .value_kind:     by_value
      - .offset:         52
        .size:           4
        .value_kind:     by_value
      - .offset:         56
        .size:           4
        .value_kind:     by_value
      - .offset:         60
        .size:           1
        .value_kind:     by_value
      - .offset:         64
        .size:           8
        .value_kind:     by_value
      - .address_space:  global
        .offset:         72
        .size:           8
        .value_kind:     global_buffer
      - .address_space:  global
        .offset:         80
        .size:           8
        .value_kind:     global_buffer
      - .address_space:  global
        .offset:         88
        .size:           8
        .value_kind:     global_buffer
    .group_segment_fixed_size: 0
    .kernarg_segment_align: 8
    .kernarg_segment_size: 96
    .language:       OpenCL C
    .language_version:
      - 2
      - 0
    .max_flat_workgroup_size: 128
    .name:           _ZN4vllm3moe22topkGatingSoftplusSqrtILi8ELi8ELi4ELi16ELi32ELb1Ei6__halfEEvPKT6_PKbPfiPT5_PiiiibdPKfPKS9_SF_
    .private_segment_fixed_size: 0
    .sgpr_count:     24
    .sgpr_spill_count: 0
    .symbol:         _ZN4vllm3moe22topkGatingSoftplusSqrtILi8ELi8ELi4ELi16ELi32ELb1Ei6__halfEEvPKT6_PKbPfiPT5_PiiiibdPKfPKS9_SF_.kd
    .uniform_work_group_size: 1
    .uses_dynamic_stack: false
    .vgpr_count:     27
    .vgpr_spill_count: 0
    .wavefront_size: 64
  - .agpr_count:     0
    .args:
      - .address_space:  global
        .offset:         0
        .size:           8
        .value_kind:     global_buffer
      - .address_space:  global
        .offset:         8
        .size:           8
        .value_kind:     global_buffer
      - .address_space:  global
        .offset:         16
        .size:           8
        .value_kind:     global_buffer
      - .offset:         24
        .size:           4
        .value_kind:     by_value
      - .address_space:  global
        .offset:         32
        .size:           8
        .value_kind:     global_buffer
      - .address_space:  global
        .offset:         40
        .size:           8
        .value_kind:     global_buffer
      - .offset:         48
        .size:           4
        .value_kind:     by_value
      - .offset:         52
        .size:           4
        .value_kind:     by_value
      - .offset:         56
        .size:           4
        .value_kind:     by_value
      - .offset:         60
        .size:           1
        .value_kind:     by_value
      - .offset:         64
        .size:           8
        .value_kind:     by_value
      - .address_space:  global
        .offset:         72
        .size:           8
        .value_kind:     global_buffer
      - .address_space:  global
        .offset:         80
        .size:           8
        .value_kind:     global_buffer
      - .address_space:  global
        .offset:         88
        .size:           8
        .value_kind:     global_buffer
    .group_segment_fixed_size: 0
    .kernarg_segment_align: 8
    .kernarg_segment_size: 96
    .language:       OpenCL C
    .language_version:
      - 2
      - 0
    .max_flat_workgroup_size: 128
    .name:           _ZN4vllm3moe22topkGatingSoftplusSqrtILi8ELi8ELi4ELi16ELi32ELb0Ei6__halfEEvPKT6_PKbPfiPT5_PiiiibdPKfPKS9_SF_
    .private_segment_fixed_size: 0
    .sgpr_count:     32
    .sgpr_spill_count: 0
    .symbol:         _ZN4vllm3moe22topkGatingSoftplusSqrtILi8ELi8ELi4ELi16ELi32ELb0Ei6__halfEEvPKT6_PKbPfiPT5_PiiiibdPKfPKS9_SF_.kd
    .uniform_work_group_size: 1
    .uses_dynamic_stack: false
    .vgpr_count:     20
    .vgpr_spill_count: 0
    .wavefront_size: 64
  - .agpr_count:     0
    .args:
      - .address_space:  global
        .offset:         0
        .size:           8
        .value_kind:     global_buffer
      - .address_space:  global
        .offset:         8
        .size:           8
        .value_kind:     global_buffer
      - .address_space:  global
        .offset:         16
        .size:           8
        .value_kind:     global_buffer
      - .offset:         24
        .size:           4
        .value_kind:     by_value
      - .address_space:  global
        .offset:         32
        .size:           8
        .value_kind:     global_buffer
      - .address_space:  global
        .offset:         40
        .size:           8
        .value_kind:     global_buffer
      - .offset:         48
        .size:           4
        .value_kind:     by_value
      - .offset:         52
        .size:           4
        .value_kind:     by_value
      - .offset:         56
        .size:           4
        .value_kind:     by_value
      - .offset:         60
        .size:           1
        .value_kind:     by_value
      - .offset:         64
        .size:           8
        .value_kind:     by_value
      - .address_space:  global
        .offset:         72
        .size:           8
        .value_kind:     global_buffer
      - .address_space:  global
        .offset:         80
        .size:           8
        .value_kind:     global_buffer
      - .address_space:  global
        .offset:         88
        .size:           8
        .value_kind:     global_buffer
    .group_segment_fixed_size: 0
    .kernarg_segment_align: 8
    .kernarg_segment_size: 96
    .language:       OpenCL C
    .language_version:
      - 2
      - 0
    .max_flat_workgroup_size: 256
    .name:           _ZN4vllm3moe22topkGatingSoftplusSqrtILi8ELi16ELi4ELi16ELi64ELb1Ei6__halfEEvPKT6_PKbPfiPT5_PiiiibdPKfPKS9_SF_
    .private_segment_fixed_size: 48
    .sgpr_count:     40
    .sgpr_spill_count: 0
    .symbol:         _ZN4vllm3moe22topkGatingSoftplusSqrtILi8ELi16ELi4ELi16ELi64ELb1Ei6__halfEEvPKT6_PKbPfiPT5_PiiiibdPKfPKS9_SF_.kd
    .uniform_work_group_size: 1
    .uses_dynamic_stack: false
    .vgpr_count:     29
    .vgpr_spill_count: 0
    .wavefront_size: 64
  - .agpr_count:     0
    .args:
      - .address_space:  global
        .offset:         0
        .size:           8
        .value_kind:     global_buffer
      - .address_space:  global
        .offset:         8
        .size:           8
        .value_kind:     global_buffer
      - .address_space:  global
        .offset:         16
        .size:           8
        .value_kind:     global_buffer
      - .offset:         24
        .size:           4
        .value_kind:     by_value
      - .address_space:  global
        .offset:         32
        .size:           8
        .value_kind:     global_buffer
      - .address_space:  global
        .offset:         40
        .size:           8
        .value_kind:     global_buffer
      - .offset:         48
        .size:           4
        .value_kind:     by_value
      - .offset:         52
        .size:           4
        .value_kind:     by_value
      - .offset:         56
        .size:           4
        .value_kind:     by_value
      - .offset:         60
        .size:           1
        .value_kind:     by_value
      - .offset:         64
        .size:           8
        .value_kind:     by_value
      - .address_space:  global
        .offset:         72
        .size:           8
        .value_kind:     global_buffer
      - .address_space:  global
        .offset:         80
        .size:           8
        .value_kind:     global_buffer
      - .address_space:  global
        .offset:         88
        .size:           8
        .value_kind:     global_buffer
    .group_segment_fixed_size: 0
    .kernarg_segment_align: 8
    .kernarg_segment_size: 96
    .language:       OpenCL C
    .language_version:
      - 2
      - 0
    .max_flat_workgroup_size: 256
    .name:           _ZN4vllm3moe22topkGatingSoftplusSqrtILi8ELi16ELi4ELi16ELi64ELb0Ei6__halfEEvPKT6_PKbPfiPT5_PiiiibdPKfPKS9_SF_
    .private_segment_fixed_size: 0
    .sgpr_count:     49
    .sgpr_spill_count: 0
    .symbol:         _ZN4vllm3moe22topkGatingSoftplusSqrtILi8ELi16ELi4ELi16ELi64ELb0Ei6__halfEEvPKT6_PKbPfiPT5_PiiiibdPKfPKS9_SF_.kd
    .uniform_work_group_size: 1
    .uses_dynamic_stack: false
    .vgpr_count:     24
    .vgpr_spill_count: 0
    .wavefront_size: 64
  - .agpr_count:     0
    .args:
      - .address_space:  global
        .offset:         0
        .size:           8
        .value_kind:     global_buffer
      - .address_space:  global
        .offset:         8
        .size:           8
        .value_kind:     global_buffer
      - .address_space:  global
        .offset:         16
        .size:           8
        .value_kind:     global_buffer
      - .offset:         24
        .size:           4
        .value_kind:     by_value
      - .address_space:  global
        .offset:         32
        .size:           8
        .value_kind:     global_buffer
      - .address_space:  global
        .offset:         40
        .size:           8
        .value_kind:     global_buffer
      - .offset:         48
        .size:           4
        .value_kind:     by_value
      - .offset:         52
        .size:           4
        .value_kind:     by_value
      - .offset:         56
        .size:           4
        .value_kind:     by_value
      - .offset:         60
        .size:           1
        .value_kind:     by_value
      - .offset:         64
        .size:           8
        .value_kind:     by_value
      - .address_space:  global
        .offset:         72
        .size:           8
        .value_kind:     global_buffer
      - .address_space:  global
        .offset:         80
        .size:           8
        .value_kind:     global_buffer
      - .address_space:  global
        .offset:         88
        .size:           8
        .value_kind:     global_buffer
    .group_segment_fixed_size: 0
    .kernarg_segment_align: 8
    .kernarg_segment_size: 96
    .language:       OpenCL C
    .language_version:
      - 2
      - 0
    .max_flat_workgroup_size: 128
    .name:           _ZN4vllm3moe22topkGatingSoftplusSqrtILi8ELi16ELi4ELi16ELi32ELb1Ei6__halfEEvPKT6_PKbPfiPT5_PiiiibdPKfPKS9_SF_
    .private_segment_fixed_size: 48
    .sgpr_count:     40
    .sgpr_spill_count: 0
    .symbol:         _ZN4vllm3moe22topkGatingSoftplusSqrtILi8ELi16ELi4ELi16ELi32ELb1Ei6__halfEEvPKT6_PKbPfiPT5_PiiiibdPKfPKS9_SF_.kd
    .uniform_work_group_size: 1
    .uses_dynamic_stack: false
    .vgpr_count:     29
    .vgpr_spill_count: 0
    .wavefront_size: 64
  - .agpr_count:     0
    .args:
      - .address_space:  global
        .offset:         0
        .size:           8
        .value_kind:     global_buffer
      - .address_space:  global
        .offset:         8
        .size:           8
        .value_kind:     global_buffer
      - .address_space:  global
        .offset:         16
        .size:           8
        .value_kind:     global_buffer
      - .offset:         24
        .size:           4
        .value_kind:     by_value
      - .address_space:  global
        .offset:         32
        .size:           8
        .value_kind:     global_buffer
      - .address_space:  global
        .offset:         40
        .size:           8
        .value_kind:     global_buffer
      - .offset:         48
        .size:           4
        .value_kind:     by_value
      - .offset:         52
        .size:           4
        .value_kind:     by_value
      - .offset:         56
        .size:           4
        .value_kind:     by_value
      - .offset:         60
        .size:           1
        .value_kind:     by_value
      - .offset:         64
        .size:           8
        .value_kind:     by_value
      - .address_space:  global
        .offset:         72
        .size:           8
        .value_kind:     global_buffer
      - .address_space:  global
        .offset:         80
        .size:           8
        .value_kind:     global_buffer
      - .address_space:  global
        .offset:         88
        .size:           8
        .value_kind:     global_buffer
    .group_segment_fixed_size: 0
    .kernarg_segment_align: 8
    .kernarg_segment_size: 96
    .language:       OpenCL C
    .language_version:
      - 2
      - 0
    .max_flat_workgroup_size: 128
    .name:           _ZN4vllm3moe22topkGatingSoftplusSqrtILi8ELi16ELi4ELi16ELi32ELb0Ei6__halfEEvPKT6_PKbPfiPT5_PiiiibdPKfPKS9_SF_
    .private_segment_fixed_size: 0
    .sgpr_count:     49
    .sgpr_spill_count: 0
    .symbol:         _ZN4vllm3moe22topkGatingSoftplusSqrtILi8ELi16ELi4ELi16ELi32ELb0Ei6__halfEEvPKT6_PKbPfiPT5_PiiiibdPKfPKS9_SF_.kd
    .uniform_work_group_size: 1
    .uses_dynamic_stack: false
    .vgpr_count:     24
    .vgpr_spill_count: 0
    .wavefront_size: 64
  - .agpr_count:     0
    .args:
      - .address_space:  global
        .offset:         0
        .size:           8
        .value_kind:     global_buffer
      - .address_space:  global
        .offset:         8
        .size:           8
        .value_kind:     global_buffer
      - .address_space:  global
        .offset:         16
        .size:           8
        .value_kind:     global_buffer
      - .offset:         24
        .size:           4
        .value_kind:     by_value
      - .address_space:  global
        .offset:         32
        .size:           8
        .value_kind:     global_buffer
      - .address_space:  global
        .offset:         40
        .size:           8
        .value_kind:     global_buffer
      - .offset:         48
        .size:           4
        .value_kind:     by_value
      - .offset:         52
        .size:           4
        .value_kind:     by_value
      - .offset:         56
        .size:           4
        .value_kind:     by_value
      - .offset:         60
        .size:           1
        .value_kind:     by_value
      - .offset:         64
        .size:           8
        .value_kind:     by_value
      - .address_space:  global
        .offset:         72
        .size:           8
        .value_kind:     global_buffer
      - .address_space:  global
        .offset:         80
        .size:           8
        .value_kind:     global_buffer
      - .address_space:  global
        .offset:         88
        .size:           8
        .value_kind:     global_buffer
    .group_segment_fixed_size: 0
    .kernarg_segment_align: 8
    .kernarg_segment_size: 96
    .language:       OpenCL C
    .language_version:
      - 2
      - 0
    .max_flat_workgroup_size: 256
    .name:           _ZN4vllm3moe22topkGatingSoftplusSqrtILi8ELi32ELi4ELi16ELi64ELb1Ei6__halfEEvPKT6_PKbPfiPT5_PiiiibdPKfPKS9_SF_
    .private_segment_fixed_size: 48
    .sgpr_count:     40
    .sgpr_spill_count: 0
    .symbol:         _ZN4vllm3moe22topkGatingSoftplusSqrtILi8ELi32ELi4ELi16ELi64ELb1Ei6__halfEEvPKT6_PKbPfiPT5_PiiiibdPKfPKS9_SF_.kd
    .uniform_work_group_size: 1
    .uses_dynamic_stack: false
    .vgpr_count:     29
    .vgpr_spill_count: 0
    .wavefront_size: 64
  - .agpr_count:     0
    .args:
      - .address_space:  global
        .offset:         0
        .size:           8
        .value_kind:     global_buffer
      - .address_space:  global
        .offset:         8
        .size:           8
        .value_kind:     global_buffer
      - .address_space:  global
        .offset:         16
        .size:           8
        .value_kind:     global_buffer
      - .offset:         24
        .size:           4
        .value_kind:     by_value
      - .address_space:  global
        .offset:         32
        .size:           8
        .value_kind:     global_buffer
      - .address_space:  global
        .offset:         40
        .size:           8
        .value_kind:     global_buffer
      - .offset:         48
        .size:           4
        .value_kind:     by_value
      - .offset:         52
        .size:           4
        .value_kind:     by_value
      - .offset:         56
        .size:           4
        .value_kind:     by_value
      - .offset:         60
        .size:           1
        .value_kind:     by_value
      - .offset:         64
        .size:           8
        .value_kind:     by_value
      - .address_space:  global
        .offset:         72
        .size:           8
        .value_kind:     global_buffer
      - .address_space:  global
        .offset:         80
        .size:           8
        .value_kind:     global_buffer
      - .address_space:  global
        .offset:         88
        .size:           8
        .value_kind:     global_buffer
    .group_segment_fixed_size: 0
    .kernarg_segment_align: 8
    .kernarg_segment_size: 96
    .language:       OpenCL C
    .language_version:
      - 2
      - 0
    .max_flat_workgroup_size: 256
    .name:           _ZN4vllm3moe22topkGatingSoftplusSqrtILi8ELi32ELi4ELi16ELi64ELb0Ei6__halfEEvPKT6_PKbPfiPT5_PiiiibdPKfPKS9_SF_
    .private_segment_fixed_size: 0
    .sgpr_count:     49
    .sgpr_spill_count: 0
    .symbol:         _ZN4vllm3moe22topkGatingSoftplusSqrtILi8ELi32ELi4ELi16ELi64ELb0Ei6__halfEEvPKT6_PKbPfiPT5_PiiiibdPKfPKS9_SF_.kd
    .uniform_work_group_size: 1
    .uses_dynamic_stack: false
    .vgpr_count:     24
    .vgpr_spill_count: 0
    .wavefront_size: 64
  - .agpr_count:     0
    .args:
      - .address_space:  global
        .offset:         0
        .size:           8
        .value_kind:     global_buffer
      - .address_space:  global
        .offset:         8
        .size:           8
        .value_kind:     global_buffer
      - .address_space:  global
        .offset:         16
        .size:           8
        .value_kind:     global_buffer
      - .offset:         24
        .size:           4
        .value_kind:     by_value
      - .address_space:  global
        .offset:         32
        .size:           8
        .value_kind:     global_buffer
      - .address_space:  global
        .offset:         40
        .size:           8
        .value_kind:     global_buffer
      - .offset:         48
        .size:           4
        .value_kind:     by_value
      - .offset:         52
        .size:           4
        .value_kind:     by_value
      - .offset:         56
        .size:           4
        .value_kind:     by_value
      - .offset:         60
        .size:           1
        .value_kind:     by_value
      - .offset:         64
        .size:           8
        .value_kind:     by_value
      - .address_space:  global
        .offset:         72
        .size:           8
        .value_kind:     global_buffer
      - .address_space:  global
        .offset:         80
        .size:           8
        .value_kind:     global_buffer
      - .address_space:  global
        .offset:         88
        .size:           8
        .value_kind:     global_buffer
    .group_segment_fixed_size: 0
    .kernarg_segment_align: 8
    .kernarg_segment_size: 96
    .language:       OpenCL C
    .language_version:
      - 2
      - 0
    .max_flat_workgroup_size: 128
    .name:           _ZN4vllm3moe22topkGatingSoftplusSqrtILi8ELi32ELi4ELi16ELi32ELb1Ei6__halfEEvPKT6_PKbPfiPT5_PiiiibdPKfPKS9_SF_
    .private_segment_fixed_size: 48
    .sgpr_count:     40
    .sgpr_spill_count: 0
    .symbol:         _ZN4vllm3moe22topkGatingSoftplusSqrtILi8ELi32ELi4ELi16ELi32ELb1Ei6__halfEEvPKT6_PKbPfiPT5_PiiiibdPKfPKS9_SF_.kd
    .uniform_work_group_size: 1
    .uses_dynamic_stack: false
    .vgpr_count:     29
    .vgpr_spill_count: 0
    .wavefront_size: 64
  - .agpr_count:     0
    .args:
      - .address_space:  global
        .offset:         0
        .size:           8
        .value_kind:     global_buffer
      - .address_space:  global
        .offset:         8
        .size:           8
        .value_kind:     global_buffer
      - .address_space:  global
        .offset:         16
        .size:           8
        .value_kind:     global_buffer
      - .offset:         24
        .size:           4
        .value_kind:     by_value
      - .address_space:  global
        .offset:         32
        .size:           8
        .value_kind:     global_buffer
      - .address_space:  global
        .offset:         40
        .size:           8
        .value_kind:     global_buffer
      - .offset:         48
        .size:           4
        .value_kind:     by_value
      - .offset:         52
        .size:           4
        .value_kind:     by_value
      - .offset:         56
        .size:           4
        .value_kind:     by_value
      - .offset:         60
        .size:           1
        .value_kind:     by_value
      - .offset:         64
        .size:           8
        .value_kind:     by_value
      - .address_space:  global
        .offset:         72
        .size:           8
        .value_kind:     global_buffer
      - .address_space:  global
        .offset:         80
        .size:           8
        .value_kind:     global_buffer
      - .address_space:  global
        .offset:         88
        .size:           8
        .value_kind:     global_buffer
    .group_segment_fixed_size: 0
    .kernarg_segment_align: 8
    .kernarg_segment_size: 96
    .language:       OpenCL C
    .language_version:
      - 2
      - 0
    .max_flat_workgroup_size: 128
    .name:           _ZN4vllm3moe22topkGatingSoftplusSqrtILi8ELi32ELi4ELi16ELi32ELb0Ei6__halfEEvPKT6_PKbPfiPT5_PiiiibdPKfPKS9_SF_
    .private_segment_fixed_size: 0
    .sgpr_count:     49
    .sgpr_spill_count: 0
    .symbol:         _ZN4vllm3moe22topkGatingSoftplusSqrtILi8ELi32ELi4ELi16ELi32ELb0Ei6__halfEEvPKT6_PKbPfiPT5_PiiiibdPKfPKS9_SF_.kd
    .uniform_work_group_size: 1
    .uses_dynamic_stack: false
    .vgpr_count:     24
    .vgpr_spill_count: 0
    .wavefront_size: 64
  - .agpr_count:     0
    .args:
      - .address_space:  global
        .offset:         0
        .size:           8
        .value_kind:     global_buffer
      - .address_space:  global
        .offset:         8
        .size:           8
        .value_kind:     global_buffer
      - .address_space:  global
        .offset:         16
        .size:           8
        .value_kind:     global_buffer
      - .offset:         24
        .size:           4
        .value_kind:     by_value
      - .address_space:  global
        .offset:         32
        .size:           8
        .value_kind:     global_buffer
      - .address_space:  global
        .offset:         40
        .size:           8
        .value_kind:     global_buffer
      - .offset:         48
        .size:           4
        .value_kind:     by_value
      - .offset:         52
        .size:           4
        .value_kind:     by_value
      - .offset:         56
        .size:           4
        .value_kind:     by_value
      - .offset:         60
        .size:           1
        .value_kind:     by_value
      - .offset:         64
        .size:           8
        .value_kind:     by_value
      - .address_space:  global
        .offset:         72
        .size:           8
        .value_kind:     global_buffer
      - .address_space:  global
        .offset:         80
        .size:           8
        .value_kind:     global_buffer
      - .address_space:  global
        .offset:         88
        .size:           8
        .value_kind:     global_buffer
    .group_segment_fixed_size: 0
    .kernarg_segment_align: 8
    .kernarg_segment_size: 96
    .language:       OpenCL C
    .language_version:
      - 2
      - 0
    .max_flat_workgroup_size: 256
    .name:           _ZN4vllm3moe22topkGatingSoftplusSqrtILi8ELi64ELi4ELi16ELi64ELb1Ei6__halfEEvPKT6_PKbPfiPT5_PiiiibdPKfPKS9_SF_
    .private_segment_fixed_size: 48
    .sgpr_count:     40
    .sgpr_spill_count: 0
    .symbol:         _ZN4vllm3moe22topkGatingSoftplusSqrtILi8ELi64ELi4ELi16ELi64ELb1Ei6__halfEEvPKT6_PKbPfiPT5_PiiiibdPKfPKS9_SF_.kd
    .uniform_work_group_size: 1
    .uses_dynamic_stack: false
    .vgpr_count:     29
    .vgpr_spill_count: 0
    .wavefront_size: 64
  - .agpr_count:     0
    .args:
      - .address_space:  global
        .offset:         0
        .size:           8
        .value_kind:     global_buffer
      - .address_space:  global
        .offset:         8
        .size:           8
        .value_kind:     global_buffer
      - .address_space:  global
        .offset:         16
        .size:           8
        .value_kind:     global_buffer
      - .offset:         24
        .size:           4
        .value_kind:     by_value
      - .address_space:  global
        .offset:         32
        .size:           8
        .value_kind:     global_buffer
      - .address_space:  global
        .offset:         40
        .size:           8
        .value_kind:     global_buffer
      - .offset:         48
        .size:           4
        .value_kind:     by_value
      - .offset:         52
        .size:           4
        .value_kind:     by_value
      - .offset:         56
        .size:           4
        .value_kind:     by_value
      - .offset:         60
        .size:           1
        .value_kind:     by_value
      - .offset:         64
        .size:           8
        .value_kind:     by_value
      - .address_space:  global
        .offset:         72
        .size:           8
        .value_kind:     global_buffer
      - .address_space:  global
        .offset:         80
        .size:           8
        .value_kind:     global_buffer
      - .address_space:  global
        .offset:         88
        .size:           8
        .value_kind:     global_buffer
    .group_segment_fixed_size: 0
    .kernarg_segment_align: 8
    .kernarg_segment_size: 96
    .language:       OpenCL C
    .language_version:
      - 2
      - 0
    .max_flat_workgroup_size: 256
    .name:           _ZN4vllm3moe22topkGatingSoftplusSqrtILi8ELi64ELi4ELi16ELi64ELb0Ei6__halfEEvPKT6_PKbPfiPT5_PiiiibdPKfPKS9_SF_
    .private_segment_fixed_size: 0
    .sgpr_count:     49
    .sgpr_spill_count: 0
    .symbol:         _ZN4vllm3moe22topkGatingSoftplusSqrtILi8ELi64ELi4ELi16ELi64ELb0Ei6__halfEEvPKT6_PKbPfiPT5_PiiiibdPKfPKS9_SF_.kd
    .uniform_work_group_size: 1
    .uses_dynamic_stack: false
    .vgpr_count:     26
    .vgpr_spill_count: 0
    .wavefront_size: 64
  - .agpr_count:     0
    .args:
      - .address_space:  global
        .offset:         0
        .size:           8
        .value_kind:     global_buffer
      - .address_space:  global
        .offset:         8
        .size:           8
        .value_kind:     global_buffer
      - .address_space:  global
        .offset:         16
        .size:           8
        .value_kind:     global_buffer
      - .offset:         24
        .size:           4
        .value_kind:     by_value
      - .address_space:  global
        .offset:         32
        .size:           8
        .value_kind:     global_buffer
      - .address_space:  global
        .offset:         40
        .size:           8
        .value_kind:     global_buffer
      - .offset:         48
        .size:           4
        .value_kind:     by_value
      - .offset:         52
        .size:           4
        .value_kind:     by_value
      - .offset:         56
        .size:           4
        .value_kind:     by_value
      - .offset:         60
        .size:           1
        .value_kind:     by_value
      - .offset:         64
        .size:           8
        .value_kind:     by_value
      - .address_space:  global
        .offset:         72
        .size:           8
        .value_kind:     global_buffer
      - .address_space:  global
        .offset:         80
        .size:           8
        .value_kind:     global_buffer
      - .address_space:  global
        .offset:         88
        .size:           8
        .value_kind:     global_buffer
    .group_segment_fixed_size: 0
    .kernarg_segment_align: 8
    .kernarg_segment_size: 96
    .language:       OpenCL C
    .language_version:
      - 2
      - 0
    .max_flat_workgroup_size: 128
    .name:           _ZN4vllm3moe22topkGatingSoftplusSqrtILi8ELi64ELi4ELi16ELi32ELb1Ei6__halfEEvPKT6_PKbPfiPT5_PiiiibdPKfPKS9_SF_
    .private_segment_fixed_size: 48
    .sgpr_count:     40
    .sgpr_spill_count: 0
    .symbol:         _ZN4vllm3moe22topkGatingSoftplusSqrtILi8ELi64ELi4ELi16ELi32ELb1Ei6__halfEEvPKT6_PKbPfiPT5_PiiiibdPKfPKS9_SF_.kd
    .uniform_work_group_size: 1
    .uses_dynamic_stack: false
    .vgpr_count:     29
    .vgpr_spill_count: 0
    .wavefront_size: 64
  - .agpr_count:     0
    .args:
      - .address_space:  global
        .offset:         0
        .size:           8
        .value_kind:     global_buffer
      - .address_space:  global
        .offset:         8
        .size:           8
        .value_kind:     global_buffer
      - .address_space:  global
        .offset:         16
        .size:           8
        .value_kind:     global_buffer
      - .offset:         24
        .size:           4
        .value_kind:     by_value
      - .address_space:  global
        .offset:         32
        .size:           8
        .value_kind:     global_buffer
      - .address_space:  global
        .offset:         40
        .size:           8
        .value_kind:     global_buffer
      - .offset:         48
        .size:           4
        .value_kind:     by_value
      - .offset:         52
        .size:           4
        .value_kind:     by_value
      - .offset:         56
        .size:           4
        .value_kind:     by_value
      - .offset:         60
        .size:           1
        .value_kind:     by_value
      - .offset:         64
        .size:           8
        .value_kind:     by_value
      - .address_space:  global
        .offset:         72
        .size:           8
        .value_kind:     global_buffer
      - .address_space:  global
        .offset:         80
        .size:           8
        .value_kind:     global_buffer
      - .address_space:  global
        .offset:         88
        .size:           8
        .value_kind:     global_buffer
    .group_segment_fixed_size: 0
    .kernarg_segment_align: 8
    .kernarg_segment_size: 96
    .language:       OpenCL C
    .language_version:
      - 2
      - 0
    .max_flat_workgroup_size: 128
    .name:           _ZN4vllm3moe22topkGatingSoftplusSqrtILi8ELi64ELi4ELi16ELi32ELb0Ei6__halfEEvPKT6_PKbPfiPT5_PiiiibdPKfPKS9_SF_
    .private_segment_fixed_size: 0
    .sgpr_count:     49
    .sgpr_spill_count: 0
    .symbol:         _ZN4vllm3moe22topkGatingSoftplusSqrtILi8ELi64ELi4ELi16ELi32ELb0Ei6__halfEEvPKT6_PKbPfiPT5_PiiiibdPKfPKS9_SF_.kd
    .uniform_work_group_size: 1
    .uses_dynamic_stack: false
    .vgpr_count:     26
    .vgpr_spill_count: 0
    .wavefront_size: 64
  - .agpr_count:     0
    .args:
      - .address_space:  global
        .offset:         0
        .size:           8
        .value_kind:     global_buffer
      - .address_space:  global
        .offset:         8
        .size:           8
        .value_kind:     global_buffer
      - .address_space:  global
        .offset:         16
        .size:           8
        .value_kind:     global_buffer
      - .offset:         24
        .size:           4
        .value_kind:     by_value
      - .address_space:  global
        .offset:         32
        .size:           8
        .value_kind:     global_buffer
      - .address_space:  global
        .offset:         40
        .size:           8
        .value_kind:     global_buffer
      - .offset:         48
        .size:           4
        .value_kind:     by_value
      - .offset:         52
        .size:           4
        .value_kind:     by_value
      - .offset:         56
        .size:           4
        .value_kind:     by_value
      - .offset:         60
        .size:           1
        .value_kind:     by_value
      - .offset:         64
        .size:           8
        .value_kind:     by_value
      - .address_space:  global
        .offset:         72
        .size:           8
        .value_kind:     global_buffer
      - .address_space:  global
        .offset:         80
        .size:           8
        .value_kind:     global_buffer
      - .address_space:  global
        .offset:         88
        .size:           8
        .value_kind:     global_buffer
    .group_segment_fixed_size: 0
    .kernarg_segment_align: 8
    .kernarg_segment_size: 96
    .language:       OpenCL C
    .language_version:
      - 2
      - 0
    .max_flat_workgroup_size: 256
    .name:           _ZN4vllm3moe22topkGatingSoftplusSqrtILi8ELi128ELi4ELi16ELi64ELb1Ei6__halfEEvPKT6_PKbPfiPT5_PiiiibdPKfPKS9_SF_
    .private_segment_fixed_size: 48
    .sgpr_count:     40
    .sgpr_spill_count: 0
    .symbol:         _ZN4vllm3moe22topkGatingSoftplusSqrtILi8ELi128ELi4ELi16ELi64ELb1Ei6__halfEEvPKT6_PKbPfiPT5_PiiiibdPKfPKS9_SF_.kd
    .uniform_work_group_size: 1
    .uses_dynamic_stack: false
    .vgpr_count:     29
    .vgpr_spill_count: 0
    .wavefront_size: 64
  - .agpr_count:     0
    .args:
      - .address_space:  global
        .offset:         0
        .size:           8
        .value_kind:     global_buffer
      - .address_space:  global
        .offset:         8
        .size:           8
        .value_kind:     global_buffer
      - .address_space:  global
        .offset:         16
        .size:           8
        .value_kind:     global_buffer
      - .offset:         24
        .size:           4
        .value_kind:     by_value
      - .address_space:  global
        .offset:         32
        .size:           8
        .value_kind:     global_buffer
      - .address_space:  global
        .offset:         40
        .size:           8
        .value_kind:     global_buffer
      - .offset:         48
        .size:           4
        .value_kind:     by_value
      - .offset:         52
        .size:           4
        .value_kind:     by_value
      - .offset:         56
        .size:           4
        .value_kind:     by_value
      - .offset:         60
        .size:           1
        .value_kind:     by_value
      - .offset:         64
        .size:           8
        .value_kind:     by_value
      - .address_space:  global
        .offset:         72
        .size:           8
        .value_kind:     global_buffer
      - .address_space:  global
        .offset:         80
        .size:           8
        .value_kind:     global_buffer
      - .address_space:  global
        .offset:         88
        .size:           8
        .value_kind:     global_buffer
    .group_segment_fixed_size: 0
    .kernarg_segment_align: 8
    .kernarg_segment_size: 96
    .language:       OpenCL C
    .language_version:
      - 2
      - 0
    .max_flat_workgroup_size: 256
    .name:           _ZN4vllm3moe22topkGatingSoftplusSqrtILi8ELi128ELi4ELi16ELi64ELb0Ei6__halfEEvPKT6_PKbPfiPT5_PiiiibdPKfPKS9_SF_
    .private_segment_fixed_size: 0
    .sgpr_count:     49
    .sgpr_spill_count: 0
    .symbol:         _ZN4vllm3moe22topkGatingSoftplusSqrtILi8ELi128ELi4ELi16ELi64ELb0Ei6__halfEEvPKT6_PKbPfiPT5_PiiiibdPKfPKS9_SF_.kd
    .uniform_work_group_size: 1
    .uses_dynamic_stack: false
    .vgpr_count:     28
    .vgpr_spill_count: 0
    .wavefront_size: 64
  - .agpr_count:     0
    .args:
      - .address_space:  global
        .offset:         0
        .size:           8
        .value_kind:     global_buffer
      - .address_space:  global
        .offset:         8
        .size:           8
        .value_kind:     global_buffer
      - .address_space:  global
        .offset:         16
        .size:           8
        .value_kind:     global_buffer
      - .offset:         24
        .size:           4
        .value_kind:     by_value
      - .address_space:  global
        .offset:         32
        .size:           8
        .value_kind:     global_buffer
      - .address_space:  global
        .offset:         40
        .size:           8
        .value_kind:     global_buffer
      - .offset:         48
        .size:           4
        .value_kind:     by_value
      - .offset:         52
        .size:           4
        .value_kind:     by_value
      - .offset:         56
        .size:           4
        .value_kind:     by_value
      - .offset:         60
        .size:           1
        .value_kind:     by_value
      - .offset:         64
        .size:           8
        .value_kind:     by_value
      - .address_space:  global
        .offset:         72
        .size:           8
        .value_kind:     global_buffer
      - .address_space:  global
        .offset:         80
        .size:           8
        .value_kind:     global_buffer
      - .address_space:  global
        .offset:         88
        .size:           8
        .value_kind:     global_buffer
    .group_segment_fixed_size: 0
    .kernarg_segment_align: 8
    .kernarg_segment_size: 96
    .language:       OpenCL C
    .language_version:
      - 2
      - 0
    .max_flat_workgroup_size: 128
    .name:           _ZN4vllm3moe22topkGatingSoftplusSqrtILi8ELi128ELi4ELi16ELi32ELb1Ei6__halfEEvPKT6_PKbPfiPT5_PiiiibdPKfPKS9_SF_
    .private_segment_fixed_size: 48
    .sgpr_count:     40
    .sgpr_spill_count: 0
    .symbol:         _ZN4vllm3moe22topkGatingSoftplusSqrtILi8ELi128ELi4ELi16ELi32ELb1Ei6__halfEEvPKT6_PKbPfiPT5_PiiiibdPKfPKS9_SF_.kd
    .uniform_work_group_size: 1
    .uses_dynamic_stack: false
    .vgpr_count:     29
    .vgpr_spill_count: 0
    .wavefront_size: 64
  - .agpr_count:     0
    .args:
      - .address_space:  global
        .offset:         0
        .size:           8
        .value_kind:     global_buffer
      - .address_space:  global
        .offset:         8
        .size:           8
        .value_kind:     global_buffer
      - .address_space:  global
        .offset:         16
        .size:           8
        .value_kind:     global_buffer
      - .offset:         24
        .size:           4
        .value_kind:     by_value
      - .address_space:  global
        .offset:         32
        .size:           8
        .value_kind:     global_buffer
      - .address_space:  global
        .offset:         40
        .size:           8
        .value_kind:     global_buffer
      - .offset:         48
        .size:           4
        .value_kind:     by_value
      - .offset:         52
        .size:           4
        .value_kind:     by_value
      - .offset:         56
        .size:           4
        .value_kind:     by_value
      - .offset:         60
        .size:           1
        .value_kind:     by_value
      - .offset:         64
        .size:           8
        .value_kind:     by_value
      - .address_space:  global
        .offset:         72
        .size:           8
        .value_kind:     global_buffer
      - .address_space:  global
        .offset:         80
        .size:           8
        .value_kind:     global_buffer
      - .address_space:  global
        .offset:         88
        .size:           8
        .value_kind:     global_buffer
    .group_segment_fixed_size: 0
    .kernarg_segment_align: 8
    .kernarg_segment_size: 96
    .language:       OpenCL C
    .language_version:
      - 2
      - 0
    .max_flat_workgroup_size: 128
    .name:           _ZN4vllm3moe22topkGatingSoftplusSqrtILi8ELi128ELi4ELi16ELi32ELb0Ei6__halfEEvPKT6_PKbPfiPT5_PiiiibdPKfPKS9_SF_
    .private_segment_fixed_size: 0
    .sgpr_count:     49
    .sgpr_spill_count: 0
    .symbol:         _ZN4vllm3moe22topkGatingSoftplusSqrtILi8ELi128ELi4ELi16ELi32ELb0Ei6__halfEEvPKT6_PKbPfiPT5_PiiiibdPKfPKS9_SF_.kd
    .uniform_work_group_size: 1
    .uses_dynamic_stack: false
    .vgpr_count:     28
    .vgpr_spill_count: 0
    .wavefront_size: 64
  - .agpr_count:     0
    .args:
      - .address_space:  global
        .offset:         0
        .size:           8
        .value_kind:     global_buffer
      - .address_space:  global
        .offset:         8
        .size:           8
        .value_kind:     global_buffer
      - .address_space:  global
        .offset:         16
        .size:           8
        .value_kind:     global_buffer
      - .offset:         24
        .size:           4
        .value_kind:     by_value
      - .address_space:  global
        .offset:         32
        .size:           8
        .value_kind:     global_buffer
      - .address_space:  global
        .offset:         40
        .size:           8
        .value_kind:     global_buffer
      - .offset:         48
        .size:           4
        .value_kind:     by_value
      - .offset:         52
        .size:           4
        .value_kind:     by_value
      - .offset:         56
        .size:           4
        .value_kind:     by_value
      - .offset:         60
        .size:           1
        .value_kind:     by_value
      - .offset:         64
        .size:           8
        .value_kind:     by_value
      - .address_space:  global
        .offset:         72
        .size:           8
        .value_kind:     global_buffer
      - .address_space:  global
        .offset:         80
        .size:           8
        .value_kind:     global_buffer
      - .address_space:  global
        .offset:         88
        .size:           8
        .value_kind:     global_buffer
    .group_segment_fixed_size: 0
    .kernarg_segment_align: 8
    .kernarg_segment_size: 96
    .language:       OpenCL C
    .language_version:
      - 2
      - 0
    .max_flat_workgroup_size: 256
    .name:           _ZN4vllm3moe22topkGatingSoftplusSqrtILi8ELi256ELi4ELi16ELi64ELb1Ei6__halfEEvPKT6_PKbPfiPT5_PiiiibdPKfPKS9_SF_
    .private_segment_fixed_size: 48
    .sgpr_count:     40
    .sgpr_spill_count: 0
    .symbol:         _ZN4vllm3moe22topkGatingSoftplusSqrtILi8ELi256ELi4ELi16ELi64ELb1Ei6__halfEEvPKT6_PKbPfiPT5_PiiiibdPKfPKS9_SF_.kd
    .uniform_work_group_size: 1
    .uses_dynamic_stack: false
    .vgpr_count:     29
    .vgpr_spill_count: 0
    .wavefront_size: 64
  - .agpr_count:     0
    .args:
      - .address_space:  global
        .offset:         0
        .size:           8
        .value_kind:     global_buffer
      - .address_space:  global
        .offset:         8
        .size:           8
        .value_kind:     global_buffer
      - .address_space:  global
        .offset:         16
        .size:           8
        .value_kind:     global_buffer
      - .offset:         24
        .size:           4
        .value_kind:     by_value
      - .address_space:  global
        .offset:         32
        .size:           8
        .value_kind:     global_buffer
      - .address_space:  global
        .offset:         40
        .size:           8
        .value_kind:     global_buffer
      - .offset:         48
        .size:           4
        .value_kind:     by_value
      - .offset:         52
        .size:           4
        .value_kind:     by_value
      - .offset:         56
        .size:           4
        .value_kind:     by_value
      - .offset:         60
        .size:           1
        .value_kind:     by_value
      - .offset:         64
        .size:           8
        .value_kind:     by_value
      - .address_space:  global
        .offset:         72
        .size:           8
        .value_kind:     global_buffer
      - .address_space:  global
        .offset:         80
        .size:           8
        .value_kind:     global_buffer
      - .address_space:  global
        .offset:         88
        .size:           8
        .value_kind:     global_buffer
    .group_segment_fixed_size: 0
    .kernarg_segment_align: 8
    .kernarg_segment_size: 96
    .language:       OpenCL C
    .language_version:
      - 2
      - 0
    .max_flat_workgroup_size: 256
    .name:           _ZN4vllm3moe22topkGatingSoftplusSqrtILi8ELi256ELi4ELi16ELi64ELb0Ei6__halfEEvPKT6_PKbPfiPT5_PiiiibdPKfPKS9_SF_
    .private_segment_fixed_size: 0
    .sgpr_count:     49
    .sgpr_spill_count: 0
    .symbol:         _ZN4vllm3moe22topkGatingSoftplusSqrtILi8ELi256ELi4ELi16ELi64ELb0Ei6__halfEEvPKT6_PKbPfiPT5_PiiiibdPKfPKS9_SF_.kd
    .uniform_work_group_size: 1
    .uses_dynamic_stack: false
    .vgpr_count:     28
    .vgpr_spill_count: 0
    .wavefront_size: 64
  - .agpr_count:     0
    .args:
      - .address_space:  global
        .offset:         0
        .size:           8
        .value_kind:     global_buffer
      - .address_space:  global
        .offset:         8
        .size:           8
        .value_kind:     global_buffer
      - .address_space:  global
        .offset:         16
        .size:           8
        .value_kind:     global_buffer
      - .offset:         24
        .size:           4
        .value_kind:     by_value
      - .address_space:  global
        .offset:         32
        .size:           8
        .value_kind:     global_buffer
      - .address_space:  global
        .offset:         40
        .size:           8
        .value_kind:     global_buffer
      - .offset:         48
        .size:           4
        .value_kind:     by_value
      - .offset:         52
        .size:           4
        .value_kind:     by_value
      - .offset:         56
        .size:           4
        .value_kind:     by_value
      - .offset:         60
        .size:           1
        .value_kind:     by_value
      - .offset:         64
        .size:           8
        .value_kind:     by_value
      - .address_space:  global
        .offset:         72
        .size:           8
        .value_kind:     global_buffer
      - .address_space:  global
        .offset:         80
        .size:           8
        .value_kind:     global_buffer
      - .address_space:  global
        .offset:         88
        .size:           8
        .value_kind:     global_buffer
    .group_segment_fixed_size: 0
    .kernarg_segment_align: 8
    .kernarg_segment_size: 96
    .language:       OpenCL C
    .language_version:
      - 2
      - 0
    .max_flat_workgroup_size: 128
    .name:           _ZN4vllm3moe22topkGatingSoftplusSqrtILi8ELi256ELi4ELi16ELi32ELb1Ei6__halfEEvPKT6_PKbPfiPT5_PiiiibdPKfPKS9_SF_
    .private_segment_fixed_size: 48
    .sgpr_count:     40
    .sgpr_spill_count: 0
    .symbol:         _ZN4vllm3moe22topkGatingSoftplusSqrtILi8ELi256ELi4ELi16ELi32ELb1Ei6__halfEEvPKT6_PKbPfiPT5_PiiiibdPKfPKS9_SF_.kd
    .uniform_work_group_size: 1
    .uses_dynamic_stack: false
    .vgpr_count:     29
    .vgpr_spill_count: 0
    .wavefront_size: 64
  - .agpr_count:     0
    .args:
      - .address_space:  global
        .offset:         0
        .size:           8
        .value_kind:     global_buffer
      - .address_space:  global
        .offset:         8
        .size:           8
        .value_kind:     global_buffer
      - .address_space:  global
        .offset:         16
        .size:           8
        .value_kind:     global_buffer
      - .offset:         24
        .size:           4
        .value_kind:     by_value
      - .address_space:  global
        .offset:         32
        .size:           8
        .value_kind:     global_buffer
      - .address_space:  global
        .offset:         40
        .size:           8
        .value_kind:     global_buffer
      - .offset:         48
        .size:           4
        .value_kind:     by_value
      - .offset:         52
        .size:           4
        .value_kind:     by_value
      - .offset:         56
        .size:           4
        .value_kind:     by_value
      - .offset:         60
        .size:           1
        .value_kind:     by_value
      - .offset:         64
        .size:           8
        .value_kind:     by_value
      - .address_space:  global
        .offset:         72
        .size:           8
        .value_kind:     global_buffer
      - .address_space:  global
        .offset:         80
        .size:           8
        .value_kind:     global_buffer
      - .address_space:  global
        .offset:         88
        .size:           8
        .value_kind:     global_buffer
    .group_segment_fixed_size: 0
    .kernarg_segment_align: 8
    .kernarg_segment_size: 96
    .language:       OpenCL C
    .language_version:
      - 2
      - 0
    .max_flat_workgroup_size: 128
    .name:           _ZN4vllm3moe22topkGatingSoftplusSqrtILi8ELi256ELi4ELi16ELi32ELb0Ei6__halfEEvPKT6_PKbPfiPT5_PiiiibdPKfPKS9_SF_
    .private_segment_fixed_size: 0
    .sgpr_count:     49
    .sgpr_spill_count: 0
    .symbol:         _ZN4vllm3moe22topkGatingSoftplusSqrtILi8ELi256ELi4ELi16ELi32ELb0Ei6__halfEEvPKT6_PKbPfiPT5_PiiiibdPKfPKS9_SF_.kd
    .uniform_work_group_size: 1
    .uses_dynamic_stack: false
    .vgpr_count:     28
    .vgpr_spill_count: 0
    .wavefront_size: 64
  - .agpr_count:     0
    .args:
      - .address_space:  global
        .offset:         0
        .size:           8
        .value_kind:     global_buffer
      - .address_space:  global
        .offset:         8
        .size:           8
        .value_kind:     global_buffer
      - .address_space:  global
        .offset:         16
        .size:           8
        .value_kind:     global_buffer
      - .offset:         24
        .size:           4
        .value_kind:     by_value
      - .address_space:  global
        .offset:         32
        .size:           8
        .value_kind:     global_buffer
      - .address_space:  global
        .offset:         40
        .size:           8
        .value_kind:     global_buffer
      - .offset:         48
        .size:           4
        .value_kind:     by_value
      - .offset:         52
        .size:           4
        .value_kind:     by_value
      - .offset:         56
        .size:           4
        .value_kind:     by_value
      - .offset:         60
        .size:           1
        .value_kind:     by_value
      - .offset:         64
        .size:           8
        .value_kind:     by_value
      - .address_space:  global
        .offset:         72
        .size:           8
        .value_kind:     global_buffer
      - .address_space:  global
        .offset:         80
        .size:           8
        .value_kind:     global_buffer
      - .address_space:  global
        .offset:         88
        .size:           8
        .value_kind:     global_buffer
    .group_segment_fixed_size: 0
    .kernarg_segment_align: 8
    .kernarg_segment_size: 96
    .language:       OpenCL C
    .language_version:
      - 2
      - 0
    .max_flat_workgroup_size: 256
    .name:           _ZN4vllm3moe22topkGatingSoftplusSqrtILi8ELi512ELi4ELi16ELi64ELb1Ei6__halfEEvPKT6_PKbPfiPT5_PiiiibdPKfPKS9_SF_
    .private_segment_fixed_size: 48
    .sgpr_count:     40
    .sgpr_spill_count: 0
    .symbol:         _ZN4vllm3moe22topkGatingSoftplusSqrtILi8ELi512ELi4ELi16ELi64ELb1Ei6__halfEEvPKT6_PKbPfiPT5_PiiiibdPKfPKS9_SF_.kd
    .uniform_work_group_size: 1
    .uses_dynamic_stack: false
    .vgpr_count:     29
    .vgpr_spill_count: 0
    .wavefront_size: 64
  - .agpr_count:     0
    .args:
      - .address_space:  global
        .offset:         0
        .size:           8
        .value_kind:     global_buffer
      - .address_space:  global
        .offset:         8
        .size:           8
        .value_kind:     global_buffer
      - .address_space:  global
        .offset:         16
        .size:           8
        .value_kind:     global_buffer
      - .offset:         24
        .size:           4
        .value_kind:     by_value
      - .address_space:  global
        .offset:         32
        .size:           8
        .value_kind:     global_buffer
      - .address_space:  global
        .offset:         40
        .size:           8
        .value_kind:     global_buffer
      - .offset:         48
        .size:           4
        .value_kind:     by_value
      - .offset:         52
        .size:           4
        .value_kind:     by_value
      - .offset:         56
        .size:           4
        .value_kind:     by_value
      - .offset:         60
        .size:           1
        .value_kind:     by_value
      - .offset:         64
        .size:           8
        .value_kind:     by_value
      - .address_space:  global
        .offset:         72
        .size:           8
        .value_kind:     global_buffer
      - .address_space:  global
        .offset:         80
        .size:           8
        .value_kind:     global_buffer
      - .address_space:  global
        .offset:         88
        .size:           8
        .value_kind:     global_buffer
    .group_segment_fixed_size: 0
    .kernarg_segment_align: 8
    .kernarg_segment_size: 96
    .language:       OpenCL C
    .language_version:
      - 2
      - 0
    .max_flat_workgroup_size: 256
    .name:           _ZN4vllm3moe22topkGatingSoftplusSqrtILi8ELi512ELi4ELi16ELi64ELb0Ei6__halfEEvPKT6_PKbPfiPT5_PiiiibdPKfPKS9_SF_
    .private_segment_fixed_size: 0
    .sgpr_count:     49
    .sgpr_spill_count: 0
    .symbol:         _ZN4vllm3moe22topkGatingSoftplusSqrtILi8ELi512ELi4ELi16ELi64ELb0Ei6__halfEEvPKT6_PKbPfiPT5_PiiiibdPKfPKS9_SF_.kd
    .uniform_work_group_size: 1
    .uses_dynamic_stack: false
    .vgpr_count:     30
    .vgpr_spill_count: 0
    .wavefront_size: 64
  - .agpr_count:     0
    .args:
      - .address_space:  global
        .offset:         0
        .size:           8
        .value_kind:     global_buffer
      - .address_space:  global
        .offset:         8
        .size:           8
        .value_kind:     global_buffer
      - .address_space:  global
        .offset:         16
        .size:           8
        .value_kind:     global_buffer
      - .offset:         24
        .size:           4
        .value_kind:     by_value
      - .address_space:  global
        .offset:         32
        .size:           8
        .value_kind:     global_buffer
      - .address_space:  global
        .offset:         40
        .size:           8
        .value_kind:     global_buffer
      - .offset:         48
        .size:           4
        .value_kind:     by_value
      - .offset:         52
        .size:           4
        .value_kind:     by_value
      - .offset:         56
        .size:           4
        .value_kind:     by_value
      - .offset:         60
        .size:           1
        .value_kind:     by_value
      - .offset:         64
        .size:           8
        .value_kind:     by_value
      - .address_space:  global
        .offset:         72
        .size:           8
        .value_kind:     global_buffer
      - .address_space:  global
        .offset:         80
        .size:           8
        .value_kind:     global_buffer
      - .address_space:  global
        .offset:         88
        .size:           8
        .value_kind:     global_buffer
    .group_segment_fixed_size: 0
    .kernarg_segment_align: 8
    .kernarg_segment_size: 96
    .language:       OpenCL C
    .language_version:
      - 2
      - 0
    .max_flat_workgroup_size: 128
    .name:           _ZN4vllm3moe22topkGatingSoftplusSqrtILi16ELi512ELi4ELi16ELi32ELb1Ei6__halfEEvPKT6_PKbPfiPT5_PiiiibdPKfPKS9_SF_
    .private_segment_fixed_size: 80
    .sgpr_count:     70
    .sgpr_spill_count: 0
    .symbol:         _ZN4vllm3moe22topkGatingSoftplusSqrtILi16ELi512ELi4ELi16ELi32ELb1Ei6__halfEEvPKT6_PKbPfiPT5_PiiiibdPKfPKS9_SF_.kd
    .uniform_work_group_size: 1
    .uses_dynamic_stack: false
    .vgpr_count:     39
    .vgpr_spill_count: 0
    .wavefront_size: 64
  - .agpr_count:     0
    .args:
      - .address_space:  global
        .offset:         0
        .size:           8
        .value_kind:     global_buffer
      - .address_space:  global
        .offset:         8
        .size:           8
        .value_kind:     global_buffer
      - .address_space:  global
        .offset:         16
        .size:           8
        .value_kind:     global_buffer
      - .offset:         24
        .size:           4
        .value_kind:     by_value
      - .address_space:  global
        .offset:         32
        .size:           8
        .value_kind:     global_buffer
      - .address_space:  global
        .offset:         40
        .size:           8
        .value_kind:     global_buffer
      - .offset:         48
        .size:           4
        .value_kind:     by_value
      - .offset:         52
        .size:           4
        .value_kind:     by_value
      - .offset:         56
        .size:           4
        .value_kind:     by_value
      - .offset:         60
        .size:           1
        .value_kind:     by_value
      - .offset:         64
        .size:           8
        .value_kind:     by_value
      - .address_space:  global
        .offset:         72
        .size:           8
        .value_kind:     global_buffer
      - .address_space:  global
        .offset:         80
        .size:           8
        .value_kind:     global_buffer
      - .address_space:  global
        .offset:         88
        .size:           8
        .value_kind:     global_buffer
    .group_segment_fixed_size: 0
    .kernarg_segment_align: 8
    .kernarg_segment_size: 96
    .language:       OpenCL C
    .language_version:
      - 2
      - 0
    .max_flat_workgroup_size: 128
    .name:           _ZN4vllm3moe22topkGatingSoftplusSqrtILi16ELi512ELi4ELi16ELi32ELb0Ei6__halfEEvPKT6_PKbPfiPT5_PiiiibdPKfPKS9_SF_
    .private_segment_fixed_size: 0
    .sgpr_count:     65
    .sgpr_spill_count: 0
    .symbol:         _ZN4vllm3moe22topkGatingSoftplusSqrtILi16ELi512ELi4ELi16ELi32ELb0Ei6__halfEEvPKT6_PKbPfiPT5_PiiiibdPKfPKS9_SF_.kd
    .uniform_work_group_size: 1
    .uses_dynamic_stack: false
    .vgpr_count:     44
    .vgpr_spill_count: 0
    .wavefront_size: 64
  - .agpr_count:     0
    .args:
      - .address_space:  global
        .offset:         0
        .size:           8
        .value_kind:     global_buffer
      - .address_space:  global
        .offset:         8
        .size:           8
        .value_kind:     global_buffer
      - .address_space:  global
        .offset:         16
        .size:           8
        .value_kind:     global_buffer
      - .offset:         24
        .size:           4
        .value_kind:     by_value
      - .address_space:  global
        .offset:         32
        .size:           8
        .value_kind:     global_buffer
      - .address_space:  global
        .offset:         40
        .size:           8
        .value_kind:     global_buffer
      - .offset:         48
        .size:           4
        .value_kind:     by_value
      - .offset:         52
        .size:           4
        .value_kind:     by_value
      - .offset:         56
        .size:           4
        .value_kind:     by_value
      - .offset:         60
        .size:           1
        .value_kind:     by_value
      - .offset:         64
        .size:           8
        .value_kind:     by_value
      - .address_space:  global
        .offset:         72
        .size:           8
        .value_kind:     global_buffer
      - .address_space:  global
        .offset:         80
        .size:           8
        .value_kind:     global_buffer
      - .address_space:  global
        .offset:         88
        .size:           8
        .value_kind:     global_buffer
    .group_segment_fixed_size: 0
    .kernarg_segment_align: 8
    .kernarg_segment_size: 96
    .language:       OpenCL C
    .language_version:
      - 2
      - 0
    .max_flat_workgroup_size: 256
    .name:           _ZN4vllm3moe22topkGatingSoftplusSqrtILi3ELi192ELi4ELi2ELi64ELb1Ei6__halfEEvPKT6_PKbPfiPT5_PiiiibdPKfPKS9_SF_
    .private_segment_fixed_size: 0
    .sgpr_count:     27
    .sgpr_spill_count: 0
    .symbol:         _ZN4vllm3moe22topkGatingSoftplusSqrtILi3ELi192ELi4ELi2ELi64ELb1Ei6__halfEEvPKT6_PKbPfiPT5_PiiiibdPKfPKS9_SF_.kd
    .uniform_work_group_size: 1
    .uses_dynamic_stack: false
    .vgpr_count:     22
    .vgpr_spill_count: 0
    .wavefront_size: 64
  - .agpr_count:     0
    .args:
      - .address_space:  global
        .offset:         0
        .size:           8
        .value_kind:     global_buffer
      - .address_space:  global
        .offset:         8
        .size:           8
        .value_kind:     global_buffer
      - .address_space:  global
        .offset:         16
        .size:           8
        .value_kind:     global_buffer
      - .offset:         24
        .size:           4
        .value_kind:     by_value
      - .address_space:  global
        .offset:         32
        .size:           8
        .value_kind:     global_buffer
      - .address_space:  global
        .offset:         40
        .size:           8
        .value_kind:     global_buffer
      - .offset:         48
        .size:           4
        .value_kind:     by_value
      - .offset:         52
        .size:           4
        .value_kind:     by_value
      - .offset:         56
        .size:           4
        .value_kind:     by_value
      - .offset:         60
        .size:           1
        .value_kind:     by_value
      - .offset:         64
        .size:           8
        .value_kind:     by_value
      - .address_space:  global
        .offset:         72
        .size:           8
        .value_kind:     global_buffer
      - .address_space:  global
        .offset:         80
        .size:           8
        .value_kind:     global_buffer
      - .address_space:  global
        .offset:         88
        .size:           8
        .value_kind:     global_buffer
    .group_segment_fixed_size: 0
    .kernarg_segment_align: 8
    .kernarg_segment_size: 96
    .language:       OpenCL C
    .language_version:
      - 2
      - 0
    .max_flat_workgroup_size: 256
    .name:           _ZN4vllm3moe22topkGatingSoftplusSqrtILi3ELi192ELi4ELi2ELi64ELb0Ei6__halfEEvPKT6_PKbPfiPT5_PiiiibdPKfPKS9_SF_
    .private_segment_fixed_size: 0
    .sgpr_count:     37
    .sgpr_spill_count: 0
    .symbol:         _ZN4vllm3moe22topkGatingSoftplusSqrtILi3ELi192ELi4ELi2ELi64ELb0Ei6__halfEEvPKT6_PKbPfiPT5_PiiiibdPKfPKS9_SF_.kd
    .uniform_work_group_size: 1
    .uses_dynamic_stack: false
    .vgpr_count:     26
    .vgpr_spill_count: 0
    .wavefront_size: 64
  - .agpr_count:     0
    .args:
      - .address_space:  global
        .offset:         0
        .size:           8
        .value_kind:     global_buffer
      - .address_space:  global
        .offset:         8
        .size:           8
        .value_kind:     global_buffer
      - .address_space:  global
        .offset:         16
        .size:           8
        .value_kind:     global_buffer
      - .offset:         24
        .size:           4
        .value_kind:     by_value
      - .address_space:  global
        .offset:         32
        .size:           8
        .value_kind:     global_buffer
      - .address_space:  global
        .offset:         40
        .size:           8
        .value_kind:     global_buffer
      - .offset:         48
        .size:           4
        .value_kind:     by_value
      - .offset:         52
        .size:           4
        .value_kind:     by_value
      - .offset:         56
        .size:           4
        .value_kind:     by_value
      - .offset:         60
        .size:           1
        .value_kind:     by_value
      - .offset:         64
        .size:           8
        .value_kind:     by_value
      - .address_space:  global
        .offset:         72
        .size:           8
        .value_kind:     global_buffer
      - .address_space:  global
        .offset:         80
        .size:           8
        .value_kind:     global_buffer
      - .address_space:  global
        .offset:         88
        .size:           8
        .value_kind:     global_buffer
    .group_segment_fixed_size: 0
    .kernarg_segment_align: 8
    .kernarg_segment_size: 96
    .language:       OpenCL C
    .language_version:
      - 2
      - 0
    .max_flat_workgroup_size: 128
    .name:           _ZN4vllm3moe22topkGatingSoftplusSqrtILi6ELi192ELi4ELi2ELi32ELb1Ei6__halfEEvPKT6_PKbPfiPT5_PiiiibdPKfPKS9_SF_
    .private_segment_fixed_size: 0
    .sgpr_count:     31
    .sgpr_spill_count: 0
    .symbol:         _ZN4vllm3moe22topkGatingSoftplusSqrtILi6ELi192ELi4ELi2ELi32ELb1Ei6__halfEEvPKT6_PKbPfiPT5_PiiiibdPKfPKS9_SF_.kd
    .uniform_work_group_size: 1
    .uses_dynamic_stack: false
    .vgpr_count:     29
    .vgpr_spill_count: 0
    .wavefront_size: 64
  - .agpr_count:     0
    .args:
      - .address_space:  global
        .offset:         0
        .size:           8
        .value_kind:     global_buffer
      - .address_space:  global
        .offset:         8
        .size:           8
        .value_kind:     global_buffer
      - .address_space:  global
        .offset:         16
        .size:           8
        .value_kind:     global_buffer
      - .offset:         24
        .size:           4
        .value_kind:     by_value
      - .address_space:  global
        .offset:         32
        .size:           8
        .value_kind:     global_buffer
      - .address_space:  global
        .offset:         40
        .size:           8
        .value_kind:     global_buffer
      - .offset:         48
        .size:           4
        .value_kind:     by_value
      - .offset:         52
        .size:           4
        .value_kind:     by_value
      - .offset:         56
        .size:           4
        .value_kind:     by_value
      - .offset:         60
        .size:           1
        .value_kind:     by_value
      - .offset:         64
        .size:           8
        .value_kind:     by_value
      - .address_space:  global
        .offset:         72
        .size:           8
        .value_kind:     global_buffer
      - .address_space:  global
        .offset:         80
        .size:           8
        .value_kind:     global_buffer
      - .address_space:  global
        .offset:         88
        .size:           8
        .value_kind:     global_buffer
    .group_segment_fixed_size: 0
    .kernarg_segment_align: 8
    .kernarg_segment_size: 96
    .language:       OpenCL C
    .language_version:
      - 2
      - 0
    .max_flat_workgroup_size: 128
    .name:           _ZN4vllm3moe22topkGatingSoftplusSqrtILi6ELi192ELi4ELi2ELi32ELb0Ei6__halfEEvPKT6_PKbPfiPT5_PiiiibdPKfPKS9_SF_
    .private_segment_fixed_size: 0
    .sgpr_count:     38
    .sgpr_spill_count: 0
    .symbol:         _ZN4vllm3moe22topkGatingSoftplusSqrtILi6ELi192ELi4ELi2ELi32ELb0Ei6__halfEEvPKT6_PKbPfiPT5_PiiiibdPKfPKS9_SF_.kd
    .uniform_work_group_size: 1
    .uses_dynamic_stack: false
    .vgpr_count:     30
    .vgpr_spill_count: 0
    .wavefront_size: 64
  - .agpr_count:     0
    .args:
      - .address_space:  global
        .offset:         0
        .size:           8
        .value_kind:     global_buffer
      - .address_space:  global
        .offset:         8
        .size:           8
        .value_kind:     global_buffer
      - .address_space:  global
        .offset:         16
        .size:           8
        .value_kind:     global_buffer
      - .offset:         24
        .size:           4
        .value_kind:     by_value
      - .address_space:  global
        .offset:         32
        .size:           8
        .value_kind:     global_buffer
      - .address_space:  global
        .offset:         40
        .size:           8
        .value_kind:     global_buffer
      - .offset:         48
        .size:           4
        .value_kind:     by_value
      - .offset:         52
        .size:           4
        .value_kind:     by_value
      - .offset:         56
        .size:           4
        .value_kind:     by_value
      - .offset:         60
        .size:           1
        .value_kind:     by_value
      - .offset:         64
        .size:           8
        .value_kind:     by_value
      - .address_space:  global
        .offset:         72
        .size:           8
        .value_kind:     global_buffer
      - .address_space:  global
        .offset:         80
        .size:           8
        .value_kind:     global_buffer
      - .address_space:  global
        .offset:         88
        .size:           8
        .value_kind:     global_buffer
    .group_segment_fixed_size: 0
    .kernarg_segment_align: 8
    .kernarg_segment_size: 96
    .language:       OpenCL C
    .language_version:
      - 2
      - 0
    .max_flat_workgroup_size: 256
    .name:           _ZN4vllm3moe22topkGatingSoftplusSqrtILi5ELi320ELi4ELi2ELi64ELb1Ei6__halfEEvPKT6_PKbPfiPT5_PiiiibdPKfPKS9_SF_
    .private_segment_fixed_size: 0
    .sgpr_count:     27
    .sgpr_spill_count: 0
    .symbol:         _ZN4vllm3moe22topkGatingSoftplusSqrtILi5ELi320ELi4ELi2ELi64ELb1Ei6__halfEEvPKT6_PKbPfiPT5_PiiiibdPKfPKS9_SF_.kd
    .uniform_work_group_size: 1
    .uses_dynamic_stack: false
    .vgpr_count:     27
    .vgpr_spill_count: 0
    .wavefront_size: 64
  - .agpr_count:     0
    .args:
      - .address_space:  global
        .offset:         0
        .size:           8
        .value_kind:     global_buffer
      - .address_space:  global
        .offset:         8
        .size:           8
        .value_kind:     global_buffer
      - .address_space:  global
        .offset:         16
        .size:           8
        .value_kind:     global_buffer
      - .offset:         24
        .size:           4
        .value_kind:     by_value
      - .address_space:  global
        .offset:         32
        .size:           8
        .value_kind:     global_buffer
      - .address_space:  global
        .offset:         40
        .size:           8
        .value_kind:     global_buffer
      - .offset:         48
        .size:           4
        .value_kind:     by_value
      - .offset:         52
        .size:           4
        .value_kind:     by_value
      - .offset:         56
        .size:           4
        .value_kind:     by_value
      - .offset:         60
        .size:           1
        .value_kind:     by_value
      - .offset:         64
        .size:           8
        .value_kind:     by_value
      - .address_space:  global
        .offset:         72
        .size:           8
        .value_kind:     global_buffer
      - .address_space:  global
        .offset:         80
        .size:           8
        .value_kind:     global_buffer
      - .address_space:  global
        .offset:         88
        .size:           8
        .value_kind:     global_buffer
    .group_segment_fixed_size: 0
    .kernarg_segment_align: 8
    .kernarg_segment_size: 96
    .language:       OpenCL C
    .language_version:
      - 2
      - 0
    .max_flat_workgroup_size: 256
    .name:           _ZN4vllm3moe22topkGatingSoftplusSqrtILi5ELi320ELi4ELi2ELi64ELb0Ei6__halfEEvPKT6_PKbPfiPT5_PiiiibdPKfPKS9_SF_
    .private_segment_fixed_size: 0
    .sgpr_count:     37
    .sgpr_spill_count: 0
    .symbol:         _ZN4vllm3moe22topkGatingSoftplusSqrtILi5ELi320ELi4ELi2ELi64ELb0Ei6__halfEEvPKT6_PKbPfiPT5_PiiiibdPKfPKS9_SF_.kd
    .uniform_work_group_size: 1
    .uses_dynamic_stack: false
    .vgpr_count:     30
    .vgpr_spill_count: 0
    .wavefront_size: 64
  - .agpr_count:     0
    .args:
      - .address_space:  global
        .offset:         0
        .size:           8
        .value_kind:     global_buffer
      - .address_space:  global
        .offset:         8
        .size:           8
        .value_kind:     global_buffer
      - .address_space:  global
        .offset:         16
        .size:           8
        .value_kind:     global_buffer
      - .offset:         24
        .size:           4
        .value_kind:     by_value
      - .address_space:  global
        .offset:         32
        .size:           8
        .value_kind:     global_buffer
      - .address_space:  global
        .offset:         40
        .size:           8
        .value_kind:     global_buffer
      - .offset:         48
        .size:           4
        .value_kind:     by_value
      - .offset:         52
        .size:           4
        .value_kind:     by_value
      - .offset:         56
        .size:           4
        .value_kind:     by_value
      - .offset:         60
        .size:           1
        .value_kind:     by_value
      - .offset:         64
        .size:           8
        .value_kind:     by_value
      - .address_space:  global
        .offset:         72
        .size:           8
        .value_kind:     global_buffer
      - .address_space:  global
        .offset:         80
        .size:           8
        .value_kind:     global_buffer
      - .address_space:  global
        .offset:         88
        .size:           8
        .value_kind:     global_buffer
    .group_segment_fixed_size: 0
    .kernarg_segment_align: 8
    .kernarg_segment_size: 96
    .language:       OpenCL C
    .language_version:
      - 2
      - 0
    .max_flat_workgroup_size: 128
    .name:           _ZN4vllm3moe22topkGatingSoftplusSqrtILi10ELi320ELi4ELi2ELi32ELb1Ei6__halfEEvPKT6_PKbPfiPT5_PiiiibdPKfPKS9_SF_
    .private_segment_fixed_size: 0
    .sgpr_count:     48
    .sgpr_spill_count: 0
    .symbol:         _ZN4vllm3moe22topkGatingSoftplusSqrtILi10ELi320ELi4ELi2ELi32ELb1Ei6__halfEEvPKT6_PKbPfiPT5_PiiiibdPKfPKS9_SF_.kd
    .uniform_work_group_size: 1
    .uses_dynamic_stack: false
    .vgpr_count:     37
    .vgpr_spill_count: 0
    .wavefront_size: 64
  - .agpr_count:     0
    .args:
      - .address_space:  global
        .offset:         0
        .size:           8
        .value_kind:     global_buffer
      - .address_space:  global
        .offset:         8
        .size:           8
        .value_kind:     global_buffer
      - .address_space:  global
        .offset:         16
        .size:           8
        .value_kind:     global_buffer
      - .offset:         24
        .size:           4
        .value_kind:     by_value
      - .address_space:  global
        .offset:         32
        .size:           8
        .value_kind:     global_buffer
      - .address_space:  global
        .offset:         40
        .size:           8
        .value_kind:     global_buffer
      - .offset:         48
        .size:           4
        .value_kind:     by_value
      - .offset:         52
        .size:           4
        .value_kind:     by_value
      - .offset:         56
        .size:           4
        .value_kind:     by_value
      - .offset:         60
        .size:           1
        .value_kind:     by_value
      - .offset:         64
        .size:           8
        .value_kind:     by_value
      - .address_space:  global
        .offset:         72
        .size:           8
        .value_kind:     global_buffer
      - .address_space:  global
        .offset:         80
        .size:           8
        .value_kind:     global_buffer
      - .address_space:  global
        .offset:         88
        .size:           8
        .value_kind:     global_buffer
    .group_segment_fixed_size: 0
    .kernarg_segment_align: 8
    .kernarg_segment_size: 96
    .language:       OpenCL C
    .language_version:
      - 2
      - 0
    .max_flat_workgroup_size: 128
    .name:           _ZN4vllm3moe22topkGatingSoftplusSqrtILi10ELi320ELi4ELi2ELi32ELb0Ei6__halfEEvPKT6_PKbPfiPT5_PiiiibdPKfPKS9_SF_
    .private_segment_fixed_size: 0
    .sgpr_count:     38
    .sgpr_spill_count: 0
    .symbol:         _ZN4vllm3moe22topkGatingSoftplusSqrtILi10ELi320ELi4ELi2ELi32ELb0Ei6__halfEEvPKT6_PKbPfiPT5_PiiiibdPKfPKS9_SF_.kd
    .uniform_work_group_size: 1
    .uses_dynamic_stack: false
    .vgpr_count:     38
    .vgpr_spill_count: 0
    .wavefront_size: 64
  - .agpr_count:     0
    .args:
      - .address_space:  global
        .offset:         0
        .size:           8
        .value_kind:     global_buffer
      - .address_space:  global
        .offset:         8
        .size:           8
        .value_kind:     global_buffer
      - .address_space:  global
        .offset:         16
        .size:           8
        .value_kind:     global_buffer
      - .offset:         24
        .size:           4
        .value_kind:     by_value
      - .address_space:  global
        .offset:         32
        .size:           8
        .value_kind:     global_buffer
      - .address_space:  global
        .offset:         40
        .size:           8
        .value_kind:     global_buffer
      - .offset:         48
        .size:           4
        .value_kind:     by_value
      - .offset:         52
        .size:           4
        .value_kind:     by_value
      - .offset:         56
        .size:           4
        .value_kind:     by_value
      - .offset:         60
        .size:           1
        .value_kind:     by_value
      - .offset:         64
        .size:           8
        .value_kind:     by_value
      - .address_space:  global
        .offset:         72
        .size:           8
        .value_kind:     global_buffer
      - .address_space:  global
        .offset:         80
        .size:           8
        .value_kind:     global_buffer
      - .address_space:  global
        .offset:         88
        .size:           8
        .value_kind:     global_buffer
    .group_segment_fixed_size: 0
    .kernarg_segment_align: 8
    .kernarg_segment_size: 96
    .language:       OpenCL C
    .language_version:
      - 2
      - 0
    .max_flat_workgroup_size: 256
    .name:           _ZN4vllm3moe22topkGatingSoftplusSqrtILi6ELi384ELi4ELi4ELi64ELb1Ei6__halfEEvPKT6_PKbPfiPT5_PiiiibdPKfPKS9_SF_
    .private_segment_fixed_size: 32
    .sgpr_count:     31
    .sgpr_spill_count: 0
    .symbol:         _ZN4vllm3moe22topkGatingSoftplusSqrtILi6ELi384ELi4ELi4ELi64ELb1Ei6__halfEEvPKT6_PKbPfiPT5_PiiiibdPKfPKS9_SF_.kd
    .uniform_work_group_size: 1
    .uses_dynamic_stack: false
    .vgpr_count:     27
    .vgpr_spill_count: 0
    .wavefront_size: 64
  - .agpr_count:     0
    .args:
      - .address_space:  global
        .offset:         0
        .size:           8
        .value_kind:     global_buffer
      - .address_space:  global
        .offset:         8
        .size:           8
        .value_kind:     global_buffer
      - .address_space:  global
        .offset:         16
        .size:           8
        .value_kind:     global_buffer
      - .offset:         24
        .size:           4
        .value_kind:     by_value
      - .address_space:  global
        .offset:         32
        .size:           8
        .value_kind:     global_buffer
      - .address_space:  global
        .offset:         40
        .size:           8
        .value_kind:     global_buffer
      - .offset:         48
        .size:           4
        .value_kind:     by_value
      - .offset:         52
        .size:           4
        .value_kind:     by_value
      - .offset:         56
        .size:           4
        .value_kind:     by_value
      - .offset:         60
        .size:           1
        .value_kind:     by_value
      - .offset:         64
        .size:           8
        .value_kind:     by_value
      - .address_space:  global
        .offset:         72
        .size:           8
        .value_kind:     global_buffer
      - .address_space:  global
        .offset:         80
        .size:           8
        .value_kind:     global_buffer
      - .address_space:  global
        .offset:         88
        .size:           8
        .value_kind:     global_buffer
    .group_segment_fixed_size: 0
    .kernarg_segment_align: 8
    .kernarg_segment_size: 96
    .language:       OpenCL C
    .language_version:
      - 2
      - 0
    .max_flat_workgroup_size: 256
    .name:           _ZN4vllm3moe22topkGatingSoftplusSqrtILi6ELi384ELi4ELi4ELi64ELb0Ei6__halfEEvPKT6_PKbPfiPT5_PiiiibdPKfPKS9_SF_
    .private_segment_fixed_size: 0
    .sgpr_count:     38
    .sgpr_spill_count: 0
    .symbol:         _ZN4vllm3moe22topkGatingSoftplusSqrtILi6ELi384ELi4ELi4ELi64ELb0Ei6__halfEEvPKT6_PKbPfiPT5_PiiiibdPKfPKS9_SF_.kd
    .uniform_work_group_size: 1
    .uses_dynamic_stack: false
    .vgpr_count:     32
    .vgpr_spill_count: 0
    .wavefront_size: 64
  - .agpr_count:     0
    .args:
      - .address_space:  global
        .offset:         0
        .size:           8
        .value_kind:     global_buffer
      - .address_space:  global
        .offset:         8
        .size:           8
        .value_kind:     global_buffer
      - .address_space:  global
        .offset:         16
        .size:           8
        .value_kind:     global_buffer
      - .offset:         24
        .size:           4
        .value_kind:     by_value
      - .address_space:  global
        .offset:         32
        .size:           8
        .value_kind:     global_buffer
      - .address_space:  global
        .offset:         40
        .size:           8
        .value_kind:     global_buffer
      - .offset:         48
        .size:           4
        .value_kind:     by_value
      - .offset:         52
        .size:           4
        .value_kind:     by_value
      - .offset:         56
        .size:           4
        .value_kind:     by_value
      - .offset:         60
        .size:           1
        .value_kind:     by_value
      - .offset:         64
        .size:           8
        .value_kind:     by_value
      - .address_space:  global
        .offset:         72
        .size:           8
        .value_kind:     global_buffer
      - .address_space:  global
        .offset:         80
        .size:           8
        .value_kind:     global_buffer
      - .address_space:  global
        .offset:         88
        .size:           8
        .value_kind:     global_buffer
    .group_segment_fixed_size: 0
    .kernarg_segment_align: 8
    .kernarg_segment_size: 96
    .language:       OpenCL C
    .language_version:
      - 2
      - 0
    .max_flat_workgroup_size: 128
    .name:           _ZN4vllm3moe22topkGatingSoftplusSqrtILi12ELi384ELi4ELi4ELi32ELb1Ei6__halfEEvPKT6_PKbPfiPT5_PiiiibdPKfPKS9_SF_
    .private_segment_fixed_size: 64
    .sgpr_count:     54
    .sgpr_spill_count: 0
    .symbol:         _ZN4vllm3moe22topkGatingSoftplusSqrtILi12ELi384ELi4ELi4ELi32ELb1Ei6__halfEEvPKT6_PKbPfiPT5_PiiiibdPKfPKS9_SF_.kd
    .uniform_work_group_size: 1
    .uses_dynamic_stack: false
    .vgpr_count:     32
    .vgpr_spill_count: 0
    .wavefront_size: 64
  - .agpr_count:     0
    .args:
      - .address_space:  global
        .offset:         0
        .size:           8
        .value_kind:     global_buffer
      - .address_space:  global
        .offset:         8
        .size:           8
        .value_kind:     global_buffer
      - .address_space:  global
        .offset:         16
        .size:           8
        .value_kind:     global_buffer
      - .offset:         24
        .size:           4
        .value_kind:     by_value
      - .address_space:  global
        .offset:         32
        .size:           8
        .value_kind:     global_buffer
      - .address_space:  global
        .offset:         40
        .size:           8
        .value_kind:     global_buffer
      - .offset:         48
        .size:           4
        .value_kind:     by_value
      - .offset:         52
        .size:           4
        .value_kind:     by_value
      - .offset:         56
        .size:           4
        .value_kind:     by_value
      - .offset:         60
        .size:           1
        .value_kind:     by_value
      - .offset:         64
        .size:           8
        .value_kind:     by_value
      - .address_space:  global
        .offset:         72
        .size:           8
        .value_kind:     global_buffer
      - .address_space:  global
        .offset:         80
        .size:           8
        .value_kind:     global_buffer
      - .address_space:  global
        .offset:         88
        .size:           8
        .value_kind:     global_buffer
    .group_segment_fixed_size: 0
    .kernarg_segment_align: 8
    .kernarg_segment_size: 96
    .language:       OpenCL C
    .language_version:
      - 2
      - 0
    .max_flat_workgroup_size: 128
    .name:           _ZN4vllm3moe22topkGatingSoftplusSqrtILi12ELi384ELi4ELi4ELi32ELb0Ei6__halfEEvPKT6_PKbPfiPT5_PiiiibdPKfPKS9_SF_
    .private_segment_fixed_size: 0
    .sgpr_count:     57
    .sgpr_spill_count: 0
    .symbol:         _ZN4vllm3moe22topkGatingSoftplusSqrtILi12ELi384ELi4ELi4ELi32ELb0Ei6__halfEEvPKT6_PKbPfiPT5_PiiiibdPKfPKS9_SF_.kd
    .uniform_work_group_size: 1
    .uses_dynamic_stack: false
    .vgpr_count:     42
    .vgpr_spill_count: 0
    .wavefront_size: 64
  - .agpr_count:     0
    .args:
      - .address_space:  global
        .offset:         0
        .size:           8
        .value_kind:     global_buffer
      - .address_space:  global
        .offset:         8
        .size:           8
        .value_kind:     global_buffer
      - .address_space:  global
        .offset:         16
        .size:           8
        .value_kind:     global_buffer
      - .offset:         24
        .size:           4
        .value_kind:     by_value
      - .address_space:  global
        .offset:         32
        .size:           8
        .value_kind:     global_buffer
      - .address_space:  global
        .offset:         40
        .size:           8
        .value_kind:     global_buffer
      - .offset:         48
        .size:           4
        .value_kind:     by_value
      - .offset:         52
        .size:           4
        .value_kind:     by_value
      - .offset:         56
        .size:           4
        .value_kind:     by_value
      - .offset:         60
        .size:           1
        .value_kind:     by_value
      - .offset:         64
        .size:           8
        .value_kind:     by_value
      - .address_space:  global
        .offset:         72
        .size:           8
        .value_kind:     global_buffer
      - .address_space:  global
        .offset:         80
        .size:           8
        .value_kind:     global_buffer
      - .address_space:  global
        .offset:         88
        .size:           8
        .value_kind:     global_buffer
    .group_segment_fixed_size: 0
    .kernarg_segment_align: 8
    .kernarg_segment_size: 96
    .language:       OpenCL C
    .language_version:
      - 2
      - 0
    .max_flat_workgroup_size: 256
    .name:           _ZN4vllm3moe22topkGatingSoftplusSqrtILi7ELi448ELi4ELi2ELi64ELb1Ei6__halfEEvPKT6_PKbPfiPT5_PiiiibdPKfPKS9_SF_
    .private_segment_fixed_size: 0
    .sgpr_count:     35
    .sgpr_spill_count: 0
    .symbol:         _ZN4vllm3moe22topkGatingSoftplusSqrtILi7ELi448ELi4ELi2ELi64ELb1Ei6__halfEEvPKT6_PKbPfiPT5_PiiiibdPKfPKS9_SF_.kd
    .uniform_work_group_size: 1
    .uses_dynamic_stack: false
    .vgpr_count:     31
    .vgpr_spill_count: 0
    .wavefront_size: 64
  - .agpr_count:     0
    .args:
      - .address_space:  global
        .offset:         0
        .size:           8
        .value_kind:     global_buffer
      - .address_space:  global
        .offset:         8
        .size:           8
        .value_kind:     global_buffer
      - .address_space:  global
        .offset:         16
        .size:           8
        .value_kind:     global_buffer
      - .offset:         24
        .size:           4
        .value_kind:     by_value
      - .address_space:  global
        .offset:         32
        .size:           8
        .value_kind:     global_buffer
      - .address_space:  global
        .offset:         40
        .size:           8
        .value_kind:     global_buffer
      - .offset:         48
        .size:           4
        .value_kind:     by_value
      - .offset:         52
        .size:           4
        .value_kind:     by_value
      - .offset:         56
        .size:           4
        .value_kind:     by_value
      - .offset:         60
        .size:           1
        .value_kind:     by_value
      - .offset:         64
        .size:           8
        .value_kind:     by_value
      - .address_space:  global
        .offset:         72
        .size:           8
        .value_kind:     global_buffer
      - .address_space:  global
        .offset:         80
        .size:           8
        .value_kind:     global_buffer
      - .address_space:  global
        .offset:         88
        .size:           8
        .value_kind:     global_buffer
    .group_segment_fixed_size: 0
    .kernarg_segment_align: 8
    .kernarg_segment_size: 96
    .language:       OpenCL C
    .language_version:
      - 2
      - 0
    .max_flat_workgroup_size: 256
    .name:           _ZN4vllm3moe22topkGatingSoftplusSqrtILi7ELi448ELi4ELi2ELi64ELb0Ei6__halfEEvPKT6_PKbPfiPT5_PiiiibdPKfPKS9_SF_
    .private_segment_fixed_size: 0
    .sgpr_count:     37
    .sgpr_spill_count: 0
    .symbol:         _ZN4vllm3moe22topkGatingSoftplusSqrtILi7ELi448ELi4ELi2ELi64ELb0Ei6__halfEEvPKT6_PKbPfiPT5_PiiiibdPKfPKS9_SF_.kd
    .uniform_work_group_size: 1
    .uses_dynamic_stack: false
    .vgpr_count:     34
    .vgpr_spill_count: 0
    .wavefront_size: 64
  - .agpr_count:     0
    .args:
      - .address_space:  global
        .offset:         0
        .size:           8
        .value_kind:     global_buffer
      - .address_space:  global
        .offset:         8
        .size:           8
        .value_kind:     global_buffer
      - .address_space:  global
        .offset:         16
        .size:           8
        .value_kind:     global_buffer
      - .offset:         24
        .size:           4
        .value_kind:     by_value
      - .address_space:  global
        .offset:         32
        .size:           8
        .value_kind:     global_buffer
      - .address_space:  global
        .offset:         40
        .size:           8
        .value_kind:     global_buffer
      - .offset:         48
        .size:           4
        .value_kind:     by_value
      - .offset:         52
        .size:           4
        .value_kind:     by_value
      - .offset:         56
        .size:           4
        .value_kind:     by_value
      - .offset:         60
        .size:           1
        .value_kind:     by_value
      - .offset:         64
        .size:           8
        .value_kind:     by_value
      - .address_space:  global
        .offset:         72
        .size:           8
        .value_kind:     global_buffer
      - .address_space:  global
        .offset:         80
        .size:           8
        .value_kind:     global_buffer
      - .address_space:  global
        .offset:         88
        .size:           8
        .value_kind:     global_buffer
    .group_segment_fixed_size: 0
    .kernarg_segment_align: 8
    .kernarg_segment_size: 96
    .language:       OpenCL C
    .language_version:
      - 2
      - 0
    .max_flat_workgroup_size: 128
    .name:           _ZN4vllm3moe22topkGatingSoftplusSqrtILi14ELi448ELi4ELi2ELi32ELb1Ei6__halfEEvPKT6_PKbPfiPT5_PiiiibdPKfPKS9_SF_
    .private_segment_fixed_size: 0
    .sgpr_count:     62
    .sgpr_spill_count: 0
    .symbol:         _ZN4vllm3moe22topkGatingSoftplusSqrtILi14ELi448ELi4ELi2ELi32ELb1Ei6__halfEEvPKT6_PKbPfiPT5_PiiiibdPKfPKS9_SF_.kd
    .uniform_work_group_size: 1
    .uses_dynamic_stack: false
    .vgpr_count:     47
    .vgpr_spill_count: 0
    .wavefront_size: 64
  - .agpr_count:     0
    .args:
      - .address_space:  global
        .offset:         0
        .size:           8
        .value_kind:     global_buffer
      - .address_space:  global
        .offset:         8
        .size:           8
        .value_kind:     global_buffer
      - .address_space:  global
        .offset:         16
        .size:           8
        .value_kind:     global_buffer
      - .offset:         24
        .size:           4
        .value_kind:     by_value
      - .address_space:  global
        .offset:         32
        .size:           8
        .value_kind:     global_buffer
      - .address_space:  global
        .offset:         40
        .size:           8
        .value_kind:     global_buffer
      - .offset:         48
        .size:           4
        .value_kind:     by_value
      - .offset:         52
        .size:           4
        .value_kind:     by_value
      - .offset:         56
        .size:           4
        .value_kind:     by_value
      - .offset:         60
        .size:           1
        .value_kind:     by_value
      - .offset:         64
        .size:           8
        .value_kind:     by_value
      - .address_space:  global
        .offset:         72
        .size:           8
        .value_kind:     global_buffer
      - .address_space:  global
        .offset:         80
        .size:           8
        .value_kind:     global_buffer
      - .address_space:  global
        .offset:         88
        .size:           8
        .value_kind:     global_buffer
    .group_segment_fixed_size: 0
    .kernarg_segment_align: 8
    .kernarg_segment_size: 96
    .language:       OpenCL C
    .language_version:
      - 2
      - 0
    .max_flat_workgroup_size: 128
    .name:           _ZN4vllm3moe22topkGatingSoftplusSqrtILi14ELi448ELi4ELi2ELi32ELb0Ei6__halfEEvPKT6_PKbPfiPT5_PiiiibdPKfPKS9_SF_
    .private_segment_fixed_size: 0
    .sgpr_count:     38
    .sgpr_spill_count: 0
    .symbol:         _ZN4vllm3moe22topkGatingSoftplusSqrtILi14ELi448ELi4ELi2ELi32ELb0Ei6__halfEEvPKT6_PKbPfiPT5_PiiiibdPKfPKS9_SF_.kd
    .uniform_work_group_size: 1
    .uses_dynamic_stack: false
    .vgpr_count:     46
    .vgpr_spill_count: 0
    .wavefront_size: 64
  - .agpr_count:     0
    .args:
      - .address_space:  global
        .offset:         0
        .size:           8
        .value_kind:     global_buffer
      - .address_space:  global
        .offset:         8
        .size:           8
        .value_kind:     global_buffer
      - .address_space:  global
        .offset:         16
        .size:           8
        .value_kind:     global_buffer
      - .offset:         24
        .size:           4
        .value_kind:     by_value
      - .address_space:  global
        .offset:         32
        .size:           8
        .value_kind:     global_buffer
      - .address_space:  global
        .offset:         40
        .size:           8
        .value_kind:     global_buffer
      - .offset:         48
        .size:           4
        .value_kind:     by_value
      - .offset:         52
        .size:           4
        .value_kind:     by_value
      - .offset:         56
        .size:           4
        .value_kind:     by_value
      - .offset:         60
        .size:           1
        .value_kind:     by_value
      - .offset:         64
        .size:           8
        .value_kind:     by_value
      - .address_space:  global
        .offset:         72
        .size:           8
        .value_kind:     global_buffer
      - .address_space:  global
        .offset:         80
        .size:           8
        .value_kind:     global_buffer
      - .address_space:  global
        .offset:         88
        .size:           8
        .value_kind:     global_buffer
    .group_segment_fixed_size: 0
    .kernarg_segment_align: 8
    .kernarg_segment_size: 96
    .language:       OpenCL C
    .language_version:
      - 2
      - 0
    .max_flat_workgroup_size: 256
    .name:           _ZN4vllm3moe22topkGatingSoftplusSqrtILi9ELi576ELi4ELi2ELi64ELb1Ei6__halfEEvPKT6_PKbPfiPT5_PiiiibdPKfPKS9_SF_
    .private_segment_fixed_size: 0
    .sgpr_count:     44
    .sgpr_spill_count: 0
    .symbol:         _ZN4vllm3moe22topkGatingSoftplusSqrtILi9ELi576ELi4ELi2ELi64ELb1Ei6__halfEEvPKT6_PKbPfiPT5_PiiiibdPKfPKS9_SF_.kd
    .uniform_work_group_size: 1
    .uses_dynamic_stack: false
    .vgpr_count:     35
    .vgpr_spill_count: 0
    .wavefront_size: 64
  - .agpr_count:     0
    .args:
      - .address_space:  global
        .offset:         0
        .size:           8
        .value_kind:     global_buffer
      - .address_space:  global
        .offset:         8
        .size:           8
        .value_kind:     global_buffer
      - .address_space:  global
        .offset:         16
        .size:           8
        .value_kind:     global_buffer
      - .offset:         24
        .size:           4
        .value_kind:     by_value
      - .address_space:  global
        .offset:         32
        .size:           8
        .value_kind:     global_buffer
      - .address_space:  global
        .offset:         40
        .size:           8
        .value_kind:     global_buffer
      - .offset:         48
        .size:           4
        .value_kind:     by_value
      - .offset:         52
        .size:           4
        .value_kind:     by_value
      - .offset:         56
        .size:           4
        .value_kind:     by_value
      - .offset:         60
        .size:           1
        .value_kind:     by_value
      - .offset:         64
        .size:           8
        .value_kind:     by_value
      - .address_space:  global
        .offset:         72
        .size:           8
        .value_kind:     global_buffer
      - .address_space:  global
        .offset:         80
        .size:           8
        .value_kind:     global_buffer
      - .address_space:  global
        .offset:         88
        .size:           8
        .value_kind:     global_buffer
    .group_segment_fixed_size: 0
    .kernarg_segment_align: 8
    .kernarg_segment_size: 96
    .language:       OpenCL C
    .language_version:
      - 2
      - 0
    .max_flat_workgroup_size: 256
    .name:           _ZN4vllm3moe22topkGatingSoftplusSqrtILi9ELi576ELi4ELi2ELi64ELb0Ei6__halfEEvPKT6_PKbPfiPT5_PiiiibdPKfPKS9_SF_
    .private_segment_fixed_size: 0
    .sgpr_count:     37
    .sgpr_spill_count: 0
    .symbol:         _ZN4vllm3moe22topkGatingSoftplusSqrtILi9ELi576ELi4ELi2ELi64ELb0Ei6__halfEEvPKT6_PKbPfiPT5_PiiiibdPKfPKS9_SF_.kd
    .uniform_work_group_size: 1
    .uses_dynamic_stack: false
    .vgpr_count:     38
    .vgpr_spill_count: 0
    .wavefront_size: 64
  - .agpr_count:     0
    .args:
      - .address_space:  global
        .offset:         0
        .size:           8
        .value_kind:     global_buffer
      - .address_space:  global
        .offset:         8
        .size:           8
        .value_kind:     global_buffer
      - .address_space:  global
        .offset:         16
        .size:           8
        .value_kind:     global_buffer
      - .offset:         24
        .size:           4
        .value_kind:     by_value
      - .address_space:  global
        .offset:         32
        .size:           8
        .value_kind:     global_buffer
      - .address_space:  global
        .offset:         40
        .size:           8
        .value_kind:     global_buffer
      - .offset:         48
        .size:           4
        .value_kind:     by_value
      - .offset:         52
        .size:           4
        .value_kind:     by_value
      - .offset:         56
        .size:           4
        .value_kind:     by_value
      - .offset:         60
        .size:           1
        .value_kind:     by_value
      - .offset:         64
        .size:           8
        .value_kind:     by_value
      - .address_space:  global
        .offset:         72
        .size:           8
        .value_kind:     global_buffer
      - .address_space:  global
        .offset:         80
        .size:           8
        .value_kind:     global_buffer
      - .address_space:  global
        .offset:         88
        .size:           8
        .value_kind:     global_buffer
    .group_segment_fixed_size: 0
    .kernarg_segment_align: 8
    .kernarg_segment_size: 96
    .language:       OpenCL C
    .language_version:
      - 2
      - 0
    .max_flat_workgroup_size: 128
    .name:           _ZN4vllm3moe22topkGatingSoftplusSqrtILi18ELi576ELi4ELi2ELi32ELb1Ei6__halfEEvPKT6_PKbPfiPT5_PiiiibdPKfPKS9_SF_
    .private_segment_fixed_size: 80
    .sgpr_count:     78
    .sgpr_spill_count: 0
    .symbol:         _ZN4vllm3moe22topkGatingSoftplusSqrtILi18ELi576ELi4ELi2ELi32ELb1Ei6__halfEEvPKT6_PKbPfiPT5_PiiiibdPKfPKS9_SF_.kd
    .uniform_work_group_size: 1
    .uses_dynamic_stack: false
    .vgpr_count:     43
    .vgpr_spill_count: 0
    .wavefront_size: 64
  - .agpr_count:     0
    .args:
      - .address_space:  global
        .offset:         0
        .size:           8
        .value_kind:     global_buffer
      - .address_space:  global
        .offset:         8
        .size:           8
        .value_kind:     global_buffer
      - .address_space:  global
        .offset:         16
        .size:           8
        .value_kind:     global_buffer
      - .offset:         24
        .size:           4
        .value_kind:     by_value
      - .address_space:  global
        .offset:         32
        .size:           8
        .value_kind:     global_buffer
      - .address_space:  global
        .offset:         40
        .size:           8
        .value_kind:     global_buffer
      - .offset:         48
        .size:           4
        .value_kind:     by_value
      - .offset:         52
        .size:           4
        .value_kind:     by_value
      - .offset:         56
        .size:           4
        .value_kind:     by_value
      - .offset:         60
        .size:           1
        .value_kind:     by_value
      - .offset:         64
        .size:           8
        .value_kind:     by_value
      - .address_space:  global
        .offset:         72
        .size:           8
        .value_kind:     global_buffer
      - .address_space:  global
        .offset:         80
        .size:           8
        .value_kind:     global_buffer
      - .address_space:  global
        .offset:         88
        .size:           8
        .value_kind:     global_buffer
    .group_segment_fixed_size: 0
    .kernarg_segment_align: 8
    .kernarg_segment_size: 96
    .language:       OpenCL C
    .language_version:
      - 2
      - 0
    .max_flat_workgroup_size: 128
    .name:           _ZN4vllm3moe22topkGatingSoftplusSqrtILi18ELi576ELi4ELi2ELi32ELb0Ei6__halfEEvPKT6_PKbPfiPT5_PiiiibdPKfPKS9_SF_
    .private_segment_fixed_size: 80
    .sgpr_count:     38
    .sgpr_spill_count: 0
    .symbol:         _ZN4vllm3moe22topkGatingSoftplusSqrtILi18ELi576ELi4ELi2ELi32ELb0Ei6__halfEEvPKT6_PKbPfiPT5_PiiiibdPKfPKS9_SF_.kd
    .uniform_work_group_size: 1
    .uses_dynamic_stack: false
    .vgpr_count:     49
    .vgpr_spill_count: 0
    .wavefront_size: 64
  - .agpr_count:     0
    .args:
      - .address_space:  global
        .offset:         0
        .size:           8
        .value_kind:     global_buffer
      - .address_space:  global
        .offset:         8
        .size:           8
        .value_kind:     global_buffer
      - .address_space:  global
        .offset:         16
        .size:           8
        .value_kind:     global_buffer
      - .offset:         24
        .size:           4
        .value_kind:     by_value
      - .address_space:  global
        .offset:         32
        .size:           8
        .value_kind:     global_buffer
      - .address_space:  global
        .offset:         40
        .size:           8
        .value_kind:     global_buffer
      - .offset:         48
        .size:           4
        .value_kind:     by_value
      - .offset:         52
        .size:           4
        .value_kind:     by_value
      - .offset:         56
        .size:           4
        .value_kind:     by_value
      - .offset:         60
        .size:           1
        .value_kind:     by_value
      - .offset:         64
        .size:           8
        .value_kind:     by_value
      - .address_space:  global
        .offset:         72
        .size:           8
        .value_kind:     global_buffer
      - .address_space:  global
        .offset:         80
        .size:           8
        .value_kind:     global_buffer
      - .address_space:  global
        .offset:         88
        .size:           8
        .value_kind:     global_buffer
    .group_segment_fixed_size: 0
    .kernarg_segment_align: 8
    .kernarg_segment_size: 96
    .language:       OpenCL C
    .language_version:
      - 2
      - 0
    .max_flat_workgroup_size: 256
    .name:           _ZN4vllm3moe22topkGatingSoftplusSqrtILi1ELi1ELi4ELi2ELi64ELb1Ej6__halfEEvPKT6_PKbPfiPT5_PiiiibdPKfPKS9_SF_
    .private_segment_fixed_size: 0
    .sgpr_count:     21
    .sgpr_spill_count: 0
    .symbol:         _ZN4vllm3moe22topkGatingSoftplusSqrtILi1ELi1ELi4ELi2ELi64ELb1Ej6__halfEEvPKT6_PKbPfiPT5_PiiiibdPKfPKS9_SF_.kd
    .uniform_work_group_size: 1
    .uses_dynamic_stack: false
    .vgpr_count:     14
    .vgpr_spill_count: 0
    .wavefront_size: 64
  - .agpr_count:     0
    .args:
      - .address_space:  global
        .offset:         0
        .size:           8
        .value_kind:     global_buffer
      - .address_space:  global
        .offset:         8
        .size:           8
        .value_kind:     global_buffer
      - .address_space:  global
        .offset:         16
        .size:           8
        .value_kind:     global_buffer
      - .offset:         24
        .size:           4
        .value_kind:     by_value
      - .address_space:  global
        .offset:         32
        .size:           8
        .value_kind:     global_buffer
      - .address_space:  global
        .offset:         40
        .size:           8
        .value_kind:     global_buffer
      - .offset:         48
        .size:           4
        .value_kind:     by_value
      - .offset:         52
        .size:           4
        .value_kind:     by_value
      - .offset:         56
        .size:           4
        .value_kind:     by_value
      - .offset:         60
        .size:           1
        .value_kind:     by_value
      - .offset:         64
        .size:           8
        .value_kind:     by_value
      - .address_space:  global
        .offset:         72
        .size:           8
        .value_kind:     global_buffer
      - .address_space:  global
        .offset:         80
        .size:           8
        .value_kind:     global_buffer
      - .address_space:  global
        .offset:         88
        .size:           8
        .value_kind:     global_buffer
    .group_segment_fixed_size: 0
    .kernarg_segment_align: 8
    .kernarg_segment_size: 96
    .language:       OpenCL C
    .language_version:
      - 2
      - 0
    .max_flat_workgroup_size: 256
    .name:           _ZN4vllm3moe22topkGatingSoftplusSqrtILi1ELi1ELi4ELi2ELi64ELb0Ej6__halfEEvPKT6_PKbPfiPT5_PiiiibdPKfPKS9_SF_
    .private_segment_fixed_size: 0
    .sgpr_count:     34
    .sgpr_spill_count: 0
    .symbol:         _ZN4vllm3moe22topkGatingSoftplusSqrtILi1ELi1ELi4ELi2ELi64ELb0Ej6__halfEEvPKT6_PKbPfiPT5_PiiiibdPKfPKS9_SF_.kd
    .uniform_work_group_size: 1
    .uses_dynamic_stack: false
    .vgpr_count:     12
    .vgpr_spill_count: 0
    .wavefront_size: 64
  - .agpr_count:     0
    .args:
      - .address_space:  global
        .offset:         0
        .size:           8
        .value_kind:     global_buffer
      - .address_space:  global
        .offset:         8
        .size:           8
        .value_kind:     global_buffer
      - .address_space:  global
        .offset:         16
        .size:           8
        .value_kind:     global_buffer
      - .offset:         24
        .size:           4
        .value_kind:     by_value
      - .address_space:  global
        .offset:         32
        .size:           8
        .value_kind:     global_buffer
      - .address_space:  global
        .offset:         40
        .size:           8
        .value_kind:     global_buffer
      - .offset:         48
        .size:           4
        .value_kind:     by_value
      - .offset:         52
        .size:           4
        .value_kind:     by_value
      - .offset:         56
        .size:           4
        .value_kind:     by_value
      - .offset:         60
        .size:           1
        .value_kind:     by_value
      - .offset:         64
        .size:           8
        .value_kind:     by_value
      - .address_space:  global
        .offset:         72
        .size:           8
        .value_kind:     global_buffer
      - .address_space:  global
        .offset:         80
        .size:           8
        .value_kind:     global_buffer
      - .address_space:  global
        .offset:         88
        .size:           8
        .value_kind:     global_buffer
    .group_segment_fixed_size: 0
    .kernarg_segment_align: 8
    .kernarg_segment_size: 96
    .language:       OpenCL C
    .language_version:
      - 2
      - 0
    .max_flat_workgroup_size: 128
    .name:           _ZN4vllm3moe22topkGatingSoftplusSqrtILi1ELi1ELi4ELi2ELi32ELb1Ej6__halfEEvPKT6_PKbPfiPT5_PiiiibdPKfPKS9_SF_
    .private_segment_fixed_size: 0
    .sgpr_count:     21
    .sgpr_spill_count: 0
    .symbol:         _ZN4vllm3moe22topkGatingSoftplusSqrtILi1ELi1ELi4ELi2ELi32ELb1Ej6__halfEEvPKT6_PKbPfiPT5_PiiiibdPKfPKS9_SF_.kd
    .uniform_work_group_size: 1
    .uses_dynamic_stack: false
    .vgpr_count:     14
    .vgpr_spill_count: 0
    .wavefront_size: 64
  - .agpr_count:     0
    .args:
      - .address_space:  global
        .offset:         0
        .size:           8
        .value_kind:     global_buffer
      - .address_space:  global
        .offset:         8
        .size:           8
        .value_kind:     global_buffer
      - .address_space:  global
        .offset:         16
        .size:           8
        .value_kind:     global_buffer
      - .offset:         24
        .size:           4
        .value_kind:     by_value
      - .address_space:  global
        .offset:         32
        .size:           8
        .value_kind:     global_buffer
      - .address_space:  global
        .offset:         40
        .size:           8
        .value_kind:     global_buffer
      - .offset:         48
        .size:           4
        .value_kind:     by_value
      - .offset:         52
        .size:           4
        .value_kind:     by_value
      - .offset:         56
        .size:           4
        .value_kind:     by_value
      - .offset:         60
        .size:           1
        .value_kind:     by_value
      - .offset:         64
        .size:           8
        .value_kind:     by_value
      - .address_space:  global
        .offset:         72
        .size:           8
        .value_kind:     global_buffer
      - .address_space:  global
        .offset:         80
        .size:           8
        .value_kind:     global_buffer
      - .address_space:  global
        .offset:         88
        .size:           8
        .value_kind:     global_buffer
    .group_segment_fixed_size: 0
    .kernarg_segment_align: 8
    .kernarg_segment_size: 96
    .language:       OpenCL C
    .language_version:
      - 2
      - 0
    .max_flat_workgroup_size: 128
    .name:           _ZN4vllm3moe22topkGatingSoftplusSqrtILi1ELi1ELi4ELi2ELi32ELb0Ej6__halfEEvPKT6_PKbPfiPT5_PiiiibdPKfPKS9_SF_
    .private_segment_fixed_size: 0
    .sgpr_count:     34
    .sgpr_spill_count: 0
    .symbol:         _ZN4vllm3moe22topkGatingSoftplusSqrtILi1ELi1ELi4ELi2ELi32ELb0Ej6__halfEEvPKT6_PKbPfiPT5_PiiiibdPKfPKS9_SF_.kd
    .uniform_work_group_size: 1
    .uses_dynamic_stack: false
    .vgpr_count:     12
    .vgpr_spill_count: 0
    .wavefront_size: 64
  - .agpr_count:     0
    .args:
      - .address_space:  global
        .offset:         0
        .size:           8
        .value_kind:     global_buffer
      - .address_space:  global
        .offset:         8
        .size:           8
        .value_kind:     global_buffer
      - .address_space:  global
        .offset:         16
        .size:           8
        .value_kind:     global_buffer
      - .offset:         24
        .size:           4
        .value_kind:     by_value
      - .address_space:  global
        .offset:         32
        .size:           8
        .value_kind:     global_buffer
      - .address_space:  global
        .offset:         40
        .size:           8
        .value_kind:     global_buffer
      - .offset:         48
        .size:           4
        .value_kind:     by_value
      - .offset:         52
        .size:           4
        .value_kind:     by_value
      - .offset:         56
        .size:           4
        .value_kind:     by_value
      - .offset:         60
        .size:           1
        .value_kind:     by_value
      - .offset:         64
        .size:           8
        .value_kind:     by_value
      - .address_space:  global
        .offset:         72
        .size:           8
        .value_kind:     global_buffer
      - .address_space:  global
        .offset:         80
        .size:           8
        .value_kind:     global_buffer
      - .address_space:  global
        .offset:         88
        .size:           8
        .value_kind:     global_buffer
    .group_segment_fixed_size: 0
    .kernarg_segment_align: 8
    .kernarg_segment_size: 96
    .language:       OpenCL C
    .language_version:
      - 2
      - 0
    .max_flat_workgroup_size: 256
    .name:           _ZN4vllm3moe22topkGatingSoftplusSqrtILi2ELi2ELi4ELi4ELi64ELb1Ej6__halfEEvPKT6_PKbPfiPT5_PiiiibdPKfPKS9_SF_
    .private_segment_fixed_size: 0
    .sgpr_count:     24
    .sgpr_spill_count: 0
    .symbol:         _ZN4vllm3moe22topkGatingSoftplusSqrtILi2ELi2ELi4ELi4ELi64ELb1Ej6__halfEEvPKT6_PKbPfiPT5_PiiiibdPKfPKS9_SF_.kd
    .uniform_work_group_size: 1
    .uses_dynamic_stack: false
    .vgpr_count:     18
    .vgpr_spill_count: 0
    .wavefront_size: 64
  - .agpr_count:     0
    .args:
      - .address_space:  global
        .offset:         0
        .size:           8
        .value_kind:     global_buffer
      - .address_space:  global
        .offset:         8
        .size:           8
        .value_kind:     global_buffer
      - .address_space:  global
        .offset:         16
        .size:           8
        .value_kind:     global_buffer
      - .offset:         24
        .size:           4
        .value_kind:     by_value
      - .address_space:  global
        .offset:         32
        .size:           8
        .value_kind:     global_buffer
      - .address_space:  global
        .offset:         40
        .size:           8
        .value_kind:     global_buffer
      - .offset:         48
        .size:           4
        .value_kind:     by_value
      - .offset:         52
        .size:           4
        .value_kind:     by_value
      - .offset:         56
        .size:           4
        .value_kind:     by_value
      - .offset:         60
        .size:           1
        .value_kind:     by_value
      - .offset:         64
        .size:           8
        .value_kind:     by_value
      - .address_space:  global
        .offset:         72
        .size:           8
        .value_kind:     global_buffer
      - .address_space:  global
        .offset:         80
        .size:           8
        .value_kind:     global_buffer
      - .address_space:  global
        .offset:         88
        .size:           8
        .value_kind:     global_buffer
    .group_segment_fixed_size: 0
    .kernarg_segment_align: 8
    .kernarg_segment_size: 96
    .language:       OpenCL C
    .language_version:
      - 2
      - 0
    .max_flat_workgroup_size: 256
    .name:           _ZN4vllm3moe22topkGatingSoftplusSqrtILi2ELi2ELi4ELi4ELi64ELb0Ej6__halfEEvPKT6_PKbPfiPT5_PiiiibdPKfPKS9_SF_
    .private_segment_fixed_size: 0
    .sgpr_count:     32
    .sgpr_spill_count: 0
    .symbol:         _ZN4vllm3moe22topkGatingSoftplusSqrtILi2ELi2ELi4ELi4ELi64ELb0Ej6__halfEEvPKT6_PKbPfiPT5_PiiiibdPKfPKS9_SF_.kd
    .uniform_work_group_size: 1
    .uses_dynamic_stack: false
    .vgpr_count:     13
    .vgpr_spill_count: 0
    .wavefront_size: 64
  - .agpr_count:     0
    .args:
      - .address_space:  global
        .offset:         0
        .size:           8
        .value_kind:     global_buffer
      - .address_space:  global
        .offset:         8
        .size:           8
        .value_kind:     global_buffer
      - .address_space:  global
        .offset:         16
        .size:           8
        .value_kind:     global_buffer
      - .offset:         24
        .size:           4
        .value_kind:     by_value
      - .address_space:  global
        .offset:         32
        .size:           8
        .value_kind:     global_buffer
      - .address_space:  global
        .offset:         40
        .size:           8
        .value_kind:     global_buffer
      - .offset:         48
        .size:           4
        .value_kind:     by_value
      - .offset:         52
        .size:           4
        .value_kind:     by_value
      - .offset:         56
        .size:           4
        .value_kind:     by_value
      - .offset:         60
        .size:           1
        .value_kind:     by_value
      - .offset:         64
        .size:           8
        .value_kind:     by_value
      - .address_space:  global
        .offset:         72
        .size:           8
        .value_kind:     global_buffer
      - .address_space:  global
        .offset:         80
        .size:           8
        .value_kind:     global_buffer
      - .address_space:  global
        .offset:         88
        .size:           8
        .value_kind:     global_buffer
    .group_segment_fixed_size: 0
    .kernarg_segment_align: 8
    .kernarg_segment_size: 96
    .language:       OpenCL C
    .language_version:
      - 2
      - 0
    .max_flat_workgroup_size: 128
    .name:           _ZN4vllm3moe22topkGatingSoftplusSqrtILi2ELi2ELi4ELi4ELi32ELb1Ej6__halfEEvPKT6_PKbPfiPT5_PiiiibdPKfPKS9_SF_
    .private_segment_fixed_size: 0
    .sgpr_count:     24
    .sgpr_spill_count: 0
    .symbol:         _ZN4vllm3moe22topkGatingSoftplusSqrtILi2ELi2ELi4ELi4ELi32ELb1Ej6__halfEEvPKT6_PKbPfiPT5_PiiiibdPKfPKS9_SF_.kd
    .uniform_work_group_size: 1
    .uses_dynamic_stack: false
    .vgpr_count:     18
    .vgpr_spill_count: 0
    .wavefront_size: 64
  - .agpr_count:     0
    .args:
      - .address_space:  global
        .offset:         0
        .size:           8
        .value_kind:     global_buffer
      - .address_space:  global
        .offset:         8
        .size:           8
        .value_kind:     global_buffer
      - .address_space:  global
        .offset:         16
        .size:           8
        .value_kind:     global_buffer
      - .offset:         24
        .size:           4
        .value_kind:     by_value
      - .address_space:  global
        .offset:         32
        .size:           8
        .value_kind:     global_buffer
      - .address_space:  global
        .offset:         40
        .size:           8
        .value_kind:     global_buffer
      - .offset:         48
        .size:           4
        .value_kind:     by_value
      - .offset:         52
        .size:           4
        .value_kind:     by_value
      - .offset:         56
        .size:           4
        .value_kind:     by_value
      - .offset:         60
        .size:           1
        .value_kind:     by_value
      - .offset:         64
        .size:           8
        .value_kind:     by_value
      - .address_space:  global
        .offset:         72
        .size:           8
        .value_kind:     global_buffer
      - .address_space:  global
        .offset:         80
        .size:           8
        .value_kind:     global_buffer
      - .address_space:  global
        .offset:         88
        .size:           8
        .value_kind:     global_buffer
    .group_segment_fixed_size: 0
    .kernarg_segment_align: 8
    .kernarg_segment_size: 96
    .language:       OpenCL C
    .language_version:
      - 2
      - 0
    .max_flat_workgroup_size: 128
    .name:           _ZN4vllm3moe22topkGatingSoftplusSqrtILi2ELi2ELi4ELi4ELi32ELb0Ej6__halfEEvPKT6_PKbPfiPT5_PiiiibdPKfPKS9_SF_
    .private_segment_fixed_size: 0
    .sgpr_count:     32
    .sgpr_spill_count: 0
    .symbol:         _ZN4vllm3moe22topkGatingSoftplusSqrtILi2ELi2ELi4ELi4ELi32ELb0Ej6__halfEEvPKT6_PKbPfiPT5_PiiiibdPKfPKS9_SF_.kd
    .uniform_work_group_size: 1
    .uses_dynamic_stack: false
    .vgpr_count:     13
    .vgpr_spill_count: 0
    .wavefront_size: 64
  - .agpr_count:     0
    .args:
      - .address_space:  global
        .offset:         0
        .size:           8
        .value_kind:     global_buffer
      - .address_space:  global
        .offset:         8
        .size:           8
        .value_kind:     global_buffer
      - .address_space:  global
        .offset:         16
        .size:           8
        .value_kind:     global_buffer
      - .offset:         24
        .size:           4
        .value_kind:     by_value
      - .address_space:  global
        .offset:         32
        .size:           8
        .value_kind:     global_buffer
      - .address_space:  global
        .offset:         40
        .size:           8
        .value_kind:     global_buffer
      - .offset:         48
        .size:           4
        .value_kind:     by_value
      - .offset:         52
        .size:           4
        .value_kind:     by_value
      - .offset:         56
        .size:           4
        .value_kind:     by_value
      - .offset:         60
        .size:           1
        .value_kind:     by_value
      - .offset:         64
        .size:           8
        .value_kind:     by_value
      - .address_space:  global
        .offset:         72
        .size:           8
        .value_kind:     global_buffer
      - .address_space:  global
        .offset:         80
        .size:           8
        .value_kind:     global_buffer
      - .address_space:  global
        .offset:         88
        .size:           8
        .value_kind:     global_buffer
    .group_segment_fixed_size: 0
    .kernarg_segment_align: 8
    .kernarg_segment_size: 96
    .language:       OpenCL C
    .language_version:
      - 2
      - 0
    .max_flat_workgroup_size: 256
    .name:           _ZN4vllm3moe22topkGatingSoftplusSqrtILi4ELi4ELi4ELi8ELi64ELb1Ej6__halfEEvPKT6_PKbPfiPT5_PiiiibdPKfPKS9_SF_
    .private_segment_fixed_size: 0
    .sgpr_count:     24
    .sgpr_spill_count: 0
    .symbol:         _ZN4vllm3moe22topkGatingSoftplusSqrtILi4ELi4ELi4ELi8ELi64ELb1Ej6__halfEEvPKT6_PKbPfiPT5_PiiiibdPKfPKS9_SF_.kd
    .uniform_work_group_size: 1
    .uses_dynamic_stack: false
    .vgpr_count:     22
    .vgpr_spill_count: 0
    .wavefront_size: 64
  - .agpr_count:     0
    .args:
      - .address_space:  global
        .offset:         0
        .size:           8
        .value_kind:     global_buffer
      - .address_space:  global
        .offset:         8
        .size:           8
        .value_kind:     global_buffer
      - .address_space:  global
        .offset:         16
        .size:           8
        .value_kind:     global_buffer
      - .offset:         24
        .size:           4
        .value_kind:     by_value
      - .address_space:  global
        .offset:         32
        .size:           8
        .value_kind:     global_buffer
      - .address_space:  global
        .offset:         40
        .size:           8
        .value_kind:     global_buffer
      - .offset:         48
        .size:           4
        .value_kind:     by_value
      - .offset:         52
        .size:           4
        .value_kind:     by_value
      - .offset:         56
        .size:           4
        .value_kind:     by_value
      - .offset:         60
        .size:           1
        .value_kind:     by_value
      - .offset:         64
        .size:           8
        .value_kind:     by_value
      - .address_space:  global
        .offset:         72
        .size:           8
        .value_kind:     global_buffer
      - .address_space:  global
        .offset:         80
        .size:           8
        .value_kind:     global_buffer
      - .address_space:  global
        .offset:         88
        .size:           8
        .value_kind:     global_buffer
    .group_segment_fixed_size: 0
    .kernarg_segment_align: 8
    .kernarg_segment_size: 96
    .language:       OpenCL C
    .language_version:
      - 2
      - 0
    .max_flat_workgroup_size: 256
    .name:           _ZN4vllm3moe22topkGatingSoftplusSqrtILi4ELi4ELi4ELi8ELi64ELb0Ej6__halfEEvPKT6_PKbPfiPT5_PiiiibdPKfPKS9_SF_
    .private_segment_fixed_size: 0
    .sgpr_count:     32
    .sgpr_spill_count: 0
    .symbol:         _ZN4vllm3moe22topkGatingSoftplusSqrtILi4ELi4ELi4ELi8ELi64ELb0Ej6__halfEEvPKT6_PKbPfiPT5_PiiiibdPKfPKS9_SF_.kd
    .uniform_work_group_size: 1
    .uses_dynamic_stack: false
    .vgpr_count:     15
    .vgpr_spill_count: 0
    .wavefront_size: 64
  - .agpr_count:     0
    .args:
      - .address_space:  global
        .offset:         0
        .size:           8
        .value_kind:     global_buffer
      - .address_space:  global
        .offset:         8
        .size:           8
        .value_kind:     global_buffer
      - .address_space:  global
        .offset:         16
        .size:           8
        .value_kind:     global_buffer
      - .offset:         24
        .size:           4
        .value_kind:     by_value
      - .address_space:  global
        .offset:         32
        .size:           8
        .value_kind:     global_buffer
      - .address_space:  global
        .offset:         40
        .size:           8
        .value_kind:     global_buffer
      - .offset:         48
        .size:           4
        .value_kind:     by_value
      - .offset:         52
        .size:           4
        .value_kind:     by_value
      - .offset:         56
        .size:           4
        .value_kind:     by_value
      - .offset:         60
        .size:           1
        .value_kind:     by_value
      - .offset:         64
        .size:           8
        .value_kind:     by_value
      - .address_space:  global
        .offset:         72
        .size:           8
        .value_kind:     global_buffer
      - .address_space:  global
        .offset:         80
        .size:           8
        .value_kind:     global_buffer
      - .address_space:  global
        .offset:         88
        .size:           8
        .value_kind:     global_buffer
    .group_segment_fixed_size: 0
    .kernarg_segment_align: 8
    .kernarg_segment_size: 96
    .language:       OpenCL C
    .language_version:
      - 2
      - 0
    .max_flat_workgroup_size: 128
    .name:           _ZN4vllm3moe22topkGatingSoftplusSqrtILi4ELi4ELi4ELi8ELi32ELb1Ej6__halfEEvPKT6_PKbPfiPT5_PiiiibdPKfPKS9_SF_
    .private_segment_fixed_size: 0
    .sgpr_count:     24
    .sgpr_spill_count: 0
    .symbol:         _ZN4vllm3moe22topkGatingSoftplusSqrtILi4ELi4ELi4ELi8ELi32ELb1Ej6__halfEEvPKT6_PKbPfiPT5_PiiiibdPKfPKS9_SF_.kd
    .uniform_work_group_size: 1
    .uses_dynamic_stack: false
    .vgpr_count:     22
    .vgpr_spill_count: 0
    .wavefront_size: 64
  - .agpr_count:     0
    .args:
      - .address_space:  global
        .offset:         0
        .size:           8
        .value_kind:     global_buffer
      - .address_space:  global
        .offset:         8
        .size:           8
        .value_kind:     global_buffer
      - .address_space:  global
        .offset:         16
        .size:           8
        .value_kind:     global_buffer
      - .offset:         24
        .size:           4
        .value_kind:     by_value
      - .address_space:  global
        .offset:         32
        .size:           8
        .value_kind:     global_buffer
      - .address_space:  global
        .offset:         40
        .size:           8
        .value_kind:     global_buffer
      - .offset:         48
        .size:           4
        .value_kind:     by_value
      - .offset:         52
        .size:           4
        .value_kind:     by_value
      - .offset:         56
        .size:           4
        .value_kind:     by_value
      - .offset:         60
        .size:           1
        .value_kind:     by_value
      - .offset:         64
        .size:           8
        .value_kind:     by_value
      - .address_space:  global
        .offset:         72
        .size:           8
        .value_kind:     global_buffer
      - .address_space:  global
        .offset:         80
        .size:           8
        .value_kind:     global_buffer
      - .address_space:  global
        .offset:         88
        .size:           8
        .value_kind:     global_buffer
    .group_segment_fixed_size: 0
    .kernarg_segment_align: 8
    .kernarg_segment_size: 96
    .language:       OpenCL C
    .language_version:
      - 2
      - 0
    .max_flat_workgroup_size: 128
    .name:           _ZN4vllm3moe22topkGatingSoftplusSqrtILi4ELi4ELi4ELi8ELi32ELb0Ej6__halfEEvPKT6_PKbPfiPT5_PiiiibdPKfPKS9_SF_
    .private_segment_fixed_size: 0
    .sgpr_count:     32
    .sgpr_spill_count: 0
    .symbol:         _ZN4vllm3moe22topkGatingSoftplusSqrtILi4ELi4ELi4ELi8ELi32ELb0Ej6__halfEEvPKT6_PKbPfiPT5_PiiiibdPKfPKS9_SF_.kd
    .uniform_work_group_size: 1
    .uses_dynamic_stack: false
    .vgpr_count:     15
    .vgpr_spill_count: 0
    .wavefront_size: 64
  - .agpr_count:     0
    .args:
      - .address_space:  global
        .offset:         0
        .size:           8
        .value_kind:     global_buffer
      - .address_space:  global
        .offset:         8
        .size:           8
        .value_kind:     global_buffer
      - .address_space:  global
        .offset:         16
        .size:           8
        .value_kind:     global_buffer
      - .offset:         24
        .size:           4
        .value_kind:     by_value
      - .address_space:  global
        .offset:         32
        .size:           8
        .value_kind:     global_buffer
      - .address_space:  global
        .offset:         40
        .size:           8
        .value_kind:     global_buffer
      - .offset:         48
        .size:           4
        .value_kind:     by_value
      - .offset:         52
        .size:           4
        .value_kind:     by_value
      - .offset:         56
        .size:           4
        .value_kind:     by_value
      - .offset:         60
        .size:           1
        .value_kind:     by_value
      - .offset:         64
        .size:           8
        .value_kind:     by_value
      - .address_space:  global
        .offset:         72
        .size:           8
        .value_kind:     global_buffer
      - .address_space:  global
        .offset:         80
        .size:           8
        .value_kind:     global_buffer
      - .address_space:  global
        .offset:         88
        .size:           8
        .value_kind:     global_buffer
    .group_segment_fixed_size: 0
    .kernarg_segment_align: 8
    .kernarg_segment_size: 96
    .language:       OpenCL C
    .language_version:
      - 2
      - 0
    .max_flat_workgroup_size: 256
    .name:           _ZN4vllm3moe22topkGatingSoftplusSqrtILi8ELi8ELi4ELi16ELi64ELb1Ej6__halfEEvPKT6_PKbPfiPT5_PiiiibdPKfPKS9_SF_
    .private_segment_fixed_size: 0
    .sgpr_count:     24
    .sgpr_spill_count: 0
    .symbol:         _ZN4vllm3moe22topkGatingSoftplusSqrtILi8ELi8ELi4ELi16ELi64ELb1Ej6__halfEEvPKT6_PKbPfiPT5_PiiiibdPKfPKS9_SF_.kd
    .uniform_work_group_size: 1
    .uses_dynamic_stack: false
    .vgpr_count:     26
    .vgpr_spill_count: 0
    .wavefront_size: 64
  - .agpr_count:     0
    .args:
      - .address_space:  global
        .offset:         0
        .size:           8
        .value_kind:     global_buffer
      - .address_space:  global
        .offset:         8
        .size:           8
        .value_kind:     global_buffer
      - .address_space:  global
        .offset:         16
        .size:           8
        .value_kind:     global_buffer
      - .offset:         24
        .size:           4
        .value_kind:     by_value
      - .address_space:  global
        .offset:         32
        .size:           8
        .value_kind:     global_buffer
      - .address_space:  global
        .offset:         40
        .size:           8
        .value_kind:     global_buffer
      - .offset:         48
        .size:           4
        .value_kind:     by_value
      - .offset:         52
        .size:           4
        .value_kind:     by_value
      - .offset:         56
        .size:           4
        .value_kind:     by_value
      - .offset:         60
        .size:           1
        .value_kind:     by_value
      - .offset:         64
        .size:           8
        .value_kind:     by_value
      - .address_space:  global
        .offset:         72
        .size:           8
        .value_kind:     global_buffer
      - .address_space:  global
        .offset:         80
        .size:           8
        .value_kind:     global_buffer
      - .address_space:  global
        .offset:         88
        .size:           8
        .value_kind:     global_buffer
    .group_segment_fixed_size: 0
    .kernarg_segment_align: 8
    .kernarg_segment_size: 96
    .language:       OpenCL C
    .language_version:
      - 2
      - 0
    .max_flat_workgroup_size: 256
    .name:           _ZN4vllm3moe22topkGatingSoftplusSqrtILi8ELi8ELi4ELi16ELi64ELb0Ej6__halfEEvPKT6_PKbPfiPT5_PiiiibdPKfPKS9_SF_
    .private_segment_fixed_size: 0
    .sgpr_count:     32
    .sgpr_spill_count: 0
    .symbol:         _ZN4vllm3moe22topkGatingSoftplusSqrtILi8ELi8ELi4ELi16ELi64ELb0Ej6__halfEEvPKT6_PKbPfiPT5_PiiiibdPKfPKS9_SF_.kd
    .uniform_work_group_size: 1
    .uses_dynamic_stack: false
    .vgpr_count:     20
    .vgpr_spill_count: 0
    .wavefront_size: 64
  - .agpr_count:     0
    .args:
      - .address_space:  global
        .offset:         0
        .size:           8
        .value_kind:     global_buffer
      - .address_space:  global
        .offset:         8
        .size:           8
        .value_kind:     global_buffer
      - .address_space:  global
        .offset:         16
        .size:           8
        .value_kind:     global_buffer
      - .offset:         24
        .size:           4
        .value_kind:     by_value
      - .address_space:  global
        .offset:         32
        .size:           8
        .value_kind:     global_buffer
      - .address_space:  global
        .offset:         40
        .size:           8
        .value_kind:     global_buffer
      - .offset:         48
        .size:           4
        .value_kind:     by_value
      - .offset:         52
        .size:           4
        .value_kind:     by_value
      - .offset:         56
        .size:           4
        .value_kind:     by_value
      - .offset:         60
        .size:           1
        .value_kind:     by_value
      - .offset:         64
        .size:           8
        .value_kind:     by_value
      - .address_space:  global
        .offset:         72
        .size:           8
        .value_kind:     global_buffer
      - .address_space:  global
        .offset:         80
        .size:           8
        .value_kind:     global_buffer
      - .address_space:  global
        .offset:         88
        .size:           8
        .value_kind:     global_buffer
    .group_segment_fixed_size: 0
    .kernarg_segment_align: 8
    .kernarg_segment_size: 96
    .language:       OpenCL C
    .language_version:
      - 2
      - 0
    .max_flat_workgroup_size: 128
    .name:           _ZN4vllm3moe22topkGatingSoftplusSqrtILi8ELi8ELi4ELi16ELi32ELb1Ej6__halfEEvPKT6_PKbPfiPT5_PiiiibdPKfPKS9_SF_
    .private_segment_fixed_size: 0
    .sgpr_count:     24
    .sgpr_spill_count: 0
    .symbol:         _ZN4vllm3moe22topkGatingSoftplusSqrtILi8ELi8ELi4ELi16ELi32ELb1Ej6__halfEEvPKT6_PKbPfiPT5_PiiiibdPKfPKS9_SF_.kd
    .uniform_work_group_size: 1
    .uses_dynamic_stack: false
    .vgpr_count:     26
    .vgpr_spill_count: 0
    .wavefront_size: 64
  - .agpr_count:     0
    .args:
      - .address_space:  global
        .offset:         0
        .size:           8
        .value_kind:     global_buffer
      - .address_space:  global
        .offset:         8
        .size:           8
        .value_kind:     global_buffer
      - .address_space:  global
        .offset:         16
        .size:           8
        .value_kind:     global_buffer
      - .offset:         24
        .size:           4
        .value_kind:     by_value
      - .address_space:  global
        .offset:         32
        .size:           8
        .value_kind:     global_buffer
      - .address_space:  global
        .offset:         40
        .size:           8
        .value_kind:     global_buffer
      - .offset:         48
        .size:           4
        .value_kind:     by_value
      - .offset:         52
        .size:           4
        .value_kind:     by_value
      - .offset:         56
        .size:           4
        .value_kind:     by_value
      - .offset:         60
        .size:           1
        .value_kind:     by_value
      - .offset:         64
        .size:           8
        .value_kind:     by_value
      - .address_space:  global
        .offset:         72
        .size:           8
        .value_kind:     global_buffer
      - .address_space:  global
        .offset:         80
        .size:           8
        .value_kind:     global_buffer
      - .address_space:  global
        .offset:         88
        .size:           8
        .value_kind:     global_buffer
    .group_segment_fixed_size: 0
    .kernarg_segment_align: 8
    .kernarg_segment_size: 96
    .language:       OpenCL C
    .language_version:
      - 2
      - 0
    .max_flat_workgroup_size: 128
    .name:           _ZN4vllm3moe22topkGatingSoftplusSqrtILi8ELi8ELi4ELi16ELi32ELb0Ej6__halfEEvPKT6_PKbPfiPT5_PiiiibdPKfPKS9_SF_
    .private_segment_fixed_size: 0
    .sgpr_count:     32
    .sgpr_spill_count: 0
    .symbol:         _ZN4vllm3moe22topkGatingSoftplusSqrtILi8ELi8ELi4ELi16ELi32ELb0Ej6__halfEEvPKT6_PKbPfiPT5_PiiiibdPKfPKS9_SF_.kd
    .uniform_work_group_size: 1
    .uses_dynamic_stack: false
    .vgpr_count:     20
    .vgpr_spill_count: 0
    .wavefront_size: 64
  - .agpr_count:     0
    .args:
      - .address_space:  global
        .offset:         0
        .size:           8
        .value_kind:     global_buffer
      - .address_space:  global
        .offset:         8
        .size:           8
        .value_kind:     global_buffer
      - .address_space:  global
        .offset:         16
        .size:           8
        .value_kind:     global_buffer
      - .offset:         24
        .size:           4
        .value_kind:     by_value
      - .address_space:  global
        .offset:         32
        .size:           8
        .value_kind:     global_buffer
      - .address_space:  global
        .offset:         40
        .size:           8
        .value_kind:     global_buffer
      - .offset:         48
        .size:           4
        .value_kind:     by_value
      - .offset:         52
        .size:           4
        .value_kind:     by_value
      - .offset:         56
        .size:           4
        .value_kind:     by_value
      - .offset:         60
        .size:           1
        .value_kind:     by_value
      - .offset:         64
        .size:           8
        .value_kind:     by_value
      - .address_space:  global
        .offset:         72
        .size:           8
        .value_kind:     global_buffer
      - .address_space:  global
        .offset:         80
        .size:           8
        .value_kind:     global_buffer
      - .address_space:  global
        .offset:         88
        .size:           8
        .value_kind:     global_buffer
    .group_segment_fixed_size: 0
    .kernarg_segment_align: 8
    .kernarg_segment_size: 96
    .language:       OpenCL C
    .language_version:
      - 2
      - 0
    .max_flat_workgroup_size: 256
    .name:           _ZN4vllm3moe22topkGatingSoftplusSqrtILi8ELi16ELi4ELi16ELi64ELb1Ej6__halfEEvPKT6_PKbPfiPT5_PiiiibdPKfPKS9_SF_
    .private_segment_fixed_size: 48
    .sgpr_count:     40
    .sgpr_spill_count: 0
    .symbol:         _ZN4vllm3moe22topkGatingSoftplusSqrtILi8ELi16ELi4ELi16ELi64ELb1Ej6__halfEEvPKT6_PKbPfiPT5_PiiiibdPKfPKS9_SF_.kd
    .uniform_work_group_size: 1
    .uses_dynamic_stack: false
    .vgpr_count:     27
    .vgpr_spill_count: 0
    .wavefront_size: 64
  - .agpr_count:     0
    .args:
      - .address_space:  global
        .offset:         0
        .size:           8
        .value_kind:     global_buffer
      - .address_space:  global
        .offset:         8
        .size:           8
        .value_kind:     global_buffer
      - .address_space:  global
        .offset:         16
        .size:           8
        .value_kind:     global_buffer
      - .offset:         24
        .size:           4
        .value_kind:     by_value
      - .address_space:  global
        .offset:         32
        .size:           8
        .value_kind:     global_buffer
      - .address_space:  global
        .offset:         40
        .size:           8
        .value_kind:     global_buffer
      - .offset:         48
        .size:           4
        .value_kind:     by_value
      - .offset:         52
        .size:           4
        .value_kind:     by_value
      - .offset:         56
        .size:           4
        .value_kind:     by_value
      - .offset:         60
        .size:           1
        .value_kind:     by_value
      - .offset:         64
        .size:           8
        .value_kind:     by_value
      - .address_space:  global
        .offset:         72
        .size:           8
        .value_kind:     global_buffer
      - .address_space:  global
        .offset:         80
        .size:           8
        .value_kind:     global_buffer
      - .address_space:  global
        .offset:         88
        .size:           8
        .value_kind:     global_buffer
    .group_segment_fixed_size: 0
    .kernarg_segment_align: 8
    .kernarg_segment_size: 96
    .language:       OpenCL C
    .language_version:
      - 2
      - 0
    .max_flat_workgroup_size: 256
    .name:           _ZN4vllm3moe22topkGatingSoftplusSqrtILi8ELi16ELi4ELi16ELi64ELb0Ej6__halfEEvPKT6_PKbPfiPT5_PiiiibdPKfPKS9_SF_
    .private_segment_fixed_size: 0
    .sgpr_count:     49
    .sgpr_spill_count: 0
    .symbol:         _ZN4vllm3moe22topkGatingSoftplusSqrtILi8ELi16ELi4ELi16ELi64ELb0Ej6__halfEEvPKT6_PKbPfiPT5_PiiiibdPKfPKS9_SF_.kd
    .uniform_work_group_size: 1
    .uses_dynamic_stack: false
    .vgpr_count:     24
    .vgpr_spill_count: 0
    .wavefront_size: 64
  - .agpr_count:     0
    .args:
      - .address_space:  global
        .offset:         0
        .size:           8
        .value_kind:     global_buffer
      - .address_space:  global
        .offset:         8
        .size:           8
        .value_kind:     global_buffer
      - .address_space:  global
        .offset:         16
        .size:           8
        .value_kind:     global_buffer
      - .offset:         24
        .size:           4
        .value_kind:     by_value
      - .address_space:  global
        .offset:         32
        .size:           8
        .value_kind:     global_buffer
      - .address_space:  global
        .offset:         40
        .size:           8
        .value_kind:     global_buffer
      - .offset:         48
        .size:           4
        .value_kind:     by_value
      - .offset:         52
        .size:           4
        .value_kind:     by_value
      - .offset:         56
        .size:           4
        .value_kind:     by_value
      - .offset:         60
        .size:           1
        .value_kind:     by_value
      - .offset:         64
        .size:           8
        .value_kind:     by_value
      - .address_space:  global
        .offset:         72
        .size:           8
        .value_kind:     global_buffer
      - .address_space:  global
        .offset:         80
        .size:           8
        .value_kind:     global_buffer
      - .address_space:  global
        .offset:         88
        .size:           8
        .value_kind:     global_buffer
    .group_segment_fixed_size: 0
    .kernarg_segment_align: 8
    .kernarg_segment_size: 96
    .language:       OpenCL C
    .language_version:
      - 2
      - 0
    .max_flat_workgroup_size: 128
    .name:           _ZN4vllm3moe22topkGatingSoftplusSqrtILi8ELi16ELi4ELi16ELi32ELb1Ej6__halfEEvPKT6_PKbPfiPT5_PiiiibdPKfPKS9_SF_
    .private_segment_fixed_size: 48
    .sgpr_count:     40
    .sgpr_spill_count: 0
    .symbol:         _ZN4vllm3moe22topkGatingSoftplusSqrtILi8ELi16ELi4ELi16ELi32ELb1Ej6__halfEEvPKT6_PKbPfiPT5_PiiiibdPKfPKS9_SF_.kd
    .uniform_work_group_size: 1
    .uses_dynamic_stack: false
    .vgpr_count:     27
    .vgpr_spill_count: 0
    .wavefront_size: 64
  - .agpr_count:     0
    .args:
      - .address_space:  global
        .offset:         0
        .size:           8
        .value_kind:     global_buffer
      - .address_space:  global
        .offset:         8
        .size:           8
        .value_kind:     global_buffer
      - .address_space:  global
        .offset:         16
        .size:           8
        .value_kind:     global_buffer
      - .offset:         24
        .size:           4
        .value_kind:     by_value
      - .address_space:  global
        .offset:         32
        .size:           8
        .value_kind:     global_buffer
      - .address_space:  global
        .offset:         40
        .size:           8
        .value_kind:     global_buffer
      - .offset:         48
        .size:           4
        .value_kind:     by_value
      - .offset:         52
        .size:           4
        .value_kind:     by_value
      - .offset:         56
        .size:           4
        .value_kind:     by_value
      - .offset:         60
        .size:           1
        .value_kind:     by_value
      - .offset:         64
        .size:           8
        .value_kind:     by_value
      - .address_space:  global
        .offset:         72
        .size:           8
        .value_kind:     global_buffer
      - .address_space:  global
        .offset:         80
        .size:           8
        .value_kind:     global_buffer
      - .address_space:  global
        .offset:         88
        .size:           8
        .value_kind:     global_buffer
    .group_segment_fixed_size: 0
    .kernarg_segment_align: 8
    .kernarg_segment_size: 96
    .language:       OpenCL C
    .language_version:
      - 2
      - 0
    .max_flat_workgroup_size: 128
    .name:           _ZN4vllm3moe22topkGatingSoftplusSqrtILi8ELi16ELi4ELi16ELi32ELb0Ej6__halfEEvPKT6_PKbPfiPT5_PiiiibdPKfPKS9_SF_
    .private_segment_fixed_size: 0
    .sgpr_count:     49
    .sgpr_spill_count: 0
    .symbol:         _ZN4vllm3moe22topkGatingSoftplusSqrtILi8ELi16ELi4ELi16ELi32ELb0Ej6__halfEEvPKT6_PKbPfiPT5_PiiiibdPKfPKS9_SF_.kd
    .uniform_work_group_size: 1
    .uses_dynamic_stack: false
    .vgpr_count:     24
    .vgpr_spill_count: 0
    .wavefront_size: 64
  - .agpr_count:     0
    .args:
      - .address_space:  global
        .offset:         0
        .size:           8
        .value_kind:     global_buffer
      - .address_space:  global
        .offset:         8
        .size:           8
        .value_kind:     global_buffer
      - .address_space:  global
        .offset:         16
        .size:           8
        .value_kind:     global_buffer
      - .offset:         24
        .size:           4
        .value_kind:     by_value
      - .address_space:  global
        .offset:         32
        .size:           8
        .value_kind:     global_buffer
      - .address_space:  global
        .offset:         40
        .size:           8
        .value_kind:     global_buffer
      - .offset:         48
        .size:           4
        .value_kind:     by_value
      - .offset:         52
        .size:           4
        .value_kind:     by_value
      - .offset:         56
        .size:           4
        .value_kind:     by_value
      - .offset:         60
        .size:           1
        .value_kind:     by_value
      - .offset:         64
        .size:           8
        .value_kind:     by_value
      - .address_space:  global
        .offset:         72
        .size:           8
        .value_kind:     global_buffer
      - .address_space:  global
        .offset:         80
        .size:           8
        .value_kind:     global_buffer
      - .address_space:  global
        .offset:         88
        .size:           8
        .value_kind:     global_buffer
    .group_segment_fixed_size: 0
    .kernarg_segment_align: 8
    .kernarg_segment_size: 96
    .language:       OpenCL C
    .language_version:
      - 2
      - 0
    .max_flat_workgroup_size: 256
    .name:           _ZN4vllm3moe22topkGatingSoftplusSqrtILi8ELi32ELi4ELi16ELi64ELb1Ej6__halfEEvPKT6_PKbPfiPT5_PiiiibdPKfPKS9_SF_
    .private_segment_fixed_size: 48
    .sgpr_count:     40
    .sgpr_spill_count: 0
    .symbol:         _ZN4vllm3moe22topkGatingSoftplusSqrtILi8ELi32ELi4ELi16ELi64ELb1Ej6__halfEEvPKT6_PKbPfiPT5_PiiiibdPKfPKS9_SF_.kd
    .uniform_work_group_size: 1
    .uses_dynamic_stack: false
    .vgpr_count:     27
    .vgpr_spill_count: 0
    .wavefront_size: 64
  - .agpr_count:     0
    .args:
      - .address_space:  global
        .offset:         0
        .size:           8
        .value_kind:     global_buffer
      - .address_space:  global
        .offset:         8
        .size:           8
        .value_kind:     global_buffer
      - .address_space:  global
        .offset:         16
        .size:           8
        .value_kind:     global_buffer
      - .offset:         24
        .size:           4
        .value_kind:     by_value
      - .address_space:  global
        .offset:         32
        .size:           8
        .value_kind:     global_buffer
      - .address_space:  global
        .offset:         40
        .size:           8
        .value_kind:     global_buffer
      - .offset:         48
        .size:           4
        .value_kind:     by_value
      - .offset:         52
        .size:           4
        .value_kind:     by_value
      - .offset:         56
        .size:           4
        .value_kind:     by_value
      - .offset:         60
        .size:           1
        .value_kind:     by_value
      - .offset:         64
        .size:           8
        .value_kind:     by_value
      - .address_space:  global
        .offset:         72
        .size:           8
        .value_kind:     global_buffer
      - .address_space:  global
        .offset:         80
        .size:           8
        .value_kind:     global_buffer
      - .address_space:  global
        .offset:         88
        .size:           8
        .value_kind:     global_buffer
    .group_segment_fixed_size: 0
    .kernarg_segment_align: 8
    .kernarg_segment_size: 96
    .language:       OpenCL C
    .language_version:
      - 2
      - 0
    .max_flat_workgroup_size: 256
    .name:           _ZN4vllm3moe22topkGatingSoftplusSqrtILi8ELi32ELi4ELi16ELi64ELb0Ej6__halfEEvPKT6_PKbPfiPT5_PiiiibdPKfPKS9_SF_
    .private_segment_fixed_size: 0
    .sgpr_count:     49
    .sgpr_spill_count: 0
    .symbol:         _ZN4vllm3moe22topkGatingSoftplusSqrtILi8ELi32ELi4ELi16ELi64ELb0Ej6__halfEEvPKT6_PKbPfiPT5_PiiiibdPKfPKS9_SF_.kd
    .uniform_work_group_size: 1
    .uses_dynamic_stack: false
    .vgpr_count:     24
    .vgpr_spill_count: 0
    .wavefront_size: 64
  - .agpr_count:     0
    .args:
      - .address_space:  global
        .offset:         0
        .size:           8
        .value_kind:     global_buffer
      - .address_space:  global
        .offset:         8
        .size:           8
        .value_kind:     global_buffer
      - .address_space:  global
        .offset:         16
        .size:           8
        .value_kind:     global_buffer
      - .offset:         24
        .size:           4
        .value_kind:     by_value
      - .address_space:  global
        .offset:         32
        .size:           8
        .value_kind:     global_buffer
      - .address_space:  global
        .offset:         40
        .size:           8
        .value_kind:     global_buffer
      - .offset:         48
        .size:           4
        .value_kind:     by_value
      - .offset:         52
        .size:           4
        .value_kind:     by_value
      - .offset:         56
        .size:           4
        .value_kind:     by_value
      - .offset:         60
        .size:           1
        .value_kind:     by_value
      - .offset:         64
        .size:           8
        .value_kind:     by_value
      - .address_space:  global
        .offset:         72
        .size:           8
        .value_kind:     global_buffer
      - .address_space:  global
        .offset:         80
        .size:           8
        .value_kind:     global_buffer
      - .address_space:  global
        .offset:         88
        .size:           8
        .value_kind:     global_buffer
    .group_segment_fixed_size: 0
    .kernarg_segment_align: 8
    .kernarg_segment_size: 96
    .language:       OpenCL C
    .language_version:
      - 2
      - 0
    .max_flat_workgroup_size: 128
    .name:           _ZN4vllm3moe22topkGatingSoftplusSqrtILi8ELi32ELi4ELi16ELi32ELb1Ej6__halfEEvPKT6_PKbPfiPT5_PiiiibdPKfPKS9_SF_
    .private_segment_fixed_size: 48
    .sgpr_count:     40
    .sgpr_spill_count: 0
    .symbol:         _ZN4vllm3moe22topkGatingSoftplusSqrtILi8ELi32ELi4ELi16ELi32ELb1Ej6__halfEEvPKT6_PKbPfiPT5_PiiiibdPKfPKS9_SF_.kd
    .uniform_work_group_size: 1
    .uses_dynamic_stack: false
    .vgpr_count:     27
    .vgpr_spill_count: 0
    .wavefront_size: 64
  - .agpr_count:     0
    .args:
      - .address_space:  global
        .offset:         0
        .size:           8
        .value_kind:     global_buffer
      - .address_space:  global
        .offset:         8
        .size:           8
        .value_kind:     global_buffer
      - .address_space:  global
        .offset:         16
        .size:           8
        .value_kind:     global_buffer
      - .offset:         24
        .size:           4
        .value_kind:     by_value
      - .address_space:  global
        .offset:         32
        .size:           8
        .value_kind:     global_buffer
      - .address_space:  global
        .offset:         40
        .size:           8
        .value_kind:     global_buffer
      - .offset:         48
        .size:           4
        .value_kind:     by_value
      - .offset:         52
        .size:           4
        .value_kind:     by_value
      - .offset:         56
        .size:           4
        .value_kind:     by_value
      - .offset:         60
        .size:           1
        .value_kind:     by_value
      - .offset:         64
        .size:           8
        .value_kind:     by_value
      - .address_space:  global
        .offset:         72
        .size:           8
        .value_kind:     global_buffer
      - .address_space:  global
        .offset:         80
        .size:           8
        .value_kind:     global_buffer
      - .address_space:  global
        .offset:         88
        .size:           8
        .value_kind:     global_buffer
    .group_segment_fixed_size: 0
    .kernarg_segment_align: 8
    .kernarg_segment_size: 96
    .language:       OpenCL C
    .language_version:
      - 2
      - 0
    .max_flat_workgroup_size: 128
    .name:           _ZN4vllm3moe22topkGatingSoftplusSqrtILi8ELi32ELi4ELi16ELi32ELb0Ej6__halfEEvPKT6_PKbPfiPT5_PiiiibdPKfPKS9_SF_
    .private_segment_fixed_size: 0
    .sgpr_count:     49
    .sgpr_spill_count: 0
    .symbol:         _ZN4vllm3moe22topkGatingSoftplusSqrtILi8ELi32ELi4ELi16ELi32ELb0Ej6__halfEEvPKT6_PKbPfiPT5_PiiiibdPKfPKS9_SF_.kd
    .uniform_work_group_size: 1
    .uses_dynamic_stack: false
    .vgpr_count:     24
    .vgpr_spill_count: 0
    .wavefront_size: 64
  - .agpr_count:     0
    .args:
      - .address_space:  global
        .offset:         0
        .size:           8
        .value_kind:     global_buffer
      - .address_space:  global
        .offset:         8
        .size:           8
        .value_kind:     global_buffer
      - .address_space:  global
        .offset:         16
        .size:           8
        .value_kind:     global_buffer
      - .offset:         24
        .size:           4
        .value_kind:     by_value
      - .address_space:  global
        .offset:         32
        .size:           8
        .value_kind:     global_buffer
      - .address_space:  global
        .offset:         40
        .size:           8
        .value_kind:     global_buffer
      - .offset:         48
        .size:           4
        .value_kind:     by_value
      - .offset:         52
        .size:           4
        .value_kind:     by_value
      - .offset:         56
        .size:           4
        .value_kind:     by_value
      - .offset:         60
        .size:           1
        .value_kind:     by_value
      - .offset:         64
        .size:           8
        .value_kind:     by_value
      - .address_space:  global
        .offset:         72
        .size:           8
        .value_kind:     global_buffer
      - .address_space:  global
        .offset:         80
        .size:           8
        .value_kind:     global_buffer
      - .address_space:  global
        .offset:         88
        .size:           8
        .value_kind:     global_buffer
    .group_segment_fixed_size: 0
    .kernarg_segment_align: 8
    .kernarg_segment_size: 96
    .language:       OpenCL C
    .language_version:
      - 2
      - 0
    .max_flat_workgroup_size: 256
    .name:           _ZN4vllm3moe22topkGatingSoftplusSqrtILi8ELi64ELi4ELi16ELi64ELb1Ej6__halfEEvPKT6_PKbPfiPT5_PiiiibdPKfPKS9_SF_
    .private_segment_fixed_size: 48
    .sgpr_count:     40
    .sgpr_spill_count: 0
    .symbol:         _ZN4vllm3moe22topkGatingSoftplusSqrtILi8ELi64ELi4ELi16ELi64ELb1Ej6__halfEEvPKT6_PKbPfiPT5_PiiiibdPKfPKS9_SF_.kd
    .uniform_work_group_size: 1
    .uses_dynamic_stack: false
    .vgpr_count:     27
    .vgpr_spill_count: 0
    .wavefront_size: 64
  - .agpr_count:     0
    .args:
      - .address_space:  global
        .offset:         0
        .size:           8
        .value_kind:     global_buffer
      - .address_space:  global
        .offset:         8
        .size:           8
        .value_kind:     global_buffer
      - .address_space:  global
        .offset:         16
        .size:           8
        .value_kind:     global_buffer
      - .offset:         24
        .size:           4
        .value_kind:     by_value
      - .address_space:  global
        .offset:         32
        .size:           8
        .value_kind:     global_buffer
      - .address_space:  global
        .offset:         40
        .size:           8
        .value_kind:     global_buffer
      - .offset:         48
        .size:           4
        .value_kind:     by_value
      - .offset:         52
        .size:           4
        .value_kind:     by_value
      - .offset:         56
        .size:           4
        .value_kind:     by_value
      - .offset:         60
        .size:           1
        .value_kind:     by_value
      - .offset:         64
        .size:           8
        .value_kind:     by_value
      - .address_space:  global
        .offset:         72
        .size:           8
        .value_kind:     global_buffer
      - .address_space:  global
        .offset:         80
        .size:           8
        .value_kind:     global_buffer
      - .address_space:  global
        .offset:         88
        .size:           8
        .value_kind:     global_buffer
    .group_segment_fixed_size: 0
    .kernarg_segment_align: 8
    .kernarg_segment_size: 96
    .language:       OpenCL C
    .language_version:
      - 2
      - 0
    .max_flat_workgroup_size: 256
    .name:           _ZN4vllm3moe22topkGatingSoftplusSqrtILi8ELi64ELi4ELi16ELi64ELb0Ej6__halfEEvPKT6_PKbPfiPT5_PiiiibdPKfPKS9_SF_
    .private_segment_fixed_size: 0
    .sgpr_count:     49
    .sgpr_spill_count: 0
    .symbol:         _ZN4vllm3moe22topkGatingSoftplusSqrtILi8ELi64ELi4ELi16ELi64ELb0Ej6__halfEEvPKT6_PKbPfiPT5_PiiiibdPKfPKS9_SF_.kd
    .uniform_work_group_size: 1
    .uses_dynamic_stack: false
    .vgpr_count:     26
    .vgpr_spill_count: 0
    .wavefront_size: 64
  - .agpr_count:     0
    .args:
      - .address_space:  global
        .offset:         0
        .size:           8
        .value_kind:     global_buffer
      - .address_space:  global
        .offset:         8
        .size:           8
        .value_kind:     global_buffer
      - .address_space:  global
        .offset:         16
        .size:           8
        .value_kind:     global_buffer
      - .offset:         24
        .size:           4
        .value_kind:     by_value
      - .address_space:  global
        .offset:         32
        .size:           8
        .value_kind:     global_buffer
      - .address_space:  global
        .offset:         40
        .size:           8
        .value_kind:     global_buffer
      - .offset:         48
        .size:           4
        .value_kind:     by_value
      - .offset:         52
        .size:           4
        .value_kind:     by_value
      - .offset:         56
        .size:           4
        .value_kind:     by_value
      - .offset:         60
        .size:           1
        .value_kind:     by_value
      - .offset:         64
        .size:           8
        .value_kind:     by_value
      - .address_space:  global
        .offset:         72
        .size:           8
        .value_kind:     global_buffer
      - .address_space:  global
        .offset:         80
        .size:           8
        .value_kind:     global_buffer
      - .address_space:  global
        .offset:         88
        .size:           8
        .value_kind:     global_buffer
    .group_segment_fixed_size: 0
    .kernarg_segment_align: 8
    .kernarg_segment_size: 96
    .language:       OpenCL C
    .language_version:
      - 2
      - 0
    .max_flat_workgroup_size: 128
    .name:           _ZN4vllm3moe22topkGatingSoftplusSqrtILi8ELi64ELi4ELi16ELi32ELb1Ej6__halfEEvPKT6_PKbPfiPT5_PiiiibdPKfPKS9_SF_
    .private_segment_fixed_size: 48
    .sgpr_count:     40
    .sgpr_spill_count: 0
    .symbol:         _ZN4vllm3moe22topkGatingSoftplusSqrtILi8ELi64ELi4ELi16ELi32ELb1Ej6__halfEEvPKT6_PKbPfiPT5_PiiiibdPKfPKS9_SF_.kd
    .uniform_work_group_size: 1
    .uses_dynamic_stack: false
    .vgpr_count:     27
    .vgpr_spill_count: 0
    .wavefront_size: 64
  - .agpr_count:     0
    .args:
      - .address_space:  global
        .offset:         0
        .size:           8
        .value_kind:     global_buffer
      - .address_space:  global
        .offset:         8
        .size:           8
        .value_kind:     global_buffer
      - .address_space:  global
        .offset:         16
        .size:           8
        .value_kind:     global_buffer
      - .offset:         24
        .size:           4
        .value_kind:     by_value
      - .address_space:  global
        .offset:         32
        .size:           8
        .value_kind:     global_buffer
      - .address_space:  global
        .offset:         40
        .size:           8
        .value_kind:     global_buffer
      - .offset:         48
        .size:           4
        .value_kind:     by_value
      - .offset:         52
        .size:           4
        .value_kind:     by_value
      - .offset:         56
        .size:           4
        .value_kind:     by_value
      - .offset:         60
        .size:           1
        .value_kind:     by_value
      - .offset:         64
        .size:           8
        .value_kind:     by_value
      - .address_space:  global
        .offset:         72
        .size:           8
        .value_kind:     global_buffer
      - .address_space:  global
        .offset:         80
        .size:           8
        .value_kind:     global_buffer
      - .address_space:  global
        .offset:         88
        .size:           8
        .value_kind:     global_buffer
    .group_segment_fixed_size: 0
    .kernarg_segment_align: 8
    .kernarg_segment_size: 96
    .language:       OpenCL C
    .language_version:
      - 2
      - 0
    .max_flat_workgroup_size: 128
    .name:           _ZN4vllm3moe22topkGatingSoftplusSqrtILi8ELi64ELi4ELi16ELi32ELb0Ej6__halfEEvPKT6_PKbPfiPT5_PiiiibdPKfPKS9_SF_
    .private_segment_fixed_size: 0
    .sgpr_count:     49
    .sgpr_spill_count: 0
    .symbol:         _ZN4vllm3moe22topkGatingSoftplusSqrtILi8ELi64ELi4ELi16ELi32ELb0Ej6__halfEEvPKT6_PKbPfiPT5_PiiiibdPKfPKS9_SF_.kd
    .uniform_work_group_size: 1
    .uses_dynamic_stack: false
    .vgpr_count:     26
    .vgpr_spill_count: 0
    .wavefront_size: 64
  - .agpr_count:     0
    .args:
      - .address_space:  global
        .offset:         0
        .size:           8
        .value_kind:     global_buffer
      - .address_space:  global
        .offset:         8
        .size:           8
        .value_kind:     global_buffer
      - .address_space:  global
        .offset:         16
        .size:           8
        .value_kind:     global_buffer
      - .offset:         24
        .size:           4
        .value_kind:     by_value
      - .address_space:  global
        .offset:         32
        .size:           8
        .value_kind:     global_buffer
      - .address_space:  global
        .offset:         40
        .size:           8
        .value_kind:     global_buffer
      - .offset:         48
        .size:           4
        .value_kind:     by_value
      - .offset:         52
        .size:           4
        .value_kind:     by_value
      - .offset:         56
        .size:           4
        .value_kind:     by_value
      - .offset:         60
        .size:           1
        .value_kind:     by_value
      - .offset:         64
        .size:           8
        .value_kind:     by_value
      - .address_space:  global
        .offset:         72
        .size:           8
        .value_kind:     global_buffer
      - .address_space:  global
        .offset:         80
        .size:           8
        .value_kind:     global_buffer
      - .address_space:  global
        .offset:         88
        .size:           8
        .value_kind:     global_buffer
    .group_segment_fixed_size: 0
    .kernarg_segment_align: 8
    .kernarg_segment_size: 96
    .language:       OpenCL C
    .language_version:
      - 2
      - 0
    .max_flat_workgroup_size: 256
    .name:           _ZN4vllm3moe22topkGatingSoftplusSqrtILi8ELi128ELi4ELi16ELi64ELb1Ej6__halfEEvPKT6_PKbPfiPT5_PiiiibdPKfPKS9_SF_
    .private_segment_fixed_size: 48
    .sgpr_count:     40
    .sgpr_spill_count: 0
    .symbol:         _ZN4vllm3moe22topkGatingSoftplusSqrtILi8ELi128ELi4ELi16ELi64ELb1Ej6__halfEEvPKT6_PKbPfiPT5_PiiiibdPKfPKS9_SF_.kd
    .uniform_work_group_size: 1
    .uses_dynamic_stack: false
    .vgpr_count:     27
    .vgpr_spill_count: 0
    .wavefront_size: 64
  - .agpr_count:     0
    .args:
      - .address_space:  global
        .offset:         0
        .size:           8
        .value_kind:     global_buffer
      - .address_space:  global
        .offset:         8
        .size:           8
        .value_kind:     global_buffer
      - .address_space:  global
        .offset:         16
        .size:           8
        .value_kind:     global_buffer
      - .offset:         24
        .size:           4
        .value_kind:     by_value
      - .address_space:  global
        .offset:         32
        .size:           8
        .value_kind:     global_buffer
      - .address_space:  global
        .offset:         40
        .size:           8
        .value_kind:     global_buffer
      - .offset:         48
        .size:           4
        .value_kind:     by_value
      - .offset:         52
        .size:           4
        .value_kind:     by_value
      - .offset:         56
        .size:           4
        .value_kind:     by_value
      - .offset:         60
        .size:           1
        .value_kind:     by_value
      - .offset:         64
        .size:           8
        .value_kind:     by_value
      - .address_space:  global
        .offset:         72
        .size:           8
        .value_kind:     global_buffer
      - .address_space:  global
        .offset:         80
        .size:           8
        .value_kind:     global_buffer
      - .address_space:  global
        .offset:         88
        .size:           8
        .value_kind:     global_buffer
    .group_segment_fixed_size: 0
    .kernarg_segment_align: 8
    .kernarg_segment_size: 96
    .language:       OpenCL C
    .language_version:
      - 2
      - 0
    .max_flat_workgroup_size: 256
    .name:           _ZN4vllm3moe22topkGatingSoftplusSqrtILi8ELi128ELi4ELi16ELi64ELb0Ej6__halfEEvPKT6_PKbPfiPT5_PiiiibdPKfPKS9_SF_
    .private_segment_fixed_size: 0
    .sgpr_count:     49
    .sgpr_spill_count: 0
    .symbol:         _ZN4vllm3moe22topkGatingSoftplusSqrtILi8ELi128ELi4ELi16ELi64ELb0Ej6__halfEEvPKT6_PKbPfiPT5_PiiiibdPKfPKS9_SF_.kd
    .uniform_work_group_size: 1
    .uses_dynamic_stack: false
    .vgpr_count:     28
    .vgpr_spill_count: 0
    .wavefront_size: 64
  - .agpr_count:     0
    .args:
      - .address_space:  global
        .offset:         0
        .size:           8
        .value_kind:     global_buffer
      - .address_space:  global
        .offset:         8
        .size:           8
        .value_kind:     global_buffer
      - .address_space:  global
        .offset:         16
        .size:           8
        .value_kind:     global_buffer
      - .offset:         24
        .size:           4
        .value_kind:     by_value
      - .address_space:  global
        .offset:         32
        .size:           8
        .value_kind:     global_buffer
      - .address_space:  global
        .offset:         40
        .size:           8
        .value_kind:     global_buffer
      - .offset:         48
        .size:           4
        .value_kind:     by_value
      - .offset:         52
        .size:           4
        .value_kind:     by_value
      - .offset:         56
        .size:           4
        .value_kind:     by_value
      - .offset:         60
        .size:           1
        .value_kind:     by_value
      - .offset:         64
        .size:           8
        .value_kind:     by_value
      - .address_space:  global
        .offset:         72
        .size:           8
        .value_kind:     global_buffer
      - .address_space:  global
        .offset:         80
        .size:           8
        .value_kind:     global_buffer
      - .address_space:  global
        .offset:         88
        .size:           8
        .value_kind:     global_buffer
    .group_segment_fixed_size: 0
    .kernarg_segment_align: 8
    .kernarg_segment_size: 96
    .language:       OpenCL C
    .language_version:
      - 2
      - 0
    .max_flat_workgroup_size: 128
    .name:           _ZN4vllm3moe22topkGatingSoftplusSqrtILi8ELi128ELi4ELi16ELi32ELb1Ej6__halfEEvPKT6_PKbPfiPT5_PiiiibdPKfPKS9_SF_
    .private_segment_fixed_size: 48
    .sgpr_count:     40
    .sgpr_spill_count: 0
    .symbol:         _ZN4vllm3moe22topkGatingSoftplusSqrtILi8ELi128ELi4ELi16ELi32ELb1Ej6__halfEEvPKT6_PKbPfiPT5_PiiiibdPKfPKS9_SF_.kd
    .uniform_work_group_size: 1
    .uses_dynamic_stack: false
    .vgpr_count:     27
    .vgpr_spill_count: 0
    .wavefront_size: 64
  - .agpr_count:     0
    .args:
      - .address_space:  global
        .offset:         0
        .size:           8
        .value_kind:     global_buffer
      - .address_space:  global
        .offset:         8
        .size:           8
        .value_kind:     global_buffer
      - .address_space:  global
        .offset:         16
        .size:           8
        .value_kind:     global_buffer
      - .offset:         24
        .size:           4
        .value_kind:     by_value
      - .address_space:  global
        .offset:         32
        .size:           8
        .value_kind:     global_buffer
      - .address_space:  global
        .offset:         40
        .size:           8
        .value_kind:     global_buffer
      - .offset:         48
        .size:           4
        .value_kind:     by_value
      - .offset:         52
        .size:           4
        .value_kind:     by_value
      - .offset:         56
        .size:           4
        .value_kind:     by_value
      - .offset:         60
        .size:           1
        .value_kind:     by_value
      - .offset:         64
        .size:           8
        .value_kind:     by_value
      - .address_space:  global
        .offset:         72
        .size:           8
        .value_kind:     global_buffer
      - .address_space:  global
        .offset:         80
        .size:           8
        .value_kind:     global_buffer
      - .address_space:  global
        .offset:         88
        .size:           8
        .value_kind:     global_buffer
    .group_segment_fixed_size: 0
    .kernarg_segment_align: 8
    .kernarg_segment_size: 96
    .language:       OpenCL C
    .language_version:
      - 2
      - 0
    .max_flat_workgroup_size: 128
    .name:           _ZN4vllm3moe22topkGatingSoftplusSqrtILi8ELi128ELi4ELi16ELi32ELb0Ej6__halfEEvPKT6_PKbPfiPT5_PiiiibdPKfPKS9_SF_
    .private_segment_fixed_size: 0
    .sgpr_count:     49
    .sgpr_spill_count: 0
    .symbol:         _ZN4vllm3moe22topkGatingSoftplusSqrtILi8ELi128ELi4ELi16ELi32ELb0Ej6__halfEEvPKT6_PKbPfiPT5_PiiiibdPKfPKS9_SF_.kd
    .uniform_work_group_size: 1
    .uses_dynamic_stack: false
    .vgpr_count:     28
    .vgpr_spill_count: 0
    .wavefront_size: 64
  - .agpr_count:     0
    .args:
      - .address_space:  global
        .offset:         0
        .size:           8
        .value_kind:     global_buffer
      - .address_space:  global
        .offset:         8
        .size:           8
        .value_kind:     global_buffer
      - .address_space:  global
        .offset:         16
        .size:           8
        .value_kind:     global_buffer
      - .offset:         24
        .size:           4
        .value_kind:     by_value
      - .address_space:  global
        .offset:         32
        .size:           8
        .value_kind:     global_buffer
      - .address_space:  global
        .offset:         40
        .size:           8
        .value_kind:     global_buffer
      - .offset:         48
        .size:           4
        .value_kind:     by_value
      - .offset:         52
        .size:           4
        .value_kind:     by_value
      - .offset:         56
        .size:           4
        .value_kind:     by_value
      - .offset:         60
        .size:           1
        .value_kind:     by_value
      - .offset:         64
        .size:           8
        .value_kind:     by_value
      - .address_space:  global
        .offset:         72
        .size:           8
        .value_kind:     global_buffer
      - .address_space:  global
        .offset:         80
        .size:           8
        .value_kind:     global_buffer
      - .address_space:  global
        .offset:         88
        .size:           8
        .value_kind:     global_buffer
    .group_segment_fixed_size: 0
    .kernarg_segment_align: 8
    .kernarg_segment_size: 96
    .language:       OpenCL C
    .language_version:
      - 2
      - 0
    .max_flat_workgroup_size: 256
    .name:           _ZN4vllm3moe22topkGatingSoftplusSqrtILi8ELi256ELi4ELi16ELi64ELb1Ej6__halfEEvPKT6_PKbPfiPT5_PiiiibdPKfPKS9_SF_
    .private_segment_fixed_size: 48
    .sgpr_count:     40
    .sgpr_spill_count: 0
    .symbol:         _ZN4vllm3moe22topkGatingSoftplusSqrtILi8ELi256ELi4ELi16ELi64ELb1Ej6__halfEEvPKT6_PKbPfiPT5_PiiiibdPKfPKS9_SF_.kd
    .uniform_work_group_size: 1
    .uses_dynamic_stack: false
    .vgpr_count:     27
    .vgpr_spill_count: 0
    .wavefront_size: 64
  - .agpr_count:     0
    .args:
      - .address_space:  global
        .offset:         0
        .size:           8
        .value_kind:     global_buffer
      - .address_space:  global
        .offset:         8
        .size:           8
        .value_kind:     global_buffer
      - .address_space:  global
        .offset:         16
        .size:           8
        .value_kind:     global_buffer
      - .offset:         24
        .size:           4
        .value_kind:     by_value
      - .address_space:  global
        .offset:         32
        .size:           8
        .value_kind:     global_buffer
      - .address_space:  global
        .offset:         40
        .size:           8
        .value_kind:     global_buffer
      - .offset:         48
        .size:           4
        .value_kind:     by_value
      - .offset:         52
        .size:           4
        .value_kind:     by_value
      - .offset:         56
        .size:           4
        .value_kind:     by_value
      - .offset:         60
        .size:           1
        .value_kind:     by_value
      - .offset:         64
        .size:           8
        .value_kind:     by_value
      - .address_space:  global
        .offset:         72
        .size:           8
        .value_kind:     global_buffer
      - .address_space:  global
        .offset:         80
        .size:           8
        .value_kind:     global_buffer
      - .address_space:  global
        .offset:         88
        .size:           8
        .value_kind:     global_buffer
    .group_segment_fixed_size: 0
    .kernarg_segment_align: 8
    .kernarg_segment_size: 96
    .language:       OpenCL C
    .language_version:
      - 2
      - 0
    .max_flat_workgroup_size: 256
    .name:           _ZN4vllm3moe22topkGatingSoftplusSqrtILi8ELi256ELi4ELi16ELi64ELb0Ej6__halfEEvPKT6_PKbPfiPT5_PiiiibdPKfPKS9_SF_
    .private_segment_fixed_size: 0
    .sgpr_count:     49
    .sgpr_spill_count: 0
    .symbol:         _ZN4vllm3moe22topkGatingSoftplusSqrtILi8ELi256ELi4ELi16ELi64ELb0Ej6__halfEEvPKT6_PKbPfiPT5_PiiiibdPKfPKS9_SF_.kd
    .uniform_work_group_size: 1
    .uses_dynamic_stack: false
    .vgpr_count:     28
    .vgpr_spill_count: 0
    .wavefront_size: 64
  - .agpr_count:     0
    .args:
      - .address_space:  global
        .offset:         0
        .size:           8
        .value_kind:     global_buffer
      - .address_space:  global
        .offset:         8
        .size:           8
        .value_kind:     global_buffer
      - .address_space:  global
        .offset:         16
        .size:           8
        .value_kind:     global_buffer
      - .offset:         24
        .size:           4
        .value_kind:     by_value
      - .address_space:  global
        .offset:         32
        .size:           8
        .value_kind:     global_buffer
      - .address_space:  global
        .offset:         40
        .size:           8
        .value_kind:     global_buffer
      - .offset:         48
        .size:           4
        .value_kind:     by_value
      - .offset:         52
        .size:           4
        .value_kind:     by_value
      - .offset:         56
        .size:           4
        .value_kind:     by_value
      - .offset:         60
        .size:           1
        .value_kind:     by_value
      - .offset:         64
        .size:           8
        .value_kind:     by_value
      - .address_space:  global
        .offset:         72
        .size:           8
        .value_kind:     global_buffer
      - .address_space:  global
        .offset:         80
        .size:           8
        .value_kind:     global_buffer
      - .address_space:  global
        .offset:         88
        .size:           8
        .value_kind:     global_buffer
    .group_segment_fixed_size: 0
    .kernarg_segment_align: 8
    .kernarg_segment_size: 96
    .language:       OpenCL C
    .language_version:
      - 2
      - 0
    .max_flat_workgroup_size: 128
    .name:           _ZN4vllm3moe22topkGatingSoftplusSqrtILi8ELi256ELi4ELi16ELi32ELb1Ej6__halfEEvPKT6_PKbPfiPT5_PiiiibdPKfPKS9_SF_
    .private_segment_fixed_size: 48
    .sgpr_count:     40
    .sgpr_spill_count: 0
    .symbol:         _ZN4vllm3moe22topkGatingSoftplusSqrtILi8ELi256ELi4ELi16ELi32ELb1Ej6__halfEEvPKT6_PKbPfiPT5_PiiiibdPKfPKS9_SF_.kd
    .uniform_work_group_size: 1
    .uses_dynamic_stack: false
    .vgpr_count:     27
    .vgpr_spill_count: 0
    .wavefront_size: 64
  - .agpr_count:     0
    .args:
      - .address_space:  global
        .offset:         0
        .size:           8
        .value_kind:     global_buffer
      - .address_space:  global
        .offset:         8
        .size:           8
        .value_kind:     global_buffer
      - .address_space:  global
        .offset:         16
        .size:           8
        .value_kind:     global_buffer
      - .offset:         24
        .size:           4
        .value_kind:     by_value
      - .address_space:  global
        .offset:         32
        .size:           8
        .value_kind:     global_buffer
      - .address_space:  global
        .offset:         40
        .size:           8
        .value_kind:     global_buffer
      - .offset:         48
        .size:           4
        .value_kind:     by_value
      - .offset:         52
        .size:           4
        .value_kind:     by_value
      - .offset:         56
        .size:           4
        .value_kind:     by_value
      - .offset:         60
        .size:           1
        .value_kind:     by_value
      - .offset:         64
        .size:           8
        .value_kind:     by_value
      - .address_space:  global
        .offset:         72
        .size:           8
        .value_kind:     global_buffer
      - .address_space:  global
        .offset:         80
        .size:           8
        .value_kind:     global_buffer
      - .address_space:  global
        .offset:         88
        .size:           8
        .value_kind:     global_buffer
    .group_segment_fixed_size: 0
    .kernarg_segment_align: 8
    .kernarg_segment_size: 96
    .language:       OpenCL C
    .language_version:
      - 2
      - 0
    .max_flat_workgroup_size: 128
    .name:           _ZN4vllm3moe22topkGatingSoftplusSqrtILi8ELi256ELi4ELi16ELi32ELb0Ej6__halfEEvPKT6_PKbPfiPT5_PiiiibdPKfPKS9_SF_
    .private_segment_fixed_size: 0
    .sgpr_count:     49
    .sgpr_spill_count: 0
    .symbol:         _ZN4vllm3moe22topkGatingSoftplusSqrtILi8ELi256ELi4ELi16ELi32ELb0Ej6__halfEEvPKT6_PKbPfiPT5_PiiiibdPKfPKS9_SF_.kd
    .uniform_work_group_size: 1
    .uses_dynamic_stack: false
    .vgpr_count:     28
    .vgpr_spill_count: 0
    .wavefront_size: 64
  - .agpr_count:     0
    .args:
      - .address_space:  global
        .offset:         0
        .size:           8
        .value_kind:     global_buffer
      - .address_space:  global
        .offset:         8
        .size:           8
        .value_kind:     global_buffer
      - .address_space:  global
        .offset:         16
        .size:           8
        .value_kind:     global_buffer
      - .offset:         24
        .size:           4
        .value_kind:     by_value
      - .address_space:  global
        .offset:         32
        .size:           8
        .value_kind:     global_buffer
      - .address_space:  global
        .offset:         40
        .size:           8
        .value_kind:     global_buffer
      - .offset:         48
        .size:           4
        .value_kind:     by_value
      - .offset:         52
        .size:           4
        .value_kind:     by_value
      - .offset:         56
        .size:           4
        .value_kind:     by_value
      - .offset:         60
        .size:           1
        .value_kind:     by_value
      - .offset:         64
        .size:           8
        .value_kind:     by_value
      - .address_space:  global
        .offset:         72
        .size:           8
        .value_kind:     global_buffer
      - .address_space:  global
        .offset:         80
        .size:           8
        .value_kind:     global_buffer
      - .address_space:  global
        .offset:         88
        .size:           8
        .value_kind:     global_buffer
    .group_segment_fixed_size: 0
    .kernarg_segment_align: 8
    .kernarg_segment_size: 96
    .language:       OpenCL C
    .language_version:
      - 2
      - 0
    .max_flat_workgroup_size: 256
    .name:           _ZN4vllm3moe22topkGatingSoftplusSqrtILi8ELi512ELi4ELi16ELi64ELb1Ej6__halfEEvPKT6_PKbPfiPT5_PiiiibdPKfPKS9_SF_
    .private_segment_fixed_size: 48
    .sgpr_count:     40
    .sgpr_spill_count: 0
    .symbol:         _ZN4vllm3moe22topkGatingSoftplusSqrtILi8ELi512ELi4ELi16ELi64ELb1Ej6__halfEEvPKT6_PKbPfiPT5_PiiiibdPKfPKS9_SF_.kd
    .uniform_work_group_size: 1
    .uses_dynamic_stack: false
    .vgpr_count:     27
    .vgpr_spill_count: 0
    .wavefront_size: 64
  - .agpr_count:     0
    .args:
      - .address_space:  global
        .offset:         0
        .size:           8
        .value_kind:     global_buffer
      - .address_space:  global
        .offset:         8
        .size:           8
        .value_kind:     global_buffer
      - .address_space:  global
        .offset:         16
        .size:           8
        .value_kind:     global_buffer
      - .offset:         24
        .size:           4
        .value_kind:     by_value
      - .address_space:  global
        .offset:         32
        .size:           8
        .value_kind:     global_buffer
      - .address_space:  global
        .offset:         40
        .size:           8
        .value_kind:     global_buffer
      - .offset:         48
        .size:           4
        .value_kind:     by_value
      - .offset:         52
        .size:           4
        .value_kind:     by_value
      - .offset:         56
        .size:           4
        .value_kind:     by_value
      - .offset:         60
        .size:           1
        .value_kind:     by_value
      - .offset:         64
        .size:           8
        .value_kind:     by_value
      - .address_space:  global
        .offset:         72
        .size:           8
        .value_kind:     global_buffer
      - .address_space:  global
        .offset:         80
        .size:           8
        .value_kind:     global_buffer
      - .address_space:  global
        .offset:         88
        .size:           8
        .value_kind:     global_buffer
    .group_segment_fixed_size: 0
    .kernarg_segment_align: 8
    .kernarg_segment_size: 96
    .language:       OpenCL C
    .language_version:
      - 2
      - 0
    .max_flat_workgroup_size: 256
    .name:           _ZN4vllm3moe22topkGatingSoftplusSqrtILi8ELi512ELi4ELi16ELi64ELb0Ej6__halfEEvPKT6_PKbPfiPT5_PiiiibdPKfPKS9_SF_
    .private_segment_fixed_size: 0
    .sgpr_count:     49
    .sgpr_spill_count: 0
    .symbol:         _ZN4vllm3moe22topkGatingSoftplusSqrtILi8ELi512ELi4ELi16ELi64ELb0Ej6__halfEEvPKT6_PKbPfiPT5_PiiiibdPKfPKS9_SF_.kd
    .uniform_work_group_size: 1
    .uses_dynamic_stack: false
    .vgpr_count:     30
    .vgpr_spill_count: 0
    .wavefront_size: 64
  - .agpr_count:     0
    .args:
      - .address_space:  global
        .offset:         0
        .size:           8
        .value_kind:     global_buffer
      - .address_space:  global
        .offset:         8
        .size:           8
        .value_kind:     global_buffer
      - .address_space:  global
        .offset:         16
        .size:           8
        .value_kind:     global_buffer
      - .offset:         24
        .size:           4
        .value_kind:     by_value
      - .address_space:  global
        .offset:         32
        .size:           8
        .value_kind:     global_buffer
      - .address_space:  global
        .offset:         40
        .size:           8
        .value_kind:     global_buffer
      - .offset:         48
        .size:           4
        .value_kind:     by_value
      - .offset:         52
        .size:           4
        .value_kind:     by_value
      - .offset:         56
        .size:           4
        .value_kind:     by_value
      - .offset:         60
        .size:           1
        .value_kind:     by_value
      - .offset:         64
        .size:           8
        .value_kind:     by_value
      - .address_space:  global
        .offset:         72
        .size:           8
        .value_kind:     global_buffer
      - .address_space:  global
        .offset:         80
        .size:           8
        .value_kind:     global_buffer
      - .address_space:  global
        .offset:         88
        .size:           8
        .value_kind:     global_buffer
    .group_segment_fixed_size: 0
    .kernarg_segment_align: 8
    .kernarg_segment_size: 96
    .language:       OpenCL C
    .language_version:
      - 2
      - 0
    .max_flat_workgroup_size: 128
    .name:           _ZN4vllm3moe22topkGatingSoftplusSqrtILi16ELi512ELi4ELi16ELi32ELb1Ej6__halfEEvPKT6_PKbPfiPT5_PiiiibdPKfPKS9_SF_
    .private_segment_fixed_size: 80
    .sgpr_count:     70
    .sgpr_spill_count: 0
    .symbol:         _ZN4vllm3moe22topkGatingSoftplusSqrtILi16ELi512ELi4ELi16ELi32ELb1Ej6__halfEEvPKT6_PKbPfiPT5_PiiiibdPKfPKS9_SF_.kd
    .uniform_work_group_size: 1
    .uses_dynamic_stack: false
    .vgpr_count:     39
    .vgpr_spill_count: 0
    .wavefront_size: 64
  - .agpr_count:     0
    .args:
      - .address_space:  global
        .offset:         0
        .size:           8
        .value_kind:     global_buffer
      - .address_space:  global
        .offset:         8
        .size:           8
        .value_kind:     global_buffer
      - .address_space:  global
        .offset:         16
        .size:           8
        .value_kind:     global_buffer
      - .offset:         24
        .size:           4
        .value_kind:     by_value
      - .address_space:  global
        .offset:         32
        .size:           8
        .value_kind:     global_buffer
      - .address_space:  global
        .offset:         40
        .size:           8
        .value_kind:     global_buffer
      - .offset:         48
        .size:           4
        .value_kind:     by_value
      - .offset:         52
        .size:           4
        .value_kind:     by_value
      - .offset:         56
        .size:           4
        .value_kind:     by_value
      - .offset:         60
        .size:           1
        .value_kind:     by_value
      - .offset:         64
        .size:           8
        .value_kind:     by_value
      - .address_space:  global
        .offset:         72
        .size:           8
        .value_kind:     global_buffer
      - .address_space:  global
        .offset:         80
        .size:           8
        .value_kind:     global_buffer
      - .address_space:  global
        .offset:         88
        .size:           8
        .value_kind:     global_buffer
    .group_segment_fixed_size: 0
    .kernarg_segment_align: 8
    .kernarg_segment_size: 96
    .language:       OpenCL C
    .language_version:
      - 2
      - 0
    .max_flat_workgroup_size: 128
    .name:           _ZN4vllm3moe22topkGatingSoftplusSqrtILi16ELi512ELi4ELi16ELi32ELb0Ej6__halfEEvPKT6_PKbPfiPT5_PiiiibdPKfPKS9_SF_
    .private_segment_fixed_size: 0
    .sgpr_count:     65
    .sgpr_spill_count: 0
    .symbol:         _ZN4vllm3moe22topkGatingSoftplusSqrtILi16ELi512ELi4ELi16ELi32ELb0Ej6__halfEEvPKT6_PKbPfiPT5_PiiiibdPKfPKS9_SF_.kd
    .uniform_work_group_size: 1
    .uses_dynamic_stack: false
    .vgpr_count:     44
    .vgpr_spill_count: 0
    .wavefront_size: 64
  - .agpr_count:     0
    .args:
      - .address_space:  global
        .offset:         0
        .size:           8
        .value_kind:     global_buffer
      - .address_space:  global
        .offset:         8
        .size:           8
        .value_kind:     global_buffer
      - .address_space:  global
        .offset:         16
        .size:           8
        .value_kind:     global_buffer
      - .offset:         24
        .size:           4
        .value_kind:     by_value
      - .address_space:  global
        .offset:         32
        .size:           8
        .value_kind:     global_buffer
      - .address_space:  global
        .offset:         40
        .size:           8
        .value_kind:     global_buffer
      - .offset:         48
        .size:           4
        .value_kind:     by_value
      - .offset:         52
        .size:           4
        .value_kind:     by_value
      - .offset:         56
        .size:           4
        .value_kind:     by_value
      - .offset:         60
        .size:           1
        .value_kind:     by_value
      - .offset:         64
        .size:           8
        .value_kind:     by_value
      - .address_space:  global
        .offset:         72
        .size:           8
        .value_kind:     global_buffer
      - .address_space:  global
        .offset:         80
        .size:           8
        .value_kind:     global_buffer
      - .address_space:  global
        .offset:         88
        .size:           8
        .value_kind:     global_buffer
    .group_segment_fixed_size: 0
    .kernarg_segment_align: 8
    .kernarg_segment_size: 96
    .language:       OpenCL C
    .language_version:
      - 2
      - 0
    .max_flat_workgroup_size: 256
    .name:           _ZN4vllm3moe22topkGatingSoftplusSqrtILi3ELi192ELi4ELi2ELi64ELb1Ej6__halfEEvPKT6_PKbPfiPT5_PiiiibdPKfPKS9_SF_
    .private_segment_fixed_size: 0
    .sgpr_count:     27
    .sgpr_spill_count: 0
    .symbol:         _ZN4vllm3moe22topkGatingSoftplusSqrtILi3ELi192ELi4ELi2ELi64ELb1Ej6__halfEEvPKT6_PKbPfiPT5_PiiiibdPKfPKS9_SF_.kd
    .uniform_work_group_size: 1
    .uses_dynamic_stack: false
    .vgpr_count:     22
    .vgpr_spill_count: 0
    .wavefront_size: 64
  - .agpr_count:     0
    .args:
      - .address_space:  global
        .offset:         0
        .size:           8
        .value_kind:     global_buffer
      - .address_space:  global
        .offset:         8
        .size:           8
        .value_kind:     global_buffer
      - .address_space:  global
        .offset:         16
        .size:           8
        .value_kind:     global_buffer
      - .offset:         24
        .size:           4
        .value_kind:     by_value
      - .address_space:  global
        .offset:         32
        .size:           8
        .value_kind:     global_buffer
      - .address_space:  global
        .offset:         40
        .size:           8
        .value_kind:     global_buffer
      - .offset:         48
        .size:           4
        .value_kind:     by_value
      - .offset:         52
        .size:           4
        .value_kind:     by_value
      - .offset:         56
        .size:           4
        .value_kind:     by_value
      - .offset:         60
        .size:           1
        .value_kind:     by_value
      - .offset:         64
        .size:           8
        .value_kind:     by_value
      - .address_space:  global
        .offset:         72
        .size:           8
        .value_kind:     global_buffer
      - .address_space:  global
        .offset:         80
        .size:           8
        .value_kind:     global_buffer
      - .address_space:  global
        .offset:         88
        .size:           8
        .value_kind:     global_buffer
    .group_segment_fixed_size: 0
    .kernarg_segment_align: 8
    .kernarg_segment_size: 96
    .language:       OpenCL C
    .language_version:
      - 2
      - 0
    .max_flat_workgroup_size: 256
    .name:           _ZN4vllm3moe22topkGatingSoftplusSqrtILi3ELi192ELi4ELi2ELi64ELb0Ej6__halfEEvPKT6_PKbPfiPT5_PiiiibdPKfPKS9_SF_
    .private_segment_fixed_size: 0
    .sgpr_count:     37
    .sgpr_spill_count: 0
    .symbol:         _ZN4vllm3moe22topkGatingSoftplusSqrtILi3ELi192ELi4ELi2ELi64ELb0Ej6__halfEEvPKT6_PKbPfiPT5_PiiiibdPKfPKS9_SF_.kd
    .uniform_work_group_size: 1
    .uses_dynamic_stack: false
    .vgpr_count:     26
    .vgpr_spill_count: 0
    .wavefront_size: 64
  - .agpr_count:     0
    .args:
      - .address_space:  global
        .offset:         0
        .size:           8
        .value_kind:     global_buffer
      - .address_space:  global
        .offset:         8
        .size:           8
        .value_kind:     global_buffer
      - .address_space:  global
        .offset:         16
        .size:           8
        .value_kind:     global_buffer
      - .offset:         24
        .size:           4
        .value_kind:     by_value
      - .address_space:  global
        .offset:         32
        .size:           8
        .value_kind:     global_buffer
      - .address_space:  global
        .offset:         40
        .size:           8
        .value_kind:     global_buffer
      - .offset:         48
        .size:           4
        .value_kind:     by_value
      - .offset:         52
        .size:           4
        .value_kind:     by_value
      - .offset:         56
        .size:           4
        .value_kind:     by_value
      - .offset:         60
        .size:           1
        .value_kind:     by_value
      - .offset:         64
        .size:           8
        .value_kind:     by_value
      - .address_space:  global
        .offset:         72
        .size:           8
        .value_kind:     global_buffer
      - .address_space:  global
        .offset:         80
        .size:           8
        .value_kind:     global_buffer
      - .address_space:  global
        .offset:         88
        .size:           8
        .value_kind:     global_buffer
    .group_segment_fixed_size: 0
    .kernarg_segment_align: 8
    .kernarg_segment_size: 96
    .language:       OpenCL C
    .language_version:
      - 2
      - 0
    .max_flat_workgroup_size: 128
    .name:           _ZN4vllm3moe22topkGatingSoftplusSqrtILi6ELi192ELi4ELi2ELi32ELb1Ej6__halfEEvPKT6_PKbPfiPT5_PiiiibdPKfPKS9_SF_
    .private_segment_fixed_size: 0
    .sgpr_count:     31
    .sgpr_spill_count: 0
    .symbol:         _ZN4vllm3moe22topkGatingSoftplusSqrtILi6ELi192ELi4ELi2ELi32ELb1Ej6__halfEEvPKT6_PKbPfiPT5_PiiiibdPKfPKS9_SF_.kd
    .uniform_work_group_size: 1
    .uses_dynamic_stack: false
    .vgpr_count:     28
    .vgpr_spill_count: 0
    .wavefront_size: 64
  - .agpr_count:     0
    .args:
      - .address_space:  global
        .offset:         0
        .size:           8
        .value_kind:     global_buffer
      - .address_space:  global
        .offset:         8
        .size:           8
        .value_kind:     global_buffer
      - .address_space:  global
        .offset:         16
        .size:           8
        .value_kind:     global_buffer
      - .offset:         24
        .size:           4
        .value_kind:     by_value
      - .address_space:  global
        .offset:         32
        .size:           8
        .value_kind:     global_buffer
      - .address_space:  global
        .offset:         40
        .size:           8
        .value_kind:     global_buffer
      - .offset:         48
        .size:           4
        .value_kind:     by_value
      - .offset:         52
        .size:           4
        .value_kind:     by_value
      - .offset:         56
        .size:           4
        .value_kind:     by_value
      - .offset:         60
        .size:           1
        .value_kind:     by_value
      - .offset:         64
        .size:           8
        .value_kind:     by_value
      - .address_space:  global
        .offset:         72
        .size:           8
        .value_kind:     global_buffer
      - .address_space:  global
        .offset:         80
        .size:           8
        .value_kind:     global_buffer
      - .address_space:  global
        .offset:         88
        .size:           8
        .value_kind:     global_buffer
    .group_segment_fixed_size: 0
    .kernarg_segment_align: 8
    .kernarg_segment_size: 96
    .language:       OpenCL C
    .language_version:
      - 2
      - 0
    .max_flat_workgroup_size: 128
    .name:           _ZN4vllm3moe22topkGatingSoftplusSqrtILi6ELi192ELi4ELi2ELi32ELb0Ej6__halfEEvPKT6_PKbPfiPT5_PiiiibdPKfPKS9_SF_
    .private_segment_fixed_size: 0
    .sgpr_count:     38
    .sgpr_spill_count: 0
    .symbol:         _ZN4vllm3moe22topkGatingSoftplusSqrtILi6ELi192ELi4ELi2ELi32ELb0Ej6__halfEEvPKT6_PKbPfiPT5_PiiiibdPKfPKS9_SF_.kd
    .uniform_work_group_size: 1
    .uses_dynamic_stack: false
    .vgpr_count:     30
    .vgpr_spill_count: 0
    .wavefront_size: 64
  - .agpr_count:     0
    .args:
      - .address_space:  global
        .offset:         0
        .size:           8
        .value_kind:     global_buffer
      - .address_space:  global
        .offset:         8
        .size:           8
        .value_kind:     global_buffer
      - .address_space:  global
        .offset:         16
        .size:           8
        .value_kind:     global_buffer
      - .offset:         24
        .size:           4
        .value_kind:     by_value
      - .address_space:  global
        .offset:         32
        .size:           8
        .value_kind:     global_buffer
      - .address_space:  global
        .offset:         40
        .size:           8
        .value_kind:     global_buffer
      - .offset:         48
        .size:           4
        .value_kind:     by_value
      - .offset:         52
        .size:           4
        .value_kind:     by_value
      - .offset:         56
        .size:           4
        .value_kind:     by_value
      - .offset:         60
        .size:           1
        .value_kind:     by_value
      - .offset:         64
        .size:           8
        .value_kind:     by_value
      - .address_space:  global
        .offset:         72
        .size:           8
        .value_kind:     global_buffer
      - .address_space:  global
        .offset:         80
        .size:           8
        .value_kind:     global_buffer
      - .address_space:  global
        .offset:         88
        .size:           8
        .value_kind:     global_buffer
    .group_segment_fixed_size: 0
    .kernarg_segment_align: 8
    .kernarg_segment_size: 96
    .language:       OpenCL C
    .language_version:
      - 2
      - 0
    .max_flat_workgroup_size: 256
    .name:           _ZN4vllm3moe22topkGatingSoftplusSqrtILi5ELi320ELi4ELi2ELi64ELb1Ej6__halfEEvPKT6_PKbPfiPT5_PiiiibdPKfPKS9_SF_
    .private_segment_fixed_size: 0
    .sgpr_count:     27
    .sgpr_spill_count: 0
    .symbol:         _ZN4vllm3moe22topkGatingSoftplusSqrtILi5ELi320ELi4ELi2ELi64ELb1Ej6__halfEEvPKT6_PKbPfiPT5_PiiiibdPKfPKS9_SF_.kd
    .uniform_work_group_size: 1
    .uses_dynamic_stack: false
    .vgpr_count:     26
    .vgpr_spill_count: 0
    .wavefront_size: 64
  - .agpr_count:     0
    .args:
      - .address_space:  global
        .offset:         0
        .size:           8
        .value_kind:     global_buffer
      - .address_space:  global
        .offset:         8
        .size:           8
        .value_kind:     global_buffer
      - .address_space:  global
        .offset:         16
        .size:           8
        .value_kind:     global_buffer
      - .offset:         24
        .size:           4
        .value_kind:     by_value
      - .address_space:  global
        .offset:         32
        .size:           8
        .value_kind:     global_buffer
      - .address_space:  global
        .offset:         40
        .size:           8
        .value_kind:     global_buffer
      - .offset:         48
        .size:           4
        .value_kind:     by_value
      - .offset:         52
        .size:           4
        .value_kind:     by_value
      - .offset:         56
        .size:           4
        .value_kind:     by_value
      - .offset:         60
        .size:           1
        .value_kind:     by_value
      - .offset:         64
        .size:           8
        .value_kind:     by_value
      - .address_space:  global
        .offset:         72
        .size:           8
        .value_kind:     global_buffer
      - .address_space:  global
        .offset:         80
        .size:           8
        .value_kind:     global_buffer
      - .address_space:  global
        .offset:         88
        .size:           8
        .value_kind:     global_buffer
    .group_segment_fixed_size: 0
    .kernarg_segment_align: 8
    .kernarg_segment_size: 96
    .language:       OpenCL C
    .language_version:
      - 2
      - 0
    .max_flat_workgroup_size: 256
    .name:           _ZN4vllm3moe22topkGatingSoftplusSqrtILi5ELi320ELi4ELi2ELi64ELb0Ej6__halfEEvPKT6_PKbPfiPT5_PiiiibdPKfPKS9_SF_
    .private_segment_fixed_size: 0
    .sgpr_count:     37
    .sgpr_spill_count: 0
    .symbol:         _ZN4vllm3moe22topkGatingSoftplusSqrtILi5ELi320ELi4ELi2ELi64ELb0Ej6__halfEEvPKT6_PKbPfiPT5_PiiiibdPKfPKS9_SF_.kd
    .uniform_work_group_size: 1
    .uses_dynamic_stack: false
    .vgpr_count:     30
    .vgpr_spill_count: 0
    .wavefront_size: 64
  - .agpr_count:     0
    .args:
      - .address_space:  global
        .offset:         0
        .size:           8
        .value_kind:     global_buffer
      - .address_space:  global
        .offset:         8
        .size:           8
        .value_kind:     global_buffer
      - .address_space:  global
        .offset:         16
        .size:           8
        .value_kind:     global_buffer
      - .offset:         24
        .size:           4
        .value_kind:     by_value
      - .address_space:  global
        .offset:         32
        .size:           8
        .value_kind:     global_buffer
      - .address_space:  global
        .offset:         40
        .size:           8
        .value_kind:     global_buffer
      - .offset:         48
        .size:           4
        .value_kind:     by_value
      - .offset:         52
        .size:           4
        .value_kind:     by_value
      - .offset:         56
        .size:           4
        .value_kind:     by_value
      - .offset:         60
        .size:           1
        .value_kind:     by_value
      - .offset:         64
        .size:           8
        .value_kind:     by_value
      - .address_space:  global
        .offset:         72
        .size:           8
        .value_kind:     global_buffer
      - .address_space:  global
        .offset:         80
        .size:           8
        .value_kind:     global_buffer
      - .address_space:  global
        .offset:         88
        .size:           8
        .value_kind:     global_buffer
    .group_segment_fixed_size: 0
    .kernarg_segment_align: 8
    .kernarg_segment_size: 96
    .language:       OpenCL C
    .language_version:
      - 2
      - 0
    .max_flat_workgroup_size: 128
    .name:           _ZN4vllm3moe22topkGatingSoftplusSqrtILi10ELi320ELi4ELi2ELi32ELb1Ej6__halfEEvPKT6_PKbPfiPT5_PiiiibdPKfPKS9_SF_
    .private_segment_fixed_size: 0
    .sgpr_count:     48
    .sgpr_spill_count: 0
    .symbol:         _ZN4vllm3moe22topkGatingSoftplusSqrtILi10ELi320ELi4ELi2ELi32ELb1Ej6__halfEEvPKT6_PKbPfiPT5_PiiiibdPKfPKS9_SF_.kd
    .uniform_work_group_size: 1
    .uses_dynamic_stack: false
    .vgpr_count:     37
    .vgpr_spill_count: 0
    .wavefront_size: 64
  - .agpr_count:     0
    .args:
      - .address_space:  global
        .offset:         0
        .size:           8
        .value_kind:     global_buffer
      - .address_space:  global
        .offset:         8
        .size:           8
        .value_kind:     global_buffer
      - .address_space:  global
        .offset:         16
        .size:           8
        .value_kind:     global_buffer
      - .offset:         24
        .size:           4
        .value_kind:     by_value
      - .address_space:  global
        .offset:         32
        .size:           8
        .value_kind:     global_buffer
      - .address_space:  global
        .offset:         40
        .size:           8
        .value_kind:     global_buffer
      - .offset:         48
        .size:           4
        .value_kind:     by_value
      - .offset:         52
        .size:           4
        .value_kind:     by_value
      - .offset:         56
        .size:           4
        .value_kind:     by_value
      - .offset:         60
        .size:           1
        .value_kind:     by_value
      - .offset:         64
        .size:           8
        .value_kind:     by_value
      - .address_space:  global
        .offset:         72
        .size:           8
        .value_kind:     global_buffer
      - .address_space:  global
        .offset:         80
        .size:           8
        .value_kind:     global_buffer
      - .address_space:  global
        .offset:         88
        .size:           8
        .value_kind:     global_buffer
    .group_segment_fixed_size: 0
    .kernarg_segment_align: 8
    .kernarg_segment_size: 96
    .language:       OpenCL C
    .language_version:
      - 2
      - 0
    .max_flat_workgroup_size: 128
    .name:           _ZN4vllm3moe22topkGatingSoftplusSqrtILi10ELi320ELi4ELi2ELi32ELb0Ej6__halfEEvPKT6_PKbPfiPT5_PiiiibdPKfPKS9_SF_
    .private_segment_fixed_size: 0
    .sgpr_count:     38
    .sgpr_spill_count: 0
    .symbol:         _ZN4vllm3moe22topkGatingSoftplusSqrtILi10ELi320ELi4ELi2ELi32ELb0Ej6__halfEEvPKT6_PKbPfiPT5_PiiiibdPKfPKS9_SF_.kd
    .uniform_work_group_size: 1
    .uses_dynamic_stack: false
    .vgpr_count:     38
    .vgpr_spill_count: 0
    .wavefront_size: 64
  - .agpr_count:     0
    .args:
      - .address_space:  global
        .offset:         0
        .size:           8
        .value_kind:     global_buffer
      - .address_space:  global
        .offset:         8
        .size:           8
        .value_kind:     global_buffer
      - .address_space:  global
        .offset:         16
        .size:           8
        .value_kind:     global_buffer
      - .offset:         24
        .size:           4
        .value_kind:     by_value
      - .address_space:  global
        .offset:         32
        .size:           8
        .value_kind:     global_buffer
      - .address_space:  global
        .offset:         40
        .size:           8
        .value_kind:     global_buffer
      - .offset:         48
        .size:           4
        .value_kind:     by_value
      - .offset:         52
        .size:           4
        .value_kind:     by_value
      - .offset:         56
        .size:           4
        .value_kind:     by_value
      - .offset:         60
        .size:           1
        .value_kind:     by_value
      - .offset:         64
        .size:           8
        .value_kind:     by_value
      - .address_space:  global
        .offset:         72
        .size:           8
        .value_kind:     global_buffer
      - .address_space:  global
        .offset:         80
        .size:           8
        .value_kind:     global_buffer
      - .address_space:  global
        .offset:         88
        .size:           8
        .value_kind:     global_buffer
    .group_segment_fixed_size: 0
    .kernarg_segment_align: 8
    .kernarg_segment_size: 96
    .language:       OpenCL C
    .language_version:
      - 2
      - 0
    .max_flat_workgroup_size: 256
    .name:           _ZN4vllm3moe22topkGatingSoftplusSqrtILi6ELi384ELi4ELi4ELi64ELb1Ej6__halfEEvPKT6_PKbPfiPT5_PiiiibdPKfPKS9_SF_
    .private_segment_fixed_size: 32
    .sgpr_count:     31
    .sgpr_spill_count: 0
    .symbol:         _ZN4vllm3moe22topkGatingSoftplusSqrtILi6ELi384ELi4ELi4ELi64ELb1Ej6__halfEEvPKT6_PKbPfiPT5_PiiiibdPKfPKS9_SF_.kd
    .uniform_work_group_size: 1
    .uses_dynamic_stack: false
    .vgpr_count:     26
    .vgpr_spill_count: 0
    .wavefront_size: 64
  - .agpr_count:     0
    .args:
      - .address_space:  global
        .offset:         0
        .size:           8
        .value_kind:     global_buffer
      - .address_space:  global
        .offset:         8
        .size:           8
        .value_kind:     global_buffer
      - .address_space:  global
        .offset:         16
        .size:           8
        .value_kind:     global_buffer
      - .offset:         24
        .size:           4
        .value_kind:     by_value
      - .address_space:  global
        .offset:         32
        .size:           8
        .value_kind:     global_buffer
      - .address_space:  global
        .offset:         40
        .size:           8
        .value_kind:     global_buffer
      - .offset:         48
        .size:           4
        .value_kind:     by_value
      - .offset:         52
        .size:           4
        .value_kind:     by_value
      - .offset:         56
        .size:           4
        .value_kind:     by_value
      - .offset:         60
        .size:           1
        .value_kind:     by_value
      - .offset:         64
        .size:           8
        .value_kind:     by_value
      - .address_space:  global
        .offset:         72
        .size:           8
        .value_kind:     global_buffer
      - .address_space:  global
        .offset:         80
        .size:           8
        .value_kind:     global_buffer
      - .address_space:  global
        .offset:         88
        .size:           8
        .value_kind:     global_buffer
    .group_segment_fixed_size: 0
    .kernarg_segment_align: 8
    .kernarg_segment_size: 96
    .language:       OpenCL C
    .language_version:
      - 2
      - 0
    .max_flat_workgroup_size: 256
    .name:           _ZN4vllm3moe22topkGatingSoftplusSqrtILi6ELi384ELi4ELi4ELi64ELb0Ej6__halfEEvPKT6_PKbPfiPT5_PiiiibdPKfPKS9_SF_
    .private_segment_fixed_size: 0
    .sgpr_count:     38
    .sgpr_spill_count: 0
    .symbol:         _ZN4vllm3moe22topkGatingSoftplusSqrtILi6ELi384ELi4ELi4ELi64ELb0Ej6__halfEEvPKT6_PKbPfiPT5_PiiiibdPKfPKS9_SF_.kd
    .uniform_work_group_size: 1
    .uses_dynamic_stack: false
    .vgpr_count:     32
    .vgpr_spill_count: 0
    .wavefront_size: 64
  - .agpr_count:     0
    .args:
      - .address_space:  global
        .offset:         0
        .size:           8
        .value_kind:     global_buffer
      - .address_space:  global
        .offset:         8
        .size:           8
        .value_kind:     global_buffer
      - .address_space:  global
        .offset:         16
        .size:           8
        .value_kind:     global_buffer
      - .offset:         24
        .size:           4
        .value_kind:     by_value
      - .address_space:  global
        .offset:         32
        .size:           8
        .value_kind:     global_buffer
      - .address_space:  global
        .offset:         40
        .size:           8
        .value_kind:     global_buffer
      - .offset:         48
        .size:           4
        .value_kind:     by_value
      - .offset:         52
        .size:           4
        .value_kind:     by_value
      - .offset:         56
        .size:           4
        .value_kind:     by_value
      - .offset:         60
        .size:           1
        .value_kind:     by_value
      - .offset:         64
        .size:           8
        .value_kind:     by_value
      - .address_space:  global
        .offset:         72
        .size:           8
        .value_kind:     global_buffer
      - .address_space:  global
        .offset:         80
        .size:           8
        .value_kind:     global_buffer
      - .address_space:  global
        .offset:         88
        .size:           8
        .value_kind:     global_buffer
    .group_segment_fixed_size: 0
    .kernarg_segment_align: 8
    .kernarg_segment_size: 96
    .language:       OpenCL C
    .language_version:
      - 2
      - 0
    .max_flat_workgroup_size: 128
    .name:           _ZN4vllm3moe22topkGatingSoftplusSqrtILi12ELi384ELi4ELi4ELi32ELb1Ej6__halfEEvPKT6_PKbPfiPT5_PiiiibdPKfPKS9_SF_
    .private_segment_fixed_size: 64
    .sgpr_count:     54
    .sgpr_spill_count: 0
    .symbol:         _ZN4vllm3moe22topkGatingSoftplusSqrtILi12ELi384ELi4ELi4ELi32ELb1Ej6__halfEEvPKT6_PKbPfiPT5_PiiiibdPKfPKS9_SF_.kd
    .uniform_work_group_size: 1
    .uses_dynamic_stack: false
    .vgpr_count:     31
    .vgpr_spill_count: 0
    .wavefront_size: 64
  - .agpr_count:     0
    .args:
      - .address_space:  global
        .offset:         0
        .size:           8
        .value_kind:     global_buffer
      - .address_space:  global
        .offset:         8
        .size:           8
        .value_kind:     global_buffer
      - .address_space:  global
        .offset:         16
        .size:           8
        .value_kind:     global_buffer
      - .offset:         24
        .size:           4
        .value_kind:     by_value
      - .address_space:  global
        .offset:         32
        .size:           8
        .value_kind:     global_buffer
      - .address_space:  global
        .offset:         40
        .size:           8
        .value_kind:     global_buffer
      - .offset:         48
        .size:           4
        .value_kind:     by_value
      - .offset:         52
        .size:           4
        .value_kind:     by_value
      - .offset:         56
        .size:           4
        .value_kind:     by_value
      - .offset:         60
        .size:           1
        .value_kind:     by_value
      - .offset:         64
        .size:           8
        .value_kind:     by_value
      - .address_space:  global
        .offset:         72
        .size:           8
        .value_kind:     global_buffer
      - .address_space:  global
        .offset:         80
        .size:           8
        .value_kind:     global_buffer
      - .address_space:  global
        .offset:         88
        .size:           8
        .value_kind:     global_buffer
    .group_segment_fixed_size: 0
    .kernarg_segment_align: 8
    .kernarg_segment_size: 96
    .language:       OpenCL C
    .language_version:
      - 2
      - 0
    .max_flat_workgroup_size: 128
    .name:           _ZN4vllm3moe22topkGatingSoftplusSqrtILi12ELi384ELi4ELi4ELi32ELb0Ej6__halfEEvPKT6_PKbPfiPT5_PiiiibdPKfPKS9_SF_
    .private_segment_fixed_size: 0
    .sgpr_count:     57
    .sgpr_spill_count: 0
    .symbol:         _ZN4vllm3moe22topkGatingSoftplusSqrtILi12ELi384ELi4ELi4ELi32ELb0Ej6__halfEEvPKT6_PKbPfiPT5_PiiiibdPKfPKS9_SF_.kd
    .uniform_work_group_size: 1
    .uses_dynamic_stack: false
    .vgpr_count:     42
    .vgpr_spill_count: 0
    .wavefront_size: 64
  - .agpr_count:     0
    .args:
      - .address_space:  global
        .offset:         0
        .size:           8
        .value_kind:     global_buffer
      - .address_space:  global
        .offset:         8
        .size:           8
        .value_kind:     global_buffer
      - .address_space:  global
        .offset:         16
        .size:           8
        .value_kind:     global_buffer
      - .offset:         24
        .size:           4
        .value_kind:     by_value
      - .address_space:  global
        .offset:         32
        .size:           8
        .value_kind:     global_buffer
      - .address_space:  global
        .offset:         40
        .size:           8
        .value_kind:     global_buffer
      - .offset:         48
        .size:           4
        .value_kind:     by_value
      - .offset:         52
        .size:           4
        .value_kind:     by_value
      - .offset:         56
        .size:           4
        .value_kind:     by_value
      - .offset:         60
        .size:           1
        .value_kind:     by_value
      - .offset:         64
        .size:           8
        .value_kind:     by_value
      - .address_space:  global
        .offset:         72
        .size:           8
        .value_kind:     global_buffer
      - .address_space:  global
        .offset:         80
        .size:           8
        .value_kind:     global_buffer
      - .address_space:  global
        .offset:         88
        .size:           8
        .value_kind:     global_buffer
    .group_segment_fixed_size: 0
    .kernarg_segment_align: 8
    .kernarg_segment_size: 96
    .language:       OpenCL C
    .language_version:
      - 2
      - 0
    .max_flat_workgroup_size: 256
    .name:           _ZN4vllm3moe22topkGatingSoftplusSqrtILi7ELi448ELi4ELi2ELi64ELb1Ej6__halfEEvPKT6_PKbPfiPT5_PiiiibdPKfPKS9_SF_
    .private_segment_fixed_size: 0
    .sgpr_count:     35
    .sgpr_spill_count: 0
    .symbol:         _ZN4vllm3moe22topkGatingSoftplusSqrtILi7ELi448ELi4ELi2ELi64ELb1Ej6__halfEEvPKT6_PKbPfiPT5_PiiiibdPKfPKS9_SF_.kd
    .uniform_work_group_size: 1
    .uses_dynamic_stack: false
    .vgpr_count:     30
    .vgpr_spill_count: 0
    .wavefront_size: 64
  - .agpr_count:     0
    .args:
      - .address_space:  global
        .offset:         0
        .size:           8
        .value_kind:     global_buffer
      - .address_space:  global
        .offset:         8
        .size:           8
        .value_kind:     global_buffer
      - .address_space:  global
        .offset:         16
        .size:           8
        .value_kind:     global_buffer
      - .offset:         24
        .size:           4
        .value_kind:     by_value
      - .address_space:  global
        .offset:         32
        .size:           8
        .value_kind:     global_buffer
      - .address_space:  global
        .offset:         40
        .size:           8
        .value_kind:     global_buffer
      - .offset:         48
        .size:           4
        .value_kind:     by_value
      - .offset:         52
        .size:           4
        .value_kind:     by_value
      - .offset:         56
        .size:           4
        .value_kind:     by_value
      - .offset:         60
        .size:           1
        .value_kind:     by_value
      - .offset:         64
        .size:           8
        .value_kind:     by_value
      - .address_space:  global
        .offset:         72
        .size:           8
        .value_kind:     global_buffer
      - .address_space:  global
        .offset:         80
        .size:           8
        .value_kind:     global_buffer
      - .address_space:  global
        .offset:         88
        .size:           8
        .value_kind:     global_buffer
    .group_segment_fixed_size: 0
    .kernarg_segment_align: 8
    .kernarg_segment_size: 96
    .language:       OpenCL C
    .language_version:
      - 2
      - 0
    .max_flat_workgroup_size: 256
    .name:           _ZN4vllm3moe22topkGatingSoftplusSqrtILi7ELi448ELi4ELi2ELi64ELb0Ej6__halfEEvPKT6_PKbPfiPT5_PiiiibdPKfPKS9_SF_
    .private_segment_fixed_size: 0
    .sgpr_count:     37
    .sgpr_spill_count: 0
    .symbol:         _ZN4vllm3moe22topkGatingSoftplusSqrtILi7ELi448ELi4ELi2ELi64ELb0Ej6__halfEEvPKT6_PKbPfiPT5_PiiiibdPKfPKS9_SF_.kd
    .uniform_work_group_size: 1
    .uses_dynamic_stack: false
    .vgpr_count:     34
    .vgpr_spill_count: 0
    .wavefront_size: 64
  - .agpr_count:     0
    .args:
      - .address_space:  global
        .offset:         0
        .size:           8
        .value_kind:     global_buffer
      - .address_space:  global
        .offset:         8
        .size:           8
        .value_kind:     global_buffer
      - .address_space:  global
        .offset:         16
        .size:           8
        .value_kind:     global_buffer
      - .offset:         24
        .size:           4
        .value_kind:     by_value
      - .address_space:  global
        .offset:         32
        .size:           8
        .value_kind:     global_buffer
      - .address_space:  global
        .offset:         40
        .size:           8
        .value_kind:     global_buffer
      - .offset:         48
        .size:           4
        .value_kind:     by_value
      - .offset:         52
        .size:           4
        .value_kind:     by_value
      - .offset:         56
        .size:           4
        .value_kind:     by_value
      - .offset:         60
        .size:           1
        .value_kind:     by_value
      - .offset:         64
        .size:           8
        .value_kind:     by_value
      - .address_space:  global
        .offset:         72
        .size:           8
        .value_kind:     global_buffer
      - .address_space:  global
        .offset:         80
        .size:           8
        .value_kind:     global_buffer
      - .address_space:  global
        .offset:         88
        .size:           8
        .value_kind:     global_buffer
    .group_segment_fixed_size: 0
    .kernarg_segment_align: 8
    .kernarg_segment_size: 96
    .language:       OpenCL C
    .language_version:
      - 2
      - 0
    .max_flat_workgroup_size: 128
    .name:           _ZN4vllm3moe22topkGatingSoftplusSqrtILi14ELi448ELi4ELi2ELi32ELb1Ej6__halfEEvPKT6_PKbPfiPT5_PiiiibdPKfPKS9_SF_
    .private_segment_fixed_size: 0
    .sgpr_count:     62
    .sgpr_spill_count: 0
    .symbol:         _ZN4vllm3moe22topkGatingSoftplusSqrtILi14ELi448ELi4ELi2ELi32ELb1Ej6__halfEEvPKT6_PKbPfiPT5_PiiiibdPKfPKS9_SF_.kd
    .uniform_work_group_size: 1
    .uses_dynamic_stack: false
    .vgpr_count:     46
    .vgpr_spill_count: 0
    .wavefront_size: 64
  - .agpr_count:     0
    .args:
      - .address_space:  global
        .offset:         0
        .size:           8
        .value_kind:     global_buffer
      - .address_space:  global
        .offset:         8
        .size:           8
        .value_kind:     global_buffer
      - .address_space:  global
        .offset:         16
        .size:           8
        .value_kind:     global_buffer
      - .offset:         24
        .size:           4
        .value_kind:     by_value
      - .address_space:  global
        .offset:         32
        .size:           8
        .value_kind:     global_buffer
      - .address_space:  global
        .offset:         40
        .size:           8
        .value_kind:     global_buffer
      - .offset:         48
        .size:           4
        .value_kind:     by_value
      - .offset:         52
        .size:           4
        .value_kind:     by_value
      - .offset:         56
        .size:           4
        .value_kind:     by_value
      - .offset:         60
        .size:           1
        .value_kind:     by_value
      - .offset:         64
        .size:           8
        .value_kind:     by_value
      - .address_space:  global
        .offset:         72
        .size:           8
        .value_kind:     global_buffer
      - .address_space:  global
        .offset:         80
        .size:           8
        .value_kind:     global_buffer
      - .address_space:  global
        .offset:         88
        .size:           8
        .value_kind:     global_buffer
    .group_segment_fixed_size: 0
    .kernarg_segment_align: 8
    .kernarg_segment_size: 96
    .language:       OpenCL C
    .language_version:
      - 2
      - 0
    .max_flat_workgroup_size: 128
    .name:           _ZN4vllm3moe22topkGatingSoftplusSqrtILi14ELi448ELi4ELi2ELi32ELb0Ej6__halfEEvPKT6_PKbPfiPT5_PiiiibdPKfPKS9_SF_
    .private_segment_fixed_size: 0
    .sgpr_count:     38
    .sgpr_spill_count: 0
    .symbol:         _ZN4vllm3moe22topkGatingSoftplusSqrtILi14ELi448ELi4ELi2ELi32ELb0Ej6__halfEEvPKT6_PKbPfiPT5_PiiiibdPKfPKS9_SF_.kd
    .uniform_work_group_size: 1
    .uses_dynamic_stack: false
    .vgpr_count:     46
    .vgpr_spill_count: 0
    .wavefront_size: 64
  - .agpr_count:     0
    .args:
      - .address_space:  global
        .offset:         0
        .size:           8
        .value_kind:     global_buffer
      - .address_space:  global
        .offset:         8
        .size:           8
        .value_kind:     global_buffer
      - .address_space:  global
        .offset:         16
        .size:           8
        .value_kind:     global_buffer
      - .offset:         24
        .size:           4
        .value_kind:     by_value
      - .address_space:  global
        .offset:         32
        .size:           8
        .value_kind:     global_buffer
      - .address_space:  global
        .offset:         40
        .size:           8
        .value_kind:     global_buffer
      - .offset:         48
        .size:           4
        .value_kind:     by_value
      - .offset:         52
        .size:           4
        .value_kind:     by_value
      - .offset:         56
        .size:           4
        .value_kind:     by_value
      - .offset:         60
        .size:           1
        .value_kind:     by_value
      - .offset:         64
        .size:           8
        .value_kind:     by_value
      - .address_space:  global
        .offset:         72
        .size:           8
        .value_kind:     global_buffer
      - .address_space:  global
        .offset:         80
        .size:           8
        .value_kind:     global_buffer
      - .address_space:  global
        .offset:         88
        .size:           8
        .value_kind:     global_buffer
    .group_segment_fixed_size: 0
    .kernarg_segment_align: 8
    .kernarg_segment_size: 96
    .language:       OpenCL C
    .language_version:
      - 2
      - 0
    .max_flat_workgroup_size: 256
    .name:           _ZN4vllm3moe22topkGatingSoftplusSqrtILi9ELi576ELi4ELi2ELi64ELb1Ej6__halfEEvPKT6_PKbPfiPT5_PiiiibdPKfPKS9_SF_
    .private_segment_fixed_size: 0
    .sgpr_count:     44
    .sgpr_spill_count: 0
    .symbol:         _ZN4vllm3moe22topkGatingSoftplusSqrtILi9ELi576ELi4ELi2ELi64ELb1Ej6__halfEEvPKT6_PKbPfiPT5_PiiiibdPKfPKS9_SF_.kd
    .uniform_work_group_size: 1
    .uses_dynamic_stack: false
    .vgpr_count:     34
    .vgpr_spill_count: 0
    .wavefront_size: 64
  - .agpr_count:     0
    .args:
      - .address_space:  global
        .offset:         0
        .size:           8
        .value_kind:     global_buffer
      - .address_space:  global
        .offset:         8
        .size:           8
        .value_kind:     global_buffer
      - .address_space:  global
        .offset:         16
        .size:           8
        .value_kind:     global_buffer
      - .offset:         24
        .size:           4
        .value_kind:     by_value
      - .address_space:  global
        .offset:         32
        .size:           8
        .value_kind:     global_buffer
      - .address_space:  global
        .offset:         40
        .size:           8
        .value_kind:     global_buffer
      - .offset:         48
        .size:           4
        .value_kind:     by_value
      - .offset:         52
        .size:           4
        .value_kind:     by_value
      - .offset:         56
        .size:           4
        .value_kind:     by_value
      - .offset:         60
        .size:           1
        .value_kind:     by_value
      - .offset:         64
        .size:           8
        .value_kind:     by_value
      - .address_space:  global
        .offset:         72
        .size:           8
        .value_kind:     global_buffer
      - .address_space:  global
        .offset:         80
        .size:           8
        .value_kind:     global_buffer
      - .address_space:  global
        .offset:         88
        .size:           8
        .value_kind:     global_buffer
    .group_segment_fixed_size: 0
    .kernarg_segment_align: 8
    .kernarg_segment_size: 96
    .language:       OpenCL C
    .language_version:
      - 2
      - 0
    .max_flat_workgroup_size: 256
    .name:           _ZN4vllm3moe22topkGatingSoftplusSqrtILi9ELi576ELi4ELi2ELi64ELb0Ej6__halfEEvPKT6_PKbPfiPT5_PiiiibdPKfPKS9_SF_
    .private_segment_fixed_size: 0
    .sgpr_count:     37
    .sgpr_spill_count: 0
    .symbol:         _ZN4vllm3moe22topkGatingSoftplusSqrtILi9ELi576ELi4ELi2ELi64ELb0Ej6__halfEEvPKT6_PKbPfiPT5_PiiiibdPKfPKS9_SF_.kd
    .uniform_work_group_size: 1
    .uses_dynamic_stack: false
    .vgpr_count:     38
    .vgpr_spill_count: 0
    .wavefront_size: 64
  - .agpr_count:     0
    .args:
      - .address_space:  global
        .offset:         0
        .size:           8
        .value_kind:     global_buffer
      - .address_space:  global
        .offset:         8
        .size:           8
        .value_kind:     global_buffer
      - .address_space:  global
        .offset:         16
        .size:           8
        .value_kind:     global_buffer
      - .offset:         24
        .size:           4
        .value_kind:     by_value
      - .address_space:  global
        .offset:         32
        .size:           8
        .value_kind:     global_buffer
      - .address_space:  global
        .offset:         40
        .size:           8
        .value_kind:     global_buffer
      - .offset:         48
        .size:           4
        .value_kind:     by_value
      - .offset:         52
        .size:           4
        .value_kind:     by_value
      - .offset:         56
        .size:           4
        .value_kind:     by_value
      - .offset:         60
        .size:           1
        .value_kind:     by_value
      - .offset:         64
        .size:           8
        .value_kind:     by_value
      - .address_space:  global
        .offset:         72
        .size:           8
        .value_kind:     global_buffer
      - .address_space:  global
        .offset:         80
        .size:           8
        .value_kind:     global_buffer
      - .address_space:  global
        .offset:         88
        .size:           8
        .value_kind:     global_buffer
    .group_segment_fixed_size: 0
    .kernarg_segment_align: 8
    .kernarg_segment_size: 96
    .language:       OpenCL C
    .language_version:
      - 2
      - 0
    .max_flat_workgroup_size: 128
    .name:           _ZN4vllm3moe22topkGatingSoftplusSqrtILi18ELi576ELi4ELi2ELi32ELb1Ej6__halfEEvPKT6_PKbPfiPT5_PiiiibdPKfPKS9_SF_
    .private_segment_fixed_size: 80
    .sgpr_count:     78
    .sgpr_spill_count: 0
    .symbol:         _ZN4vllm3moe22topkGatingSoftplusSqrtILi18ELi576ELi4ELi2ELi32ELb1Ej6__halfEEvPKT6_PKbPfiPT5_PiiiibdPKfPKS9_SF_.kd
    .uniform_work_group_size: 1
    .uses_dynamic_stack: false
    .vgpr_count:     43
    .vgpr_spill_count: 0
    .wavefront_size: 64
  - .agpr_count:     0
    .args:
      - .address_space:  global
        .offset:         0
        .size:           8
        .value_kind:     global_buffer
      - .address_space:  global
        .offset:         8
        .size:           8
        .value_kind:     global_buffer
      - .address_space:  global
        .offset:         16
        .size:           8
        .value_kind:     global_buffer
      - .offset:         24
        .size:           4
        .value_kind:     by_value
      - .address_space:  global
        .offset:         32
        .size:           8
        .value_kind:     global_buffer
      - .address_space:  global
        .offset:         40
        .size:           8
        .value_kind:     global_buffer
      - .offset:         48
        .size:           4
        .value_kind:     by_value
      - .offset:         52
        .size:           4
        .value_kind:     by_value
      - .offset:         56
        .size:           4
        .value_kind:     by_value
      - .offset:         60
        .size:           1
        .value_kind:     by_value
      - .offset:         64
        .size:           8
        .value_kind:     by_value
      - .address_space:  global
        .offset:         72
        .size:           8
        .value_kind:     global_buffer
      - .address_space:  global
        .offset:         80
        .size:           8
        .value_kind:     global_buffer
      - .address_space:  global
        .offset:         88
        .size:           8
        .value_kind:     global_buffer
    .group_segment_fixed_size: 0
    .kernarg_segment_align: 8
    .kernarg_segment_size: 96
    .language:       OpenCL C
    .language_version:
      - 2
      - 0
    .max_flat_workgroup_size: 128
    .name:           _ZN4vllm3moe22topkGatingSoftplusSqrtILi18ELi576ELi4ELi2ELi32ELb0Ej6__halfEEvPKT6_PKbPfiPT5_PiiiibdPKfPKS9_SF_
    .private_segment_fixed_size: 80
    .sgpr_count:     38
    .sgpr_spill_count: 0
    .symbol:         _ZN4vllm3moe22topkGatingSoftplusSqrtILi18ELi576ELi4ELi2ELi32ELb0Ej6__halfEEvPKT6_PKbPfiPT5_PiiiibdPKfPKS9_SF_.kd
    .uniform_work_group_size: 1
    .uses_dynamic_stack: false
    .vgpr_count:     49
    .vgpr_spill_count: 0
    .wavefront_size: 64
  - .agpr_count:     0
    .args:
      - .address_space:  global
        .offset:         0
        .size:           8
        .value_kind:     global_buffer
      - .address_space:  global
        .offset:         8
        .size:           8
        .value_kind:     global_buffer
      - .address_space:  global
        .offset:         16
        .size:           8
        .value_kind:     global_buffer
      - .offset:         24
        .size:           4
        .value_kind:     by_value
      - .address_space:  global
        .offset:         32
        .size:           8
        .value_kind:     global_buffer
      - .address_space:  global
        .offset:         40
        .size:           8
        .value_kind:     global_buffer
      - .offset:         48
        .size:           4
        .value_kind:     by_value
      - .offset:         52
        .size:           4
        .value_kind:     by_value
      - .offset:         56
        .size:           4
        .value_kind:     by_value
      - .offset:         60
        .size:           1
        .value_kind:     by_value
      - .offset:         64
        .size:           8
        .value_kind:     by_value
      - .address_space:  global
        .offset:         72
        .size:           8
        .value_kind:     global_buffer
      - .address_space:  global
        .offset:         80
        .size:           8
        .value_kind:     global_buffer
      - .address_space:  global
        .offset:         88
        .size:           8
        .value_kind:     global_buffer
    .group_segment_fixed_size: 0
    .kernarg_segment_align: 8
    .kernarg_segment_size: 96
    .language:       OpenCL C
    .language_version:
      - 2
      - 0
    .max_flat_workgroup_size: 256
    .name:           _ZN4vllm3moe22topkGatingSoftplusSqrtILi1ELi1ELi4ELi2ELi64ELb1El6__halfEEvPKT6_PKbPfiPT5_PiiiibdPKfPKS9_SF_
    .private_segment_fixed_size: 0
    .sgpr_count:     22
    .sgpr_spill_count: 0
    .symbol:         _ZN4vllm3moe22topkGatingSoftplusSqrtILi1ELi1ELi4ELi2ELi64ELb1El6__halfEEvPKT6_PKbPfiPT5_PiiiibdPKfPKS9_SF_.kd
    .uniform_work_group_size: 1
    .uses_dynamic_stack: false
    .vgpr_count:     16
    .vgpr_spill_count: 0
    .wavefront_size: 64
  - .agpr_count:     0
    .args:
      - .address_space:  global
        .offset:         0
        .size:           8
        .value_kind:     global_buffer
      - .address_space:  global
        .offset:         8
        .size:           8
        .value_kind:     global_buffer
      - .address_space:  global
        .offset:         16
        .size:           8
        .value_kind:     global_buffer
      - .offset:         24
        .size:           4
        .value_kind:     by_value
      - .address_space:  global
        .offset:         32
        .size:           8
        .value_kind:     global_buffer
      - .address_space:  global
        .offset:         40
        .size:           8
        .value_kind:     global_buffer
      - .offset:         48
        .size:           4
        .value_kind:     by_value
      - .offset:         52
        .size:           4
        .value_kind:     by_value
      - .offset:         56
        .size:           4
        .value_kind:     by_value
      - .offset:         60
        .size:           1
        .value_kind:     by_value
      - .offset:         64
        .size:           8
        .value_kind:     by_value
      - .address_space:  global
        .offset:         72
        .size:           8
        .value_kind:     global_buffer
      - .address_space:  global
        .offset:         80
        .size:           8
        .value_kind:     global_buffer
      - .address_space:  global
        .offset:         88
        .size:           8
        .value_kind:     global_buffer
    .group_segment_fixed_size: 0
    .kernarg_segment_align: 8
    .kernarg_segment_size: 96
    .language:       OpenCL C
    .language_version:
      - 2
      - 0
    .max_flat_workgroup_size: 256
    .name:           _ZN4vllm3moe22topkGatingSoftplusSqrtILi1ELi1ELi4ELi2ELi64ELb0El6__halfEEvPKT6_PKbPfiPT5_PiiiibdPKfPKS9_SF_
    .private_segment_fixed_size: 0
    .sgpr_count:     34
    .sgpr_spill_count: 0
    .symbol:         _ZN4vllm3moe22topkGatingSoftplusSqrtILi1ELi1ELi4ELi2ELi64ELb0El6__halfEEvPKT6_PKbPfiPT5_PiiiibdPKfPKS9_SF_.kd
    .uniform_work_group_size: 1
    .uses_dynamic_stack: false
    .vgpr_count:     16
    .vgpr_spill_count: 0
    .wavefront_size: 64
  - .agpr_count:     0
    .args:
      - .address_space:  global
        .offset:         0
        .size:           8
        .value_kind:     global_buffer
      - .address_space:  global
        .offset:         8
        .size:           8
        .value_kind:     global_buffer
      - .address_space:  global
        .offset:         16
        .size:           8
        .value_kind:     global_buffer
      - .offset:         24
        .size:           4
        .value_kind:     by_value
      - .address_space:  global
        .offset:         32
        .size:           8
        .value_kind:     global_buffer
      - .address_space:  global
        .offset:         40
        .size:           8
        .value_kind:     global_buffer
      - .offset:         48
        .size:           4
        .value_kind:     by_value
      - .offset:         52
        .size:           4
        .value_kind:     by_value
      - .offset:         56
        .size:           4
        .value_kind:     by_value
      - .offset:         60
        .size:           1
        .value_kind:     by_value
      - .offset:         64
        .size:           8
        .value_kind:     by_value
      - .address_space:  global
        .offset:         72
        .size:           8
        .value_kind:     global_buffer
      - .address_space:  global
        .offset:         80
        .size:           8
        .value_kind:     global_buffer
      - .address_space:  global
        .offset:         88
        .size:           8
        .value_kind:     global_buffer
    .group_segment_fixed_size: 0
    .kernarg_segment_align: 8
    .kernarg_segment_size: 96
    .language:       OpenCL C
    .language_version:
      - 2
      - 0
    .max_flat_workgroup_size: 128
    .name:           _ZN4vllm3moe22topkGatingSoftplusSqrtILi1ELi1ELi4ELi2ELi32ELb1El6__halfEEvPKT6_PKbPfiPT5_PiiiibdPKfPKS9_SF_
    .private_segment_fixed_size: 0
    .sgpr_count:     22
    .sgpr_spill_count: 0
    .symbol:         _ZN4vllm3moe22topkGatingSoftplusSqrtILi1ELi1ELi4ELi2ELi32ELb1El6__halfEEvPKT6_PKbPfiPT5_PiiiibdPKfPKS9_SF_.kd
    .uniform_work_group_size: 1
    .uses_dynamic_stack: false
    .vgpr_count:     16
    .vgpr_spill_count: 0
    .wavefront_size: 64
  - .agpr_count:     0
    .args:
      - .address_space:  global
        .offset:         0
        .size:           8
        .value_kind:     global_buffer
      - .address_space:  global
        .offset:         8
        .size:           8
        .value_kind:     global_buffer
      - .address_space:  global
        .offset:         16
        .size:           8
        .value_kind:     global_buffer
      - .offset:         24
        .size:           4
        .value_kind:     by_value
      - .address_space:  global
        .offset:         32
        .size:           8
        .value_kind:     global_buffer
      - .address_space:  global
        .offset:         40
        .size:           8
        .value_kind:     global_buffer
      - .offset:         48
        .size:           4
        .value_kind:     by_value
      - .offset:         52
        .size:           4
        .value_kind:     by_value
      - .offset:         56
        .size:           4
        .value_kind:     by_value
      - .offset:         60
        .size:           1
        .value_kind:     by_value
      - .offset:         64
        .size:           8
        .value_kind:     by_value
      - .address_space:  global
        .offset:         72
        .size:           8
        .value_kind:     global_buffer
      - .address_space:  global
        .offset:         80
        .size:           8
        .value_kind:     global_buffer
      - .address_space:  global
        .offset:         88
        .size:           8
        .value_kind:     global_buffer
    .group_segment_fixed_size: 0
    .kernarg_segment_align: 8
    .kernarg_segment_size: 96
    .language:       OpenCL C
    .language_version:
      - 2
      - 0
    .max_flat_workgroup_size: 128
    .name:           _ZN4vllm3moe22topkGatingSoftplusSqrtILi1ELi1ELi4ELi2ELi32ELb0El6__halfEEvPKT6_PKbPfiPT5_PiiiibdPKfPKS9_SF_
    .private_segment_fixed_size: 0
    .sgpr_count:     34
    .sgpr_spill_count: 0
    .symbol:         _ZN4vllm3moe22topkGatingSoftplusSqrtILi1ELi1ELi4ELi2ELi32ELb0El6__halfEEvPKT6_PKbPfiPT5_PiiiibdPKfPKS9_SF_.kd
    .uniform_work_group_size: 1
    .uses_dynamic_stack: false
    .vgpr_count:     16
    .vgpr_spill_count: 0
    .wavefront_size: 64
  - .agpr_count:     0
    .args:
      - .address_space:  global
        .offset:         0
        .size:           8
        .value_kind:     global_buffer
      - .address_space:  global
        .offset:         8
        .size:           8
        .value_kind:     global_buffer
      - .address_space:  global
        .offset:         16
        .size:           8
        .value_kind:     global_buffer
      - .offset:         24
        .size:           4
        .value_kind:     by_value
      - .address_space:  global
        .offset:         32
        .size:           8
        .value_kind:     global_buffer
      - .address_space:  global
        .offset:         40
        .size:           8
        .value_kind:     global_buffer
      - .offset:         48
        .size:           4
        .value_kind:     by_value
      - .offset:         52
        .size:           4
        .value_kind:     by_value
      - .offset:         56
        .size:           4
        .value_kind:     by_value
      - .offset:         60
        .size:           1
        .value_kind:     by_value
      - .offset:         64
        .size:           8
        .value_kind:     by_value
      - .address_space:  global
        .offset:         72
        .size:           8
        .value_kind:     global_buffer
      - .address_space:  global
        .offset:         80
        .size:           8
        .value_kind:     global_buffer
      - .address_space:  global
        .offset:         88
        .size:           8
        .value_kind:     global_buffer
    .group_segment_fixed_size: 0
    .kernarg_segment_align: 8
    .kernarg_segment_size: 96
    .language:       OpenCL C
    .language_version:
      - 2
      - 0
    .max_flat_workgroup_size: 256
    .name:           _ZN4vllm3moe22topkGatingSoftplusSqrtILi2ELi2ELi4ELi4ELi64ELb1El6__halfEEvPKT6_PKbPfiPT5_PiiiibdPKfPKS9_SF_
    .private_segment_fixed_size: 0
    .sgpr_count:     24
    .sgpr_spill_count: 0
    .symbol:         _ZN4vllm3moe22topkGatingSoftplusSqrtILi2ELi2ELi4ELi4ELi64ELb1El6__halfEEvPKT6_PKbPfiPT5_PiiiibdPKfPKS9_SF_.kd
    .uniform_work_group_size: 1
    .uses_dynamic_stack: false
    .vgpr_count:     18
    .vgpr_spill_count: 0
    .wavefront_size: 64
  - .agpr_count:     0
    .args:
      - .address_space:  global
        .offset:         0
        .size:           8
        .value_kind:     global_buffer
      - .address_space:  global
        .offset:         8
        .size:           8
        .value_kind:     global_buffer
      - .address_space:  global
        .offset:         16
        .size:           8
        .value_kind:     global_buffer
      - .offset:         24
        .size:           4
        .value_kind:     by_value
      - .address_space:  global
        .offset:         32
        .size:           8
        .value_kind:     global_buffer
      - .address_space:  global
        .offset:         40
        .size:           8
        .value_kind:     global_buffer
      - .offset:         48
        .size:           4
        .value_kind:     by_value
      - .offset:         52
        .size:           4
        .value_kind:     by_value
      - .offset:         56
        .size:           4
        .value_kind:     by_value
      - .offset:         60
        .size:           1
        .value_kind:     by_value
      - .offset:         64
        .size:           8
        .value_kind:     by_value
      - .address_space:  global
        .offset:         72
        .size:           8
        .value_kind:     global_buffer
      - .address_space:  global
        .offset:         80
        .size:           8
        .value_kind:     global_buffer
      - .address_space:  global
        .offset:         88
        .size:           8
        .value_kind:     global_buffer
    .group_segment_fixed_size: 0
    .kernarg_segment_align: 8
    .kernarg_segment_size: 96
    .language:       OpenCL C
    .language_version:
      - 2
      - 0
    .max_flat_workgroup_size: 256
    .name:           _ZN4vllm3moe22topkGatingSoftplusSqrtILi2ELi2ELi4ELi4ELi64ELb0El6__halfEEvPKT6_PKbPfiPT5_PiiiibdPKfPKS9_SF_
    .private_segment_fixed_size: 0
    .sgpr_count:     32
    .sgpr_spill_count: 0
    .symbol:         _ZN4vllm3moe22topkGatingSoftplusSqrtILi2ELi2ELi4ELi4ELi64ELb0El6__halfEEvPKT6_PKbPfiPT5_PiiiibdPKfPKS9_SF_.kd
    .uniform_work_group_size: 1
    .uses_dynamic_stack: false
    .vgpr_count:     14
    .vgpr_spill_count: 0
    .wavefront_size: 64
  - .agpr_count:     0
    .args:
      - .address_space:  global
        .offset:         0
        .size:           8
        .value_kind:     global_buffer
      - .address_space:  global
        .offset:         8
        .size:           8
        .value_kind:     global_buffer
      - .address_space:  global
        .offset:         16
        .size:           8
        .value_kind:     global_buffer
      - .offset:         24
        .size:           4
        .value_kind:     by_value
      - .address_space:  global
        .offset:         32
        .size:           8
        .value_kind:     global_buffer
      - .address_space:  global
        .offset:         40
        .size:           8
        .value_kind:     global_buffer
      - .offset:         48
        .size:           4
        .value_kind:     by_value
      - .offset:         52
        .size:           4
        .value_kind:     by_value
      - .offset:         56
        .size:           4
        .value_kind:     by_value
      - .offset:         60
        .size:           1
        .value_kind:     by_value
      - .offset:         64
        .size:           8
        .value_kind:     by_value
      - .address_space:  global
        .offset:         72
        .size:           8
        .value_kind:     global_buffer
      - .address_space:  global
        .offset:         80
        .size:           8
        .value_kind:     global_buffer
      - .address_space:  global
        .offset:         88
        .size:           8
        .value_kind:     global_buffer
    .group_segment_fixed_size: 0
    .kernarg_segment_align: 8
    .kernarg_segment_size: 96
    .language:       OpenCL C
    .language_version:
      - 2
      - 0
    .max_flat_workgroup_size: 128
    .name:           _ZN4vllm3moe22topkGatingSoftplusSqrtILi2ELi2ELi4ELi4ELi32ELb1El6__halfEEvPKT6_PKbPfiPT5_PiiiibdPKfPKS9_SF_
    .private_segment_fixed_size: 0
    .sgpr_count:     24
    .sgpr_spill_count: 0
    .symbol:         _ZN4vllm3moe22topkGatingSoftplusSqrtILi2ELi2ELi4ELi4ELi32ELb1El6__halfEEvPKT6_PKbPfiPT5_PiiiibdPKfPKS9_SF_.kd
    .uniform_work_group_size: 1
    .uses_dynamic_stack: false
    .vgpr_count:     18
    .vgpr_spill_count: 0
    .wavefront_size: 64
  - .agpr_count:     0
    .args:
      - .address_space:  global
        .offset:         0
        .size:           8
        .value_kind:     global_buffer
      - .address_space:  global
        .offset:         8
        .size:           8
        .value_kind:     global_buffer
      - .address_space:  global
        .offset:         16
        .size:           8
        .value_kind:     global_buffer
      - .offset:         24
        .size:           4
        .value_kind:     by_value
      - .address_space:  global
        .offset:         32
        .size:           8
        .value_kind:     global_buffer
      - .address_space:  global
        .offset:         40
        .size:           8
        .value_kind:     global_buffer
      - .offset:         48
        .size:           4
        .value_kind:     by_value
      - .offset:         52
        .size:           4
        .value_kind:     by_value
      - .offset:         56
        .size:           4
        .value_kind:     by_value
      - .offset:         60
        .size:           1
        .value_kind:     by_value
      - .offset:         64
        .size:           8
        .value_kind:     by_value
      - .address_space:  global
        .offset:         72
        .size:           8
        .value_kind:     global_buffer
      - .address_space:  global
        .offset:         80
        .size:           8
        .value_kind:     global_buffer
      - .address_space:  global
        .offset:         88
        .size:           8
        .value_kind:     global_buffer
    .group_segment_fixed_size: 0
    .kernarg_segment_align: 8
    .kernarg_segment_size: 96
    .language:       OpenCL C
    .language_version:
      - 2
      - 0
    .max_flat_workgroup_size: 128
    .name:           _ZN4vllm3moe22topkGatingSoftplusSqrtILi2ELi2ELi4ELi4ELi32ELb0El6__halfEEvPKT6_PKbPfiPT5_PiiiibdPKfPKS9_SF_
    .private_segment_fixed_size: 0
    .sgpr_count:     32
    .sgpr_spill_count: 0
    .symbol:         _ZN4vllm3moe22topkGatingSoftplusSqrtILi2ELi2ELi4ELi4ELi32ELb0El6__halfEEvPKT6_PKbPfiPT5_PiiiibdPKfPKS9_SF_.kd
    .uniform_work_group_size: 1
    .uses_dynamic_stack: false
    .vgpr_count:     14
    .vgpr_spill_count: 0
    .wavefront_size: 64
  - .agpr_count:     0
    .args:
      - .address_space:  global
        .offset:         0
        .size:           8
        .value_kind:     global_buffer
      - .address_space:  global
        .offset:         8
        .size:           8
        .value_kind:     global_buffer
      - .address_space:  global
        .offset:         16
        .size:           8
        .value_kind:     global_buffer
      - .offset:         24
        .size:           4
        .value_kind:     by_value
      - .address_space:  global
        .offset:         32
        .size:           8
        .value_kind:     global_buffer
      - .address_space:  global
        .offset:         40
        .size:           8
        .value_kind:     global_buffer
      - .offset:         48
        .size:           4
        .value_kind:     by_value
      - .offset:         52
        .size:           4
        .value_kind:     by_value
      - .offset:         56
        .size:           4
        .value_kind:     by_value
      - .offset:         60
        .size:           1
        .value_kind:     by_value
      - .offset:         64
        .size:           8
        .value_kind:     by_value
      - .address_space:  global
        .offset:         72
        .size:           8
        .value_kind:     global_buffer
      - .address_space:  global
        .offset:         80
        .size:           8
        .value_kind:     global_buffer
      - .address_space:  global
        .offset:         88
        .size:           8
        .value_kind:     global_buffer
    .group_segment_fixed_size: 0
    .kernarg_segment_align: 8
    .kernarg_segment_size: 96
    .language:       OpenCL C
    .language_version:
      - 2
      - 0
    .max_flat_workgroup_size: 256
    .name:           _ZN4vllm3moe22topkGatingSoftplusSqrtILi4ELi4ELi4ELi8ELi64ELb1El6__halfEEvPKT6_PKbPfiPT5_PiiiibdPKfPKS9_SF_
    .private_segment_fixed_size: 0
    .sgpr_count:     27
    .sgpr_spill_count: 0
    .symbol:         _ZN4vllm3moe22topkGatingSoftplusSqrtILi4ELi4ELi4ELi8ELi64ELb1El6__halfEEvPKT6_PKbPfiPT5_PiiiibdPKfPKS9_SF_.kd
    .uniform_work_group_size: 1
    .uses_dynamic_stack: false
    .vgpr_count:     24
    .vgpr_spill_count: 0
    .wavefront_size: 64
  - .agpr_count:     0
    .args:
      - .address_space:  global
        .offset:         0
        .size:           8
        .value_kind:     global_buffer
      - .address_space:  global
        .offset:         8
        .size:           8
        .value_kind:     global_buffer
      - .address_space:  global
        .offset:         16
        .size:           8
        .value_kind:     global_buffer
      - .offset:         24
        .size:           4
        .value_kind:     by_value
      - .address_space:  global
        .offset:         32
        .size:           8
        .value_kind:     global_buffer
      - .address_space:  global
        .offset:         40
        .size:           8
        .value_kind:     global_buffer
      - .offset:         48
        .size:           4
        .value_kind:     by_value
      - .offset:         52
        .size:           4
        .value_kind:     by_value
      - .offset:         56
        .size:           4
        .value_kind:     by_value
      - .offset:         60
        .size:           1
        .value_kind:     by_value
      - .offset:         64
        .size:           8
        .value_kind:     by_value
      - .address_space:  global
        .offset:         72
        .size:           8
        .value_kind:     global_buffer
      - .address_space:  global
        .offset:         80
        .size:           8
        .value_kind:     global_buffer
      - .address_space:  global
        .offset:         88
        .size:           8
        .value_kind:     global_buffer
    .group_segment_fixed_size: 0
    .kernarg_segment_align: 8
    .kernarg_segment_size: 96
    .language:       OpenCL C
    .language_version:
      - 2
      - 0
    .max_flat_workgroup_size: 256
    .name:           _ZN4vllm3moe22topkGatingSoftplusSqrtILi4ELi4ELi4ELi8ELi64ELb0El6__halfEEvPKT6_PKbPfiPT5_PiiiibdPKfPKS9_SF_
    .private_segment_fixed_size: 0
    .sgpr_count:     32
    .sgpr_spill_count: 0
    .symbol:         _ZN4vllm3moe22topkGatingSoftplusSqrtILi4ELi4ELi4ELi8ELi64ELb0El6__halfEEvPKT6_PKbPfiPT5_PiiiibdPKfPKS9_SF_.kd
    .uniform_work_group_size: 1
    .uses_dynamic_stack: false
    .vgpr_count:     16
    .vgpr_spill_count: 0
    .wavefront_size: 64
  - .agpr_count:     0
    .args:
      - .address_space:  global
        .offset:         0
        .size:           8
        .value_kind:     global_buffer
      - .address_space:  global
        .offset:         8
        .size:           8
        .value_kind:     global_buffer
      - .address_space:  global
        .offset:         16
        .size:           8
        .value_kind:     global_buffer
      - .offset:         24
        .size:           4
        .value_kind:     by_value
      - .address_space:  global
        .offset:         32
        .size:           8
        .value_kind:     global_buffer
      - .address_space:  global
        .offset:         40
        .size:           8
        .value_kind:     global_buffer
      - .offset:         48
        .size:           4
        .value_kind:     by_value
      - .offset:         52
        .size:           4
        .value_kind:     by_value
      - .offset:         56
        .size:           4
        .value_kind:     by_value
      - .offset:         60
        .size:           1
        .value_kind:     by_value
      - .offset:         64
        .size:           8
        .value_kind:     by_value
      - .address_space:  global
        .offset:         72
        .size:           8
        .value_kind:     global_buffer
      - .address_space:  global
        .offset:         80
        .size:           8
        .value_kind:     global_buffer
      - .address_space:  global
        .offset:         88
        .size:           8
        .value_kind:     global_buffer
    .group_segment_fixed_size: 0
    .kernarg_segment_align: 8
    .kernarg_segment_size: 96
    .language:       OpenCL C
    .language_version:
      - 2
      - 0
    .max_flat_workgroup_size: 128
    .name:           _ZN4vllm3moe22topkGatingSoftplusSqrtILi4ELi4ELi4ELi8ELi32ELb1El6__halfEEvPKT6_PKbPfiPT5_PiiiibdPKfPKS9_SF_
    .private_segment_fixed_size: 0
    .sgpr_count:     27
    .sgpr_spill_count: 0
    .symbol:         _ZN4vllm3moe22topkGatingSoftplusSqrtILi4ELi4ELi4ELi8ELi32ELb1El6__halfEEvPKT6_PKbPfiPT5_PiiiibdPKfPKS9_SF_.kd
    .uniform_work_group_size: 1
    .uses_dynamic_stack: false
    .vgpr_count:     24
    .vgpr_spill_count: 0
    .wavefront_size: 64
  - .agpr_count:     0
    .args:
      - .address_space:  global
        .offset:         0
        .size:           8
        .value_kind:     global_buffer
      - .address_space:  global
        .offset:         8
        .size:           8
        .value_kind:     global_buffer
      - .address_space:  global
        .offset:         16
        .size:           8
        .value_kind:     global_buffer
      - .offset:         24
        .size:           4
        .value_kind:     by_value
      - .address_space:  global
        .offset:         32
        .size:           8
        .value_kind:     global_buffer
      - .address_space:  global
        .offset:         40
        .size:           8
        .value_kind:     global_buffer
      - .offset:         48
        .size:           4
        .value_kind:     by_value
      - .offset:         52
        .size:           4
        .value_kind:     by_value
      - .offset:         56
        .size:           4
        .value_kind:     by_value
      - .offset:         60
        .size:           1
        .value_kind:     by_value
      - .offset:         64
        .size:           8
        .value_kind:     by_value
      - .address_space:  global
        .offset:         72
        .size:           8
        .value_kind:     global_buffer
      - .address_space:  global
        .offset:         80
        .size:           8
        .value_kind:     global_buffer
      - .address_space:  global
        .offset:         88
        .size:           8
        .value_kind:     global_buffer
    .group_segment_fixed_size: 0
    .kernarg_segment_align: 8
    .kernarg_segment_size: 96
    .language:       OpenCL C
    .language_version:
      - 2
      - 0
    .max_flat_workgroup_size: 128
    .name:           _ZN4vllm3moe22topkGatingSoftplusSqrtILi4ELi4ELi4ELi8ELi32ELb0El6__halfEEvPKT6_PKbPfiPT5_PiiiibdPKfPKS9_SF_
    .private_segment_fixed_size: 0
    .sgpr_count:     32
    .sgpr_spill_count: 0
    .symbol:         _ZN4vllm3moe22topkGatingSoftplusSqrtILi4ELi4ELi4ELi8ELi32ELb0El6__halfEEvPKT6_PKbPfiPT5_PiiiibdPKfPKS9_SF_.kd
    .uniform_work_group_size: 1
    .uses_dynamic_stack: false
    .vgpr_count:     16
    .vgpr_spill_count: 0
    .wavefront_size: 64
  - .agpr_count:     0
    .args:
      - .address_space:  global
        .offset:         0
        .size:           8
        .value_kind:     global_buffer
      - .address_space:  global
        .offset:         8
        .size:           8
        .value_kind:     global_buffer
      - .address_space:  global
        .offset:         16
        .size:           8
        .value_kind:     global_buffer
      - .offset:         24
        .size:           4
        .value_kind:     by_value
      - .address_space:  global
        .offset:         32
        .size:           8
        .value_kind:     global_buffer
      - .address_space:  global
        .offset:         40
        .size:           8
        .value_kind:     global_buffer
      - .offset:         48
        .size:           4
        .value_kind:     by_value
      - .offset:         52
        .size:           4
        .value_kind:     by_value
      - .offset:         56
        .size:           4
        .value_kind:     by_value
      - .offset:         60
        .size:           1
        .value_kind:     by_value
      - .offset:         64
        .size:           8
        .value_kind:     by_value
      - .address_space:  global
        .offset:         72
        .size:           8
        .value_kind:     global_buffer
      - .address_space:  global
        .offset:         80
        .size:           8
        .value_kind:     global_buffer
      - .address_space:  global
        .offset:         88
        .size:           8
        .value_kind:     global_buffer
    .group_segment_fixed_size: 0
    .kernarg_segment_align: 8
    .kernarg_segment_size: 96
    .language:       OpenCL C
    .language_version:
      - 2
      - 0
    .max_flat_workgroup_size: 256
    .name:           _ZN4vllm3moe22topkGatingSoftplusSqrtILi8ELi8ELi4ELi16ELi64ELb1El6__halfEEvPKT6_PKbPfiPT5_PiiiibdPKfPKS9_SF_
    .private_segment_fixed_size: 0
    .sgpr_count:     28
    .sgpr_spill_count: 0
    .symbol:         _ZN4vllm3moe22topkGatingSoftplusSqrtILi8ELi8ELi4ELi16ELi64ELb1El6__halfEEvPKT6_PKbPfiPT5_PiiiibdPKfPKS9_SF_.kd
    .uniform_work_group_size: 1
    .uses_dynamic_stack: false
    .vgpr_count:     27
    .vgpr_spill_count: 0
    .wavefront_size: 64
  - .agpr_count:     0
    .args:
      - .address_space:  global
        .offset:         0
        .size:           8
        .value_kind:     global_buffer
      - .address_space:  global
        .offset:         8
        .size:           8
        .value_kind:     global_buffer
      - .address_space:  global
        .offset:         16
        .size:           8
        .value_kind:     global_buffer
      - .offset:         24
        .size:           4
        .value_kind:     by_value
      - .address_space:  global
        .offset:         32
        .size:           8
        .value_kind:     global_buffer
      - .address_space:  global
        .offset:         40
        .size:           8
        .value_kind:     global_buffer
      - .offset:         48
        .size:           4
        .value_kind:     by_value
      - .offset:         52
        .size:           4
        .value_kind:     by_value
      - .offset:         56
        .size:           4
        .value_kind:     by_value
      - .offset:         60
        .size:           1
        .value_kind:     by_value
      - .offset:         64
        .size:           8
        .value_kind:     by_value
      - .address_space:  global
        .offset:         72
        .size:           8
        .value_kind:     global_buffer
      - .address_space:  global
        .offset:         80
        .size:           8
        .value_kind:     global_buffer
      - .address_space:  global
        .offset:         88
        .size:           8
        .value_kind:     global_buffer
    .group_segment_fixed_size: 0
    .kernarg_segment_align: 8
    .kernarg_segment_size: 96
    .language:       OpenCL C
    .language_version:
      - 2
      - 0
    .max_flat_workgroup_size: 256
    .name:           _ZN4vllm3moe22topkGatingSoftplusSqrtILi8ELi8ELi4ELi16ELi64ELb0El6__halfEEvPKT6_PKbPfiPT5_PiiiibdPKfPKS9_SF_
    .private_segment_fixed_size: 0
    .sgpr_count:     32
    .sgpr_spill_count: 0
    .symbol:         _ZN4vllm3moe22topkGatingSoftplusSqrtILi8ELi8ELi4ELi16ELi64ELb0El6__halfEEvPKT6_PKbPfiPT5_PiiiibdPKfPKS9_SF_.kd
    .uniform_work_group_size: 1
    .uses_dynamic_stack: false
    .vgpr_count:     22
    .vgpr_spill_count: 0
    .wavefront_size: 64
  - .agpr_count:     0
    .args:
      - .address_space:  global
        .offset:         0
        .size:           8
        .value_kind:     global_buffer
      - .address_space:  global
        .offset:         8
        .size:           8
        .value_kind:     global_buffer
      - .address_space:  global
        .offset:         16
        .size:           8
        .value_kind:     global_buffer
      - .offset:         24
        .size:           4
        .value_kind:     by_value
      - .address_space:  global
        .offset:         32
        .size:           8
        .value_kind:     global_buffer
      - .address_space:  global
        .offset:         40
        .size:           8
        .value_kind:     global_buffer
      - .offset:         48
        .size:           4
        .value_kind:     by_value
      - .offset:         52
        .size:           4
        .value_kind:     by_value
      - .offset:         56
        .size:           4
        .value_kind:     by_value
      - .offset:         60
        .size:           1
        .value_kind:     by_value
      - .offset:         64
        .size:           8
        .value_kind:     by_value
      - .address_space:  global
        .offset:         72
        .size:           8
        .value_kind:     global_buffer
      - .address_space:  global
        .offset:         80
        .size:           8
        .value_kind:     global_buffer
      - .address_space:  global
        .offset:         88
        .size:           8
        .value_kind:     global_buffer
    .group_segment_fixed_size: 0
    .kernarg_segment_align: 8
    .kernarg_segment_size: 96
    .language:       OpenCL C
    .language_version:
      - 2
      - 0
    .max_flat_workgroup_size: 128
    .name:           _ZN4vllm3moe22topkGatingSoftplusSqrtILi8ELi8ELi4ELi16ELi32ELb1El6__halfEEvPKT6_PKbPfiPT5_PiiiibdPKfPKS9_SF_
    .private_segment_fixed_size: 0
    .sgpr_count:     28
    .sgpr_spill_count: 0
    .symbol:         _ZN4vllm3moe22topkGatingSoftplusSqrtILi8ELi8ELi4ELi16ELi32ELb1El6__halfEEvPKT6_PKbPfiPT5_PiiiibdPKfPKS9_SF_.kd
    .uniform_work_group_size: 1
    .uses_dynamic_stack: false
    .vgpr_count:     27
    .vgpr_spill_count: 0
    .wavefront_size: 64
  - .agpr_count:     0
    .args:
      - .address_space:  global
        .offset:         0
        .size:           8
        .value_kind:     global_buffer
      - .address_space:  global
        .offset:         8
        .size:           8
        .value_kind:     global_buffer
      - .address_space:  global
        .offset:         16
        .size:           8
        .value_kind:     global_buffer
      - .offset:         24
        .size:           4
        .value_kind:     by_value
      - .address_space:  global
        .offset:         32
        .size:           8
        .value_kind:     global_buffer
      - .address_space:  global
        .offset:         40
        .size:           8
        .value_kind:     global_buffer
      - .offset:         48
        .size:           4
        .value_kind:     by_value
      - .offset:         52
        .size:           4
        .value_kind:     by_value
      - .offset:         56
        .size:           4
        .value_kind:     by_value
      - .offset:         60
        .size:           1
        .value_kind:     by_value
      - .offset:         64
        .size:           8
        .value_kind:     by_value
      - .address_space:  global
        .offset:         72
        .size:           8
        .value_kind:     global_buffer
      - .address_space:  global
        .offset:         80
        .size:           8
        .value_kind:     global_buffer
      - .address_space:  global
        .offset:         88
        .size:           8
        .value_kind:     global_buffer
    .group_segment_fixed_size: 0
    .kernarg_segment_align: 8
    .kernarg_segment_size: 96
    .language:       OpenCL C
    .language_version:
      - 2
      - 0
    .max_flat_workgroup_size: 128
    .name:           _ZN4vllm3moe22topkGatingSoftplusSqrtILi8ELi8ELi4ELi16ELi32ELb0El6__halfEEvPKT6_PKbPfiPT5_PiiiibdPKfPKS9_SF_
    .private_segment_fixed_size: 0
    .sgpr_count:     32
    .sgpr_spill_count: 0
    .symbol:         _ZN4vllm3moe22topkGatingSoftplusSqrtILi8ELi8ELi4ELi16ELi32ELb0El6__halfEEvPKT6_PKbPfiPT5_PiiiibdPKfPKS9_SF_.kd
    .uniform_work_group_size: 1
    .uses_dynamic_stack: false
    .vgpr_count:     22
    .vgpr_spill_count: 0
    .wavefront_size: 64
  - .agpr_count:     0
    .args:
      - .address_space:  global
        .offset:         0
        .size:           8
        .value_kind:     global_buffer
      - .address_space:  global
        .offset:         8
        .size:           8
        .value_kind:     global_buffer
      - .address_space:  global
        .offset:         16
        .size:           8
        .value_kind:     global_buffer
      - .offset:         24
        .size:           4
        .value_kind:     by_value
      - .address_space:  global
        .offset:         32
        .size:           8
        .value_kind:     global_buffer
      - .address_space:  global
        .offset:         40
        .size:           8
        .value_kind:     global_buffer
      - .offset:         48
        .size:           4
        .value_kind:     by_value
      - .offset:         52
        .size:           4
        .value_kind:     by_value
      - .offset:         56
        .size:           4
        .value_kind:     by_value
      - .offset:         60
        .size:           1
        .value_kind:     by_value
      - .offset:         64
        .size:           8
        .value_kind:     by_value
      - .address_space:  global
        .offset:         72
        .size:           8
        .value_kind:     global_buffer
      - .address_space:  global
        .offset:         80
        .size:           8
        .value_kind:     global_buffer
      - .address_space:  global
        .offset:         88
        .size:           8
        .value_kind:     global_buffer
    .group_segment_fixed_size: 0
    .kernarg_segment_align: 8
    .kernarg_segment_size: 96
    .language:       OpenCL C
    .language_version:
      - 2
      - 0
    .max_flat_workgroup_size: 256
    .name:           _ZN4vllm3moe22topkGatingSoftplusSqrtILi8ELi16ELi4ELi16ELi64ELb1El6__halfEEvPKT6_PKbPfiPT5_PiiiibdPKfPKS9_SF_
    .private_segment_fixed_size: 48
    .sgpr_count:     42
    .sgpr_spill_count: 0
    .symbol:         _ZN4vllm3moe22topkGatingSoftplusSqrtILi8ELi16ELi4ELi16ELi64ELb1El6__halfEEvPKT6_PKbPfiPT5_PiiiibdPKfPKS9_SF_.kd
    .uniform_work_group_size: 1
    .uses_dynamic_stack: false
    .vgpr_count:     29
    .vgpr_spill_count: 0
    .wavefront_size: 64
  - .agpr_count:     0
    .args:
      - .address_space:  global
        .offset:         0
        .size:           8
        .value_kind:     global_buffer
      - .address_space:  global
        .offset:         8
        .size:           8
        .value_kind:     global_buffer
      - .address_space:  global
        .offset:         16
        .size:           8
        .value_kind:     global_buffer
      - .offset:         24
        .size:           4
        .value_kind:     by_value
      - .address_space:  global
        .offset:         32
        .size:           8
        .value_kind:     global_buffer
      - .address_space:  global
        .offset:         40
        .size:           8
        .value_kind:     global_buffer
      - .offset:         48
        .size:           4
        .value_kind:     by_value
      - .offset:         52
        .size:           4
        .value_kind:     by_value
      - .offset:         56
        .size:           4
        .value_kind:     by_value
      - .offset:         60
        .size:           1
        .value_kind:     by_value
      - .offset:         64
        .size:           8
        .value_kind:     by_value
      - .address_space:  global
        .offset:         72
        .size:           8
        .value_kind:     global_buffer
      - .address_space:  global
        .offset:         80
        .size:           8
        .value_kind:     global_buffer
      - .address_space:  global
        .offset:         88
        .size:           8
        .value_kind:     global_buffer
    .group_segment_fixed_size: 0
    .kernarg_segment_align: 8
    .kernarg_segment_size: 96
    .language:       OpenCL C
    .language_version:
      - 2
      - 0
    .max_flat_workgroup_size: 256
    .name:           _ZN4vllm3moe22topkGatingSoftplusSqrtILi8ELi16ELi4ELi16ELi64ELb0El6__halfEEvPKT6_PKbPfiPT5_PiiiibdPKfPKS9_SF_
    .private_segment_fixed_size: 0
    .sgpr_count:     49
    .sgpr_spill_count: 0
    .symbol:         _ZN4vllm3moe22topkGatingSoftplusSqrtILi8ELi16ELi4ELi16ELi64ELb0El6__halfEEvPKT6_PKbPfiPT5_PiiiibdPKfPKS9_SF_.kd
    .uniform_work_group_size: 1
    .uses_dynamic_stack: false
    .vgpr_count:     26
    .vgpr_spill_count: 0
    .wavefront_size: 64
  - .agpr_count:     0
    .args:
      - .address_space:  global
        .offset:         0
        .size:           8
        .value_kind:     global_buffer
      - .address_space:  global
        .offset:         8
        .size:           8
        .value_kind:     global_buffer
      - .address_space:  global
        .offset:         16
        .size:           8
        .value_kind:     global_buffer
      - .offset:         24
        .size:           4
        .value_kind:     by_value
      - .address_space:  global
        .offset:         32
        .size:           8
        .value_kind:     global_buffer
      - .address_space:  global
        .offset:         40
        .size:           8
        .value_kind:     global_buffer
      - .offset:         48
        .size:           4
        .value_kind:     by_value
      - .offset:         52
        .size:           4
        .value_kind:     by_value
      - .offset:         56
        .size:           4
        .value_kind:     by_value
      - .offset:         60
        .size:           1
        .value_kind:     by_value
      - .offset:         64
        .size:           8
        .value_kind:     by_value
      - .address_space:  global
        .offset:         72
        .size:           8
        .value_kind:     global_buffer
      - .address_space:  global
        .offset:         80
        .size:           8
        .value_kind:     global_buffer
      - .address_space:  global
        .offset:         88
        .size:           8
        .value_kind:     global_buffer
    .group_segment_fixed_size: 0
    .kernarg_segment_align: 8
    .kernarg_segment_size: 96
    .language:       OpenCL C
    .language_version:
      - 2
      - 0
    .max_flat_workgroup_size: 128
    .name:           _ZN4vllm3moe22topkGatingSoftplusSqrtILi8ELi16ELi4ELi16ELi32ELb1El6__halfEEvPKT6_PKbPfiPT5_PiiiibdPKfPKS9_SF_
    .private_segment_fixed_size: 48
    .sgpr_count:     42
    .sgpr_spill_count: 0
    .symbol:         _ZN4vllm3moe22topkGatingSoftplusSqrtILi8ELi16ELi4ELi16ELi32ELb1El6__halfEEvPKT6_PKbPfiPT5_PiiiibdPKfPKS9_SF_.kd
    .uniform_work_group_size: 1
    .uses_dynamic_stack: false
    .vgpr_count:     29
    .vgpr_spill_count: 0
    .wavefront_size: 64
  - .agpr_count:     0
    .args:
      - .address_space:  global
        .offset:         0
        .size:           8
        .value_kind:     global_buffer
      - .address_space:  global
        .offset:         8
        .size:           8
        .value_kind:     global_buffer
      - .address_space:  global
        .offset:         16
        .size:           8
        .value_kind:     global_buffer
      - .offset:         24
        .size:           4
        .value_kind:     by_value
      - .address_space:  global
        .offset:         32
        .size:           8
        .value_kind:     global_buffer
      - .address_space:  global
        .offset:         40
        .size:           8
        .value_kind:     global_buffer
      - .offset:         48
        .size:           4
        .value_kind:     by_value
      - .offset:         52
        .size:           4
        .value_kind:     by_value
      - .offset:         56
        .size:           4
        .value_kind:     by_value
      - .offset:         60
        .size:           1
        .value_kind:     by_value
      - .offset:         64
        .size:           8
        .value_kind:     by_value
      - .address_space:  global
        .offset:         72
        .size:           8
        .value_kind:     global_buffer
      - .address_space:  global
        .offset:         80
        .size:           8
        .value_kind:     global_buffer
      - .address_space:  global
        .offset:         88
        .size:           8
        .value_kind:     global_buffer
    .group_segment_fixed_size: 0
    .kernarg_segment_align: 8
    .kernarg_segment_size: 96
    .language:       OpenCL C
    .language_version:
      - 2
      - 0
    .max_flat_workgroup_size: 128
    .name:           _ZN4vllm3moe22topkGatingSoftplusSqrtILi8ELi16ELi4ELi16ELi32ELb0El6__halfEEvPKT6_PKbPfiPT5_PiiiibdPKfPKS9_SF_
    .private_segment_fixed_size: 0
    .sgpr_count:     49
    .sgpr_spill_count: 0
    .symbol:         _ZN4vllm3moe22topkGatingSoftplusSqrtILi8ELi16ELi4ELi16ELi32ELb0El6__halfEEvPKT6_PKbPfiPT5_PiiiibdPKfPKS9_SF_.kd
    .uniform_work_group_size: 1
    .uses_dynamic_stack: false
    .vgpr_count:     26
    .vgpr_spill_count: 0
    .wavefront_size: 64
  - .agpr_count:     0
    .args:
      - .address_space:  global
        .offset:         0
        .size:           8
        .value_kind:     global_buffer
      - .address_space:  global
        .offset:         8
        .size:           8
        .value_kind:     global_buffer
      - .address_space:  global
        .offset:         16
        .size:           8
        .value_kind:     global_buffer
      - .offset:         24
        .size:           4
        .value_kind:     by_value
      - .address_space:  global
        .offset:         32
        .size:           8
        .value_kind:     global_buffer
      - .address_space:  global
        .offset:         40
        .size:           8
        .value_kind:     global_buffer
      - .offset:         48
        .size:           4
        .value_kind:     by_value
      - .offset:         52
        .size:           4
        .value_kind:     by_value
      - .offset:         56
        .size:           4
        .value_kind:     by_value
      - .offset:         60
        .size:           1
        .value_kind:     by_value
      - .offset:         64
        .size:           8
        .value_kind:     by_value
      - .address_space:  global
        .offset:         72
        .size:           8
        .value_kind:     global_buffer
      - .address_space:  global
        .offset:         80
        .size:           8
        .value_kind:     global_buffer
      - .address_space:  global
        .offset:         88
        .size:           8
        .value_kind:     global_buffer
    .group_segment_fixed_size: 0
    .kernarg_segment_align: 8
    .kernarg_segment_size: 96
    .language:       OpenCL C
    .language_version:
      - 2
      - 0
    .max_flat_workgroup_size: 256
    .name:           _ZN4vllm3moe22topkGatingSoftplusSqrtILi8ELi32ELi4ELi16ELi64ELb1El6__halfEEvPKT6_PKbPfiPT5_PiiiibdPKfPKS9_SF_
    .private_segment_fixed_size: 48
    .sgpr_count:     42
    .sgpr_spill_count: 0
    .symbol:         _ZN4vllm3moe22topkGatingSoftplusSqrtILi8ELi32ELi4ELi16ELi64ELb1El6__halfEEvPKT6_PKbPfiPT5_PiiiibdPKfPKS9_SF_.kd
    .uniform_work_group_size: 1
    .uses_dynamic_stack: false
    .vgpr_count:     29
    .vgpr_spill_count: 0
    .wavefront_size: 64
  - .agpr_count:     0
    .args:
      - .address_space:  global
        .offset:         0
        .size:           8
        .value_kind:     global_buffer
      - .address_space:  global
        .offset:         8
        .size:           8
        .value_kind:     global_buffer
      - .address_space:  global
        .offset:         16
        .size:           8
        .value_kind:     global_buffer
      - .offset:         24
        .size:           4
        .value_kind:     by_value
      - .address_space:  global
        .offset:         32
        .size:           8
        .value_kind:     global_buffer
      - .address_space:  global
        .offset:         40
        .size:           8
        .value_kind:     global_buffer
      - .offset:         48
        .size:           4
        .value_kind:     by_value
      - .offset:         52
        .size:           4
        .value_kind:     by_value
      - .offset:         56
        .size:           4
        .value_kind:     by_value
      - .offset:         60
        .size:           1
        .value_kind:     by_value
      - .offset:         64
        .size:           8
        .value_kind:     by_value
      - .address_space:  global
        .offset:         72
        .size:           8
        .value_kind:     global_buffer
      - .address_space:  global
        .offset:         80
        .size:           8
        .value_kind:     global_buffer
      - .address_space:  global
        .offset:         88
        .size:           8
        .value_kind:     global_buffer
    .group_segment_fixed_size: 0
    .kernarg_segment_align: 8
    .kernarg_segment_size: 96
    .language:       OpenCL C
    .language_version:
      - 2
      - 0
    .max_flat_workgroup_size: 256
    .name:           _ZN4vllm3moe22topkGatingSoftplusSqrtILi8ELi32ELi4ELi16ELi64ELb0El6__halfEEvPKT6_PKbPfiPT5_PiiiibdPKfPKS9_SF_
    .private_segment_fixed_size: 0
    .sgpr_count:     49
    .sgpr_spill_count: 0
    .symbol:         _ZN4vllm3moe22topkGatingSoftplusSqrtILi8ELi32ELi4ELi16ELi64ELb0El6__halfEEvPKT6_PKbPfiPT5_PiiiibdPKfPKS9_SF_.kd
    .uniform_work_group_size: 1
    .uses_dynamic_stack: false
    .vgpr_count:     26
    .vgpr_spill_count: 0
    .wavefront_size: 64
  - .agpr_count:     0
    .args:
      - .address_space:  global
        .offset:         0
        .size:           8
        .value_kind:     global_buffer
      - .address_space:  global
        .offset:         8
        .size:           8
        .value_kind:     global_buffer
      - .address_space:  global
        .offset:         16
        .size:           8
        .value_kind:     global_buffer
      - .offset:         24
        .size:           4
        .value_kind:     by_value
      - .address_space:  global
        .offset:         32
        .size:           8
        .value_kind:     global_buffer
      - .address_space:  global
        .offset:         40
        .size:           8
        .value_kind:     global_buffer
      - .offset:         48
        .size:           4
        .value_kind:     by_value
      - .offset:         52
        .size:           4
        .value_kind:     by_value
      - .offset:         56
        .size:           4
        .value_kind:     by_value
      - .offset:         60
        .size:           1
        .value_kind:     by_value
      - .offset:         64
        .size:           8
        .value_kind:     by_value
      - .address_space:  global
        .offset:         72
        .size:           8
        .value_kind:     global_buffer
      - .address_space:  global
        .offset:         80
        .size:           8
        .value_kind:     global_buffer
      - .address_space:  global
        .offset:         88
        .size:           8
        .value_kind:     global_buffer
    .group_segment_fixed_size: 0
    .kernarg_segment_align: 8
    .kernarg_segment_size: 96
    .language:       OpenCL C
    .language_version:
      - 2
      - 0
    .max_flat_workgroup_size: 128
    .name:           _ZN4vllm3moe22topkGatingSoftplusSqrtILi8ELi32ELi4ELi16ELi32ELb1El6__halfEEvPKT6_PKbPfiPT5_PiiiibdPKfPKS9_SF_
    .private_segment_fixed_size: 48
    .sgpr_count:     42
    .sgpr_spill_count: 0
    .symbol:         _ZN4vllm3moe22topkGatingSoftplusSqrtILi8ELi32ELi4ELi16ELi32ELb1El6__halfEEvPKT6_PKbPfiPT5_PiiiibdPKfPKS9_SF_.kd
    .uniform_work_group_size: 1
    .uses_dynamic_stack: false
    .vgpr_count:     29
    .vgpr_spill_count: 0
    .wavefront_size: 64
  - .agpr_count:     0
    .args:
      - .address_space:  global
        .offset:         0
        .size:           8
        .value_kind:     global_buffer
      - .address_space:  global
        .offset:         8
        .size:           8
        .value_kind:     global_buffer
      - .address_space:  global
        .offset:         16
        .size:           8
        .value_kind:     global_buffer
      - .offset:         24
        .size:           4
        .value_kind:     by_value
      - .address_space:  global
        .offset:         32
        .size:           8
        .value_kind:     global_buffer
      - .address_space:  global
        .offset:         40
        .size:           8
        .value_kind:     global_buffer
      - .offset:         48
        .size:           4
        .value_kind:     by_value
      - .offset:         52
        .size:           4
        .value_kind:     by_value
      - .offset:         56
        .size:           4
        .value_kind:     by_value
      - .offset:         60
        .size:           1
        .value_kind:     by_value
      - .offset:         64
        .size:           8
        .value_kind:     by_value
      - .address_space:  global
        .offset:         72
        .size:           8
        .value_kind:     global_buffer
      - .address_space:  global
        .offset:         80
        .size:           8
        .value_kind:     global_buffer
      - .address_space:  global
        .offset:         88
        .size:           8
        .value_kind:     global_buffer
    .group_segment_fixed_size: 0
    .kernarg_segment_align: 8
    .kernarg_segment_size: 96
    .language:       OpenCL C
    .language_version:
      - 2
      - 0
    .max_flat_workgroup_size: 128
    .name:           _ZN4vllm3moe22topkGatingSoftplusSqrtILi8ELi32ELi4ELi16ELi32ELb0El6__halfEEvPKT6_PKbPfiPT5_PiiiibdPKfPKS9_SF_
    .private_segment_fixed_size: 0
    .sgpr_count:     49
    .sgpr_spill_count: 0
    .symbol:         _ZN4vllm3moe22topkGatingSoftplusSqrtILi8ELi32ELi4ELi16ELi32ELb0El6__halfEEvPKT6_PKbPfiPT5_PiiiibdPKfPKS9_SF_.kd
    .uniform_work_group_size: 1
    .uses_dynamic_stack: false
    .vgpr_count:     26
    .vgpr_spill_count: 0
    .wavefront_size: 64
  - .agpr_count:     0
    .args:
      - .address_space:  global
        .offset:         0
        .size:           8
        .value_kind:     global_buffer
      - .address_space:  global
        .offset:         8
        .size:           8
        .value_kind:     global_buffer
      - .address_space:  global
        .offset:         16
        .size:           8
        .value_kind:     global_buffer
      - .offset:         24
        .size:           4
        .value_kind:     by_value
      - .address_space:  global
        .offset:         32
        .size:           8
        .value_kind:     global_buffer
      - .address_space:  global
        .offset:         40
        .size:           8
        .value_kind:     global_buffer
      - .offset:         48
        .size:           4
        .value_kind:     by_value
      - .offset:         52
        .size:           4
        .value_kind:     by_value
      - .offset:         56
        .size:           4
        .value_kind:     by_value
      - .offset:         60
        .size:           1
        .value_kind:     by_value
      - .offset:         64
        .size:           8
        .value_kind:     by_value
      - .address_space:  global
        .offset:         72
        .size:           8
        .value_kind:     global_buffer
      - .address_space:  global
        .offset:         80
        .size:           8
        .value_kind:     global_buffer
      - .address_space:  global
        .offset:         88
        .size:           8
        .value_kind:     global_buffer
    .group_segment_fixed_size: 0
    .kernarg_segment_align: 8
    .kernarg_segment_size: 96
    .language:       OpenCL C
    .language_version:
      - 2
      - 0
    .max_flat_workgroup_size: 256
    .name:           _ZN4vllm3moe22topkGatingSoftplusSqrtILi8ELi64ELi4ELi16ELi64ELb1El6__halfEEvPKT6_PKbPfiPT5_PiiiibdPKfPKS9_SF_
    .private_segment_fixed_size: 48
    .sgpr_count:     42
    .sgpr_spill_count: 0
    .symbol:         _ZN4vllm3moe22topkGatingSoftplusSqrtILi8ELi64ELi4ELi16ELi64ELb1El6__halfEEvPKT6_PKbPfiPT5_PiiiibdPKfPKS9_SF_.kd
    .uniform_work_group_size: 1
    .uses_dynamic_stack: false
    .vgpr_count:     29
    .vgpr_spill_count: 0
    .wavefront_size: 64
  - .agpr_count:     0
    .args:
      - .address_space:  global
        .offset:         0
        .size:           8
        .value_kind:     global_buffer
      - .address_space:  global
        .offset:         8
        .size:           8
        .value_kind:     global_buffer
      - .address_space:  global
        .offset:         16
        .size:           8
        .value_kind:     global_buffer
      - .offset:         24
        .size:           4
        .value_kind:     by_value
      - .address_space:  global
        .offset:         32
        .size:           8
        .value_kind:     global_buffer
      - .address_space:  global
        .offset:         40
        .size:           8
        .value_kind:     global_buffer
      - .offset:         48
        .size:           4
        .value_kind:     by_value
      - .offset:         52
        .size:           4
        .value_kind:     by_value
      - .offset:         56
        .size:           4
        .value_kind:     by_value
      - .offset:         60
        .size:           1
        .value_kind:     by_value
      - .offset:         64
        .size:           8
        .value_kind:     by_value
      - .address_space:  global
        .offset:         72
        .size:           8
        .value_kind:     global_buffer
      - .address_space:  global
        .offset:         80
        .size:           8
        .value_kind:     global_buffer
      - .address_space:  global
        .offset:         88
        .size:           8
        .value_kind:     global_buffer
    .group_segment_fixed_size: 0
    .kernarg_segment_align: 8
    .kernarg_segment_size: 96
    .language:       OpenCL C
    .language_version:
      - 2
      - 0
    .max_flat_workgroup_size: 256
    .name:           _ZN4vllm3moe22topkGatingSoftplusSqrtILi8ELi64ELi4ELi16ELi64ELb0El6__halfEEvPKT6_PKbPfiPT5_PiiiibdPKfPKS9_SF_
    .private_segment_fixed_size: 0
    .sgpr_count:     49
    .sgpr_spill_count: 0
    .symbol:         _ZN4vllm3moe22topkGatingSoftplusSqrtILi8ELi64ELi4ELi16ELi64ELb0El6__halfEEvPKT6_PKbPfiPT5_PiiiibdPKfPKS9_SF_.kd
    .uniform_work_group_size: 1
    .uses_dynamic_stack: false
    .vgpr_count:     28
    .vgpr_spill_count: 0
    .wavefront_size: 64
  - .agpr_count:     0
    .args:
      - .address_space:  global
        .offset:         0
        .size:           8
        .value_kind:     global_buffer
      - .address_space:  global
        .offset:         8
        .size:           8
        .value_kind:     global_buffer
      - .address_space:  global
        .offset:         16
        .size:           8
        .value_kind:     global_buffer
      - .offset:         24
        .size:           4
        .value_kind:     by_value
      - .address_space:  global
        .offset:         32
        .size:           8
        .value_kind:     global_buffer
      - .address_space:  global
        .offset:         40
        .size:           8
        .value_kind:     global_buffer
      - .offset:         48
        .size:           4
        .value_kind:     by_value
      - .offset:         52
        .size:           4
        .value_kind:     by_value
      - .offset:         56
        .size:           4
        .value_kind:     by_value
      - .offset:         60
        .size:           1
        .value_kind:     by_value
      - .offset:         64
        .size:           8
        .value_kind:     by_value
      - .address_space:  global
        .offset:         72
        .size:           8
        .value_kind:     global_buffer
      - .address_space:  global
        .offset:         80
        .size:           8
        .value_kind:     global_buffer
      - .address_space:  global
        .offset:         88
        .size:           8
        .value_kind:     global_buffer
    .group_segment_fixed_size: 0
    .kernarg_segment_align: 8
    .kernarg_segment_size: 96
    .language:       OpenCL C
    .language_version:
      - 2
      - 0
    .max_flat_workgroup_size: 128
    .name:           _ZN4vllm3moe22topkGatingSoftplusSqrtILi8ELi64ELi4ELi16ELi32ELb1El6__halfEEvPKT6_PKbPfiPT5_PiiiibdPKfPKS9_SF_
    .private_segment_fixed_size: 48
    .sgpr_count:     42
    .sgpr_spill_count: 0
    .symbol:         _ZN4vllm3moe22topkGatingSoftplusSqrtILi8ELi64ELi4ELi16ELi32ELb1El6__halfEEvPKT6_PKbPfiPT5_PiiiibdPKfPKS9_SF_.kd
    .uniform_work_group_size: 1
    .uses_dynamic_stack: false
    .vgpr_count:     29
    .vgpr_spill_count: 0
    .wavefront_size: 64
  - .agpr_count:     0
    .args:
      - .address_space:  global
        .offset:         0
        .size:           8
        .value_kind:     global_buffer
      - .address_space:  global
        .offset:         8
        .size:           8
        .value_kind:     global_buffer
      - .address_space:  global
        .offset:         16
        .size:           8
        .value_kind:     global_buffer
      - .offset:         24
        .size:           4
        .value_kind:     by_value
      - .address_space:  global
        .offset:         32
        .size:           8
        .value_kind:     global_buffer
      - .address_space:  global
        .offset:         40
        .size:           8
        .value_kind:     global_buffer
      - .offset:         48
        .size:           4
        .value_kind:     by_value
      - .offset:         52
        .size:           4
        .value_kind:     by_value
      - .offset:         56
        .size:           4
        .value_kind:     by_value
      - .offset:         60
        .size:           1
        .value_kind:     by_value
      - .offset:         64
        .size:           8
        .value_kind:     by_value
      - .address_space:  global
        .offset:         72
        .size:           8
        .value_kind:     global_buffer
      - .address_space:  global
        .offset:         80
        .size:           8
        .value_kind:     global_buffer
      - .address_space:  global
        .offset:         88
        .size:           8
        .value_kind:     global_buffer
    .group_segment_fixed_size: 0
    .kernarg_segment_align: 8
    .kernarg_segment_size: 96
    .language:       OpenCL C
    .language_version:
      - 2
      - 0
    .max_flat_workgroup_size: 128
    .name:           _ZN4vllm3moe22topkGatingSoftplusSqrtILi8ELi64ELi4ELi16ELi32ELb0El6__halfEEvPKT6_PKbPfiPT5_PiiiibdPKfPKS9_SF_
    .private_segment_fixed_size: 0
    .sgpr_count:     49
    .sgpr_spill_count: 0
    .symbol:         _ZN4vllm3moe22topkGatingSoftplusSqrtILi8ELi64ELi4ELi16ELi32ELb0El6__halfEEvPKT6_PKbPfiPT5_PiiiibdPKfPKS9_SF_.kd
    .uniform_work_group_size: 1
    .uses_dynamic_stack: false
    .vgpr_count:     28
    .vgpr_spill_count: 0
    .wavefront_size: 64
  - .agpr_count:     0
    .args:
      - .address_space:  global
        .offset:         0
        .size:           8
        .value_kind:     global_buffer
      - .address_space:  global
        .offset:         8
        .size:           8
        .value_kind:     global_buffer
      - .address_space:  global
        .offset:         16
        .size:           8
        .value_kind:     global_buffer
      - .offset:         24
        .size:           4
        .value_kind:     by_value
      - .address_space:  global
        .offset:         32
        .size:           8
        .value_kind:     global_buffer
      - .address_space:  global
        .offset:         40
        .size:           8
        .value_kind:     global_buffer
      - .offset:         48
        .size:           4
        .value_kind:     by_value
      - .offset:         52
        .size:           4
        .value_kind:     by_value
      - .offset:         56
        .size:           4
        .value_kind:     by_value
      - .offset:         60
        .size:           1
        .value_kind:     by_value
      - .offset:         64
        .size:           8
        .value_kind:     by_value
      - .address_space:  global
        .offset:         72
        .size:           8
        .value_kind:     global_buffer
      - .address_space:  global
        .offset:         80
        .size:           8
        .value_kind:     global_buffer
      - .address_space:  global
        .offset:         88
        .size:           8
        .value_kind:     global_buffer
    .group_segment_fixed_size: 0
    .kernarg_segment_align: 8
    .kernarg_segment_size: 96
    .language:       OpenCL C
    .language_version:
      - 2
      - 0
    .max_flat_workgroup_size: 256
    .name:           _ZN4vllm3moe22topkGatingSoftplusSqrtILi8ELi128ELi4ELi16ELi64ELb1El6__halfEEvPKT6_PKbPfiPT5_PiiiibdPKfPKS9_SF_
    .private_segment_fixed_size: 48
    .sgpr_count:     42
    .sgpr_spill_count: 0
    .symbol:         _ZN4vllm3moe22topkGatingSoftplusSqrtILi8ELi128ELi4ELi16ELi64ELb1El6__halfEEvPKT6_PKbPfiPT5_PiiiibdPKfPKS9_SF_.kd
    .uniform_work_group_size: 1
    .uses_dynamic_stack: false
    .vgpr_count:     29
    .vgpr_spill_count: 0
    .wavefront_size: 64
  - .agpr_count:     0
    .args:
      - .address_space:  global
        .offset:         0
        .size:           8
        .value_kind:     global_buffer
      - .address_space:  global
        .offset:         8
        .size:           8
        .value_kind:     global_buffer
      - .address_space:  global
        .offset:         16
        .size:           8
        .value_kind:     global_buffer
      - .offset:         24
        .size:           4
        .value_kind:     by_value
      - .address_space:  global
        .offset:         32
        .size:           8
        .value_kind:     global_buffer
      - .address_space:  global
        .offset:         40
        .size:           8
        .value_kind:     global_buffer
      - .offset:         48
        .size:           4
        .value_kind:     by_value
      - .offset:         52
        .size:           4
        .value_kind:     by_value
      - .offset:         56
        .size:           4
        .value_kind:     by_value
      - .offset:         60
        .size:           1
        .value_kind:     by_value
      - .offset:         64
        .size:           8
        .value_kind:     by_value
      - .address_space:  global
        .offset:         72
        .size:           8
        .value_kind:     global_buffer
      - .address_space:  global
        .offset:         80
        .size:           8
        .value_kind:     global_buffer
      - .address_space:  global
        .offset:         88
        .size:           8
        .value_kind:     global_buffer
    .group_segment_fixed_size: 0
    .kernarg_segment_align: 8
    .kernarg_segment_size: 96
    .language:       OpenCL C
    .language_version:
      - 2
      - 0
    .max_flat_workgroup_size: 256
    .name:           _ZN4vllm3moe22topkGatingSoftplusSqrtILi8ELi128ELi4ELi16ELi64ELb0El6__halfEEvPKT6_PKbPfiPT5_PiiiibdPKfPKS9_SF_
    .private_segment_fixed_size: 0
    .sgpr_count:     49
    .sgpr_spill_count: 0
    .symbol:         _ZN4vllm3moe22topkGatingSoftplusSqrtILi8ELi128ELi4ELi16ELi64ELb0El6__halfEEvPKT6_PKbPfiPT5_PiiiibdPKfPKS9_SF_.kd
    .uniform_work_group_size: 1
    .uses_dynamic_stack: false
    .vgpr_count:     30
    .vgpr_spill_count: 0
    .wavefront_size: 64
  - .agpr_count:     0
    .args:
      - .address_space:  global
        .offset:         0
        .size:           8
        .value_kind:     global_buffer
      - .address_space:  global
        .offset:         8
        .size:           8
        .value_kind:     global_buffer
      - .address_space:  global
        .offset:         16
        .size:           8
        .value_kind:     global_buffer
      - .offset:         24
        .size:           4
        .value_kind:     by_value
      - .address_space:  global
        .offset:         32
        .size:           8
        .value_kind:     global_buffer
      - .address_space:  global
        .offset:         40
        .size:           8
        .value_kind:     global_buffer
      - .offset:         48
        .size:           4
        .value_kind:     by_value
      - .offset:         52
        .size:           4
        .value_kind:     by_value
      - .offset:         56
        .size:           4
        .value_kind:     by_value
      - .offset:         60
        .size:           1
        .value_kind:     by_value
      - .offset:         64
        .size:           8
        .value_kind:     by_value
      - .address_space:  global
        .offset:         72
        .size:           8
        .value_kind:     global_buffer
      - .address_space:  global
        .offset:         80
        .size:           8
        .value_kind:     global_buffer
      - .address_space:  global
        .offset:         88
        .size:           8
        .value_kind:     global_buffer
    .group_segment_fixed_size: 0
    .kernarg_segment_align: 8
    .kernarg_segment_size: 96
    .language:       OpenCL C
    .language_version:
      - 2
      - 0
    .max_flat_workgroup_size: 128
    .name:           _ZN4vllm3moe22topkGatingSoftplusSqrtILi8ELi128ELi4ELi16ELi32ELb1El6__halfEEvPKT6_PKbPfiPT5_PiiiibdPKfPKS9_SF_
    .private_segment_fixed_size: 48
    .sgpr_count:     42
    .sgpr_spill_count: 0
    .symbol:         _ZN4vllm3moe22topkGatingSoftplusSqrtILi8ELi128ELi4ELi16ELi32ELb1El6__halfEEvPKT6_PKbPfiPT5_PiiiibdPKfPKS9_SF_.kd
    .uniform_work_group_size: 1
    .uses_dynamic_stack: false
    .vgpr_count:     29
    .vgpr_spill_count: 0
    .wavefront_size: 64
  - .agpr_count:     0
    .args:
      - .address_space:  global
        .offset:         0
        .size:           8
        .value_kind:     global_buffer
      - .address_space:  global
        .offset:         8
        .size:           8
        .value_kind:     global_buffer
      - .address_space:  global
        .offset:         16
        .size:           8
        .value_kind:     global_buffer
      - .offset:         24
        .size:           4
        .value_kind:     by_value
      - .address_space:  global
        .offset:         32
        .size:           8
        .value_kind:     global_buffer
      - .address_space:  global
        .offset:         40
        .size:           8
        .value_kind:     global_buffer
      - .offset:         48
        .size:           4
        .value_kind:     by_value
      - .offset:         52
        .size:           4
        .value_kind:     by_value
      - .offset:         56
        .size:           4
        .value_kind:     by_value
      - .offset:         60
        .size:           1
        .value_kind:     by_value
      - .offset:         64
        .size:           8
        .value_kind:     by_value
      - .address_space:  global
        .offset:         72
        .size:           8
        .value_kind:     global_buffer
      - .address_space:  global
        .offset:         80
        .size:           8
        .value_kind:     global_buffer
      - .address_space:  global
        .offset:         88
        .size:           8
        .value_kind:     global_buffer
    .group_segment_fixed_size: 0
    .kernarg_segment_align: 8
    .kernarg_segment_size: 96
    .language:       OpenCL C
    .language_version:
      - 2
      - 0
    .max_flat_workgroup_size: 128
    .name:           _ZN4vllm3moe22topkGatingSoftplusSqrtILi8ELi128ELi4ELi16ELi32ELb0El6__halfEEvPKT6_PKbPfiPT5_PiiiibdPKfPKS9_SF_
    .private_segment_fixed_size: 0
    .sgpr_count:     49
    .sgpr_spill_count: 0
    .symbol:         _ZN4vllm3moe22topkGatingSoftplusSqrtILi8ELi128ELi4ELi16ELi32ELb0El6__halfEEvPKT6_PKbPfiPT5_PiiiibdPKfPKS9_SF_.kd
    .uniform_work_group_size: 1
    .uses_dynamic_stack: false
    .vgpr_count:     30
    .vgpr_spill_count: 0
    .wavefront_size: 64
  - .agpr_count:     0
    .args:
      - .address_space:  global
        .offset:         0
        .size:           8
        .value_kind:     global_buffer
      - .address_space:  global
        .offset:         8
        .size:           8
        .value_kind:     global_buffer
      - .address_space:  global
        .offset:         16
        .size:           8
        .value_kind:     global_buffer
      - .offset:         24
        .size:           4
        .value_kind:     by_value
      - .address_space:  global
        .offset:         32
        .size:           8
        .value_kind:     global_buffer
      - .address_space:  global
        .offset:         40
        .size:           8
        .value_kind:     global_buffer
      - .offset:         48
        .size:           4
        .value_kind:     by_value
      - .offset:         52
        .size:           4
        .value_kind:     by_value
      - .offset:         56
        .size:           4
        .value_kind:     by_value
      - .offset:         60
        .size:           1
        .value_kind:     by_value
      - .offset:         64
        .size:           8
        .value_kind:     by_value
      - .address_space:  global
        .offset:         72
        .size:           8
        .value_kind:     global_buffer
      - .address_space:  global
        .offset:         80
        .size:           8
        .value_kind:     global_buffer
      - .address_space:  global
        .offset:         88
        .size:           8
        .value_kind:     global_buffer
    .group_segment_fixed_size: 0
    .kernarg_segment_align: 8
    .kernarg_segment_size: 96
    .language:       OpenCL C
    .language_version:
      - 2
      - 0
    .max_flat_workgroup_size: 256
    .name:           _ZN4vllm3moe22topkGatingSoftplusSqrtILi8ELi256ELi4ELi16ELi64ELb1El6__halfEEvPKT6_PKbPfiPT5_PiiiibdPKfPKS9_SF_
    .private_segment_fixed_size: 48
    .sgpr_count:     42
    .sgpr_spill_count: 0
    .symbol:         _ZN4vllm3moe22topkGatingSoftplusSqrtILi8ELi256ELi4ELi16ELi64ELb1El6__halfEEvPKT6_PKbPfiPT5_PiiiibdPKfPKS9_SF_.kd
    .uniform_work_group_size: 1
    .uses_dynamic_stack: false
    .vgpr_count:     29
    .vgpr_spill_count: 0
    .wavefront_size: 64
  - .agpr_count:     0
    .args:
      - .address_space:  global
        .offset:         0
        .size:           8
        .value_kind:     global_buffer
      - .address_space:  global
        .offset:         8
        .size:           8
        .value_kind:     global_buffer
      - .address_space:  global
        .offset:         16
        .size:           8
        .value_kind:     global_buffer
      - .offset:         24
        .size:           4
        .value_kind:     by_value
      - .address_space:  global
        .offset:         32
        .size:           8
        .value_kind:     global_buffer
      - .address_space:  global
        .offset:         40
        .size:           8
        .value_kind:     global_buffer
      - .offset:         48
        .size:           4
        .value_kind:     by_value
      - .offset:         52
        .size:           4
        .value_kind:     by_value
      - .offset:         56
        .size:           4
        .value_kind:     by_value
      - .offset:         60
        .size:           1
        .value_kind:     by_value
      - .offset:         64
        .size:           8
        .value_kind:     by_value
      - .address_space:  global
        .offset:         72
        .size:           8
        .value_kind:     global_buffer
      - .address_space:  global
        .offset:         80
        .size:           8
        .value_kind:     global_buffer
      - .address_space:  global
        .offset:         88
        .size:           8
        .value_kind:     global_buffer
    .group_segment_fixed_size: 0
    .kernarg_segment_align: 8
    .kernarg_segment_size: 96
    .language:       OpenCL C
    .language_version:
      - 2
      - 0
    .max_flat_workgroup_size: 256
    .name:           _ZN4vllm3moe22topkGatingSoftplusSqrtILi8ELi256ELi4ELi16ELi64ELb0El6__halfEEvPKT6_PKbPfiPT5_PiiiibdPKfPKS9_SF_
    .private_segment_fixed_size: 0
    .sgpr_count:     49
    .sgpr_spill_count: 0
    .symbol:         _ZN4vllm3moe22topkGatingSoftplusSqrtILi8ELi256ELi4ELi16ELi64ELb0El6__halfEEvPKT6_PKbPfiPT5_PiiiibdPKfPKS9_SF_.kd
    .uniform_work_group_size: 1
    .uses_dynamic_stack: false
    .vgpr_count:     30
    .vgpr_spill_count: 0
    .wavefront_size: 64
  - .agpr_count:     0
    .args:
      - .address_space:  global
        .offset:         0
        .size:           8
        .value_kind:     global_buffer
      - .address_space:  global
        .offset:         8
        .size:           8
        .value_kind:     global_buffer
      - .address_space:  global
        .offset:         16
        .size:           8
        .value_kind:     global_buffer
      - .offset:         24
        .size:           4
        .value_kind:     by_value
      - .address_space:  global
        .offset:         32
        .size:           8
        .value_kind:     global_buffer
      - .address_space:  global
        .offset:         40
        .size:           8
        .value_kind:     global_buffer
      - .offset:         48
        .size:           4
        .value_kind:     by_value
      - .offset:         52
        .size:           4
        .value_kind:     by_value
      - .offset:         56
        .size:           4
        .value_kind:     by_value
      - .offset:         60
        .size:           1
        .value_kind:     by_value
      - .offset:         64
        .size:           8
        .value_kind:     by_value
      - .address_space:  global
        .offset:         72
        .size:           8
        .value_kind:     global_buffer
      - .address_space:  global
        .offset:         80
        .size:           8
        .value_kind:     global_buffer
      - .address_space:  global
        .offset:         88
        .size:           8
        .value_kind:     global_buffer
    .group_segment_fixed_size: 0
    .kernarg_segment_align: 8
    .kernarg_segment_size: 96
    .language:       OpenCL C
    .language_version:
      - 2
      - 0
    .max_flat_workgroup_size: 128
    .name:           _ZN4vllm3moe22topkGatingSoftplusSqrtILi8ELi256ELi4ELi16ELi32ELb1El6__halfEEvPKT6_PKbPfiPT5_PiiiibdPKfPKS9_SF_
    .private_segment_fixed_size: 48
    .sgpr_count:     42
    .sgpr_spill_count: 0
    .symbol:         _ZN4vllm3moe22topkGatingSoftplusSqrtILi8ELi256ELi4ELi16ELi32ELb1El6__halfEEvPKT6_PKbPfiPT5_PiiiibdPKfPKS9_SF_.kd
    .uniform_work_group_size: 1
    .uses_dynamic_stack: false
    .vgpr_count:     29
    .vgpr_spill_count: 0
    .wavefront_size: 64
  - .agpr_count:     0
    .args:
      - .address_space:  global
        .offset:         0
        .size:           8
        .value_kind:     global_buffer
      - .address_space:  global
        .offset:         8
        .size:           8
        .value_kind:     global_buffer
      - .address_space:  global
        .offset:         16
        .size:           8
        .value_kind:     global_buffer
      - .offset:         24
        .size:           4
        .value_kind:     by_value
      - .address_space:  global
        .offset:         32
        .size:           8
        .value_kind:     global_buffer
      - .address_space:  global
        .offset:         40
        .size:           8
        .value_kind:     global_buffer
      - .offset:         48
        .size:           4
        .value_kind:     by_value
      - .offset:         52
        .size:           4
        .value_kind:     by_value
      - .offset:         56
        .size:           4
        .value_kind:     by_value
      - .offset:         60
        .size:           1
        .value_kind:     by_value
      - .offset:         64
        .size:           8
        .value_kind:     by_value
      - .address_space:  global
        .offset:         72
        .size:           8
        .value_kind:     global_buffer
      - .address_space:  global
        .offset:         80
        .size:           8
        .value_kind:     global_buffer
      - .address_space:  global
        .offset:         88
        .size:           8
        .value_kind:     global_buffer
    .group_segment_fixed_size: 0
    .kernarg_segment_align: 8
    .kernarg_segment_size: 96
    .language:       OpenCL C
    .language_version:
      - 2
      - 0
    .max_flat_workgroup_size: 128
    .name:           _ZN4vllm3moe22topkGatingSoftplusSqrtILi8ELi256ELi4ELi16ELi32ELb0El6__halfEEvPKT6_PKbPfiPT5_PiiiibdPKfPKS9_SF_
    .private_segment_fixed_size: 0
    .sgpr_count:     49
    .sgpr_spill_count: 0
    .symbol:         _ZN4vllm3moe22topkGatingSoftplusSqrtILi8ELi256ELi4ELi16ELi32ELb0El6__halfEEvPKT6_PKbPfiPT5_PiiiibdPKfPKS9_SF_.kd
    .uniform_work_group_size: 1
    .uses_dynamic_stack: false
    .vgpr_count:     30
    .vgpr_spill_count: 0
    .wavefront_size: 64
  - .agpr_count:     0
    .args:
      - .address_space:  global
        .offset:         0
        .size:           8
        .value_kind:     global_buffer
      - .address_space:  global
        .offset:         8
        .size:           8
        .value_kind:     global_buffer
      - .address_space:  global
        .offset:         16
        .size:           8
        .value_kind:     global_buffer
      - .offset:         24
        .size:           4
        .value_kind:     by_value
      - .address_space:  global
        .offset:         32
        .size:           8
        .value_kind:     global_buffer
      - .address_space:  global
        .offset:         40
        .size:           8
        .value_kind:     global_buffer
      - .offset:         48
        .size:           4
        .value_kind:     by_value
      - .offset:         52
        .size:           4
        .value_kind:     by_value
      - .offset:         56
        .size:           4
        .value_kind:     by_value
      - .offset:         60
        .size:           1
        .value_kind:     by_value
      - .offset:         64
        .size:           8
        .value_kind:     by_value
      - .address_space:  global
        .offset:         72
        .size:           8
        .value_kind:     global_buffer
      - .address_space:  global
        .offset:         80
        .size:           8
        .value_kind:     global_buffer
      - .address_space:  global
        .offset:         88
        .size:           8
        .value_kind:     global_buffer
    .group_segment_fixed_size: 0
    .kernarg_segment_align: 8
    .kernarg_segment_size: 96
    .language:       OpenCL C
    .language_version:
      - 2
      - 0
    .max_flat_workgroup_size: 256
    .name:           _ZN4vllm3moe22topkGatingSoftplusSqrtILi8ELi512ELi4ELi16ELi64ELb1El6__halfEEvPKT6_PKbPfiPT5_PiiiibdPKfPKS9_SF_
    .private_segment_fixed_size: 48
    .sgpr_count:     42
    .sgpr_spill_count: 0
    .symbol:         _ZN4vllm3moe22topkGatingSoftplusSqrtILi8ELi512ELi4ELi16ELi64ELb1El6__halfEEvPKT6_PKbPfiPT5_PiiiibdPKfPKS9_SF_.kd
    .uniform_work_group_size: 1
    .uses_dynamic_stack: false
    .vgpr_count:     29
    .vgpr_spill_count: 0
    .wavefront_size: 64
  - .agpr_count:     0
    .args:
      - .address_space:  global
        .offset:         0
        .size:           8
        .value_kind:     global_buffer
      - .address_space:  global
        .offset:         8
        .size:           8
        .value_kind:     global_buffer
      - .address_space:  global
        .offset:         16
        .size:           8
        .value_kind:     global_buffer
      - .offset:         24
        .size:           4
        .value_kind:     by_value
      - .address_space:  global
        .offset:         32
        .size:           8
        .value_kind:     global_buffer
      - .address_space:  global
        .offset:         40
        .size:           8
        .value_kind:     global_buffer
      - .offset:         48
        .size:           4
        .value_kind:     by_value
      - .offset:         52
        .size:           4
        .value_kind:     by_value
      - .offset:         56
        .size:           4
        .value_kind:     by_value
      - .offset:         60
        .size:           1
        .value_kind:     by_value
      - .offset:         64
        .size:           8
        .value_kind:     by_value
      - .address_space:  global
        .offset:         72
        .size:           8
        .value_kind:     global_buffer
      - .address_space:  global
        .offset:         80
        .size:           8
        .value_kind:     global_buffer
      - .address_space:  global
        .offset:         88
        .size:           8
        .value_kind:     global_buffer
    .group_segment_fixed_size: 0
    .kernarg_segment_align: 8
    .kernarg_segment_size: 96
    .language:       OpenCL C
    .language_version:
      - 2
      - 0
    .max_flat_workgroup_size: 256
    .name:           _ZN4vllm3moe22topkGatingSoftplusSqrtILi8ELi512ELi4ELi16ELi64ELb0El6__halfEEvPKT6_PKbPfiPT5_PiiiibdPKfPKS9_SF_
    .private_segment_fixed_size: 0
    .sgpr_count:     49
    .sgpr_spill_count: 0
    .symbol:         _ZN4vllm3moe22topkGatingSoftplusSqrtILi8ELi512ELi4ELi16ELi64ELb0El6__halfEEvPKT6_PKbPfiPT5_PiiiibdPKfPKS9_SF_.kd
    .uniform_work_group_size: 1
    .uses_dynamic_stack: false
    .vgpr_count:     32
    .vgpr_spill_count: 0
    .wavefront_size: 64
  - .agpr_count:     0
    .args:
      - .address_space:  global
        .offset:         0
        .size:           8
        .value_kind:     global_buffer
      - .address_space:  global
        .offset:         8
        .size:           8
        .value_kind:     global_buffer
      - .address_space:  global
        .offset:         16
        .size:           8
        .value_kind:     global_buffer
      - .offset:         24
        .size:           4
        .value_kind:     by_value
      - .address_space:  global
        .offset:         32
        .size:           8
        .value_kind:     global_buffer
      - .address_space:  global
        .offset:         40
        .size:           8
        .value_kind:     global_buffer
      - .offset:         48
        .size:           4
        .value_kind:     by_value
      - .offset:         52
        .size:           4
        .value_kind:     by_value
      - .offset:         56
        .size:           4
        .value_kind:     by_value
      - .offset:         60
        .size:           1
        .value_kind:     by_value
      - .offset:         64
        .size:           8
        .value_kind:     by_value
      - .address_space:  global
        .offset:         72
        .size:           8
        .value_kind:     global_buffer
      - .address_space:  global
        .offset:         80
        .size:           8
        .value_kind:     global_buffer
      - .address_space:  global
        .offset:         88
        .size:           8
        .value_kind:     global_buffer
    .group_segment_fixed_size: 0
    .kernarg_segment_align: 8
    .kernarg_segment_size: 96
    .language:       OpenCL C
    .language_version:
      - 2
      - 0
    .max_flat_workgroup_size: 128
    .name:           _ZN4vllm3moe22topkGatingSoftplusSqrtILi16ELi512ELi4ELi16ELi32ELb1El6__halfEEvPKT6_PKbPfiPT5_PiiiibdPKfPKS9_SF_
    .private_segment_fixed_size: 80
    .sgpr_count:     72
    .sgpr_spill_count: 0
    .symbol:         _ZN4vllm3moe22topkGatingSoftplusSqrtILi16ELi512ELi4ELi16ELi32ELb1El6__halfEEvPKT6_PKbPfiPT5_PiiiibdPKfPKS9_SF_.kd
    .uniform_work_group_size: 1
    .uses_dynamic_stack: false
    .vgpr_count:     39
    .vgpr_spill_count: 0
    .wavefront_size: 64
  - .agpr_count:     0
    .args:
      - .address_space:  global
        .offset:         0
        .size:           8
        .value_kind:     global_buffer
      - .address_space:  global
        .offset:         8
        .size:           8
        .value_kind:     global_buffer
      - .address_space:  global
        .offset:         16
        .size:           8
        .value_kind:     global_buffer
      - .offset:         24
        .size:           4
        .value_kind:     by_value
      - .address_space:  global
        .offset:         32
        .size:           8
        .value_kind:     global_buffer
      - .address_space:  global
        .offset:         40
        .size:           8
        .value_kind:     global_buffer
      - .offset:         48
        .size:           4
        .value_kind:     by_value
      - .offset:         52
        .size:           4
        .value_kind:     by_value
      - .offset:         56
        .size:           4
        .value_kind:     by_value
      - .offset:         60
        .size:           1
        .value_kind:     by_value
      - .offset:         64
        .size:           8
        .value_kind:     by_value
      - .address_space:  global
        .offset:         72
        .size:           8
        .value_kind:     global_buffer
      - .address_space:  global
        .offset:         80
        .size:           8
        .value_kind:     global_buffer
      - .address_space:  global
        .offset:         88
        .size:           8
        .value_kind:     global_buffer
    .group_segment_fixed_size: 0
    .kernarg_segment_align: 8
    .kernarg_segment_size: 96
    .language:       OpenCL C
    .language_version:
      - 2
      - 0
    .max_flat_workgroup_size: 128
    .name:           _ZN4vllm3moe22topkGatingSoftplusSqrtILi16ELi512ELi4ELi16ELi32ELb0El6__halfEEvPKT6_PKbPfiPT5_PiiiibdPKfPKS9_SF_
    .private_segment_fixed_size: 0
    .sgpr_count:     65
    .sgpr_spill_count: 0
    .symbol:         _ZN4vllm3moe22topkGatingSoftplusSqrtILi16ELi512ELi4ELi16ELi32ELb0El6__halfEEvPKT6_PKbPfiPT5_PiiiibdPKfPKS9_SF_.kd
    .uniform_work_group_size: 1
    .uses_dynamic_stack: false
    .vgpr_count:     46
    .vgpr_spill_count: 0
    .wavefront_size: 64
  - .agpr_count:     0
    .args:
      - .address_space:  global
        .offset:         0
        .size:           8
        .value_kind:     global_buffer
      - .address_space:  global
        .offset:         8
        .size:           8
        .value_kind:     global_buffer
      - .address_space:  global
        .offset:         16
        .size:           8
        .value_kind:     global_buffer
      - .offset:         24
        .size:           4
        .value_kind:     by_value
      - .address_space:  global
        .offset:         32
        .size:           8
        .value_kind:     global_buffer
      - .address_space:  global
        .offset:         40
        .size:           8
        .value_kind:     global_buffer
      - .offset:         48
        .size:           4
        .value_kind:     by_value
      - .offset:         52
        .size:           4
        .value_kind:     by_value
      - .offset:         56
        .size:           4
        .value_kind:     by_value
      - .offset:         60
        .size:           1
        .value_kind:     by_value
      - .offset:         64
        .size:           8
        .value_kind:     by_value
      - .address_space:  global
        .offset:         72
        .size:           8
        .value_kind:     global_buffer
      - .address_space:  global
        .offset:         80
        .size:           8
        .value_kind:     global_buffer
      - .address_space:  global
        .offset:         88
        .size:           8
        .value_kind:     global_buffer
    .group_segment_fixed_size: 0
    .kernarg_segment_align: 8
    .kernarg_segment_size: 96
    .language:       OpenCL C
    .language_version:
      - 2
      - 0
    .max_flat_workgroup_size: 256
    .name:           _ZN4vllm3moe22topkGatingSoftplusSqrtILi3ELi192ELi4ELi2ELi64ELb1El6__halfEEvPKT6_PKbPfiPT5_PiiiibdPKfPKS9_SF_
    .private_segment_fixed_size: 0
    .sgpr_count:     28
    .sgpr_spill_count: 0
    .symbol:         _ZN4vllm3moe22topkGatingSoftplusSqrtILi3ELi192ELi4ELi2ELi64ELb1El6__halfEEvPKT6_PKbPfiPT5_PiiiibdPKfPKS9_SF_.kd
    .uniform_work_group_size: 1
    .uses_dynamic_stack: false
    .vgpr_count:     21
    .vgpr_spill_count: 0
    .wavefront_size: 64
  - .agpr_count:     0
    .args:
      - .address_space:  global
        .offset:         0
        .size:           8
        .value_kind:     global_buffer
      - .address_space:  global
        .offset:         8
        .size:           8
        .value_kind:     global_buffer
      - .address_space:  global
        .offset:         16
        .size:           8
        .value_kind:     global_buffer
      - .offset:         24
        .size:           4
        .value_kind:     by_value
      - .address_space:  global
        .offset:         32
        .size:           8
        .value_kind:     global_buffer
      - .address_space:  global
        .offset:         40
        .size:           8
        .value_kind:     global_buffer
      - .offset:         48
        .size:           4
        .value_kind:     by_value
      - .offset:         52
        .size:           4
        .value_kind:     by_value
      - .offset:         56
        .size:           4
        .value_kind:     by_value
      - .offset:         60
        .size:           1
        .value_kind:     by_value
      - .offset:         64
        .size:           8
        .value_kind:     by_value
      - .address_space:  global
        .offset:         72
        .size:           8
        .value_kind:     global_buffer
      - .address_space:  global
        .offset:         80
        .size:           8
        .value_kind:     global_buffer
      - .address_space:  global
        .offset:         88
        .size:           8
        .value_kind:     global_buffer
    .group_segment_fixed_size: 0
    .kernarg_segment_align: 8
    .kernarg_segment_size: 96
    .language:       OpenCL C
    .language_version:
      - 2
      - 0
    .max_flat_workgroup_size: 256
    .name:           _ZN4vllm3moe22topkGatingSoftplusSqrtILi3ELi192ELi4ELi2ELi64ELb0El6__halfEEvPKT6_PKbPfiPT5_PiiiibdPKfPKS9_SF_
    .private_segment_fixed_size: 0
    .sgpr_count:     37
    .sgpr_spill_count: 0
    .symbol:         _ZN4vllm3moe22topkGatingSoftplusSqrtILi3ELi192ELi4ELi2ELi64ELb0El6__halfEEvPKT6_PKbPfiPT5_PiiiibdPKfPKS9_SF_.kd
    .uniform_work_group_size: 1
    .uses_dynamic_stack: false
    .vgpr_count:     28
    .vgpr_spill_count: 0
    .wavefront_size: 64
  - .agpr_count:     0
    .args:
      - .address_space:  global
        .offset:         0
        .size:           8
        .value_kind:     global_buffer
      - .address_space:  global
        .offset:         8
        .size:           8
        .value_kind:     global_buffer
      - .address_space:  global
        .offset:         16
        .size:           8
        .value_kind:     global_buffer
      - .offset:         24
        .size:           4
        .value_kind:     by_value
      - .address_space:  global
        .offset:         32
        .size:           8
        .value_kind:     global_buffer
      - .address_space:  global
        .offset:         40
        .size:           8
        .value_kind:     global_buffer
      - .offset:         48
        .size:           4
        .value_kind:     by_value
      - .offset:         52
        .size:           4
        .value_kind:     by_value
      - .offset:         56
        .size:           4
        .value_kind:     by_value
      - .offset:         60
        .size:           1
        .value_kind:     by_value
      - .offset:         64
        .size:           8
        .value_kind:     by_value
      - .address_space:  global
        .offset:         72
        .size:           8
        .value_kind:     global_buffer
      - .address_space:  global
        .offset:         80
        .size:           8
        .value_kind:     global_buffer
      - .address_space:  global
        .offset:         88
        .size:           8
        .value_kind:     global_buffer
    .group_segment_fixed_size: 0
    .kernarg_segment_align: 8
    .kernarg_segment_size: 96
    .language:       OpenCL C
    .language_version:
      - 2
      - 0
    .max_flat_workgroup_size: 128
    .name:           _ZN4vllm3moe22topkGatingSoftplusSqrtILi6ELi192ELi4ELi2ELi32ELb1El6__halfEEvPKT6_PKbPfiPT5_PiiiibdPKfPKS9_SF_
    .private_segment_fixed_size: 0
    .sgpr_count:     32
    .sgpr_spill_count: 0
    .symbol:         _ZN4vllm3moe22topkGatingSoftplusSqrtILi6ELi192ELi4ELi2ELi32ELb1El6__halfEEvPKT6_PKbPfiPT5_PiiiibdPKfPKS9_SF_.kd
    .uniform_work_group_size: 1
    .uses_dynamic_stack: false
    .vgpr_count:     29
    .vgpr_spill_count: 0
    .wavefront_size: 64
  - .agpr_count:     0
    .args:
      - .address_space:  global
        .offset:         0
        .size:           8
        .value_kind:     global_buffer
      - .address_space:  global
        .offset:         8
        .size:           8
        .value_kind:     global_buffer
      - .address_space:  global
        .offset:         16
        .size:           8
        .value_kind:     global_buffer
      - .offset:         24
        .size:           4
        .value_kind:     by_value
      - .address_space:  global
        .offset:         32
        .size:           8
        .value_kind:     global_buffer
      - .address_space:  global
        .offset:         40
        .size:           8
        .value_kind:     global_buffer
      - .offset:         48
        .size:           4
        .value_kind:     by_value
      - .offset:         52
        .size:           4
        .value_kind:     by_value
      - .offset:         56
        .size:           4
        .value_kind:     by_value
      - .offset:         60
        .size:           1
        .value_kind:     by_value
      - .offset:         64
        .size:           8
        .value_kind:     by_value
      - .address_space:  global
        .offset:         72
        .size:           8
        .value_kind:     global_buffer
      - .address_space:  global
        .offset:         80
        .size:           8
        .value_kind:     global_buffer
      - .address_space:  global
        .offset:         88
        .size:           8
        .value_kind:     global_buffer
    .group_segment_fixed_size: 0
    .kernarg_segment_align: 8
    .kernarg_segment_size: 96
    .language:       OpenCL C
    .language_version:
      - 2
      - 0
    .max_flat_workgroup_size: 128
    .name:           _ZN4vllm3moe22topkGatingSoftplusSqrtILi6ELi192ELi4ELi2ELi32ELb0El6__halfEEvPKT6_PKbPfiPT5_PiiiibdPKfPKS9_SF_
    .private_segment_fixed_size: 0
    .sgpr_count:     38
    .sgpr_spill_count: 0
    .symbol:         _ZN4vllm3moe22topkGatingSoftplusSqrtILi6ELi192ELi4ELi2ELi32ELb0El6__halfEEvPKT6_PKbPfiPT5_PiiiibdPKfPKS9_SF_.kd
    .uniform_work_group_size: 1
    .uses_dynamic_stack: false
    .vgpr_count:     32
    .vgpr_spill_count: 0
    .wavefront_size: 64
  - .agpr_count:     0
    .args:
      - .address_space:  global
        .offset:         0
        .size:           8
        .value_kind:     global_buffer
      - .address_space:  global
        .offset:         8
        .size:           8
        .value_kind:     global_buffer
      - .address_space:  global
        .offset:         16
        .size:           8
        .value_kind:     global_buffer
      - .offset:         24
        .size:           4
        .value_kind:     by_value
      - .address_space:  global
        .offset:         32
        .size:           8
        .value_kind:     global_buffer
      - .address_space:  global
        .offset:         40
        .size:           8
        .value_kind:     global_buffer
      - .offset:         48
        .size:           4
        .value_kind:     by_value
      - .offset:         52
        .size:           4
        .value_kind:     by_value
      - .offset:         56
        .size:           4
        .value_kind:     by_value
      - .offset:         60
        .size:           1
        .value_kind:     by_value
      - .offset:         64
        .size:           8
        .value_kind:     by_value
      - .address_space:  global
        .offset:         72
        .size:           8
        .value_kind:     global_buffer
      - .address_space:  global
        .offset:         80
        .size:           8
        .value_kind:     global_buffer
      - .address_space:  global
        .offset:         88
        .size:           8
        .value_kind:     global_buffer
    .group_segment_fixed_size: 0
    .kernarg_segment_align: 8
    .kernarg_segment_size: 96
    .language:       OpenCL C
    .language_version:
      - 2
      - 0
    .max_flat_workgroup_size: 256
    .name:           _ZN4vllm3moe22topkGatingSoftplusSqrtILi5ELi320ELi4ELi2ELi64ELb1El6__halfEEvPKT6_PKbPfiPT5_PiiiibdPKfPKS9_SF_
    .private_segment_fixed_size: 0
    .sgpr_count:     28
    .sgpr_spill_count: 0
    .symbol:         _ZN4vllm3moe22topkGatingSoftplusSqrtILi5ELi320ELi4ELi2ELi64ELb1El6__halfEEvPKT6_PKbPfiPT5_PiiiibdPKfPKS9_SF_.kd
    .uniform_work_group_size: 1
    .uses_dynamic_stack: false
    .vgpr_count:     27
    .vgpr_spill_count: 0
    .wavefront_size: 64
  - .agpr_count:     0
    .args:
      - .address_space:  global
        .offset:         0
        .size:           8
        .value_kind:     global_buffer
      - .address_space:  global
        .offset:         8
        .size:           8
        .value_kind:     global_buffer
      - .address_space:  global
        .offset:         16
        .size:           8
        .value_kind:     global_buffer
      - .offset:         24
        .size:           4
        .value_kind:     by_value
      - .address_space:  global
        .offset:         32
        .size:           8
        .value_kind:     global_buffer
      - .address_space:  global
        .offset:         40
        .size:           8
        .value_kind:     global_buffer
      - .offset:         48
        .size:           4
        .value_kind:     by_value
      - .offset:         52
        .size:           4
        .value_kind:     by_value
      - .offset:         56
        .size:           4
        .value_kind:     by_value
      - .offset:         60
        .size:           1
        .value_kind:     by_value
      - .offset:         64
        .size:           8
        .value_kind:     by_value
      - .address_space:  global
        .offset:         72
        .size:           8
        .value_kind:     global_buffer
      - .address_space:  global
        .offset:         80
        .size:           8
        .value_kind:     global_buffer
      - .address_space:  global
        .offset:         88
        .size:           8
        .value_kind:     global_buffer
    .group_segment_fixed_size: 0
    .kernarg_segment_align: 8
    .kernarg_segment_size: 96
    .language:       OpenCL C
    .language_version:
      - 2
      - 0
    .max_flat_workgroup_size: 256
    .name:           _ZN4vllm3moe22topkGatingSoftplusSqrtILi5ELi320ELi4ELi2ELi64ELb0El6__halfEEvPKT6_PKbPfiPT5_PiiiibdPKfPKS9_SF_
    .private_segment_fixed_size: 0
    .sgpr_count:     37
    .sgpr_spill_count: 0
    .symbol:         _ZN4vllm3moe22topkGatingSoftplusSqrtILi5ELi320ELi4ELi2ELi64ELb0El6__halfEEvPKT6_PKbPfiPT5_PiiiibdPKfPKS9_SF_.kd
    .uniform_work_group_size: 1
    .uses_dynamic_stack: false
    .vgpr_count:     32
    .vgpr_spill_count: 0
    .wavefront_size: 64
  - .agpr_count:     0
    .args:
      - .address_space:  global
        .offset:         0
        .size:           8
        .value_kind:     global_buffer
      - .address_space:  global
        .offset:         8
        .size:           8
        .value_kind:     global_buffer
      - .address_space:  global
        .offset:         16
        .size:           8
        .value_kind:     global_buffer
      - .offset:         24
        .size:           4
        .value_kind:     by_value
      - .address_space:  global
        .offset:         32
        .size:           8
        .value_kind:     global_buffer
      - .address_space:  global
        .offset:         40
        .size:           8
        .value_kind:     global_buffer
      - .offset:         48
        .size:           4
        .value_kind:     by_value
      - .offset:         52
        .size:           4
        .value_kind:     by_value
      - .offset:         56
        .size:           4
        .value_kind:     by_value
      - .offset:         60
        .size:           1
        .value_kind:     by_value
      - .offset:         64
        .size:           8
        .value_kind:     by_value
      - .address_space:  global
        .offset:         72
        .size:           8
        .value_kind:     global_buffer
      - .address_space:  global
        .offset:         80
        .size:           8
        .value_kind:     global_buffer
      - .address_space:  global
        .offset:         88
        .size:           8
        .value_kind:     global_buffer
    .group_segment_fixed_size: 0
    .kernarg_segment_align: 8
    .kernarg_segment_size: 96
    .language:       OpenCL C
    .language_version:
      - 2
      - 0
    .max_flat_workgroup_size: 128
    .name:           _ZN4vllm3moe22topkGatingSoftplusSqrtILi10ELi320ELi4ELi2ELi32ELb1El6__halfEEvPKT6_PKbPfiPT5_PiiiibdPKfPKS9_SF_
    .private_segment_fixed_size: 0
    .sgpr_count:     50
    .sgpr_spill_count: 0
    .symbol:         _ZN4vllm3moe22topkGatingSoftplusSqrtILi10ELi320ELi4ELi2ELi32ELb1El6__halfEEvPKT6_PKbPfiPT5_PiiiibdPKfPKS9_SF_.kd
    .uniform_work_group_size: 1
    .uses_dynamic_stack: false
    .vgpr_count:     37
    .vgpr_spill_count: 0
    .wavefront_size: 64
  - .agpr_count:     0
    .args:
      - .address_space:  global
        .offset:         0
        .size:           8
        .value_kind:     global_buffer
      - .address_space:  global
        .offset:         8
        .size:           8
        .value_kind:     global_buffer
      - .address_space:  global
        .offset:         16
        .size:           8
        .value_kind:     global_buffer
      - .offset:         24
        .size:           4
        .value_kind:     by_value
      - .address_space:  global
        .offset:         32
        .size:           8
        .value_kind:     global_buffer
      - .address_space:  global
        .offset:         40
        .size:           8
        .value_kind:     global_buffer
      - .offset:         48
        .size:           4
        .value_kind:     by_value
      - .offset:         52
        .size:           4
        .value_kind:     by_value
      - .offset:         56
        .size:           4
        .value_kind:     by_value
      - .offset:         60
        .size:           1
        .value_kind:     by_value
      - .offset:         64
        .size:           8
        .value_kind:     by_value
      - .address_space:  global
        .offset:         72
        .size:           8
        .value_kind:     global_buffer
      - .address_space:  global
        .offset:         80
        .size:           8
        .value_kind:     global_buffer
      - .address_space:  global
        .offset:         88
        .size:           8
        .value_kind:     global_buffer
    .group_segment_fixed_size: 0
    .kernarg_segment_align: 8
    .kernarg_segment_size: 96
    .language:       OpenCL C
    .language_version:
      - 2
      - 0
    .max_flat_workgroup_size: 128
    .name:           _ZN4vllm3moe22topkGatingSoftplusSqrtILi10ELi320ELi4ELi2ELi32ELb0El6__halfEEvPKT6_PKbPfiPT5_PiiiibdPKfPKS9_SF_
    .private_segment_fixed_size: 0
    .sgpr_count:     38
    .sgpr_spill_count: 0
    .symbol:         _ZN4vllm3moe22topkGatingSoftplusSqrtILi10ELi320ELi4ELi2ELi32ELb0El6__halfEEvPKT6_PKbPfiPT5_PiiiibdPKfPKS9_SF_.kd
    .uniform_work_group_size: 1
    .uses_dynamic_stack: false
    .vgpr_count:     40
    .vgpr_spill_count: 0
    .wavefront_size: 64
  - .agpr_count:     0
    .args:
      - .address_space:  global
        .offset:         0
        .size:           8
        .value_kind:     global_buffer
      - .address_space:  global
        .offset:         8
        .size:           8
        .value_kind:     global_buffer
      - .address_space:  global
        .offset:         16
        .size:           8
        .value_kind:     global_buffer
      - .offset:         24
        .size:           4
        .value_kind:     by_value
      - .address_space:  global
        .offset:         32
        .size:           8
        .value_kind:     global_buffer
      - .address_space:  global
        .offset:         40
        .size:           8
        .value_kind:     global_buffer
      - .offset:         48
        .size:           4
        .value_kind:     by_value
      - .offset:         52
        .size:           4
        .value_kind:     by_value
      - .offset:         56
        .size:           4
        .value_kind:     by_value
      - .offset:         60
        .size:           1
        .value_kind:     by_value
      - .offset:         64
        .size:           8
        .value_kind:     by_value
      - .address_space:  global
        .offset:         72
        .size:           8
        .value_kind:     global_buffer
      - .address_space:  global
        .offset:         80
        .size:           8
        .value_kind:     global_buffer
      - .address_space:  global
        .offset:         88
        .size:           8
        .value_kind:     global_buffer
    .group_segment_fixed_size: 0
    .kernarg_segment_align: 8
    .kernarg_segment_size: 96
    .language:       OpenCL C
    .language_version:
      - 2
      - 0
    .max_flat_workgroup_size: 256
    .name:           _ZN4vllm3moe22topkGatingSoftplusSqrtILi6ELi384ELi4ELi4ELi64ELb1El6__halfEEvPKT6_PKbPfiPT5_PiiiibdPKfPKS9_SF_
    .private_segment_fixed_size: 32
    .sgpr_count:     32
    .sgpr_spill_count: 0
    .symbol:         _ZN4vllm3moe22topkGatingSoftplusSqrtILi6ELi384ELi4ELi4ELi64ELb1El6__halfEEvPKT6_PKbPfiPT5_PiiiibdPKfPKS9_SF_.kd
    .uniform_work_group_size: 1
    .uses_dynamic_stack: false
    .vgpr_count:     27
    .vgpr_spill_count: 0
    .wavefront_size: 64
  - .agpr_count:     0
    .args:
      - .address_space:  global
        .offset:         0
        .size:           8
        .value_kind:     global_buffer
      - .address_space:  global
        .offset:         8
        .size:           8
        .value_kind:     global_buffer
      - .address_space:  global
        .offset:         16
        .size:           8
        .value_kind:     global_buffer
      - .offset:         24
        .size:           4
        .value_kind:     by_value
      - .address_space:  global
        .offset:         32
        .size:           8
        .value_kind:     global_buffer
      - .address_space:  global
        .offset:         40
        .size:           8
        .value_kind:     global_buffer
      - .offset:         48
        .size:           4
        .value_kind:     by_value
      - .offset:         52
        .size:           4
        .value_kind:     by_value
      - .offset:         56
        .size:           4
        .value_kind:     by_value
      - .offset:         60
        .size:           1
        .value_kind:     by_value
      - .offset:         64
        .size:           8
        .value_kind:     by_value
      - .address_space:  global
        .offset:         72
        .size:           8
        .value_kind:     global_buffer
      - .address_space:  global
        .offset:         80
        .size:           8
        .value_kind:     global_buffer
      - .address_space:  global
        .offset:         88
        .size:           8
        .value_kind:     global_buffer
    .group_segment_fixed_size: 0
    .kernarg_segment_align: 8
    .kernarg_segment_size: 96
    .language:       OpenCL C
    .language_version:
      - 2
      - 0
    .max_flat_workgroup_size: 256
    .name:           _ZN4vllm3moe22topkGatingSoftplusSqrtILi6ELi384ELi4ELi4ELi64ELb0El6__halfEEvPKT6_PKbPfiPT5_PiiiibdPKfPKS9_SF_
    .private_segment_fixed_size: 0
    .sgpr_count:     38
    .sgpr_spill_count: 0
    .symbol:         _ZN4vllm3moe22topkGatingSoftplusSqrtILi6ELi384ELi4ELi4ELi64ELb0El6__halfEEvPKT6_PKbPfiPT5_PiiiibdPKfPKS9_SF_.kd
    .uniform_work_group_size: 1
    .uses_dynamic_stack: false
    .vgpr_count:     34
    .vgpr_spill_count: 0
    .wavefront_size: 64
  - .agpr_count:     0
    .args:
      - .address_space:  global
        .offset:         0
        .size:           8
        .value_kind:     global_buffer
      - .address_space:  global
        .offset:         8
        .size:           8
        .value_kind:     global_buffer
      - .address_space:  global
        .offset:         16
        .size:           8
        .value_kind:     global_buffer
      - .offset:         24
        .size:           4
        .value_kind:     by_value
      - .address_space:  global
        .offset:         32
        .size:           8
        .value_kind:     global_buffer
      - .address_space:  global
        .offset:         40
        .size:           8
        .value_kind:     global_buffer
      - .offset:         48
        .size:           4
        .value_kind:     by_value
      - .offset:         52
        .size:           4
        .value_kind:     by_value
      - .offset:         56
        .size:           4
        .value_kind:     by_value
      - .offset:         60
        .size:           1
        .value_kind:     by_value
      - .offset:         64
        .size:           8
        .value_kind:     by_value
      - .address_space:  global
        .offset:         72
        .size:           8
        .value_kind:     global_buffer
      - .address_space:  global
        .offset:         80
        .size:           8
        .value_kind:     global_buffer
      - .address_space:  global
        .offset:         88
        .size:           8
        .value_kind:     global_buffer
    .group_segment_fixed_size: 0
    .kernarg_segment_align: 8
    .kernarg_segment_size: 96
    .language:       OpenCL C
    .language_version:
      - 2
      - 0
    .max_flat_workgroup_size: 128
    .name:           _ZN4vllm3moe22topkGatingSoftplusSqrtILi12ELi384ELi4ELi4ELi32ELb1El6__halfEEvPKT6_PKbPfiPT5_PiiiibdPKfPKS9_SF_
    .private_segment_fixed_size: 64
    .sgpr_count:     56
    .sgpr_spill_count: 0
    .symbol:         _ZN4vllm3moe22topkGatingSoftplusSqrtILi12ELi384ELi4ELi4ELi32ELb1El6__halfEEvPKT6_PKbPfiPT5_PiiiibdPKfPKS9_SF_.kd
    .uniform_work_group_size: 1
    .uses_dynamic_stack: false
    .vgpr_count:     32
    .vgpr_spill_count: 0
    .wavefront_size: 64
  - .agpr_count:     0
    .args:
      - .address_space:  global
        .offset:         0
        .size:           8
        .value_kind:     global_buffer
      - .address_space:  global
        .offset:         8
        .size:           8
        .value_kind:     global_buffer
      - .address_space:  global
        .offset:         16
        .size:           8
        .value_kind:     global_buffer
      - .offset:         24
        .size:           4
        .value_kind:     by_value
      - .address_space:  global
        .offset:         32
        .size:           8
        .value_kind:     global_buffer
      - .address_space:  global
        .offset:         40
        .size:           8
        .value_kind:     global_buffer
      - .offset:         48
        .size:           4
        .value_kind:     by_value
      - .offset:         52
        .size:           4
        .value_kind:     by_value
      - .offset:         56
        .size:           4
        .value_kind:     by_value
      - .offset:         60
        .size:           1
        .value_kind:     by_value
      - .offset:         64
        .size:           8
        .value_kind:     by_value
      - .address_space:  global
        .offset:         72
        .size:           8
        .value_kind:     global_buffer
      - .address_space:  global
        .offset:         80
        .size:           8
        .value_kind:     global_buffer
      - .address_space:  global
        .offset:         88
        .size:           8
        .value_kind:     global_buffer
    .group_segment_fixed_size: 0
    .kernarg_segment_align: 8
    .kernarg_segment_size: 96
    .language:       OpenCL C
    .language_version:
      - 2
      - 0
    .max_flat_workgroup_size: 128
    .name:           _ZN4vllm3moe22topkGatingSoftplusSqrtILi12ELi384ELi4ELi4ELi32ELb0El6__halfEEvPKT6_PKbPfiPT5_PiiiibdPKfPKS9_SF_
    .private_segment_fixed_size: 0
    .sgpr_count:     57
    .sgpr_spill_count: 0
    .symbol:         _ZN4vllm3moe22topkGatingSoftplusSqrtILi12ELi384ELi4ELi4ELi32ELb0El6__halfEEvPKT6_PKbPfiPT5_PiiiibdPKfPKS9_SF_.kd
    .uniform_work_group_size: 1
    .uses_dynamic_stack: false
    .vgpr_count:     44
    .vgpr_spill_count: 0
    .wavefront_size: 64
  - .agpr_count:     0
    .args:
      - .address_space:  global
        .offset:         0
        .size:           8
        .value_kind:     global_buffer
      - .address_space:  global
        .offset:         8
        .size:           8
        .value_kind:     global_buffer
      - .address_space:  global
        .offset:         16
        .size:           8
        .value_kind:     global_buffer
      - .offset:         24
        .size:           4
        .value_kind:     by_value
      - .address_space:  global
        .offset:         32
        .size:           8
        .value_kind:     global_buffer
      - .address_space:  global
        .offset:         40
        .size:           8
        .value_kind:     global_buffer
      - .offset:         48
        .size:           4
        .value_kind:     by_value
      - .offset:         52
        .size:           4
        .value_kind:     by_value
      - .offset:         56
        .size:           4
        .value_kind:     by_value
      - .offset:         60
        .size:           1
        .value_kind:     by_value
      - .offset:         64
        .size:           8
        .value_kind:     by_value
      - .address_space:  global
        .offset:         72
        .size:           8
        .value_kind:     global_buffer
      - .address_space:  global
        .offset:         80
        .size:           8
        .value_kind:     global_buffer
      - .address_space:  global
        .offset:         88
        .size:           8
        .value_kind:     global_buffer
    .group_segment_fixed_size: 0
    .kernarg_segment_align: 8
    .kernarg_segment_size: 96
    .language:       OpenCL C
    .language_version:
      - 2
      - 0
    .max_flat_workgroup_size: 256
    .name:           _ZN4vllm3moe22topkGatingSoftplusSqrtILi7ELi448ELi4ELi2ELi64ELb1El6__halfEEvPKT6_PKbPfiPT5_PiiiibdPKfPKS9_SF_
    .private_segment_fixed_size: 0
    .sgpr_count:     36
    .sgpr_spill_count: 0
    .symbol:         _ZN4vllm3moe22topkGatingSoftplusSqrtILi7ELi448ELi4ELi2ELi64ELb1El6__halfEEvPKT6_PKbPfiPT5_PiiiibdPKfPKS9_SF_.kd
    .uniform_work_group_size: 1
    .uses_dynamic_stack: false
    .vgpr_count:     31
    .vgpr_spill_count: 0
    .wavefront_size: 64
  - .agpr_count:     0
    .args:
      - .address_space:  global
        .offset:         0
        .size:           8
        .value_kind:     global_buffer
      - .address_space:  global
        .offset:         8
        .size:           8
        .value_kind:     global_buffer
      - .address_space:  global
        .offset:         16
        .size:           8
        .value_kind:     global_buffer
      - .offset:         24
        .size:           4
        .value_kind:     by_value
      - .address_space:  global
        .offset:         32
        .size:           8
        .value_kind:     global_buffer
      - .address_space:  global
        .offset:         40
        .size:           8
        .value_kind:     global_buffer
      - .offset:         48
        .size:           4
        .value_kind:     by_value
      - .offset:         52
        .size:           4
        .value_kind:     by_value
      - .offset:         56
        .size:           4
        .value_kind:     by_value
      - .offset:         60
        .size:           1
        .value_kind:     by_value
      - .offset:         64
        .size:           8
        .value_kind:     by_value
      - .address_space:  global
        .offset:         72
        .size:           8
        .value_kind:     global_buffer
      - .address_space:  global
        .offset:         80
        .size:           8
        .value_kind:     global_buffer
      - .address_space:  global
        .offset:         88
        .size:           8
        .value_kind:     global_buffer
    .group_segment_fixed_size: 0
    .kernarg_segment_align: 8
    .kernarg_segment_size: 96
    .language:       OpenCL C
    .language_version:
      - 2
      - 0
    .max_flat_workgroup_size: 256
    .name:           _ZN4vllm3moe22topkGatingSoftplusSqrtILi7ELi448ELi4ELi2ELi64ELb0El6__halfEEvPKT6_PKbPfiPT5_PiiiibdPKfPKS9_SF_
    .private_segment_fixed_size: 0
    .sgpr_count:     37
    .sgpr_spill_count: 0
    .symbol:         _ZN4vllm3moe22topkGatingSoftplusSqrtILi7ELi448ELi4ELi2ELi64ELb0El6__halfEEvPKT6_PKbPfiPT5_PiiiibdPKfPKS9_SF_.kd
    .uniform_work_group_size: 1
    .uses_dynamic_stack: false
    .vgpr_count:     36
    .vgpr_spill_count: 0
    .wavefront_size: 64
  - .agpr_count:     0
    .args:
      - .address_space:  global
        .offset:         0
        .size:           8
        .value_kind:     global_buffer
      - .address_space:  global
        .offset:         8
        .size:           8
        .value_kind:     global_buffer
      - .address_space:  global
        .offset:         16
        .size:           8
        .value_kind:     global_buffer
      - .offset:         24
        .size:           4
        .value_kind:     by_value
      - .address_space:  global
        .offset:         32
        .size:           8
        .value_kind:     global_buffer
      - .address_space:  global
        .offset:         40
        .size:           8
        .value_kind:     global_buffer
      - .offset:         48
        .size:           4
        .value_kind:     by_value
      - .offset:         52
        .size:           4
        .value_kind:     by_value
      - .offset:         56
        .size:           4
        .value_kind:     by_value
      - .offset:         60
        .size:           1
        .value_kind:     by_value
      - .offset:         64
        .size:           8
        .value_kind:     by_value
      - .address_space:  global
        .offset:         72
        .size:           8
        .value_kind:     global_buffer
      - .address_space:  global
        .offset:         80
        .size:           8
        .value_kind:     global_buffer
      - .address_space:  global
        .offset:         88
        .size:           8
        .value_kind:     global_buffer
    .group_segment_fixed_size: 0
    .kernarg_segment_align: 8
    .kernarg_segment_size: 96
    .language:       OpenCL C
    .language_version:
      - 2
      - 0
    .max_flat_workgroup_size: 128
    .name:           _ZN4vllm3moe22topkGatingSoftplusSqrtILi14ELi448ELi4ELi2ELi32ELb1El6__halfEEvPKT6_PKbPfiPT5_PiiiibdPKfPKS9_SF_
    .private_segment_fixed_size: 0
    .sgpr_count:     64
    .sgpr_spill_count: 0
    .symbol:         _ZN4vllm3moe22topkGatingSoftplusSqrtILi14ELi448ELi4ELi2ELi32ELb1El6__halfEEvPKT6_PKbPfiPT5_PiiiibdPKfPKS9_SF_.kd
    .uniform_work_group_size: 1
    .uses_dynamic_stack: false
    .vgpr_count:     45
    .vgpr_spill_count: 0
    .wavefront_size: 64
  - .agpr_count:     0
    .args:
      - .address_space:  global
        .offset:         0
        .size:           8
        .value_kind:     global_buffer
      - .address_space:  global
        .offset:         8
        .size:           8
        .value_kind:     global_buffer
      - .address_space:  global
        .offset:         16
        .size:           8
        .value_kind:     global_buffer
      - .offset:         24
        .size:           4
        .value_kind:     by_value
      - .address_space:  global
        .offset:         32
        .size:           8
        .value_kind:     global_buffer
      - .address_space:  global
        .offset:         40
        .size:           8
        .value_kind:     global_buffer
      - .offset:         48
        .size:           4
        .value_kind:     by_value
      - .offset:         52
        .size:           4
        .value_kind:     by_value
      - .offset:         56
        .size:           4
        .value_kind:     by_value
      - .offset:         60
        .size:           1
        .value_kind:     by_value
      - .offset:         64
        .size:           8
        .value_kind:     by_value
      - .address_space:  global
        .offset:         72
        .size:           8
        .value_kind:     global_buffer
      - .address_space:  global
        .offset:         80
        .size:           8
        .value_kind:     global_buffer
      - .address_space:  global
        .offset:         88
        .size:           8
        .value_kind:     global_buffer
    .group_segment_fixed_size: 0
    .kernarg_segment_align: 8
    .kernarg_segment_size: 96
    .language:       OpenCL C
    .language_version:
      - 2
      - 0
    .max_flat_workgroup_size: 128
    .name:           _ZN4vllm3moe22topkGatingSoftplusSqrtILi14ELi448ELi4ELi2ELi32ELb0El6__halfEEvPKT6_PKbPfiPT5_PiiiibdPKfPKS9_SF_
    .private_segment_fixed_size: 0
    .sgpr_count:     38
    .sgpr_spill_count: 0
    .symbol:         _ZN4vllm3moe22topkGatingSoftplusSqrtILi14ELi448ELi4ELi2ELi32ELb0El6__halfEEvPKT6_PKbPfiPT5_PiiiibdPKfPKS9_SF_.kd
    .uniform_work_group_size: 1
    .uses_dynamic_stack: false
    .vgpr_count:     48
    .vgpr_spill_count: 0
    .wavefront_size: 64
  - .agpr_count:     0
    .args:
      - .address_space:  global
        .offset:         0
        .size:           8
        .value_kind:     global_buffer
      - .address_space:  global
        .offset:         8
        .size:           8
        .value_kind:     global_buffer
      - .address_space:  global
        .offset:         16
        .size:           8
        .value_kind:     global_buffer
      - .offset:         24
        .size:           4
        .value_kind:     by_value
      - .address_space:  global
        .offset:         32
        .size:           8
        .value_kind:     global_buffer
      - .address_space:  global
        .offset:         40
        .size:           8
        .value_kind:     global_buffer
      - .offset:         48
        .size:           4
        .value_kind:     by_value
      - .offset:         52
        .size:           4
        .value_kind:     by_value
      - .offset:         56
        .size:           4
        .value_kind:     by_value
      - .offset:         60
        .size:           1
        .value_kind:     by_value
      - .offset:         64
        .size:           8
        .value_kind:     by_value
      - .address_space:  global
        .offset:         72
        .size:           8
        .value_kind:     global_buffer
      - .address_space:  global
        .offset:         80
        .size:           8
        .value_kind:     global_buffer
      - .address_space:  global
        .offset:         88
        .size:           8
        .value_kind:     global_buffer
    .group_segment_fixed_size: 0
    .kernarg_segment_align: 8
    .kernarg_segment_size: 96
    .language:       OpenCL C
    .language_version:
      - 2
      - 0
    .max_flat_workgroup_size: 256
    .name:           _ZN4vllm3moe22topkGatingSoftplusSqrtILi9ELi576ELi4ELi2ELi64ELb1El6__halfEEvPKT6_PKbPfiPT5_PiiiibdPKfPKS9_SF_
    .private_segment_fixed_size: 0
    .sgpr_count:     46
    .sgpr_spill_count: 0
    .symbol:         _ZN4vllm3moe22topkGatingSoftplusSqrtILi9ELi576ELi4ELi2ELi64ELb1El6__halfEEvPKT6_PKbPfiPT5_PiiiibdPKfPKS9_SF_.kd
    .uniform_work_group_size: 1
    .uses_dynamic_stack: false
    .vgpr_count:     36
    .vgpr_spill_count: 0
    .wavefront_size: 64
  - .agpr_count:     0
    .args:
      - .address_space:  global
        .offset:         0
        .size:           8
        .value_kind:     global_buffer
      - .address_space:  global
        .offset:         8
        .size:           8
        .value_kind:     global_buffer
      - .address_space:  global
        .offset:         16
        .size:           8
        .value_kind:     global_buffer
      - .offset:         24
        .size:           4
        .value_kind:     by_value
      - .address_space:  global
        .offset:         32
        .size:           8
        .value_kind:     global_buffer
      - .address_space:  global
        .offset:         40
        .size:           8
        .value_kind:     global_buffer
      - .offset:         48
        .size:           4
        .value_kind:     by_value
      - .offset:         52
        .size:           4
        .value_kind:     by_value
      - .offset:         56
        .size:           4
        .value_kind:     by_value
      - .offset:         60
        .size:           1
        .value_kind:     by_value
      - .offset:         64
        .size:           8
        .value_kind:     by_value
      - .address_space:  global
        .offset:         72
        .size:           8
        .value_kind:     global_buffer
      - .address_space:  global
        .offset:         80
        .size:           8
        .value_kind:     global_buffer
      - .address_space:  global
        .offset:         88
        .size:           8
        .value_kind:     global_buffer
    .group_segment_fixed_size: 0
    .kernarg_segment_align: 8
    .kernarg_segment_size: 96
    .language:       OpenCL C
    .language_version:
      - 2
      - 0
    .max_flat_workgroup_size: 256
    .name:           _ZN4vllm3moe22topkGatingSoftplusSqrtILi9ELi576ELi4ELi2ELi64ELb0El6__halfEEvPKT6_PKbPfiPT5_PiiiibdPKfPKS9_SF_
    .private_segment_fixed_size: 0
    .sgpr_count:     37
    .sgpr_spill_count: 0
    .symbol:         _ZN4vllm3moe22topkGatingSoftplusSqrtILi9ELi576ELi4ELi2ELi64ELb0El6__halfEEvPKT6_PKbPfiPT5_PiiiibdPKfPKS9_SF_.kd
    .uniform_work_group_size: 1
    .uses_dynamic_stack: false
    .vgpr_count:     40
    .vgpr_spill_count: 0
    .wavefront_size: 64
  - .agpr_count:     0
    .args:
      - .address_space:  global
        .offset:         0
        .size:           8
        .value_kind:     global_buffer
      - .address_space:  global
        .offset:         8
        .size:           8
        .value_kind:     global_buffer
      - .address_space:  global
        .offset:         16
        .size:           8
        .value_kind:     global_buffer
      - .offset:         24
        .size:           4
        .value_kind:     by_value
      - .address_space:  global
        .offset:         32
        .size:           8
        .value_kind:     global_buffer
      - .address_space:  global
        .offset:         40
        .size:           8
        .value_kind:     global_buffer
      - .offset:         48
        .size:           4
        .value_kind:     by_value
      - .offset:         52
        .size:           4
        .value_kind:     by_value
      - .offset:         56
        .size:           4
        .value_kind:     by_value
      - .offset:         60
        .size:           1
        .value_kind:     by_value
      - .offset:         64
        .size:           8
        .value_kind:     by_value
      - .address_space:  global
        .offset:         72
        .size:           8
        .value_kind:     global_buffer
      - .address_space:  global
        .offset:         80
        .size:           8
        .value_kind:     global_buffer
      - .address_space:  global
        .offset:         88
        .size:           8
        .value_kind:     global_buffer
    .group_segment_fixed_size: 0
    .kernarg_segment_align: 8
    .kernarg_segment_size: 96
    .language:       OpenCL C
    .language_version:
      - 2
      - 0
    .max_flat_workgroup_size: 128
    .name:           _ZN4vllm3moe22topkGatingSoftplusSqrtILi18ELi576ELi4ELi2ELi32ELb1El6__halfEEvPKT6_PKbPfiPT5_PiiiibdPKfPKS9_SF_
    .private_segment_fixed_size: 80
    .sgpr_count:     80
    .sgpr_spill_count: 0
    .symbol:         _ZN4vllm3moe22topkGatingSoftplusSqrtILi18ELi576ELi4ELi2ELi32ELb1El6__halfEEvPKT6_PKbPfiPT5_PiiiibdPKfPKS9_SF_.kd
    .uniform_work_group_size: 1
    .uses_dynamic_stack: false
    .vgpr_count:     43
    .vgpr_spill_count: 0
    .wavefront_size: 64
  - .agpr_count:     0
    .args:
      - .address_space:  global
        .offset:         0
        .size:           8
        .value_kind:     global_buffer
      - .address_space:  global
        .offset:         8
        .size:           8
        .value_kind:     global_buffer
      - .address_space:  global
        .offset:         16
        .size:           8
        .value_kind:     global_buffer
      - .offset:         24
        .size:           4
        .value_kind:     by_value
      - .address_space:  global
        .offset:         32
        .size:           8
        .value_kind:     global_buffer
      - .address_space:  global
        .offset:         40
        .size:           8
        .value_kind:     global_buffer
      - .offset:         48
        .size:           4
        .value_kind:     by_value
      - .offset:         52
        .size:           4
        .value_kind:     by_value
      - .offset:         56
        .size:           4
        .value_kind:     by_value
      - .offset:         60
        .size:           1
        .value_kind:     by_value
      - .offset:         64
        .size:           8
        .value_kind:     by_value
      - .address_space:  global
        .offset:         72
        .size:           8
        .value_kind:     global_buffer
      - .address_space:  global
        .offset:         80
        .size:           8
        .value_kind:     global_buffer
      - .address_space:  global
        .offset:         88
        .size:           8
        .value_kind:     global_buffer
    .group_segment_fixed_size: 0
    .kernarg_segment_align: 8
    .kernarg_segment_size: 96
    .language:       OpenCL C
    .language_version:
      - 2
      - 0
    .max_flat_workgroup_size: 128
    .name:           _ZN4vllm3moe22topkGatingSoftplusSqrtILi18ELi576ELi4ELi2ELi32ELb0El6__halfEEvPKT6_PKbPfiPT5_PiiiibdPKfPKS9_SF_
    .private_segment_fixed_size: 80
    .sgpr_count:     38
    .sgpr_spill_count: 0
    .symbol:         _ZN4vllm3moe22topkGatingSoftplusSqrtILi18ELi576ELi4ELi2ELi32ELb0El6__halfEEvPKT6_PKbPfiPT5_PiiiibdPKfPKS9_SF_.kd
    .uniform_work_group_size: 1
    .uses_dynamic_stack: false
    .vgpr_count:     49
    .vgpr_spill_count: 0
    .wavefront_size: 64
  - .agpr_count:     0
    .args:
      - .address_space:  global
        .offset:         0
        .size:           8
        .value_kind:     global_buffer
      - .address_space:  global
        .offset:         8
        .size:           8
        .value_kind:     global_buffer
      - .address_space:  global
        .offset:         16
        .size:           8
        .value_kind:     global_buffer
      - .offset:         24
        .size:           4
        .value_kind:     by_value
      - .address_space:  global
        .offset:         32
        .size:           8
        .value_kind:     global_buffer
      - .address_space:  global
        .offset:         40
        .size:           8
        .value_kind:     global_buffer
      - .offset:         48
        .size:           4
        .value_kind:     by_value
      - .offset:         52
        .size:           4
        .value_kind:     by_value
      - .offset:         56
        .size:           4
        .value_kind:     by_value
      - .offset:         60
        .size:           1
        .value_kind:     by_value
      - .offset:         64
        .size:           8
        .value_kind:     by_value
      - .address_space:  global
        .offset:         72
        .size:           8
        .value_kind:     global_buffer
      - .address_space:  global
        .offset:         80
        .size:           8
        .value_kind:     global_buffer
      - .address_space:  global
        .offset:         88
        .size:           8
        .value_kind:     global_buffer
    .group_segment_fixed_size: 0
    .kernarg_segment_align: 8
    .kernarg_segment_size: 96
    .language:       OpenCL C
    .language_version:
      - 2
      - 0
    .max_flat_workgroup_size: 256
    .name:           _ZN4vllm3moe22topkGatingSoftplusSqrtILi1ELi1ELi4ELi2ELi64ELb1Ei14__hip_bfloat16EEvPKT6_PKbPfiPT5_PiiiibdPKfPKS9_SF_
    .private_segment_fixed_size: 0
    .sgpr_count:     21
    .sgpr_spill_count: 0
    .symbol:         _ZN4vllm3moe22topkGatingSoftplusSqrtILi1ELi1ELi4ELi2ELi64ELb1Ei14__hip_bfloat16EEvPKT6_PKbPfiPT5_PiiiibdPKfPKS9_SF_.kd
    .uniform_work_group_size: 1
    .uses_dynamic_stack: false
    .vgpr_count:     14
    .vgpr_spill_count: 0
    .wavefront_size: 64
  - .agpr_count:     0
    .args:
      - .address_space:  global
        .offset:         0
        .size:           8
        .value_kind:     global_buffer
      - .address_space:  global
        .offset:         8
        .size:           8
        .value_kind:     global_buffer
      - .address_space:  global
        .offset:         16
        .size:           8
        .value_kind:     global_buffer
      - .offset:         24
        .size:           4
        .value_kind:     by_value
      - .address_space:  global
        .offset:         32
        .size:           8
        .value_kind:     global_buffer
      - .address_space:  global
        .offset:         40
        .size:           8
        .value_kind:     global_buffer
      - .offset:         48
        .size:           4
        .value_kind:     by_value
      - .offset:         52
        .size:           4
        .value_kind:     by_value
      - .offset:         56
        .size:           4
        .value_kind:     by_value
      - .offset:         60
        .size:           1
        .value_kind:     by_value
      - .offset:         64
        .size:           8
        .value_kind:     by_value
      - .address_space:  global
        .offset:         72
        .size:           8
        .value_kind:     global_buffer
      - .address_space:  global
        .offset:         80
        .size:           8
        .value_kind:     global_buffer
      - .address_space:  global
        .offset:         88
        .size:           8
        .value_kind:     global_buffer
    .group_segment_fixed_size: 0
    .kernarg_segment_align: 8
    .kernarg_segment_size: 96
    .language:       OpenCL C
    .language_version:
      - 2
      - 0
    .max_flat_workgroup_size: 256
    .name:           _ZN4vllm3moe22topkGatingSoftplusSqrtILi1ELi1ELi4ELi2ELi64ELb0Ei14__hip_bfloat16EEvPKT6_PKbPfiPT5_PiiiibdPKfPKS9_SF_
    .private_segment_fixed_size: 0
    .sgpr_count:     34
    .sgpr_spill_count: 0
    .symbol:         _ZN4vllm3moe22topkGatingSoftplusSqrtILi1ELi1ELi4ELi2ELi64ELb0Ei14__hip_bfloat16EEvPKT6_PKbPfiPT5_PiiiibdPKfPKS9_SF_.kd
    .uniform_work_group_size: 1
    .uses_dynamic_stack: false
    .vgpr_count:     12
    .vgpr_spill_count: 0
    .wavefront_size: 64
  - .agpr_count:     0
    .args:
      - .address_space:  global
        .offset:         0
        .size:           8
        .value_kind:     global_buffer
      - .address_space:  global
        .offset:         8
        .size:           8
        .value_kind:     global_buffer
      - .address_space:  global
        .offset:         16
        .size:           8
        .value_kind:     global_buffer
      - .offset:         24
        .size:           4
        .value_kind:     by_value
      - .address_space:  global
        .offset:         32
        .size:           8
        .value_kind:     global_buffer
      - .address_space:  global
        .offset:         40
        .size:           8
        .value_kind:     global_buffer
      - .offset:         48
        .size:           4
        .value_kind:     by_value
      - .offset:         52
        .size:           4
        .value_kind:     by_value
      - .offset:         56
        .size:           4
        .value_kind:     by_value
      - .offset:         60
        .size:           1
        .value_kind:     by_value
      - .offset:         64
        .size:           8
        .value_kind:     by_value
      - .address_space:  global
        .offset:         72
        .size:           8
        .value_kind:     global_buffer
      - .address_space:  global
        .offset:         80
        .size:           8
        .value_kind:     global_buffer
      - .address_space:  global
        .offset:         88
        .size:           8
        .value_kind:     global_buffer
    .group_segment_fixed_size: 0
    .kernarg_segment_align: 8
    .kernarg_segment_size: 96
    .language:       OpenCL C
    .language_version:
      - 2
      - 0
    .max_flat_workgroup_size: 128
    .name:           _ZN4vllm3moe22topkGatingSoftplusSqrtILi1ELi1ELi4ELi2ELi32ELb1Ei14__hip_bfloat16EEvPKT6_PKbPfiPT5_PiiiibdPKfPKS9_SF_
    .private_segment_fixed_size: 0
    .sgpr_count:     21
    .sgpr_spill_count: 0
    .symbol:         _ZN4vllm3moe22topkGatingSoftplusSqrtILi1ELi1ELi4ELi2ELi32ELb1Ei14__hip_bfloat16EEvPKT6_PKbPfiPT5_PiiiibdPKfPKS9_SF_.kd
    .uniform_work_group_size: 1
    .uses_dynamic_stack: false
    .vgpr_count:     14
    .vgpr_spill_count: 0
    .wavefront_size: 64
  - .agpr_count:     0
    .args:
      - .address_space:  global
        .offset:         0
        .size:           8
        .value_kind:     global_buffer
      - .address_space:  global
        .offset:         8
        .size:           8
        .value_kind:     global_buffer
      - .address_space:  global
        .offset:         16
        .size:           8
        .value_kind:     global_buffer
      - .offset:         24
        .size:           4
        .value_kind:     by_value
      - .address_space:  global
        .offset:         32
        .size:           8
        .value_kind:     global_buffer
      - .address_space:  global
        .offset:         40
        .size:           8
        .value_kind:     global_buffer
      - .offset:         48
        .size:           4
        .value_kind:     by_value
      - .offset:         52
        .size:           4
        .value_kind:     by_value
      - .offset:         56
        .size:           4
        .value_kind:     by_value
      - .offset:         60
        .size:           1
        .value_kind:     by_value
      - .offset:         64
        .size:           8
        .value_kind:     by_value
      - .address_space:  global
        .offset:         72
        .size:           8
        .value_kind:     global_buffer
      - .address_space:  global
        .offset:         80
        .size:           8
        .value_kind:     global_buffer
      - .address_space:  global
        .offset:         88
        .size:           8
        .value_kind:     global_buffer
    .group_segment_fixed_size: 0
    .kernarg_segment_align: 8
    .kernarg_segment_size: 96
    .language:       OpenCL C
    .language_version:
      - 2
      - 0
    .max_flat_workgroup_size: 128
    .name:           _ZN4vllm3moe22topkGatingSoftplusSqrtILi1ELi1ELi4ELi2ELi32ELb0Ei14__hip_bfloat16EEvPKT6_PKbPfiPT5_PiiiibdPKfPKS9_SF_
    .private_segment_fixed_size: 0
    .sgpr_count:     34
    .sgpr_spill_count: 0
    .symbol:         _ZN4vllm3moe22topkGatingSoftplusSqrtILi1ELi1ELi4ELi2ELi32ELb0Ei14__hip_bfloat16EEvPKT6_PKbPfiPT5_PiiiibdPKfPKS9_SF_.kd
    .uniform_work_group_size: 1
    .uses_dynamic_stack: false
    .vgpr_count:     12
    .vgpr_spill_count: 0
    .wavefront_size: 64
  - .agpr_count:     0
    .args:
      - .address_space:  global
        .offset:         0
        .size:           8
        .value_kind:     global_buffer
      - .address_space:  global
        .offset:         8
        .size:           8
        .value_kind:     global_buffer
      - .address_space:  global
        .offset:         16
        .size:           8
        .value_kind:     global_buffer
      - .offset:         24
        .size:           4
        .value_kind:     by_value
      - .address_space:  global
        .offset:         32
        .size:           8
        .value_kind:     global_buffer
      - .address_space:  global
        .offset:         40
        .size:           8
        .value_kind:     global_buffer
      - .offset:         48
        .size:           4
        .value_kind:     by_value
      - .offset:         52
        .size:           4
        .value_kind:     by_value
      - .offset:         56
        .size:           4
        .value_kind:     by_value
      - .offset:         60
        .size:           1
        .value_kind:     by_value
      - .offset:         64
        .size:           8
        .value_kind:     by_value
      - .address_space:  global
        .offset:         72
        .size:           8
        .value_kind:     global_buffer
      - .address_space:  global
        .offset:         80
        .size:           8
        .value_kind:     global_buffer
      - .address_space:  global
        .offset:         88
        .size:           8
        .value_kind:     global_buffer
    .group_segment_fixed_size: 0
    .kernarg_segment_align: 8
    .kernarg_segment_size: 96
    .language:       OpenCL C
    .language_version:
      - 2
      - 0
    .max_flat_workgroup_size: 256
    .name:           _ZN4vllm3moe22topkGatingSoftplusSqrtILi2ELi2ELi4ELi4ELi64ELb1Ei14__hip_bfloat16EEvPKT6_PKbPfiPT5_PiiiibdPKfPKS9_SF_
    .private_segment_fixed_size: 0
    .sgpr_count:     24
    .sgpr_spill_count: 0
    .symbol:         _ZN4vllm3moe22topkGatingSoftplusSqrtILi2ELi2ELi4ELi4ELi64ELb1Ei14__hip_bfloat16EEvPKT6_PKbPfiPT5_PiiiibdPKfPKS9_SF_.kd
    .uniform_work_group_size: 1
    .uses_dynamic_stack: false
    .vgpr_count:     19
    .vgpr_spill_count: 0
    .wavefront_size: 64
  - .agpr_count:     0
    .args:
      - .address_space:  global
        .offset:         0
        .size:           8
        .value_kind:     global_buffer
      - .address_space:  global
        .offset:         8
        .size:           8
        .value_kind:     global_buffer
      - .address_space:  global
        .offset:         16
        .size:           8
        .value_kind:     global_buffer
      - .offset:         24
        .size:           4
        .value_kind:     by_value
      - .address_space:  global
        .offset:         32
        .size:           8
        .value_kind:     global_buffer
      - .address_space:  global
        .offset:         40
        .size:           8
        .value_kind:     global_buffer
      - .offset:         48
        .size:           4
        .value_kind:     by_value
      - .offset:         52
        .size:           4
        .value_kind:     by_value
      - .offset:         56
        .size:           4
        .value_kind:     by_value
      - .offset:         60
        .size:           1
        .value_kind:     by_value
      - .offset:         64
        .size:           8
        .value_kind:     by_value
      - .address_space:  global
        .offset:         72
        .size:           8
        .value_kind:     global_buffer
      - .address_space:  global
        .offset:         80
        .size:           8
        .value_kind:     global_buffer
      - .address_space:  global
        .offset:         88
        .size:           8
        .value_kind:     global_buffer
    .group_segment_fixed_size: 0
    .kernarg_segment_align: 8
    .kernarg_segment_size: 96
    .language:       OpenCL C
    .language_version:
      - 2
      - 0
    .max_flat_workgroup_size: 256
    .name:           _ZN4vllm3moe22topkGatingSoftplusSqrtILi2ELi2ELi4ELi4ELi64ELb0Ei14__hip_bfloat16EEvPKT6_PKbPfiPT5_PiiiibdPKfPKS9_SF_
    .private_segment_fixed_size: 0
    .sgpr_count:     32
    .sgpr_spill_count: 0
    .symbol:         _ZN4vllm3moe22topkGatingSoftplusSqrtILi2ELi2ELi4ELi4ELi64ELb0Ei14__hip_bfloat16EEvPKT6_PKbPfiPT5_PiiiibdPKfPKS9_SF_.kd
    .uniform_work_group_size: 1
    .uses_dynamic_stack: false
    .vgpr_count:     13
    .vgpr_spill_count: 0
    .wavefront_size: 64
  - .agpr_count:     0
    .args:
      - .address_space:  global
        .offset:         0
        .size:           8
        .value_kind:     global_buffer
      - .address_space:  global
        .offset:         8
        .size:           8
        .value_kind:     global_buffer
      - .address_space:  global
        .offset:         16
        .size:           8
        .value_kind:     global_buffer
      - .offset:         24
        .size:           4
        .value_kind:     by_value
      - .address_space:  global
        .offset:         32
        .size:           8
        .value_kind:     global_buffer
      - .address_space:  global
        .offset:         40
        .size:           8
        .value_kind:     global_buffer
      - .offset:         48
        .size:           4
        .value_kind:     by_value
      - .offset:         52
        .size:           4
        .value_kind:     by_value
      - .offset:         56
        .size:           4
        .value_kind:     by_value
      - .offset:         60
        .size:           1
        .value_kind:     by_value
      - .offset:         64
        .size:           8
        .value_kind:     by_value
      - .address_space:  global
        .offset:         72
        .size:           8
        .value_kind:     global_buffer
      - .address_space:  global
        .offset:         80
        .size:           8
        .value_kind:     global_buffer
      - .address_space:  global
        .offset:         88
        .size:           8
        .value_kind:     global_buffer
    .group_segment_fixed_size: 0
    .kernarg_segment_align: 8
    .kernarg_segment_size: 96
    .language:       OpenCL C
    .language_version:
      - 2
      - 0
    .max_flat_workgroup_size: 128
    .name:           _ZN4vllm3moe22topkGatingSoftplusSqrtILi2ELi2ELi4ELi4ELi32ELb1Ei14__hip_bfloat16EEvPKT6_PKbPfiPT5_PiiiibdPKfPKS9_SF_
    .private_segment_fixed_size: 0
    .sgpr_count:     24
    .sgpr_spill_count: 0
    .symbol:         _ZN4vllm3moe22topkGatingSoftplusSqrtILi2ELi2ELi4ELi4ELi32ELb1Ei14__hip_bfloat16EEvPKT6_PKbPfiPT5_PiiiibdPKfPKS9_SF_.kd
    .uniform_work_group_size: 1
    .uses_dynamic_stack: false
    .vgpr_count:     19
    .vgpr_spill_count: 0
    .wavefront_size: 64
  - .agpr_count:     0
    .args:
      - .address_space:  global
        .offset:         0
        .size:           8
        .value_kind:     global_buffer
      - .address_space:  global
        .offset:         8
        .size:           8
        .value_kind:     global_buffer
      - .address_space:  global
        .offset:         16
        .size:           8
        .value_kind:     global_buffer
      - .offset:         24
        .size:           4
        .value_kind:     by_value
      - .address_space:  global
        .offset:         32
        .size:           8
        .value_kind:     global_buffer
      - .address_space:  global
        .offset:         40
        .size:           8
        .value_kind:     global_buffer
      - .offset:         48
        .size:           4
        .value_kind:     by_value
      - .offset:         52
        .size:           4
        .value_kind:     by_value
      - .offset:         56
        .size:           4
        .value_kind:     by_value
      - .offset:         60
        .size:           1
        .value_kind:     by_value
      - .offset:         64
        .size:           8
        .value_kind:     by_value
      - .address_space:  global
        .offset:         72
        .size:           8
        .value_kind:     global_buffer
      - .address_space:  global
        .offset:         80
        .size:           8
        .value_kind:     global_buffer
      - .address_space:  global
        .offset:         88
        .size:           8
        .value_kind:     global_buffer
    .group_segment_fixed_size: 0
    .kernarg_segment_align: 8
    .kernarg_segment_size: 96
    .language:       OpenCL C
    .language_version:
      - 2
      - 0
    .max_flat_workgroup_size: 128
    .name:           _ZN4vllm3moe22topkGatingSoftplusSqrtILi2ELi2ELi4ELi4ELi32ELb0Ei14__hip_bfloat16EEvPKT6_PKbPfiPT5_PiiiibdPKfPKS9_SF_
    .private_segment_fixed_size: 0
    .sgpr_count:     32
    .sgpr_spill_count: 0
    .symbol:         _ZN4vllm3moe22topkGatingSoftplusSqrtILi2ELi2ELi4ELi4ELi32ELb0Ei14__hip_bfloat16EEvPKT6_PKbPfiPT5_PiiiibdPKfPKS9_SF_.kd
    .uniform_work_group_size: 1
    .uses_dynamic_stack: false
    .vgpr_count:     13
    .vgpr_spill_count: 0
    .wavefront_size: 64
  - .agpr_count:     0
    .args:
      - .address_space:  global
        .offset:         0
        .size:           8
        .value_kind:     global_buffer
      - .address_space:  global
        .offset:         8
        .size:           8
        .value_kind:     global_buffer
      - .address_space:  global
        .offset:         16
        .size:           8
        .value_kind:     global_buffer
      - .offset:         24
        .size:           4
        .value_kind:     by_value
      - .address_space:  global
        .offset:         32
        .size:           8
        .value_kind:     global_buffer
      - .address_space:  global
        .offset:         40
        .size:           8
        .value_kind:     global_buffer
      - .offset:         48
        .size:           4
        .value_kind:     by_value
      - .offset:         52
        .size:           4
        .value_kind:     by_value
      - .offset:         56
        .size:           4
        .value_kind:     by_value
      - .offset:         60
        .size:           1
        .value_kind:     by_value
      - .offset:         64
        .size:           8
        .value_kind:     by_value
      - .address_space:  global
        .offset:         72
        .size:           8
        .value_kind:     global_buffer
      - .address_space:  global
        .offset:         80
        .size:           8
        .value_kind:     global_buffer
      - .address_space:  global
        .offset:         88
        .size:           8
        .value_kind:     global_buffer
    .group_segment_fixed_size: 0
    .kernarg_segment_align: 8
    .kernarg_segment_size: 96
    .language:       OpenCL C
    .language_version:
      - 2
      - 0
    .max_flat_workgroup_size: 256
    .name:           _ZN4vllm3moe22topkGatingSoftplusSqrtILi4ELi4ELi4ELi8ELi64ELb1Ei14__hip_bfloat16EEvPKT6_PKbPfiPT5_PiiiibdPKfPKS9_SF_
    .private_segment_fixed_size: 0
    .sgpr_count:     24
    .sgpr_spill_count: 0
    .symbol:         _ZN4vllm3moe22topkGatingSoftplusSqrtILi4ELi4ELi4ELi8ELi64ELb1Ei14__hip_bfloat16EEvPKT6_PKbPfiPT5_PiiiibdPKfPKS9_SF_.kd
    .uniform_work_group_size: 1
    .uses_dynamic_stack: false
    .vgpr_count:     23
    .vgpr_spill_count: 0
    .wavefront_size: 64
  - .agpr_count:     0
    .args:
      - .address_space:  global
        .offset:         0
        .size:           8
        .value_kind:     global_buffer
      - .address_space:  global
        .offset:         8
        .size:           8
        .value_kind:     global_buffer
      - .address_space:  global
        .offset:         16
        .size:           8
        .value_kind:     global_buffer
      - .offset:         24
        .size:           4
        .value_kind:     by_value
      - .address_space:  global
        .offset:         32
        .size:           8
        .value_kind:     global_buffer
      - .address_space:  global
        .offset:         40
        .size:           8
        .value_kind:     global_buffer
      - .offset:         48
        .size:           4
        .value_kind:     by_value
      - .offset:         52
        .size:           4
        .value_kind:     by_value
      - .offset:         56
        .size:           4
        .value_kind:     by_value
      - .offset:         60
        .size:           1
        .value_kind:     by_value
      - .offset:         64
        .size:           8
        .value_kind:     by_value
      - .address_space:  global
        .offset:         72
        .size:           8
        .value_kind:     global_buffer
      - .address_space:  global
        .offset:         80
        .size:           8
        .value_kind:     global_buffer
      - .address_space:  global
        .offset:         88
        .size:           8
        .value_kind:     global_buffer
    .group_segment_fixed_size: 0
    .kernarg_segment_align: 8
    .kernarg_segment_size: 96
    .language:       OpenCL C
    .language_version:
      - 2
      - 0
    .max_flat_workgroup_size: 256
    .name:           _ZN4vllm3moe22topkGatingSoftplusSqrtILi4ELi4ELi4ELi8ELi64ELb0Ei14__hip_bfloat16EEvPKT6_PKbPfiPT5_PiiiibdPKfPKS9_SF_
    .private_segment_fixed_size: 0
    .sgpr_count:     32
    .sgpr_spill_count: 0
    .symbol:         _ZN4vllm3moe22topkGatingSoftplusSqrtILi4ELi4ELi4ELi8ELi64ELb0Ei14__hip_bfloat16EEvPKT6_PKbPfiPT5_PiiiibdPKfPKS9_SF_.kd
    .uniform_work_group_size: 1
    .uses_dynamic_stack: false
    .vgpr_count:     15
    .vgpr_spill_count: 0
    .wavefront_size: 64
  - .agpr_count:     0
    .args:
      - .address_space:  global
        .offset:         0
        .size:           8
        .value_kind:     global_buffer
      - .address_space:  global
        .offset:         8
        .size:           8
        .value_kind:     global_buffer
      - .address_space:  global
        .offset:         16
        .size:           8
        .value_kind:     global_buffer
      - .offset:         24
        .size:           4
        .value_kind:     by_value
      - .address_space:  global
        .offset:         32
        .size:           8
        .value_kind:     global_buffer
      - .address_space:  global
        .offset:         40
        .size:           8
        .value_kind:     global_buffer
      - .offset:         48
        .size:           4
        .value_kind:     by_value
      - .offset:         52
        .size:           4
        .value_kind:     by_value
      - .offset:         56
        .size:           4
        .value_kind:     by_value
      - .offset:         60
        .size:           1
        .value_kind:     by_value
      - .offset:         64
        .size:           8
        .value_kind:     by_value
      - .address_space:  global
        .offset:         72
        .size:           8
        .value_kind:     global_buffer
      - .address_space:  global
        .offset:         80
        .size:           8
        .value_kind:     global_buffer
      - .address_space:  global
        .offset:         88
        .size:           8
        .value_kind:     global_buffer
    .group_segment_fixed_size: 0
    .kernarg_segment_align: 8
    .kernarg_segment_size: 96
    .language:       OpenCL C
    .language_version:
      - 2
      - 0
    .max_flat_workgroup_size: 128
    .name:           _ZN4vllm3moe22topkGatingSoftplusSqrtILi4ELi4ELi4ELi8ELi32ELb1Ei14__hip_bfloat16EEvPKT6_PKbPfiPT5_PiiiibdPKfPKS9_SF_
    .private_segment_fixed_size: 0
    .sgpr_count:     24
    .sgpr_spill_count: 0
    .symbol:         _ZN4vllm3moe22topkGatingSoftplusSqrtILi4ELi4ELi4ELi8ELi32ELb1Ei14__hip_bfloat16EEvPKT6_PKbPfiPT5_PiiiibdPKfPKS9_SF_.kd
    .uniform_work_group_size: 1
    .uses_dynamic_stack: false
    .vgpr_count:     23
    .vgpr_spill_count: 0
    .wavefront_size: 64
  - .agpr_count:     0
    .args:
      - .address_space:  global
        .offset:         0
        .size:           8
        .value_kind:     global_buffer
      - .address_space:  global
        .offset:         8
        .size:           8
        .value_kind:     global_buffer
      - .address_space:  global
        .offset:         16
        .size:           8
        .value_kind:     global_buffer
      - .offset:         24
        .size:           4
        .value_kind:     by_value
      - .address_space:  global
        .offset:         32
        .size:           8
        .value_kind:     global_buffer
      - .address_space:  global
        .offset:         40
        .size:           8
        .value_kind:     global_buffer
      - .offset:         48
        .size:           4
        .value_kind:     by_value
      - .offset:         52
        .size:           4
        .value_kind:     by_value
      - .offset:         56
        .size:           4
        .value_kind:     by_value
      - .offset:         60
        .size:           1
        .value_kind:     by_value
      - .offset:         64
        .size:           8
        .value_kind:     by_value
      - .address_space:  global
        .offset:         72
        .size:           8
        .value_kind:     global_buffer
      - .address_space:  global
        .offset:         80
        .size:           8
        .value_kind:     global_buffer
      - .address_space:  global
        .offset:         88
        .size:           8
        .value_kind:     global_buffer
    .group_segment_fixed_size: 0
    .kernarg_segment_align: 8
    .kernarg_segment_size: 96
    .language:       OpenCL C
    .language_version:
      - 2
      - 0
    .max_flat_workgroup_size: 128
    .name:           _ZN4vllm3moe22topkGatingSoftplusSqrtILi4ELi4ELi4ELi8ELi32ELb0Ei14__hip_bfloat16EEvPKT6_PKbPfiPT5_PiiiibdPKfPKS9_SF_
    .private_segment_fixed_size: 0
    .sgpr_count:     32
    .sgpr_spill_count: 0
    .symbol:         _ZN4vllm3moe22topkGatingSoftplusSqrtILi4ELi4ELi4ELi8ELi32ELb0Ei14__hip_bfloat16EEvPKT6_PKbPfiPT5_PiiiibdPKfPKS9_SF_.kd
    .uniform_work_group_size: 1
    .uses_dynamic_stack: false
    .vgpr_count:     15
    .vgpr_spill_count: 0
    .wavefront_size: 64
  - .agpr_count:     0
    .args:
      - .address_space:  global
        .offset:         0
        .size:           8
        .value_kind:     global_buffer
      - .address_space:  global
        .offset:         8
        .size:           8
        .value_kind:     global_buffer
      - .address_space:  global
        .offset:         16
        .size:           8
        .value_kind:     global_buffer
      - .offset:         24
        .size:           4
        .value_kind:     by_value
      - .address_space:  global
        .offset:         32
        .size:           8
        .value_kind:     global_buffer
      - .address_space:  global
        .offset:         40
        .size:           8
        .value_kind:     global_buffer
      - .offset:         48
        .size:           4
        .value_kind:     by_value
      - .offset:         52
        .size:           4
        .value_kind:     by_value
      - .offset:         56
        .size:           4
        .value_kind:     by_value
      - .offset:         60
        .size:           1
        .value_kind:     by_value
      - .offset:         64
        .size:           8
        .value_kind:     by_value
      - .address_space:  global
        .offset:         72
        .size:           8
        .value_kind:     global_buffer
      - .address_space:  global
        .offset:         80
        .size:           8
        .value_kind:     global_buffer
      - .address_space:  global
        .offset:         88
        .size:           8
        .value_kind:     global_buffer
    .group_segment_fixed_size: 0
    .kernarg_segment_align: 8
    .kernarg_segment_size: 96
    .language:       OpenCL C
    .language_version:
      - 2
      - 0
    .max_flat_workgroup_size: 256
    .name:           _ZN4vllm3moe22topkGatingSoftplusSqrtILi8ELi8ELi4ELi16ELi64ELb1Ei14__hip_bfloat16EEvPKT6_PKbPfiPT5_PiiiibdPKfPKS9_SF_
    .private_segment_fixed_size: 0
    .sgpr_count:     24
    .sgpr_spill_count: 0
    .symbol:         _ZN4vllm3moe22topkGatingSoftplusSqrtILi8ELi8ELi4ELi16ELi64ELb1Ei14__hip_bfloat16EEvPKT6_PKbPfiPT5_PiiiibdPKfPKS9_SF_.kd
    .uniform_work_group_size: 1
    .uses_dynamic_stack: false
    .vgpr_count:     26
    .vgpr_spill_count: 0
    .wavefront_size: 64
  - .agpr_count:     0
    .args:
      - .address_space:  global
        .offset:         0
        .size:           8
        .value_kind:     global_buffer
      - .address_space:  global
        .offset:         8
        .size:           8
        .value_kind:     global_buffer
      - .address_space:  global
        .offset:         16
        .size:           8
        .value_kind:     global_buffer
      - .offset:         24
        .size:           4
        .value_kind:     by_value
      - .address_space:  global
        .offset:         32
        .size:           8
        .value_kind:     global_buffer
      - .address_space:  global
        .offset:         40
        .size:           8
        .value_kind:     global_buffer
      - .offset:         48
        .size:           4
        .value_kind:     by_value
      - .offset:         52
        .size:           4
        .value_kind:     by_value
      - .offset:         56
        .size:           4
        .value_kind:     by_value
      - .offset:         60
        .size:           1
        .value_kind:     by_value
      - .offset:         64
        .size:           8
        .value_kind:     by_value
      - .address_space:  global
        .offset:         72
        .size:           8
        .value_kind:     global_buffer
      - .address_space:  global
        .offset:         80
        .size:           8
        .value_kind:     global_buffer
      - .address_space:  global
        .offset:         88
        .size:           8
        .value_kind:     global_buffer
    .group_segment_fixed_size: 0
    .kernarg_segment_align: 8
    .kernarg_segment_size: 96
    .language:       OpenCL C
    .language_version:
      - 2
      - 0
    .max_flat_workgroup_size: 256
    .name:           _ZN4vllm3moe22topkGatingSoftplusSqrtILi8ELi8ELi4ELi16ELi64ELb0Ei14__hip_bfloat16EEvPKT6_PKbPfiPT5_PiiiibdPKfPKS9_SF_
    .private_segment_fixed_size: 0
    .sgpr_count:     32
    .sgpr_spill_count: 0
    .symbol:         _ZN4vllm3moe22topkGatingSoftplusSqrtILi8ELi8ELi4ELi16ELi64ELb0Ei14__hip_bfloat16EEvPKT6_PKbPfiPT5_PiiiibdPKfPKS9_SF_.kd
    .uniform_work_group_size: 1
    .uses_dynamic_stack: false
    .vgpr_count:     20
    .vgpr_spill_count: 0
    .wavefront_size: 64
  - .agpr_count:     0
    .args:
      - .address_space:  global
        .offset:         0
        .size:           8
        .value_kind:     global_buffer
      - .address_space:  global
        .offset:         8
        .size:           8
        .value_kind:     global_buffer
      - .address_space:  global
        .offset:         16
        .size:           8
        .value_kind:     global_buffer
      - .offset:         24
        .size:           4
        .value_kind:     by_value
      - .address_space:  global
        .offset:         32
        .size:           8
        .value_kind:     global_buffer
      - .address_space:  global
        .offset:         40
        .size:           8
        .value_kind:     global_buffer
      - .offset:         48
        .size:           4
        .value_kind:     by_value
      - .offset:         52
        .size:           4
        .value_kind:     by_value
      - .offset:         56
        .size:           4
        .value_kind:     by_value
      - .offset:         60
        .size:           1
        .value_kind:     by_value
      - .offset:         64
        .size:           8
        .value_kind:     by_value
      - .address_space:  global
        .offset:         72
        .size:           8
        .value_kind:     global_buffer
      - .address_space:  global
        .offset:         80
        .size:           8
        .value_kind:     global_buffer
      - .address_space:  global
        .offset:         88
        .size:           8
        .value_kind:     global_buffer
    .group_segment_fixed_size: 0
    .kernarg_segment_align: 8
    .kernarg_segment_size: 96
    .language:       OpenCL C
    .language_version:
      - 2
      - 0
    .max_flat_workgroup_size: 128
    .name:           _ZN4vllm3moe22topkGatingSoftplusSqrtILi8ELi8ELi4ELi16ELi32ELb1Ei14__hip_bfloat16EEvPKT6_PKbPfiPT5_PiiiibdPKfPKS9_SF_
    .private_segment_fixed_size: 0
    .sgpr_count:     24
    .sgpr_spill_count: 0
    .symbol:         _ZN4vllm3moe22topkGatingSoftplusSqrtILi8ELi8ELi4ELi16ELi32ELb1Ei14__hip_bfloat16EEvPKT6_PKbPfiPT5_PiiiibdPKfPKS9_SF_.kd
    .uniform_work_group_size: 1
    .uses_dynamic_stack: false
    .vgpr_count:     26
    .vgpr_spill_count: 0
    .wavefront_size: 64
  - .agpr_count:     0
    .args:
      - .address_space:  global
        .offset:         0
        .size:           8
        .value_kind:     global_buffer
      - .address_space:  global
        .offset:         8
        .size:           8
        .value_kind:     global_buffer
      - .address_space:  global
        .offset:         16
        .size:           8
        .value_kind:     global_buffer
      - .offset:         24
        .size:           4
        .value_kind:     by_value
      - .address_space:  global
        .offset:         32
        .size:           8
        .value_kind:     global_buffer
      - .address_space:  global
        .offset:         40
        .size:           8
        .value_kind:     global_buffer
      - .offset:         48
        .size:           4
        .value_kind:     by_value
      - .offset:         52
        .size:           4
        .value_kind:     by_value
      - .offset:         56
        .size:           4
        .value_kind:     by_value
      - .offset:         60
        .size:           1
        .value_kind:     by_value
      - .offset:         64
        .size:           8
        .value_kind:     by_value
      - .address_space:  global
        .offset:         72
        .size:           8
        .value_kind:     global_buffer
      - .address_space:  global
        .offset:         80
        .size:           8
        .value_kind:     global_buffer
      - .address_space:  global
        .offset:         88
        .size:           8
        .value_kind:     global_buffer
    .group_segment_fixed_size: 0
    .kernarg_segment_align: 8
    .kernarg_segment_size: 96
    .language:       OpenCL C
    .language_version:
      - 2
      - 0
    .max_flat_workgroup_size: 128
    .name:           _ZN4vllm3moe22topkGatingSoftplusSqrtILi8ELi8ELi4ELi16ELi32ELb0Ei14__hip_bfloat16EEvPKT6_PKbPfiPT5_PiiiibdPKfPKS9_SF_
    .private_segment_fixed_size: 0
    .sgpr_count:     32
    .sgpr_spill_count: 0
    .symbol:         _ZN4vllm3moe22topkGatingSoftplusSqrtILi8ELi8ELi4ELi16ELi32ELb0Ei14__hip_bfloat16EEvPKT6_PKbPfiPT5_PiiiibdPKfPKS9_SF_.kd
    .uniform_work_group_size: 1
    .uses_dynamic_stack: false
    .vgpr_count:     20
    .vgpr_spill_count: 0
    .wavefront_size: 64
  - .agpr_count:     0
    .args:
      - .address_space:  global
        .offset:         0
        .size:           8
        .value_kind:     global_buffer
      - .address_space:  global
        .offset:         8
        .size:           8
        .value_kind:     global_buffer
      - .address_space:  global
        .offset:         16
        .size:           8
        .value_kind:     global_buffer
      - .offset:         24
        .size:           4
        .value_kind:     by_value
      - .address_space:  global
        .offset:         32
        .size:           8
        .value_kind:     global_buffer
      - .address_space:  global
        .offset:         40
        .size:           8
        .value_kind:     global_buffer
      - .offset:         48
        .size:           4
        .value_kind:     by_value
      - .offset:         52
        .size:           4
        .value_kind:     by_value
      - .offset:         56
        .size:           4
        .value_kind:     by_value
      - .offset:         60
        .size:           1
        .value_kind:     by_value
      - .offset:         64
        .size:           8
        .value_kind:     by_value
      - .address_space:  global
        .offset:         72
        .size:           8
        .value_kind:     global_buffer
      - .address_space:  global
        .offset:         80
        .size:           8
        .value_kind:     global_buffer
      - .address_space:  global
        .offset:         88
        .size:           8
        .value_kind:     global_buffer
    .group_segment_fixed_size: 0
    .kernarg_segment_align: 8
    .kernarg_segment_size: 96
    .language:       OpenCL C
    .language_version:
      - 2
      - 0
    .max_flat_workgroup_size: 256
    .name:           _ZN4vllm3moe22topkGatingSoftplusSqrtILi8ELi16ELi4ELi16ELi64ELb1Ei14__hip_bfloat16EEvPKT6_PKbPfiPT5_PiiiibdPKfPKS9_SF_
    .private_segment_fixed_size: 48
    .sgpr_count:     40
    .sgpr_spill_count: 0
    .symbol:         _ZN4vllm3moe22topkGatingSoftplusSqrtILi8ELi16ELi4ELi16ELi64ELb1Ei14__hip_bfloat16EEvPKT6_PKbPfiPT5_PiiiibdPKfPKS9_SF_.kd
    .uniform_work_group_size: 1
    .uses_dynamic_stack: false
    .vgpr_count:     28
    .vgpr_spill_count: 0
    .wavefront_size: 64
  - .agpr_count:     0
    .args:
      - .address_space:  global
        .offset:         0
        .size:           8
        .value_kind:     global_buffer
      - .address_space:  global
        .offset:         8
        .size:           8
        .value_kind:     global_buffer
      - .address_space:  global
        .offset:         16
        .size:           8
        .value_kind:     global_buffer
      - .offset:         24
        .size:           4
        .value_kind:     by_value
      - .address_space:  global
        .offset:         32
        .size:           8
        .value_kind:     global_buffer
      - .address_space:  global
        .offset:         40
        .size:           8
        .value_kind:     global_buffer
      - .offset:         48
        .size:           4
        .value_kind:     by_value
      - .offset:         52
        .size:           4
        .value_kind:     by_value
      - .offset:         56
        .size:           4
        .value_kind:     by_value
      - .offset:         60
        .size:           1
        .value_kind:     by_value
      - .offset:         64
        .size:           8
        .value_kind:     by_value
      - .address_space:  global
        .offset:         72
        .size:           8
        .value_kind:     global_buffer
      - .address_space:  global
        .offset:         80
        .size:           8
        .value_kind:     global_buffer
      - .address_space:  global
        .offset:         88
        .size:           8
        .value_kind:     global_buffer
    .group_segment_fixed_size: 0
    .kernarg_segment_align: 8
    .kernarg_segment_size: 96
    .language:       OpenCL C
    .language_version:
      - 2
      - 0
    .max_flat_workgroup_size: 256
    .name:           _ZN4vllm3moe22topkGatingSoftplusSqrtILi8ELi16ELi4ELi16ELi64ELb0Ei14__hip_bfloat16EEvPKT6_PKbPfiPT5_PiiiibdPKfPKS9_SF_
    .private_segment_fixed_size: 0
    .sgpr_count:     49
    .sgpr_spill_count: 0
    .symbol:         _ZN4vllm3moe22topkGatingSoftplusSqrtILi8ELi16ELi4ELi16ELi64ELb0Ei14__hip_bfloat16EEvPKT6_PKbPfiPT5_PiiiibdPKfPKS9_SF_.kd
    .uniform_work_group_size: 1
    .uses_dynamic_stack: false
    .vgpr_count:     24
    .vgpr_spill_count: 0
    .wavefront_size: 64
  - .agpr_count:     0
    .args:
      - .address_space:  global
        .offset:         0
        .size:           8
        .value_kind:     global_buffer
      - .address_space:  global
        .offset:         8
        .size:           8
        .value_kind:     global_buffer
      - .address_space:  global
        .offset:         16
        .size:           8
        .value_kind:     global_buffer
      - .offset:         24
        .size:           4
        .value_kind:     by_value
      - .address_space:  global
        .offset:         32
        .size:           8
        .value_kind:     global_buffer
      - .address_space:  global
        .offset:         40
        .size:           8
        .value_kind:     global_buffer
      - .offset:         48
        .size:           4
        .value_kind:     by_value
      - .offset:         52
        .size:           4
        .value_kind:     by_value
      - .offset:         56
        .size:           4
        .value_kind:     by_value
      - .offset:         60
        .size:           1
        .value_kind:     by_value
      - .offset:         64
        .size:           8
        .value_kind:     by_value
      - .address_space:  global
        .offset:         72
        .size:           8
        .value_kind:     global_buffer
      - .address_space:  global
        .offset:         80
        .size:           8
        .value_kind:     global_buffer
      - .address_space:  global
        .offset:         88
        .size:           8
        .value_kind:     global_buffer
    .group_segment_fixed_size: 0
    .kernarg_segment_align: 8
    .kernarg_segment_size: 96
    .language:       OpenCL C
    .language_version:
      - 2
      - 0
    .max_flat_workgroup_size: 128
    .name:           _ZN4vllm3moe22topkGatingSoftplusSqrtILi8ELi16ELi4ELi16ELi32ELb1Ei14__hip_bfloat16EEvPKT6_PKbPfiPT5_PiiiibdPKfPKS9_SF_
    .private_segment_fixed_size: 48
    .sgpr_count:     40
    .sgpr_spill_count: 0
    .symbol:         _ZN4vllm3moe22topkGatingSoftplusSqrtILi8ELi16ELi4ELi16ELi32ELb1Ei14__hip_bfloat16EEvPKT6_PKbPfiPT5_PiiiibdPKfPKS9_SF_.kd
    .uniform_work_group_size: 1
    .uses_dynamic_stack: false
    .vgpr_count:     28
    .vgpr_spill_count: 0
    .wavefront_size: 64
  - .agpr_count:     0
    .args:
      - .address_space:  global
        .offset:         0
        .size:           8
        .value_kind:     global_buffer
      - .address_space:  global
        .offset:         8
        .size:           8
        .value_kind:     global_buffer
      - .address_space:  global
        .offset:         16
        .size:           8
        .value_kind:     global_buffer
      - .offset:         24
        .size:           4
        .value_kind:     by_value
      - .address_space:  global
        .offset:         32
        .size:           8
        .value_kind:     global_buffer
      - .address_space:  global
        .offset:         40
        .size:           8
        .value_kind:     global_buffer
      - .offset:         48
        .size:           4
        .value_kind:     by_value
      - .offset:         52
        .size:           4
        .value_kind:     by_value
      - .offset:         56
        .size:           4
        .value_kind:     by_value
      - .offset:         60
        .size:           1
        .value_kind:     by_value
      - .offset:         64
        .size:           8
        .value_kind:     by_value
      - .address_space:  global
        .offset:         72
        .size:           8
        .value_kind:     global_buffer
      - .address_space:  global
        .offset:         80
        .size:           8
        .value_kind:     global_buffer
      - .address_space:  global
        .offset:         88
        .size:           8
        .value_kind:     global_buffer
    .group_segment_fixed_size: 0
    .kernarg_segment_align: 8
    .kernarg_segment_size: 96
    .language:       OpenCL C
    .language_version:
      - 2
      - 0
    .max_flat_workgroup_size: 128
    .name:           _ZN4vllm3moe22topkGatingSoftplusSqrtILi8ELi16ELi4ELi16ELi32ELb0Ei14__hip_bfloat16EEvPKT6_PKbPfiPT5_PiiiibdPKfPKS9_SF_
    .private_segment_fixed_size: 0
    .sgpr_count:     49
    .sgpr_spill_count: 0
    .symbol:         _ZN4vllm3moe22topkGatingSoftplusSqrtILi8ELi16ELi4ELi16ELi32ELb0Ei14__hip_bfloat16EEvPKT6_PKbPfiPT5_PiiiibdPKfPKS9_SF_.kd
    .uniform_work_group_size: 1
    .uses_dynamic_stack: false
    .vgpr_count:     24
    .vgpr_spill_count: 0
    .wavefront_size: 64
  - .agpr_count:     0
    .args:
      - .address_space:  global
        .offset:         0
        .size:           8
        .value_kind:     global_buffer
      - .address_space:  global
        .offset:         8
        .size:           8
        .value_kind:     global_buffer
      - .address_space:  global
        .offset:         16
        .size:           8
        .value_kind:     global_buffer
      - .offset:         24
        .size:           4
        .value_kind:     by_value
      - .address_space:  global
        .offset:         32
        .size:           8
        .value_kind:     global_buffer
      - .address_space:  global
        .offset:         40
        .size:           8
        .value_kind:     global_buffer
      - .offset:         48
        .size:           4
        .value_kind:     by_value
      - .offset:         52
        .size:           4
        .value_kind:     by_value
      - .offset:         56
        .size:           4
        .value_kind:     by_value
      - .offset:         60
        .size:           1
        .value_kind:     by_value
      - .offset:         64
        .size:           8
        .value_kind:     by_value
      - .address_space:  global
        .offset:         72
        .size:           8
        .value_kind:     global_buffer
      - .address_space:  global
        .offset:         80
        .size:           8
        .value_kind:     global_buffer
      - .address_space:  global
        .offset:         88
        .size:           8
        .value_kind:     global_buffer
    .group_segment_fixed_size: 0
    .kernarg_segment_align: 8
    .kernarg_segment_size: 96
    .language:       OpenCL C
    .language_version:
      - 2
      - 0
    .max_flat_workgroup_size: 256
    .name:           _ZN4vllm3moe22topkGatingSoftplusSqrtILi8ELi32ELi4ELi16ELi64ELb1Ei14__hip_bfloat16EEvPKT6_PKbPfiPT5_PiiiibdPKfPKS9_SF_
    .private_segment_fixed_size: 48
    .sgpr_count:     40
    .sgpr_spill_count: 0
    .symbol:         _ZN4vllm3moe22topkGatingSoftplusSqrtILi8ELi32ELi4ELi16ELi64ELb1Ei14__hip_bfloat16EEvPKT6_PKbPfiPT5_PiiiibdPKfPKS9_SF_.kd
    .uniform_work_group_size: 1
    .uses_dynamic_stack: false
    .vgpr_count:     28
    .vgpr_spill_count: 0
    .wavefront_size: 64
  - .agpr_count:     0
    .args:
      - .address_space:  global
        .offset:         0
        .size:           8
        .value_kind:     global_buffer
      - .address_space:  global
        .offset:         8
        .size:           8
        .value_kind:     global_buffer
      - .address_space:  global
        .offset:         16
        .size:           8
        .value_kind:     global_buffer
      - .offset:         24
        .size:           4
        .value_kind:     by_value
      - .address_space:  global
        .offset:         32
        .size:           8
        .value_kind:     global_buffer
      - .address_space:  global
        .offset:         40
        .size:           8
        .value_kind:     global_buffer
      - .offset:         48
        .size:           4
        .value_kind:     by_value
      - .offset:         52
        .size:           4
        .value_kind:     by_value
      - .offset:         56
        .size:           4
        .value_kind:     by_value
      - .offset:         60
        .size:           1
        .value_kind:     by_value
      - .offset:         64
        .size:           8
        .value_kind:     by_value
      - .address_space:  global
        .offset:         72
        .size:           8
        .value_kind:     global_buffer
      - .address_space:  global
        .offset:         80
        .size:           8
        .value_kind:     global_buffer
      - .address_space:  global
        .offset:         88
        .size:           8
        .value_kind:     global_buffer
    .group_segment_fixed_size: 0
    .kernarg_segment_align: 8
    .kernarg_segment_size: 96
    .language:       OpenCL C
    .language_version:
      - 2
      - 0
    .max_flat_workgroup_size: 256
    .name:           _ZN4vllm3moe22topkGatingSoftplusSqrtILi8ELi32ELi4ELi16ELi64ELb0Ei14__hip_bfloat16EEvPKT6_PKbPfiPT5_PiiiibdPKfPKS9_SF_
    .private_segment_fixed_size: 0
    .sgpr_count:     49
    .sgpr_spill_count: 0
    .symbol:         _ZN4vllm3moe22topkGatingSoftplusSqrtILi8ELi32ELi4ELi16ELi64ELb0Ei14__hip_bfloat16EEvPKT6_PKbPfiPT5_PiiiibdPKfPKS9_SF_.kd
    .uniform_work_group_size: 1
    .uses_dynamic_stack: false
    .vgpr_count:     24
    .vgpr_spill_count: 0
    .wavefront_size: 64
  - .agpr_count:     0
    .args:
      - .address_space:  global
        .offset:         0
        .size:           8
        .value_kind:     global_buffer
      - .address_space:  global
        .offset:         8
        .size:           8
        .value_kind:     global_buffer
      - .address_space:  global
        .offset:         16
        .size:           8
        .value_kind:     global_buffer
      - .offset:         24
        .size:           4
        .value_kind:     by_value
      - .address_space:  global
        .offset:         32
        .size:           8
        .value_kind:     global_buffer
      - .address_space:  global
        .offset:         40
        .size:           8
        .value_kind:     global_buffer
      - .offset:         48
        .size:           4
        .value_kind:     by_value
      - .offset:         52
        .size:           4
        .value_kind:     by_value
      - .offset:         56
        .size:           4
        .value_kind:     by_value
      - .offset:         60
        .size:           1
        .value_kind:     by_value
      - .offset:         64
        .size:           8
        .value_kind:     by_value
      - .address_space:  global
        .offset:         72
        .size:           8
        .value_kind:     global_buffer
      - .address_space:  global
        .offset:         80
        .size:           8
        .value_kind:     global_buffer
      - .address_space:  global
        .offset:         88
        .size:           8
        .value_kind:     global_buffer
    .group_segment_fixed_size: 0
    .kernarg_segment_align: 8
    .kernarg_segment_size: 96
    .language:       OpenCL C
    .language_version:
      - 2
      - 0
    .max_flat_workgroup_size: 128
    .name:           _ZN4vllm3moe22topkGatingSoftplusSqrtILi8ELi32ELi4ELi16ELi32ELb1Ei14__hip_bfloat16EEvPKT6_PKbPfiPT5_PiiiibdPKfPKS9_SF_
    .private_segment_fixed_size: 48
    .sgpr_count:     40
    .sgpr_spill_count: 0
    .symbol:         _ZN4vllm3moe22topkGatingSoftplusSqrtILi8ELi32ELi4ELi16ELi32ELb1Ei14__hip_bfloat16EEvPKT6_PKbPfiPT5_PiiiibdPKfPKS9_SF_.kd
    .uniform_work_group_size: 1
    .uses_dynamic_stack: false
    .vgpr_count:     28
    .vgpr_spill_count: 0
    .wavefront_size: 64
  - .agpr_count:     0
    .args:
      - .address_space:  global
        .offset:         0
        .size:           8
        .value_kind:     global_buffer
      - .address_space:  global
        .offset:         8
        .size:           8
        .value_kind:     global_buffer
      - .address_space:  global
        .offset:         16
        .size:           8
        .value_kind:     global_buffer
      - .offset:         24
        .size:           4
        .value_kind:     by_value
      - .address_space:  global
        .offset:         32
        .size:           8
        .value_kind:     global_buffer
      - .address_space:  global
        .offset:         40
        .size:           8
        .value_kind:     global_buffer
      - .offset:         48
        .size:           4
        .value_kind:     by_value
      - .offset:         52
        .size:           4
        .value_kind:     by_value
      - .offset:         56
        .size:           4
        .value_kind:     by_value
      - .offset:         60
        .size:           1
        .value_kind:     by_value
      - .offset:         64
        .size:           8
        .value_kind:     by_value
      - .address_space:  global
        .offset:         72
        .size:           8
        .value_kind:     global_buffer
      - .address_space:  global
        .offset:         80
        .size:           8
        .value_kind:     global_buffer
      - .address_space:  global
        .offset:         88
        .size:           8
        .value_kind:     global_buffer
    .group_segment_fixed_size: 0
    .kernarg_segment_align: 8
    .kernarg_segment_size: 96
    .language:       OpenCL C
    .language_version:
      - 2
      - 0
    .max_flat_workgroup_size: 128
    .name:           _ZN4vllm3moe22topkGatingSoftplusSqrtILi8ELi32ELi4ELi16ELi32ELb0Ei14__hip_bfloat16EEvPKT6_PKbPfiPT5_PiiiibdPKfPKS9_SF_
    .private_segment_fixed_size: 0
    .sgpr_count:     49
    .sgpr_spill_count: 0
    .symbol:         _ZN4vllm3moe22topkGatingSoftplusSqrtILi8ELi32ELi4ELi16ELi32ELb0Ei14__hip_bfloat16EEvPKT6_PKbPfiPT5_PiiiibdPKfPKS9_SF_.kd
    .uniform_work_group_size: 1
    .uses_dynamic_stack: false
    .vgpr_count:     24
    .vgpr_spill_count: 0
    .wavefront_size: 64
  - .agpr_count:     0
    .args:
      - .address_space:  global
        .offset:         0
        .size:           8
        .value_kind:     global_buffer
      - .address_space:  global
        .offset:         8
        .size:           8
        .value_kind:     global_buffer
      - .address_space:  global
        .offset:         16
        .size:           8
        .value_kind:     global_buffer
      - .offset:         24
        .size:           4
        .value_kind:     by_value
      - .address_space:  global
        .offset:         32
        .size:           8
        .value_kind:     global_buffer
      - .address_space:  global
        .offset:         40
        .size:           8
        .value_kind:     global_buffer
      - .offset:         48
        .size:           4
        .value_kind:     by_value
      - .offset:         52
        .size:           4
        .value_kind:     by_value
      - .offset:         56
        .size:           4
        .value_kind:     by_value
      - .offset:         60
        .size:           1
        .value_kind:     by_value
      - .offset:         64
        .size:           8
        .value_kind:     by_value
      - .address_space:  global
        .offset:         72
        .size:           8
        .value_kind:     global_buffer
      - .address_space:  global
        .offset:         80
        .size:           8
        .value_kind:     global_buffer
      - .address_space:  global
        .offset:         88
        .size:           8
        .value_kind:     global_buffer
    .group_segment_fixed_size: 0
    .kernarg_segment_align: 8
    .kernarg_segment_size: 96
    .language:       OpenCL C
    .language_version:
      - 2
      - 0
    .max_flat_workgroup_size: 256
    .name:           _ZN4vllm3moe22topkGatingSoftplusSqrtILi8ELi64ELi4ELi16ELi64ELb1Ei14__hip_bfloat16EEvPKT6_PKbPfiPT5_PiiiibdPKfPKS9_SF_
    .private_segment_fixed_size: 48
    .sgpr_count:     40
    .sgpr_spill_count: 0
    .symbol:         _ZN4vllm3moe22topkGatingSoftplusSqrtILi8ELi64ELi4ELi16ELi64ELb1Ei14__hip_bfloat16EEvPKT6_PKbPfiPT5_PiiiibdPKfPKS9_SF_.kd
    .uniform_work_group_size: 1
    .uses_dynamic_stack: false
    .vgpr_count:     28
    .vgpr_spill_count: 0
    .wavefront_size: 64
  - .agpr_count:     0
    .args:
      - .address_space:  global
        .offset:         0
        .size:           8
        .value_kind:     global_buffer
      - .address_space:  global
        .offset:         8
        .size:           8
        .value_kind:     global_buffer
      - .address_space:  global
        .offset:         16
        .size:           8
        .value_kind:     global_buffer
      - .offset:         24
        .size:           4
        .value_kind:     by_value
      - .address_space:  global
        .offset:         32
        .size:           8
        .value_kind:     global_buffer
      - .address_space:  global
        .offset:         40
        .size:           8
        .value_kind:     global_buffer
      - .offset:         48
        .size:           4
        .value_kind:     by_value
      - .offset:         52
        .size:           4
        .value_kind:     by_value
      - .offset:         56
        .size:           4
        .value_kind:     by_value
      - .offset:         60
        .size:           1
        .value_kind:     by_value
      - .offset:         64
        .size:           8
        .value_kind:     by_value
      - .address_space:  global
        .offset:         72
        .size:           8
        .value_kind:     global_buffer
      - .address_space:  global
        .offset:         80
        .size:           8
        .value_kind:     global_buffer
      - .address_space:  global
        .offset:         88
        .size:           8
        .value_kind:     global_buffer
    .group_segment_fixed_size: 0
    .kernarg_segment_align: 8
    .kernarg_segment_size: 96
    .language:       OpenCL C
    .language_version:
      - 2
      - 0
    .max_flat_workgroup_size: 256
    .name:           _ZN4vllm3moe22topkGatingSoftplusSqrtILi8ELi64ELi4ELi16ELi64ELb0Ei14__hip_bfloat16EEvPKT6_PKbPfiPT5_PiiiibdPKfPKS9_SF_
    .private_segment_fixed_size: 0
    .sgpr_count:     49
    .sgpr_spill_count: 0
    .symbol:         _ZN4vllm3moe22topkGatingSoftplusSqrtILi8ELi64ELi4ELi16ELi64ELb0Ei14__hip_bfloat16EEvPKT6_PKbPfiPT5_PiiiibdPKfPKS9_SF_.kd
    .uniform_work_group_size: 1
    .uses_dynamic_stack: false
    .vgpr_count:     26
    .vgpr_spill_count: 0
    .wavefront_size: 64
  - .agpr_count:     0
    .args:
      - .address_space:  global
        .offset:         0
        .size:           8
        .value_kind:     global_buffer
      - .address_space:  global
        .offset:         8
        .size:           8
        .value_kind:     global_buffer
      - .address_space:  global
        .offset:         16
        .size:           8
        .value_kind:     global_buffer
      - .offset:         24
        .size:           4
        .value_kind:     by_value
      - .address_space:  global
        .offset:         32
        .size:           8
        .value_kind:     global_buffer
      - .address_space:  global
        .offset:         40
        .size:           8
        .value_kind:     global_buffer
      - .offset:         48
        .size:           4
        .value_kind:     by_value
      - .offset:         52
        .size:           4
        .value_kind:     by_value
      - .offset:         56
        .size:           4
        .value_kind:     by_value
      - .offset:         60
        .size:           1
        .value_kind:     by_value
      - .offset:         64
        .size:           8
        .value_kind:     by_value
      - .address_space:  global
        .offset:         72
        .size:           8
        .value_kind:     global_buffer
      - .address_space:  global
        .offset:         80
        .size:           8
        .value_kind:     global_buffer
      - .address_space:  global
        .offset:         88
        .size:           8
        .value_kind:     global_buffer
    .group_segment_fixed_size: 0
    .kernarg_segment_align: 8
    .kernarg_segment_size: 96
    .language:       OpenCL C
    .language_version:
      - 2
      - 0
    .max_flat_workgroup_size: 128
    .name:           _ZN4vllm3moe22topkGatingSoftplusSqrtILi8ELi64ELi4ELi16ELi32ELb1Ei14__hip_bfloat16EEvPKT6_PKbPfiPT5_PiiiibdPKfPKS9_SF_
    .private_segment_fixed_size: 48
    .sgpr_count:     40
    .sgpr_spill_count: 0
    .symbol:         _ZN4vllm3moe22topkGatingSoftplusSqrtILi8ELi64ELi4ELi16ELi32ELb1Ei14__hip_bfloat16EEvPKT6_PKbPfiPT5_PiiiibdPKfPKS9_SF_.kd
    .uniform_work_group_size: 1
    .uses_dynamic_stack: false
    .vgpr_count:     28
    .vgpr_spill_count: 0
    .wavefront_size: 64
  - .agpr_count:     0
    .args:
      - .address_space:  global
        .offset:         0
        .size:           8
        .value_kind:     global_buffer
      - .address_space:  global
        .offset:         8
        .size:           8
        .value_kind:     global_buffer
      - .address_space:  global
        .offset:         16
        .size:           8
        .value_kind:     global_buffer
      - .offset:         24
        .size:           4
        .value_kind:     by_value
      - .address_space:  global
        .offset:         32
        .size:           8
        .value_kind:     global_buffer
      - .address_space:  global
        .offset:         40
        .size:           8
        .value_kind:     global_buffer
      - .offset:         48
        .size:           4
        .value_kind:     by_value
      - .offset:         52
        .size:           4
        .value_kind:     by_value
      - .offset:         56
        .size:           4
        .value_kind:     by_value
      - .offset:         60
        .size:           1
        .value_kind:     by_value
      - .offset:         64
        .size:           8
        .value_kind:     by_value
      - .address_space:  global
        .offset:         72
        .size:           8
        .value_kind:     global_buffer
      - .address_space:  global
        .offset:         80
        .size:           8
        .value_kind:     global_buffer
      - .address_space:  global
        .offset:         88
        .size:           8
        .value_kind:     global_buffer
    .group_segment_fixed_size: 0
    .kernarg_segment_align: 8
    .kernarg_segment_size: 96
    .language:       OpenCL C
    .language_version:
      - 2
      - 0
    .max_flat_workgroup_size: 128
    .name:           _ZN4vllm3moe22topkGatingSoftplusSqrtILi8ELi64ELi4ELi16ELi32ELb0Ei14__hip_bfloat16EEvPKT6_PKbPfiPT5_PiiiibdPKfPKS9_SF_
    .private_segment_fixed_size: 0
    .sgpr_count:     49
    .sgpr_spill_count: 0
    .symbol:         _ZN4vllm3moe22topkGatingSoftplusSqrtILi8ELi64ELi4ELi16ELi32ELb0Ei14__hip_bfloat16EEvPKT6_PKbPfiPT5_PiiiibdPKfPKS9_SF_.kd
    .uniform_work_group_size: 1
    .uses_dynamic_stack: false
    .vgpr_count:     26
    .vgpr_spill_count: 0
    .wavefront_size: 64
  - .agpr_count:     0
    .args:
      - .address_space:  global
        .offset:         0
        .size:           8
        .value_kind:     global_buffer
      - .address_space:  global
        .offset:         8
        .size:           8
        .value_kind:     global_buffer
      - .address_space:  global
        .offset:         16
        .size:           8
        .value_kind:     global_buffer
      - .offset:         24
        .size:           4
        .value_kind:     by_value
      - .address_space:  global
        .offset:         32
        .size:           8
        .value_kind:     global_buffer
      - .address_space:  global
        .offset:         40
        .size:           8
        .value_kind:     global_buffer
      - .offset:         48
        .size:           4
        .value_kind:     by_value
      - .offset:         52
        .size:           4
        .value_kind:     by_value
      - .offset:         56
        .size:           4
        .value_kind:     by_value
      - .offset:         60
        .size:           1
        .value_kind:     by_value
      - .offset:         64
        .size:           8
        .value_kind:     by_value
      - .address_space:  global
        .offset:         72
        .size:           8
        .value_kind:     global_buffer
      - .address_space:  global
        .offset:         80
        .size:           8
        .value_kind:     global_buffer
      - .address_space:  global
        .offset:         88
        .size:           8
        .value_kind:     global_buffer
    .group_segment_fixed_size: 0
    .kernarg_segment_align: 8
    .kernarg_segment_size: 96
    .language:       OpenCL C
    .language_version:
      - 2
      - 0
    .max_flat_workgroup_size: 256
    .name:           _ZN4vllm3moe22topkGatingSoftplusSqrtILi8ELi128ELi4ELi16ELi64ELb1Ei14__hip_bfloat16EEvPKT6_PKbPfiPT5_PiiiibdPKfPKS9_SF_
    .private_segment_fixed_size: 48
    .sgpr_count:     40
    .sgpr_spill_count: 0
    .symbol:         _ZN4vllm3moe22topkGatingSoftplusSqrtILi8ELi128ELi4ELi16ELi64ELb1Ei14__hip_bfloat16EEvPKT6_PKbPfiPT5_PiiiibdPKfPKS9_SF_.kd
    .uniform_work_group_size: 1
    .uses_dynamic_stack: false
    .vgpr_count:     28
    .vgpr_spill_count: 0
    .wavefront_size: 64
  - .agpr_count:     0
    .args:
      - .address_space:  global
        .offset:         0
        .size:           8
        .value_kind:     global_buffer
      - .address_space:  global
        .offset:         8
        .size:           8
        .value_kind:     global_buffer
      - .address_space:  global
        .offset:         16
        .size:           8
        .value_kind:     global_buffer
      - .offset:         24
        .size:           4
        .value_kind:     by_value
      - .address_space:  global
        .offset:         32
        .size:           8
        .value_kind:     global_buffer
      - .address_space:  global
        .offset:         40
        .size:           8
        .value_kind:     global_buffer
      - .offset:         48
        .size:           4
        .value_kind:     by_value
      - .offset:         52
        .size:           4
        .value_kind:     by_value
      - .offset:         56
        .size:           4
        .value_kind:     by_value
      - .offset:         60
        .size:           1
        .value_kind:     by_value
      - .offset:         64
        .size:           8
        .value_kind:     by_value
      - .address_space:  global
        .offset:         72
        .size:           8
        .value_kind:     global_buffer
      - .address_space:  global
        .offset:         80
        .size:           8
        .value_kind:     global_buffer
      - .address_space:  global
        .offset:         88
        .size:           8
        .value_kind:     global_buffer
    .group_segment_fixed_size: 0
    .kernarg_segment_align: 8
    .kernarg_segment_size: 96
    .language:       OpenCL C
    .language_version:
      - 2
      - 0
    .max_flat_workgroup_size: 256
    .name:           _ZN4vllm3moe22topkGatingSoftplusSqrtILi8ELi128ELi4ELi16ELi64ELb0Ei14__hip_bfloat16EEvPKT6_PKbPfiPT5_PiiiibdPKfPKS9_SF_
    .private_segment_fixed_size: 0
    .sgpr_count:     49
    .sgpr_spill_count: 0
    .symbol:         _ZN4vllm3moe22topkGatingSoftplusSqrtILi8ELi128ELi4ELi16ELi64ELb0Ei14__hip_bfloat16EEvPKT6_PKbPfiPT5_PiiiibdPKfPKS9_SF_.kd
    .uniform_work_group_size: 1
    .uses_dynamic_stack: false
    .vgpr_count:     28
    .vgpr_spill_count: 0
    .wavefront_size: 64
  - .agpr_count:     0
    .args:
      - .address_space:  global
        .offset:         0
        .size:           8
        .value_kind:     global_buffer
      - .address_space:  global
        .offset:         8
        .size:           8
        .value_kind:     global_buffer
      - .address_space:  global
        .offset:         16
        .size:           8
        .value_kind:     global_buffer
      - .offset:         24
        .size:           4
        .value_kind:     by_value
      - .address_space:  global
        .offset:         32
        .size:           8
        .value_kind:     global_buffer
      - .address_space:  global
        .offset:         40
        .size:           8
        .value_kind:     global_buffer
      - .offset:         48
        .size:           4
        .value_kind:     by_value
      - .offset:         52
        .size:           4
        .value_kind:     by_value
      - .offset:         56
        .size:           4
        .value_kind:     by_value
      - .offset:         60
        .size:           1
        .value_kind:     by_value
      - .offset:         64
        .size:           8
        .value_kind:     by_value
      - .address_space:  global
        .offset:         72
        .size:           8
        .value_kind:     global_buffer
      - .address_space:  global
        .offset:         80
        .size:           8
        .value_kind:     global_buffer
      - .address_space:  global
        .offset:         88
        .size:           8
        .value_kind:     global_buffer
    .group_segment_fixed_size: 0
    .kernarg_segment_align: 8
    .kernarg_segment_size: 96
    .language:       OpenCL C
    .language_version:
      - 2
      - 0
    .max_flat_workgroup_size: 128
    .name:           _ZN4vllm3moe22topkGatingSoftplusSqrtILi8ELi128ELi4ELi16ELi32ELb1Ei14__hip_bfloat16EEvPKT6_PKbPfiPT5_PiiiibdPKfPKS9_SF_
    .private_segment_fixed_size: 48
    .sgpr_count:     40
    .sgpr_spill_count: 0
    .symbol:         _ZN4vllm3moe22topkGatingSoftplusSqrtILi8ELi128ELi4ELi16ELi32ELb1Ei14__hip_bfloat16EEvPKT6_PKbPfiPT5_PiiiibdPKfPKS9_SF_.kd
    .uniform_work_group_size: 1
    .uses_dynamic_stack: false
    .vgpr_count:     28
    .vgpr_spill_count: 0
    .wavefront_size: 64
  - .agpr_count:     0
    .args:
      - .address_space:  global
        .offset:         0
        .size:           8
        .value_kind:     global_buffer
      - .address_space:  global
        .offset:         8
        .size:           8
        .value_kind:     global_buffer
      - .address_space:  global
        .offset:         16
        .size:           8
        .value_kind:     global_buffer
      - .offset:         24
        .size:           4
        .value_kind:     by_value
      - .address_space:  global
        .offset:         32
        .size:           8
        .value_kind:     global_buffer
      - .address_space:  global
        .offset:         40
        .size:           8
        .value_kind:     global_buffer
      - .offset:         48
        .size:           4
        .value_kind:     by_value
      - .offset:         52
        .size:           4
        .value_kind:     by_value
      - .offset:         56
        .size:           4
        .value_kind:     by_value
      - .offset:         60
        .size:           1
        .value_kind:     by_value
      - .offset:         64
        .size:           8
        .value_kind:     by_value
      - .address_space:  global
        .offset:         72
        .size:           8
        .value_kind:     global_buffer
      - .address_space:  global
        .offset:         80
        .size:           8
        .value_kind:     global_buffer
      - .address_space:  global
        .offset:         88
        .size:           8
        .value_kind:     global_buffer
    .group_segment_fixed_size: 0
    .kernarg_segment_align: 8
    .kernarg_segment_size: 96
    .language:       OpenCL C
    .language_version:
      - 2
      - 0
    .max_flat_workgroup_size: 128
    .name:           _ZN4vllm3moe22topkGatingSoftplusSqrtILi8ELi128ELi4ELi16ELi32ELb0Ei14__hip_bfloat16EEvPKT6_PKbPfiPT5_PiiiibdPKfPKS9_SF_
    .private_segment_fixed_size: 0
    .sgpr_count:     49
    .sgpr_spill_count: 0
    .symbol:         _ZN4vllm3moe22topkGatingSoftplusSqrtILi8ELi128ELi4ELi16ELi32ELb0Ei14__hip_bfloat16EEvPKT6_PKbPfiPT5_PiiiibdPKfPKS9_SF_.kd
    .uniform_work_group_size: 1
    .uses_dynamic_stack: false
    .vgpr_count:     28
    .vgpr_spill_count: 0
    .wavefront_size: 64
  - .agpr_count:     0
    .args:
      - .address_space:  global
        .offset:         0
        .size:           8
        .value_kind:     global_buffer
      - .address_space:  global
        .offset:         8
        .size:           8
        .value_kind:     global_buffer
      - .address_space:  global
        .offset:         16
        .size:           8
        .value_kind:     global_buffer
      - .offset:         24
        .size:           4
        .value_kind:     by_value
      - .address_space:  global
        .offset:         32
        .size:           8
        .value_kind:     global_buffer
      - .address_space:  global
        .offset:         40
        .size:           8
        .value_kind:     global_buffer
      - .offset:         48
        .size:           4
        .value_kind:     by_value
      - .offset:         52
        .size:           4
        .value_kind:     by_value
      - .offset:         56
        .size:           4
        .value_kind:     by_value
      - .offset:         60
        .size:           1
        .value_kind:     by_value
      - .offset:         64
        .size:           8
        .value_kind:     by_value
      - .address_space:  global
        .offset:         72
        .size:           8
        .value_kind:     global_buffer
      - .address_space:  global
        .offset:         80
        .size:           8
        .value_kind:     global_buffer
      - .address_space:  global
        .offset:         88
        .size:           8
        .value_kind:     global_buffer
    .group_segment_fixed_size: 0
    .kernarg_segment_align: 8
    .kernarg_segment_size: 96
    .language:       OpenCL C
    .language_version:
      - 2
      - 0
    .max_flat_workgroup_size: 256
    .name:           _ZN4vllm3moe22topkGatingSoftplusSqrtILi8ELi256ELi4ELi16ELi64ELb1Ei14__hip_bfloat16EEvPKT6_PKbPfiPT5_PiiiibdPKfPKS9_SF_
    .private_segment_fixed_size: 48
    .sgpr_count:     40
    .sgpr_spill_count: 0
    .symbol:         _ZN4vllm3moe22topkGatingSoftplusSqrtILi8ELi256ELi4ELi16ELi64ELb1Ei14__hip_bfloat16EEvPKT6_PKbPfiPT5_PiiiibdPKfPKS9_SF_.kd
    .uniform_work_group_size: 1
    .uses_dynamic_stack: false
    .vgpr_count:     28
    .vgpr_spill_count: 0
    .wavefront_size: 64
  - .agpr_count:     0
    .args:
      - .address_space:  global
        .offset:         0
        .size:           8
        .value_kind:     global_buffer
      - .address_space:  global
        .offset:         8
        .size:           8
        .value_kind:     global_buffer
      - .address_space:  global
        .offset:         16
        .size:           8
        .value_kind:     global_buffer
      - .offset:         24
        .size:           4
        .value_kind:     by_value
      - .address_space:  global
        .offset:         32
        .size:           8
        .value_kind:     global_buffer
      - .address_space:  global
        .offset:         40
        .size:           8
        .value_kind:     global_buffer
      - .offset:         48
        .size:           4
        .value_kind:     by_value
      - .offset:         52
        .size:           4
        .value_kind:     by_value
      - .offset:         56
        .size:           4
        .value_kind:     by_value
      - .offset:         60
        .size:           1
        .value_kind:     by_value
      - .offset:         64
        .size:           8
        .value_kind:     by_value
      - .address_space:  global
        .offset:         72
        .size:           8
        .value_kind:     global_buffer
      - .address_space:  global
        .offset:         80
        .size:           8
        .value_kind:     global_buffer
      - .address_space:  global
        .offset:         88
        .size:           8
        .value_kind:     global_buffer
    .group_segment_fixed_size: 0
    .kernarg_segment_align: 8
    .kernarg_segment_size: 96
    .language:       OpenCL C
    .language_version:
      - 2
      - 0
    .max_flat_workgroup_size: 256
    .name:           _ZN4vllm3moe22topkGatingSoftplusSqrtILi8ELi256ELi4ELi16ELi64ELb0Ei14__hip_bfloat16EEvPKT6_PKbPfiPT5_PiiiibdPKfPKS9_SF_
    .private_segment_fixed_size: 0
    .sgpr_count:     49
    .sgpr_spill_count: 0
    .symbol:         _ZN4vllm3moe22topkGatingSoftplusSqrtILi8ELi256ELi4ELi16ELi64ELb0Ei14__hip_bfloat16EEvPKT6_PKbPfiPT5_PiiiibdPKfPKS9_SF_.kd
    .uniform_work_group_size: 1
    .uses_dynamic_stack: false
    .vgpr_count:     28
    .vgpr_spill_count: 0
    .wavefront_size: 64
  - .agpr_count:     0
    .args:
      - .address_space:  global
        .offset:         0
        .size:           8
        .value_kind:     global_buffer
      - .address_space:  global
        .offset:         8
        .size:           8
        .value_kind:     global_buffer
      - .address_space:  global
        .offset:         16
        .size:           8
        .value_kind:     global_buffer
      - .offset:         24
        .size:           4
        .value_kind:     by_value
      - .address_space:  global
        .offset:         32
        .size:           8
        .value_kind:     global_buffer
      - .address_space:  global
        .offset:         40
        .size:           8
        .value_kind:     global_buffer
      - .offset:         48
        .size:           4
        .value_kind:     by_value
      - .offset:         52
        .size:           4
        .value_kind:     by_value
      - .offset:         56
        .size:           4
        .value_kind:     by_value
      - .offset:         60
        .size:           1
        .value_kind:     by_value
      - .offset:         64
        .size:           8
        .value_kind:     by_value
      - .address_space:  global
        .offset:         72
        .size:           8
        .value_kind:     global_buffer
      - .address_space:  global
        .offset:         80
        .size:           8
        .value_kind:     global_buffer
      - .address_space:  global
        .offset:         88
        .size:           8
        .value_kind:     global_buffer
    .group_segment_fixed_size: 0
    .kernarg_segment_align: 8
    .kernarg_segment_size: 96
    .language:       OpenCL C
    .language_version:
      - 2
      - 0
    .max_flat_workgroup_size: 128
    .name:           _ZN4vllm3moe22topkGatingSoftplusSqrtILi8ELi256ELi4ELi16ELi32ELb1Ei14__hip_bfloat16EEvPKT6_PKbPfiPT5_PiiiibdPKfPKS9_SF_
    .private_segment_fixed_size: 48
    .sgpr_count:     40
    .sgpr_spill_count: 0
    .symbol:         _ZN4vllm3moe22topkGatingSoftplusSqrtILi8ELi256ELi4ELi16ELi32ELb1Ei14__hip_bfloat16EEvPKT6_PKbPfiPT5_PiiiibdPKfPKS9_SF_.kd
    .uniform_work_group_size: 1
    .uses_dynamic_stack: false
    .vgpr_count:     28
    .vgpr_spill_count: 0
    .wavefront_size: 64
  - .agpr_count:     0
    .args:
      - .address_space:  global
        .offset:         0
        .size:           8
        .value_kind:     global_buffer
      - .address_space:  global
        .offset:         8
        .size:           8
        .value_kind:     global_buffer
      - .address_space:  global
        .offset:         16
        .size:           8
        .value_kind:     global_buffer
      - .offset:         24
        .size:           4
        .value_kind:     by_value
      - .address_space:  global
        .offset:         32
        .size:           8
        .value_kind:     global_buffer
      - .address_space:  global
        .offset:         40
        .size:           8
        .value_kind:     global_buffer
      - .offset:         48
        .size:           4
        .value_kind:     by_value
      - .offset:         52
        .size:           4
        .value_kind:     by_value
      - .offset:         56
        .size:           4
        .value_kind:     by_value
      - .offset:         60
        .size:           1
        .value_kind:     by_value
      - .offset:         64
        .size:           8
        .value_kind:     by_value
      - .address_space:  global
        .offset:         72
        .size:           8
        .value_kind:     global_buffer
      - .address_space:  global
        .offset:         80
        .size:           8
        .value_kind:     global_buffer
      - .address_space:  global
        .offset:         88
        .size:           8
        .value_kind:     global_buffer
    .group_segment_fixed_size: 0
    .kernarg_segment_align: 8
    .kernarg_segment_size: 96
    .language:       OpenCL C
    .language_version:
      - 2
      - 0
    .max_flat_workgroup_size: 128
    .name:           _ZN4vllm3moe22topkGatingSoftplusSqrtILi8ELi256ELi4ELi16ELi32ELb0Ei14__hip_bfloat16EEvPKT6_PKbPfiPT5_PiiiibdPKfPKS9_SF_
    .private_segment_fixed_size: 0
    .sgpr_count:     49
    .sgpr_spill_count: 0
    .symbol:         _ZN4vllm3moe22topkGatingSoftplusSqrtILi8ELi256ELi4ELi16ELi32ELb0Ei14__hip_bfloat16EEvPKT6_PKbPfiPT5_PiiiibdPKfPKS9_SF_.kd
    .uniform_work_group_size: 1
    .uses_dynamic_stack: false
    .vgpr_count:     28
    .vgpr_spill_count: 0
    .wavefront_size: 64
  - .agpr_count:     0
    .args:
      - .address_space:  global
        .offset:         0
        .size:           8
        .value_kind:     global_buffer
      - .address_space:  global
        .offset:         8
        .size:           8
        .value_kind:     global_buffer
      - .address_space:  global
        .offset:         16
        .size:           8
        .value_kind:     global_buffer
      - .offset:         24
        .size:           4
        .value_kind:     by_value
      - .address_space:  global
        .offset:         32
        .size:           8
        .value_kind:     global_buffer
      - .address_space:  global
        .offset:         40
        .size:           8
        .value_kind:     global_buffer
      - .offset:         48
        .size:           4
        .value_kind:     by_value
      - .offset:         52
        .size:           4
        .value_kind:     by_value
      - .offset:         56
        .size:           4
        .value_kind:     by_value
      - .offset:         60
        .size:           1
        .value_kind:     by_value
      - .offset:         64
        .size:           8
        .value_kind:     by_value
      - .address_space:  global
        .offset:         72
        .size:           8
        .value_kind:     global_buffer
      - .address_space:  global
        .offset:         80
        .size:           8
        .value_kind:     global_buffer
      - .address_space:  global
        .offset:         88
        .size:           8
        .value_kind:     global_buffer
    .group_segment_fixed_size: 0
    .kernarg_segment_align: 8
    .kernarg_segment_size: 96
    .language:       OpenCL C
    .language_version:
      - 2
      - 0
    .max_flat_workgroup_size: 256
    .name:           _ZN4vllm3moe22topkGatingSoftplusSqrtILi8ELi512ELi4ELi16ELi64ELb1Ei14__hip_bfloat16EEvPKT6_PKbPfiPT5_PiiiibdPKfPKS9_SF_
    .private_segment_fixed_size: 48
    .sgpr_count:     40
    .sgpr_spill_count: 0
    .symbol:         _ZN4vllm3moe22topkGatingSoftplusSqrtILi8ELi512ELi4ELi16ELi64ELb1Ei14__hip_bfloat16EEvPKT6_PKbPfiPT5_PiiiibdPKfPKS9_SF_.kd
    .uniform_work_group_size: 1
    .uses_dynamic_stack: false
    .vgpr_count:     28
    .vgpr_spill_count: 0
    .wavefront_size: 64
  - .agpr_count:     0
    .args:
      - .address_space:  global
        .offset:         0
        .size:           8
        .value_kind:     global_buffer
      - .address_space:  global
        .offset:         8
        .size:           8
        .value_kind:     global_buffer
      - .address_space:  global
        .offset:         16
        .size:           8
        .value_kind:     global_buffer
      - .offset:         24
        .size:           4
        .value_kind:     by_value
      - .address_space:  global
        .offset:         32
        .size:           8
        .value_kind:     global_buffer
      - .address_space:  global
        .offset:         40
        .size:           8
        .value_kind:     global_buffer
      - .offset:         48
        .size:           4
        .value_kind:     by_value
      - .offset:         52
        .size:           4
        .value_kind:     by_value
      - .offset:         56
        .size:           4
        .value_kind:     by_value
      - .offset:         60
        .size:           1
        .value_kind:     by_value
      - .offset:         64
        .size:           8
        .value_kind:     by_value
      - .address_space:  global
        .offset:         72
        .size:           8
        .value_kind:     global_buffer
      - .address_space:  global
        .offset:         80
        .size:           8
        .value_kind:     global_buffer
      - .address_space:  global
        .offset:         88
        .size:           8
        .value_kind:     global_buffer
    .group_segment_fixed_size: 0
    .kernarg_segment_align: 8
    .kernarg_segment_size: 96
    .language:       OpenCL C
    .language_version:
      - 2
      - 0
    .max_flat_workgroup_size: 256
    .name:           _ZN4vllm3moe22topkGatingSoftplusSqrtILi8ELi512ELi4ELi16ELi64ELb0Ei14__hip_bfloat16EEvPKT6_PKbPfiPT5_PiiiibdPKfPKS9_SF_
    .private_segment_fixed_size: 0
    .sgpr_count:     49
    .sgpr_spill_count: 0
    .symbol:         _ZN4vllm3moe22topkGatingSoftplusSqrtILi8ELi512ELi4ELi16ELi64ELb0Ei14__hip_bfloat16EEvPKT6_PKbPfiPT5_PiiiibdPKfPKS9_SF_.kd
    .uniform_work_group_size: 1
    .uses_dynamic_stack: false
    .vgpr_count:     30
    .vgpr_spill_count: 0
    .wavefront_size: 64
  - .agpr_count:     0
    .args:
      - .address_space:  global
        .offset:         0
        .size:           8
        .value_kind:     global_buffer
      - .address_space:  global
        .offset:         8
        .size:           8
        .value_kind:     global_buffer
      - .address_space:  global
        .offset:         16
        .size:           8
        .value_kind:     global_buffer
      - .offset:         24
        .size:           4
        .value_kind:     by_value
      - .address_space:  global
        .offset:         32
        .size:           8
        .value_kind:     global_buffer
      - .address_space:  global
        .offset:         40
        .size:           8
        .value_kind:     global_buffer
      - .offset:         48
        .size:           4
        .value_kind:     by_value
      - .offset:         52
        .size:           4
        .value_kind:     by_value
      - .offset:         56
        .size:           4
        .value_kind:     by_value
      - .offset:         60
        .size:           1
        .value_kind:     by_value
      - .offset:         64
        .size:           8
        .value_kind:     by_value
      - .address_space:  global
        .offset:         72
        .size:           8
        .value_kind:     global_buffer
      - .address_space:  global
        .offset:         80
        .size:           8
        .value_kind:     global_buffer
      - .address_space:  global
        .offset:         88
        .size:           8
        .value_kind:     global_buffer
    .group_segment_fixed_size: 0
    .kernarg_segment_align: 8
    .kernarg_segment_size: 96
    .language:       OpenCL C
    .language_version:
      - 2
      - 0
    .max_flat_workgroup_size: 128
    .name:           _ZN4vllm3moe22topkGatingSoftplusSqrtILi16ELi512ELi4ELi16ELi32ELb1Ei14__hip_bfloat16EEvPKT6_PKbPfiPT5_PiiiibdPKfPKS9_SF_
    .private_segment_fixed_size: 80
    .sgpr_count:     70
    .sgpr_spill_count: 0
    .symbol:         _ZN4vllm3moe22topkGatingSoftplusSqrtILi16ELi512ELi4ELi16ELi32ELb1Ei14__hip_bfloat16EEvPKT6_PKbPfiPT5_PiiiibdPKfPKS9_SF_.kd
    .uniform_work_group_size: 1
    .uses_dynamic_stack: false
    .vgpr_count:     39
    .vgpr_spill_count: 0
    .wavefront_size: 64
  - .agpr_count:     0
    .args:
      - .address_space:  global
        .offset:         0
        .size:           8
        .value_kind:     global_buffer
      - .address_space:  global
        .offset:         8
        .size:           8
        .value_kind:     global_buffer
      - .address_space:  global
        .offset:         16
        .size:           8
        .value_kind:     global_buffer
      - .offset:         24
        .size:           4
        .value_kind:     by_value
      - .address_space:  global
        .offset:         32
        .size:           8
        .value_kind:     global_buffer
      - .address_space:  global
        .offset:         40
        .size:           8
        .value_kind:     global_buffer
      - .offset:         48
        .size:           4
        .value_kind:     by_value
      - .offset:         52
        .size:           4
        .value_kind:     by_value
      - .offset:         56
        .size:           4
        .value_kind:     by_value
      - .offset:         60
        .size:           1
        .value_kind:     by_value
      - .offset:         64
        .size:           8
        .value_kind:     by_value
      - .address_space:  global
        .offset:         72
        .size:           8
        .value_kind:     global_buffer
      - .address_space:  global
        .offset:         80
        .size:           8
        .value_kind:     global_buffer
      - .address_space:  global
        .offset:         88
        .size:           8
        .value_kind:     global_buffer
    .group_segment_fixed_size: 0
    .kernarg_segment_align: 8
    .kernarg_segment_size: 96
    .language:       OpenCL C
    .language_version:
      - 2
      - 0
    .max_flat_workgroup_size: 128
    .name:           _ZN4vllm3moe22topkGatingSoftplusSqrtILi16ELi512ELi4ELi16ELi32ELb0Ei14__hip_bfloat16EEvPKT6_PKbPfiPT5_PiiiibdPKfPKS9_SF_
    .private_segment_fixed_size: 0
    .sgpr_count:     65
    .sgpr_spill_count: 0
    .symbol:         _ZN4vllm3moe22topkGatingSoftplusSqrtILi16ELi512ELi4ELi16ELi32ELb0Ei14__hip_bfloat16EEvPKT6_PKbPfiPT5_PiiiibdPKfPKS9_SF_.kd
    .uniform_work_group_size: 1
    .uses_dynamic_stack: false
    .vgpr_count:     44
    .vgpr_spill_count: 0
    .wavefront_size: 64
  - .agpr_count:     0
    .args:
      - .address_space:  global
        .offset:         0
        .size:           8
        .value_kind:     global_buffer
      - .address_space:  global
        .offset:         8
        .size:           8
        .value_kind:     global_buffer
      - .address_space:  global
        .offset:         16
        .size:           8
        .value_kind:     global_buffer
      - .offset:         24
        .size:           4
        .value_kind:     by_value
      - .address_space:  global
        .offset:         32
        .size:           8
        .value_kind:     global_buffer
      - .address_space:  global
        .offset:         40
        .size:           8
        .value_kind:     global_buffer
      - .offset:         48
        .size:           4
        .value_kind:     by_value
      - .offset:         52
        .size:           4
        .value_kind:     by_value
      - .offset:         56
        .size:           4
        .value_kind:     by_value
      - .offset:         60
        .size:           1
        .value_kind:     by_value
      - .offset:         64
        .size:           8
        .value_kind:     by_value
      - .address_space:  global
        .offset:         72
        .size:           8
        .value_kind:     global_buffer
      - .address_space:  global
        .offset:         80
        .size:           8
        .value_kind:     global_buffer
      - .address_space:  global
        .offset:         88
        .size:           8
        .value_kind:     global_buffer
    .group_segment_fixed_size: 0
    .kernarg_segment_align: 8
    .kernarg_segment_size: 96
    .language:       OpenCL C
    .language_version:
      - 2
      - 0
    .max_flat_workgroup_size: 256
    .name:           _ZN4vllm3moe22topkGatingSoftplusSqrtILi3ELi192ELi4ELi2ELi64ELb1Ei14__hip_bfloat16EEvPKT6_PKbPfiPT5_PiiiibdPKfPKS9_SF_
    .private_segment_fixed_size: 0
    .sgpr_count:     27
    .sgpr_spill_count: 0
    .symbol:         _ZN4vllm3moe22topkGatingSoftplusSqrtILi3ELi192ELi4ELi2ELi64ELb1Ei14__hip_bfloat16EEvPKT6_PKbPfiPT5_PiiiibdPKfPKS9_SF_.kd
    .uniform_work_group_size: 1
    .uses_dynamic_stack: false
    .vgpr_count:     22
    .vgpr_spill_count: 0
    .wavefront_size: 64
  - .agpr_count:     0
    .args:
      - .address_space:  global
        .offset:         0
        .size:           8
        .value_kind:     global_buffer
      - .address_space:  global
        .offset:         8
        .size:           8
        .value_kind:     global_buffer
      - .address_space:  global
        .offset:         16
        .size:           8
        .value_kind:     global_buffer
      - .offset:         24
        .size:           4
        .value_kind:     by_value
      - .address_space:  global
        .offset:         32
        .size:           8
        .value_kind:     global_buffer
      - .address_space:  global
        .offset:         40
        .size:           8
        .value_kind:     global_buffer
      - .offset:         48
        .size:           4
        .value_kind:     by_value
      - .offset:         52
        .size:           4
        .value_kind:     by_value
      - .offset:         56
        .size:           4
        .value_kind:     by_value
      - .offset:         60
        .size:           1
        .value_kind:     by_value
      - .offset:         64
        .size:           8
        .value_kind:     by_value
      - .address_space:  global
        .offset:         72
        .size:           8
        .value_kind:     global_buffer
      - .address_space:  global
        .offset:         80
        .size:           8
        .value_kind:     global_buffer
      - .address_space:  global
        .offset:         88
        .size:           8
        .value_kind:     global_buffer
    .group_segment_fixed_size: 0
    .kernarg_segment_align: 8
    .kernarg_segment_size: 96
    .language:       OpenCL C
    .language_version:
      - 2
      - 0
    .max_flat_workgroup_size: 256
    .name:           _ZN4vllm3moe22topkGatingSoftplusSqrtILi3ELi192ELi4ELi2ELi64ELb0Ei14__hip_bfloat16EEvPKT6_PKbPfiPT5_PiiiibdPKfPKS9_SF_
    .private_segment_fixed_size: 0
    .sgpr_count:     37
    .sgpr_spill_count: 0
    .symbol:         _ZN4vllm3moe22topkGatingSoftplusSqrtILi3ELi192ELi4ELi2ELi64ELb0Ei14__hip_bfloat16EEvPKT6_PKbPfiPT5_PiiiibdPKfPKS9_SF_.kd
    .uniform_work_group_size: 1
    .uses_dynamic_stack: false
    .vgpr_count:     26
    .vgpr_spill_count: 0
    .wavefront_size: 64
  - .agpr_count:     0
    .args:
      - .address_space:  global
        .offset:         0
        .size:           8
        .value_kind:     global_buffer
      - .address_space:  global
        .offset:         8
        .size:           8
        .value_kind:     global_buffer
      - .address_space:  global
        .offset:         16
        .size:           8
        .value_kind:     global_buffer
      - .offset:         24
        .size:           4
        .value_kind:     by_value
      - .address_space:  global
        .offset:         32
        .size:           8
        .value_kind:     global_buffer
      - .address_space:  global
        .offset:         40
        .size:           8
        .value_kind:     global_buffer
      - .offset:         48
        .size:           4
        .value_kind:     by_value
      - .offset:         52
        .size:           4
        .value_kind:     by_value
      - .offset:         56
        .size:           4
        .value_kind:     by_value
      - .offset:         60
        .size:           1
        .value_kind:     by_value
      - .offset:         64
        .size:           8
        .value_kind:     by_value
      - .address_space:  global
        .offset:         72
        .size:           8
        .value_kind:     global_buffer
      - .address_space:  global
        .offset:         80
        .size:           8
        .value_kind:     global_buffer
      - .address_space:  global
        .offset:         88
        .size:           8
        .value_kind:     global_buffer
    .group_segment_fixed_size: 0
    .kernarg_segment_align: 8
    .kernarg_segment_size: 96
    .language:       OpenCL C
    .language_version:
      - 2
      - 0
    .max_flat_workgroup_size: 128
    .name:           _ZN4vllm3moe22topkGatingSoftplusSqrtILi6ELi192ELi4ELi2ELi32ELb1Ei14__hip_bfloat16EEvPKT6_PKbPfiPT5_PiiiibdPKfPKS9_SF_
    .private_segment_fixed_size: 0
    .sgpr_count:     31
    .sgpr_spill_count: 0
    .symbol:         _ZN4vllm3moe22topkGatingSoftplusSqrtILi6ELi192ELi4ELi2ELi32ELb1Ei14__hip_bfloat16EEvPKT6_PKbPfiPT5_PiiiibdPKfPKS9_SF_.kd
    .uniform_work_group_size: 1
    .uses_dynamic_stack: false
    .vgpr_count:     27
    .vgpr_spill_count: 0
    .wavefront_size: 64
  - .agpr_count:     0
    .args:
      - .address_space:  global
        .offset:         0
        .size:           8
        .value_kind:     global_buffer
      - .address_space:  global
        .offset:         8
        .size:           8
        .value_kind:     global_buffer
      - .address_space:  global
        .offset:         16
        .size:           8
        .value_kind:     global_buffer
      - .offset:         24
        .size:           4
        .value_kind:     by_value
      - .address_space:  global
        .offset:         32
        .size:           8
        .value_kind:     global_buffer
      - .address_space:  global
        .offset:         40
        .size:           8
        .value_kind:     global_buffer
      - .offset:         48
        .size:           4
        .value_kind:     by_value
      - .offset:         52
        .size:           4
        .value_kind:     by_value
      - .offset:         56
        .size:           4
        .value_kind:     by_value
      - .offset:         60
        .size:           1
        .value_kind:     by_value
      - .offset:         64
        .size:           8
        .value_kind:     by_value
      - .address_space:  global
        .offset:         72
        .size:           8
        .value_kind:     global_buffer
      - .address_space:  global
        .offset:         80
        .size:           8
        .value_kind:     global_buffer
      - .address_space:  global
        .offset:         88
        .size:           8
        .value_kind:     global_buffer
    .group_segment_fixed_size: 0
    .kernarg_segment_align: 8
    .kernarg_segment_size: 96
    .language:       OpenCL C
    .language_version:
      - 2
      - 0
    .max_flat_workgroup_size: 128
    .name:           _ZN4vllm3moe22topkGatingSoftplusSqrtILi6ELi192ELi4ELi2ELi32ELb0Ei14__hip_bfloat16EEvPKT6_PKbPfiPT5_PiiiibdPKfPKS9_SF_
    .private_segment_fixed_size: 0
    .sgpr_count:     38
    .sgpr_spill_count: 0
    .symbol:         _ZN4vllm3moe22topkGatingSoftplusSqrtILi6ELi192ELi4ELi2ELi32ELb0Ei14__hip_bfloat16EEvPKT6_PKbPfiPT5_PiiiibdPKfPKS9_SF_.kd
    .uniform_work_group_size: 1
    .uses_dynamic_stack: false
    .vgpr_count:     30
    .vgpr_spill_count: 0
    .wavefront_size: 64
  - .agpr_count:     0
    .args:
      - .address_space:  global
        .offset:         0
        .size:           8
        .value_kind:     global_buffer
      - .address_space:  global
        .offset:         8
        .size:           8
        .value_kind:     global_buffer
      - .address_space:  global
        .offset:         16
        .size:           8
        .value_kind:     global_buffer
      - .offset:         24
        .size:           4
        .value_kind:     by_value
      - .address_space:  global
        .offset:         32
        .size:           8
        .value_kind:     global_buffer
      - .address_space:  global
        .offset:         40
        .size:           8
        .value_kind:     global_buffer
      - .offset:         48
        .size:           4
        .value_kind:     by_value
      - .offset:         52
        .size:           4
        .value_kind:     by_value
      - .offset:         56
        .size:           4
        .value_kind:     by_value
      - .offset:         60
        .size:           1
        .value_kind:     by_value
      - .offset:         64
        .size:           8
        .value_kind:     by_value
      - .address_space:  global
        .offset:         72
        .size:           8
        .value_kind:     global_buffer
      - .address_space:  global
        .offset:         80
        .size:           8
        .value_kind:     global_buffer
      - .address_space:  global
        .offset:         88
        .size:           8
        .value_kind:     global_buffer
    .group_segment_fixed_size: 0
    .kernarg_segment_align: 8
    .kernarg_segment_size: 96
    .language:       OpenCL C
    .language_version:
      - 2
      - 0
    .max_flat_workgroup_size: 256
    .name:           _ZN4vllm3moe22topkGatingSoftplusSqrtILi5ELi320ELi4ELi2ELi64ELb1Ei14__hip_bfloat16EEvPKT6_PKbPfiPT5_PiiiibdPKfPKS9_SF_
    .private_segment_fixed_size: 0
    .sgpr_count:     27
    .sgpr_spill_count: 0
    .symbol:         _ZN4vllm3moe22topkGatingSoftplusSqrtILi5ELi320ELi4ELi2ELi64ELb1Ei14__hip_bfloat16EEvPKT6_PKbPfiPT5_PiiiibdPKfPKS9_SF_.kd
    .uniform_work_group_size: 1
    .uses_dynamic_stack: false
    .vgpr_count:     26
    .vgpr_spill_count: 0
    .wavefront_size: 64
  - .agpr_count:     0
    .args:
      - .address_space:  global
        .offset:         0
        .size:           8
        .value_kind:     global_buffer
      - .address_space:  global
        .offset:         8
        .size:           8
        .value_kind:     global_buffer
      - .address_space:  global
        .offset:         16
        .size:           8
        .value_kind:     global_buffer
      - .offset:         24
        .size:           4
        .value_kind:     by_value
      - .address_space:  global
        .offset:         32
        .size:           8
        .value_kind:     global_buffer
      - .address_space:  global
        .offset:         40
        .size:           8
        .value_kind:     global_buffer
      - .offset:         48
        .size:           4
        .value_kind:     by_value
      - .offset:         52
        .size:           4
        .value_kind:     by_value
      - .offset:         56
        .size:           4
        .value_kind:     by_value
      - .offset:         60
        .size:           1
        .value_kind:     by_value
      - .offset:         64
        .size:           8
        .value_kind:     by_value
      - .address_space:  global
        .offset:         72
        .size:           8
        .value_kind:     global_buffer
      - .address_space:  global
        .offset:         80
        .size:           8
        .value_kind:     global_buffer
      - .address_space:  global
        .offset:         88
        .size:           8
        .value_kind:     global_buffer
    .group_segment_fixed_size: 0
    .kernarg_segment_align: 8
    .kernarg_segment_size: 96
    .language:       OpenCL C
    .language_version:
      - 2
      - 0
    .max_flat_workgroup_size: 256
    .name:           _ZN4vllm3moe22topkGatingSoftplusSqrtILi5ELi320ELi4ELi2ELi64ELb0Ei14__hip_bfloat16EEvPKT6_PKbPfiPT5_PiiiibdPKfPKS9_SF_
    .private_segment_fixed_size: 0
    .sgpr_count:     37
    .sgpr_spill_count: 0
    .symbol:         _ZN4vllm3moe22topkGatingSoftplusSqrtILi5ELi320ELi4ELi2ELi64ELb0Ei14__hip_bfloat16EEvPKT6_PKbPfiPT5_PiiiibdPKfPKS9_SF_.kd
    .uniform_work_group_size: 1
    .uses_dynamic_stack: false
    .vgpr_count:     30
    .vgpr_spill_count: 0
    .wavefront_size: 64
  - .agpr_count:     0
    .args:
      - .address_space:  global
        .offset:         0
        .size:           8
        .value_kind:     global_buffer
      - .address_space:  global
        .offset:         8
        .size:           8
        .value_kind:     global_buffer
      - .address_space:  global
        .offset:         16
        .size:           8
        .value_kind:     global_buffer
      - .offset:         24
        .size:           4
        .value_kind:     by_value
      - .address_space:  global
        .offset:         32
        .size:           8
        .value_kind:     global_buffer
      - .address_space:  global
        .offset:         40
        .size:           8
        .value_kind:     global_buffer
      - .offset:         48
        .size:           4
        .value_kind:     by_value
      - .offset:         52
        .size:           4
        .value_kind:     by_value
      - .offset:         56
        .size:           4
        .value_kind:     by_value
      - .offset:         60
        .size:           1
        .value_kind:     by_value
      - .offset:         64
        .size:           8
        .value_kind:     by_value
      - .address_space:  global
        .offset:         72
        .size:           8
        .value_kind:     global_buffer
      - .address_space:  global
        .offset:         80
        .size:           8
        .value_kind:     global_buffer
      - .address_space:  global
        .offset:         88
        .size:           8
        .value_kind:     global_buffer
    .group_segment_fixed_size: 0
    .kernarg_segment_align: 8
    .kernarg_segment_size: 96
    .language:       OpenCL C
    .language_version:
      - 2
      - 0
    .max_flat_workgroup_size: 128
    .name:           _ZN4vllm3moe22topkGatingSoftplusSqrtILi10ELi320ELi4ELi2ELi32ELb1Ei14__hip_bfloat16EEvPKT6_PKbPfiPT5_PiiiibdPKfPKS9_SF_
    .private_segment_fixed_size: 0
    .sgpr_count:     48
    .sgpr_spill_count: 0
    .symbol:         _ZN4vllm3moe22topkGatingSoftplusSqrtILi10ELi320ELi4ELi2ELi32ELb1Ei14__hip_bfloat16EEvPKT6_PKbPfiPT5_PiiiibdPKfPKS9_SF_.kd
    .uniform_work_group_size: 1
    .uses_dynamic_stack: false
    .vgpr_count:     34
    .vgpr_spill_count: 0
    .wavefront_size: 64
  - .agpr_count:     0
    .args:
      - .address_space:  global
        .offset:         0
        .size:           8
        .value_kind:     global_buffer
      - .address_space:  global
        .offset:         8
        .size:           8
        .value_kind:     global_buffer
      - .address_space:  global
        .offset:         16
        .size:           8
        .value_kind:     global_buffer
      - .offset:         24
        .size:           4
        .value_kind:     by_value
      - .address_space:  global
        .offset:         32
        .size:           8
        .value_kind:     global_buffer
      - .address_space:  global
        .offset:         40
        .size:           8
        .value_kind:     global_buffer
      - .offset:         48
        .size:           4
        .value_kind:     by_value
      - .offset:         52
        .size:           4
        .value_kind:     by_value
      - .offset:         56
        .size:           4
        .value_kind:     by_value
      - .offset:         60
        .size:           1
        .value_kind:     by_value
      - .offset:         64
        .size:           8
        .value_kind:     by_value
      - .address_space:  global
        .offset:         72
        .size:           8
        .value_kind:     global_buffer
      - .address_space:  global
        .offset:         80
        .size:           8
        .value_kind:     global_buffer
      - .address_space:  global
        .offset:         88
        .size:           8
        .value_kind:     global_buffer
    .group_segment_fixed_size: 0
    .kernarg_segment_align: 8
    .kernarg_segment_size: 96
    .language:       OpenCL C
    .language_version:
      - 2
      - 0
    .max_flat_workgroup_size: 128
    .name:           _ZN4vllm3moe22topkGatingSoftplusSqrtILi10ELi320ELi4ELi2ELi32ELb0Ei14__hip_bfloat16EEvPKT6_PKbPfiPT5_PiiiibdPKfPKS9_SF_
    .private_segment_fixed_size: 0
    .sgpr_count:     38
    .sgpr_spill_count: 0
    .symbol:         _ZN4vllm3moe22topkGatingSoftplusSqrtILi10ELi320ELi4ELi2ELi32ELb0Ei14__hip_bfloat16EEvPKT6_PKbPfiPT5_PiiiibdPKfPKS9_SF_.kd
    .uniform_work_group_size: 1
    .uses_dynamic_stack: false
    .vgpr_count:     38
    .vgpr_spill_count: 0
    .wavefront_size: 64
  - .agpr_count:     0
    .args:
      - .address_space:  global
        .offset:         0
        .size:           8
        .value_kind:     global_buffer
      - .address_space:  global
        .offset:         8
        .size:           8
        .value_kind:     global_buffer
      - .address_space:  global
        .offset:         16
        .size:           8
        .value_kind:     global_buffer
      - .offset:         24
        .size:           4
        .value_kind:     by_value
      - .address_space:  global
        .offset:         32
        .size:           8
        .value_kind:     global_buffer
      - .address_space:  global
        .offset:         40
        .size:           8
        .value_kind:     global_buffer
      - .offset:         48
        .size:           4
        .value_kind:     by_value
      - .offset:         52
        .size:           4
        .value_kind:     by_value
      - .offset:         56
        .size:           4
        .value_kind:     by_value
      - .offset:         60
        .size:           1
        .value_kind:     by_value
      - .offset:         64
        .size:           8
        .value_kind:     by_value
      - .address_space:  global
        .offset:         72
        .size:           8
        .value_kind:     global_buffer
      - .address_space:  global
        .offset:         80
        .size:           8
        .value_kind:     global_buffer
      - .address_space:  global
        .offset:         88
        .size:           8
        .value_kind:     global_buffer
    .group_segment_fixed_size: 0
    .kernarg_segment_align: 8
    .kernarg_segment_size: 96
    .language:       OpenCL C
    .language_version:
      - 2
      - 0
    .max_flat_workgroup_size: 256
    .name:           _ZN4vllm3moe22topkGatingSoftplusSqrtILi6ELi384ELi4ELi4ELi64ELb1Ei14__hip_bfloat16EEvPKT6_PKbPfiPT5_PiiiibdPKfPKS9_SF_
    .private_segment_fixed_size: 32
    .sgpr_count:     31
    .sgpr_spill_count: 0
    .symbol:         _ZN4vllm3moe22topkGatingSoftplusSqrtILi6ELi384ELi4ELi4ELi64ELb1Ei14__hip_bfloat16EEvPKT6_PKbPfiPT5_PiiiibdPKfPKS9_SF_.kd
    .uniform_work_group_size: 1
    .uses_dynamic_stack: false
    .vgpr_count:     27
    .vgpr_spill_count: 0
    .wavefront_size: 64
  - .agpr_count:     0
    .args:
      - .address_space:  global
        .offset:         0
        .size:           8
        .value_kind:     global_buffer
      - .address_space:  global
        .offset:         8
        .size:           8
        .value_kind:     global_buffer
      - .address_space:  global
        .offset:         16
        .size:           8
        .value_kind:     global_buffer
      - .offset:         24
        .size:           4
        .value_kind:     by_value
      - .address_space:  global
        .offset:         32
        .size:           8
        .value_kind:     global_buffer
      - .address_space:  global
        .offset:         40
        .size:           8
        .value_kind:     global_buffer
      - .offset:         48
        .size:           4
        .value_kind:     by_value
      - .offset:         52
        .size:           4
        .value_kind:     by_value
      - .offset:         56
        .size:           4
        .value_kind:     by_value
      - .offset:         60
        .size:           1
        .value_kind:     by_value
      - .offset:         64
        .size:           8
        .value_kind:     by_value
      - .address_space:  global
        .offset:         72
        .size:           8
        .value_kind:     global_buffer
      - .address_space:  global
        .offset:         80
        .size:           8
        .value_kind:     global_buffer
      - .address_space:  global
        .offset:         88
        .size:           8
        .value_kind:     global_buffer
    .group_segment_fixed_size: 0
    .kernarg_segment_align: 8
    .kernarg_segment_size: 96
    .language:       OpenCL C
    .language_version:
      - 2
      - 0
    .max_flat_workgroup_size: 256
    .name:           _ZN4vllm3moe22topkGatingSoftplusSqrtILi6ELi384ELi4ELi4ELi64ELb0Ei14__hip_bfloat16EEvPKT6_PKbPfiPT5_PiiiibdPKfPKS9_SF_
    .private_segment_fixed_size: 0
    .sgpr_count:     38
    .sgpr_spill_count: 0
    .symbol:         _ZN4vllm3moe22topkGatingSoftplusSqrtILi6ELi384ELi4ELi4ELi64ELb0Ei14__hip_bfloat16EEvPKT6_PKbPfiPT5_PiiiibdPKfPKS9_SF_.kd
    .uniform_work_group_size: 1
    .uses_dynamic_stack: false
    .vgpr_count:     32
    .vgpr_spill_count: 0
    .wavefront_size: 64
  - .agpr_count:     0
    .args:
      - .address_space:  global
        .offset:         0
        .size:           8
        .value_kind:     global_buffer
      - .address_space:  global
        .offset:         8
        .size:           8
        .value_kind:     global_buffer
      - .address_space:  global
        .offset:         16
        .size:           8
        .value_kind:     global_buffer
      - .offset:         24
        .size:           4
        .value_kind:     by_value
      - .address_space:  global
        .offset:         32
        .size:           8
        .value_kind:     global_buffer
      - .address_space:  global
        .offset:         40
        .size:           8
        .value_kind:     global_buffer
      - .offset:         48
        .size:           4
        .value_kind:     by_value
      - .offset:         52
        .size:           4
        .value_kind:     by_value
      - .offset:         56
        .size:           4
        .value_kind:     by_value
      - .offset:         60
        .size:           1
        .value_kind:     by_value
      - .offset:         64
        .size:           8
        .value_kind:     by_value
      - .address_space:  global
        .offset:         72
        .size:           8
        .value_kind:     global_buffer
      - .address_space:  global
        .offset:         80
        .size:           8
        .value_kind:     global_buffer
      - .address_space:  global
        .offset:         88
        .size:           8
        .value_kind:     global_buffer
    .group_segment_fixed_size: 0
    .kernarg_segment_align: 8
    .kernarg_segment_size: 96
    .language:       OpenCL C
    .language_version:
      - 2
      - 0
    .max_flat_workgroup_size: 128
    .name:           _ZN4vllm3moe22topkGatingSoftplusSqrtILi12ELi384ELi4ELi4ELi32ELb1Ei14__hip_bfloat16EEvPKT6_PKbPfiPT5_PiiiibdPKfPKS9_SF_
    .private_segment_fixed_size: 64
    .sgpr_count:     54
    .sgpr_spill_count: 0
    .symbol:         _ZN4vllm3moe22topkGatingSoftplusSqrtILi12ELi384ELi4ELi4ELi32ELb1Ei14__hip_bfloat16EEvPKT6_PKbPfiPT5_PiiiibdPKfPKS9_SF_.kd
    .uniform_work_group_size: 1
    .uses_dynamic_stack: false
    .vgpr_count:     34
    .vgpr_spill_count: 0
    .wavefront_size: 64
  - .agpr_count:     0
    .args:
      - .address_space:  global
        .offset:         0
        .size:           8
        .value_kind:     global_buffer
      - .address_space:  global
        .offset:         8
        .size:           8
        .value_kind:     global_buffer
      - .address_space:  global
        .offset:         16
        .size:           8
        .value_kind:     global_buffer
      - .offset:         24
        .size:           4
        .value_kind:     by_value
      - .address_space:  global
        .offset:         32
        .size:           8
        .value_kind:     global_buffer
      - .address_space:  global
        .offset:         40
        .size:           8
        .value_kind:     global_buffer
      - .offset:         48
        .size:           4
        .value_kind:     by_value
      - .offset:         52
        .size:           4
        .value_kind:     by_value
      - .offset:         56
        .size:           4
        .value_kind:     by_value
      - .offset:         60
        .size:           1
        .value_kind:     by_value
      - .offset:         64
        .size:           8
        .value_kind:     by_value
      - .address_space:  global
        .offset:         72
        .size:           8
        .value_kind:     global_buffer
      - .address_space:  global
        .offset:         80
        .size:           8
        .value_kind:     global_buffer
      - .address_space:  global
        .offset:         88
        .size:           8
        .value_kind:     global_buffer
    .group_segment_fixed_size: 0
    .kernarg_segment_align: 8
    .kernarg_segment_size: 96
    .language:       OpenCL C
    .language_version:
      - 2
      - 0
    .max_flat_workgroup_size: 128
    .name:           _ZN4vllm3moe22topkGatingSoftplusSqrtILi12ELi384ELi4ELi4ELi32ELb0Ei14__hip_bfloat16EEvPKT6_PKbPfiPT5_PiiiibdPKfPKS9_SF_
    .private_segment_fixed_size: 0
    .sgpr_count:     57
    .sgpr_spill_count: 0
    .symbol:         _ZN4vllm3moe22topkGatingSoftplusSqrtILi12ELi384ELi4ELi4ELi32ELb0Ei14__hip_bfloat16EEvPKT6_PKbPfiPT5_PiiiibdPKfPKS9_SF_.kd
    .uniform_work_group_size: 1
    .uses_dynamic_stack: false
    .vgpr_count:     42
    .vgpr_spill_count: 0
    .wavefront_size: 64
  - .agpr_count:     0
    .args:
      - .address_space:  global
        .offset:         0
        .size:           8
        .value_kind:     global_buffer
      - .address_space:  global
        .offset:         8
        .size:           8
        .value_kind:     global_buffer
      - .address_space:  global
        .offset:         16
        .size:           8
        .value_kind:     global_buffer
      - .offset:         24
        .size:           4
        .value_kind:     by_value
      - .address_space:  global
        .offset:         32
        .size:           8
        .value_kind:     global_buffer
      - .address_space:  global
        .offset:         40
        .size:           8
        .value_kind:     global_buffer
      - .offset:         48
        .size:           4
        .value_kind:     by_value
      - .offset:         52
        .size:           4
        .value_kind:     by_value
      - .offset:         56
        .size:           4
        .value_kind:     by_value
      - .offset:         60
        .size:           1
        .value_kind:     by_value
      - .offset:         64
        .size:           8
        .value_kind:     by_value
      - .address_space:  global
        .offset:         72
        .size:           8
        .value_kind:     global_buffer
      - .address_space:  global
        .offset:         80
        .size:           8
        .value_kind:     global_buffer
      - .address_space:  global
        .offset:         88
        .size:           8
        .value_kind:     global_buffer
    .group_segment_fixed_size: 0
    .kernarg_segment_align: 8
    .kernarg_segment_size: 96
    .language:       OpenCL C
    .language_version:
      - 2
      - 0
    .max_flat_workgroup_size: 256
    .name:           _ZN4vllm3moe22topkGatingSoftplusSqrtILi7ELi448ELi4ELi2ELi64ELb1Ei14__hip_bfloat16EEvPKT6_PKbPfiPT5_PiiiibdPKfPKS9_SF_
    .private_segment_fixed_size: 0
    .sgpr_count:     35
    .sgpr_spill_count: 0
    .symbol:         _ZN4vllm3moe22topkGatingSoftplusSqrtILi7ELi448ELi4ELi2ELi64ELb1Ei14__hip_bfloat16EEvPKT6_PKbPfiPT5_PiiiibdPKfPKS9_SF_.kd
    .uniform_work_group_size: 1
    .uses_dynamic_stack: false
    .vgpr_count:     28
    .vgpr_spill_count: 0
    .wavefront_size: 64
  - .agpr_count:     0
    .args:
      - .address_space:  global
        .offset:         0
        .size:           8
        .value_kind:     global_buffer
      - .address_space:  global
        .offset:         8
        .size:           8
        .value_kind:     global_buffer
      - .address_space:  global
        .offset:         16
        .size:           8
        .value_kind:     global_buffer
      - .offset:         24
        .size:           4
        .value_kind:     by_value
      - .address_space:  global
        .offset:         32
        .size:           8
        .value_kind:     global_buffer
      - .address_space:  global
        .offset:         40
        .size:           8
        .value_kind:     global_buffer
      - .offset:         48
        .size:           4
        .value_kind:     by_value
      - .offset:         52
        .size:           4
        .value_kind:     by_value
      - .offset:         56
        .size:           4
        .value_kind:     by_value
      - .offset:         60
        .size:           1
        .value_kind:     by_value
      - .offset:         64
        .size:           8
        .value_kind:     by_value
      - .address_space:  global
        .offset:         72
        .size:           8
        .value_kind:     global_buffer
      - .address_space:  global
        .offset:         80
        .size:           8
        .value_kind:     global_buffer
      - .address_space:  global
        .offset:         88
        .size:           8
        .value_kind:     global_buffer
    .group_segment_fixed_size: 0
    .kernarg_segment_align: 8
    .kernarg_segment_size: 96
    .language:       OpenCL C
    .language_version:
      - 2
      - 0
    .max_flat_workgroup_size: 256
    .name:           _ZN4vllm3moe22topkGatingSoftplusSqrtILi7ELi448ELi4ELi2ELi64ELb0Ei14__hip_bfloat16EEvPKT6_PKbPfiPT5_PiiiibdPKfPKS9_SF_
    .private_segment_fixed_size: 0
    .sgpr_count:     37
    .sgpr_spill_count: 0
    .symbol:         _ZN4vllm3moe22topkGatingSoftplusSqrtILi7ELi448ELi4ELi2ELi64ELb0Ei14__hip_bfloat16EEvPKT6_PKbPfiPT5_PiiiibdPKfPKS9_SF_.kd
    .uniform_work_group_size: 1
    .uses_dynamic_stack: false
    .vgpr_count:     34
    .vgpr_spill_count: 0
    .wavefront_size: 64
  - .agpr_count:     0
    .args:
      - .address_space:  global
        .offset:         0
        .size:           8
        .value_kind:     global_buffer
      - .address_space:  global
        .offset:         8
        .size:           8
        .value_kind:     global_buffer
      - .address_space:  global
        .offset:         16
        .size:           8
        .value_kind:     global_buffer
      - .offset:         24
        .size:           4
        .value_kind:     by_value
      - .address_space:  global
        .offset:         32
        .size:           8
        .value_kind:     global_buffer
      - .address_space:  global
        .offset:         40
        .size:           8
        .value_kind:     global_buffer
      - .offset:         48
        .size:           4
        .value_kind:     by_value
      - .offset:         52
        .size:           4
        .value_kind:     by_value
      - .offset:         56
        .size:           4
        .value_kind:     by_value
      - .offset:         60
        .size:           1
        .value_kind:     by_value
      - .offset:         64
        .size:           8
        .value_kind:     by_value
      - .address_space:  global
        .offset:         72
        .size:           8
        .value_kind:     global_buffer
      - .address_space:  global
        .offset:         80
        .size:           8
        .value_kind:     global_buffer
      - .address_space:  global
        .offset:         88
        .size:           8
        .value_kind:     global_buffer
    .group_segment_fixed_size: 0
    .kernarg_segment_align: 8
    .kernarg_segment_size: 96
    .language:       OpenCL C
    .language_version:
      - 2
      - 0
    .max_flat_workgroup_size: 128
    .name:           _ZN4vllm3moe22topkGatingSoftplusSqrtILi14ELi448ELi4ELi2ELi32ELb1Ei14__hip_bfloat16EEvPKT6_PKbPfiPT5_PiiiibdPKfPKS9_SF_
    .private_segment_fixed_size: 0
    .sgpr_count:     62
    .sgpr_spill_count: 0
    .symbol:         _ZN4vllm3moe22topkGatingSoftplusSqrtILi14ELi448ELi4ELi2ELi32ELb1Ei14__hip_bfloat16EEvPKT6_PKbPfiPT5_PiiiibdPKfPKS9_SF_.kd
    .uniform_work_group_size: 1
    .uses_dynamic_stack: false
    .vgpr_count:     36
    .vgpr_spill_count: 0
    .wavefront_size: 64
  - .agpr_count:     0
    .args:
      - .address_space:  global
        .offset:         0
        .size:           8
        .value_kind:     global_buffer
      - .address_space:  global
        .offset:         8
        .size:           8
        .value_kind:     global_buffer
      - .address_space:  global
        .offset:         16
        .size:           8
        .value_kind:     global_buffer
      - .offset:         24
        .size:           4
        .value_kind:     by_value
      - .address_space:  global
        .offset:         32
        .size:           8
        .value_kind:     global_buffer
      - .address_space:  global
        .offset:         40
        .size:           8
        .value_kind:     global_buffer
      - .offset:         48
        .size:           4
        .value_kind:     by_value
      - .offset:         52
        .size:           4
        .value_kind:     by_value
      - .offset:         56
        .size:           4
        .value_kind:     by_value
      - .offset:         60
        .size:           1
        .value_kind:     by_value
      - .offset:         64
        .size:           8
        .value_kind:     by_value
      - .address_space:  global
        .offset:         72
        .size:           8
        .value_kind:     global_buffer
      - .address_space:  global
        .offset:         80
        .size:           8
        .value_kind:     global_buffer
      - .address_space:  global
        .offset:         88
        .size:           8
        .value_kind:     global_buffer
    .group_segment_fixed_size: 0
    .kernarg_segment_align: 8
    .kernarg_segment_size: 96
    .language:       OpenCL C
    .language_version:
      - 2
      - 0
    .max_flat_workgroup_size: 128
    .name:           _ZN4vllm3moe22topkGatingSoftplusSqrtILi14ELi448ELi4ELi2ELi32ELb0Ei14__hip_bfloat16EEvPKT6_PKbPfiPT5_PiiiibdPKfPKS9_SF_
    .private_segment_fixed_size: 0
    .sgpr_count:     38
    .sgpr_spill_count: 0
    .symbol:         _ZN4vllm3moe22topkGatingSoftplusSqrtILi14ELi448ELi4ELi2ELi32ELb0Ei14__hip_bfloat16EEvPKT6_PKbPfiPT5_PiiiibdPKfPKS9_SF_.kd
    .uniform_work_group_size: 1
    .uses_dynamic_stack: false
    .vgpr_count:     46
    .vgpr_spill_count: 0
    .wavefront_size: 64
  - .agpr_count:     0
    .args:
      - .address_space:  global
        .offset:         0
        .size:           8
        .value_kind:     global_buffer
      - .address_space:  global
        .offset:         8
        .size:           8
        .value_kind:     global_buffer
      - .address_space:  global
        .offset:         16
        .size:           8
        .value_kind:     global_buffer
      - .offset:         24
        .size:           4
        .value_kind:     by_value
      - .address_space:  global
        .offset:         32
        .size:           8
        .value_kind:     global_buffer
      - .address_space:  global
        .offset:         40
        .size:           8
        .value_kind:     global_buffer
      - .offset:         48
        .size:           4
        .value_kind:     by_value
      - .offset:         52
        .size:           4
        .value_kind:     by_value
      - .offset:         56
        .size:           4
        .value_kind:     by_value
      - .offset:         60
        .size:           1
        .value_kind:     by_value
      - .offset:         64
        .size:           8
        .value_kind:     by_value
      - .address_space:  global
        .offset:         72
        .size:           8
        .value_kind:     global_buffer
      - .address_space:  global
        .offset:         80
        .size:           8
        .value_kind:     global_buffer
      - .address_space:  global
        .offset:         88
        .size:           8
        .value_kind:     global_buffer
    .group_segment_fixed_size: 0
    .kernarg_segment_align: 8
    .kernarg_segment_size: 96
    .language:       OpenCL C
    .language_version:
      - 2
      - 0
    .max_flat_workgroup_size: 256
    .name:           _ZN4vllm3moe22topkGatingSoftplusSqrtILi9ELi576ELi4ELi2ELi64ELb1Ei14__hip_bfloat16EEvPKT6_PKbPfiPT5_PiiiibdPKfPKS9_SF_
    .private_segment_fixed_size: 0
    .sgpr_count:     44
    .sgpr_spill_count: 0
    .symbol:         _ZN4vllm3moe22topkGatingSoftplusSqrtILi9ELi576ELi4ELi2ELi64ELb1Ei14__hip_bfloat16EEvPKT6_PKbPfiPT5_PiiiibdPKfPKS9_SF_.kd
    .uniform_work_group_size: 1
    .uses_dynamic_stack: false
    .vgpr_count:     32
    .vgpr_spill_count: 0
    .wavefront_size: 64
  - .agpr_count:     0
    .args:
      - .address_space:  global
        .offset:         0
        .size:           8
        .value_kind:     global_buffer
      - .address_space:  global
        .offset:         8
        .size:           8
        .value_kind:     global_buffer
      - .address_space:  global
        .offset:         16
        .size:           8
        .value_kind:     global_buffer
      - .offset:         24
        .size:           4
        .value_kind:     by_value
      - .address_space:  global
        .offset:         32
        .size:           8
        .value_kind:     global_buffer
      - .address_space:  global
        .offset:         40
        .size:           8
        .value_kind:     global_buffer
      - .offset:         48
        .size:           4
        .value_kind:     by_value
      - .offset:         52
        .size:           4
        .value_kind:     by_value
      - .offset:         56
        .size:           4
        .value_kind:     by_value
      - .offset:         60
        .size:           1
        .value_kind:     by_value
      - .offset:         64
        .size:           8
        .value_kind:     by_value
      - .address_space:  global
        .offset:         72
        .size:           8
        .value_kind:     global_buffer
      - .address_space:  global
        .offset:         80
        .size:           8
        .value_kind:     global_buffer
      - .address_space:  global
        .offset:         88
        .size:           8
        .value_kind:     global_buffer
    .group_segment_fixed_size: 0
    .kernarg_segment_align: 8
    .kernarg_segment_size: 96
    .language:       OpenCL C
    .language_version:
      - 2
      - 0
    .max_flat_workgroup_size: 256
    .name:           _ZN4vllm3moe22topkGatingSoftplusSqrtILi9ELi576ELi4ELi2ELi64ELb0Ei14__hip_bfloat16EEvPKT6_PKbPfiPT5_PiiiibdPKfPKS9_SF_
    .private_segment_fixed_size: 0
    .sgpr_count:     37
    .sgpr_spill_count: 0
    .symbol:         _ZN4vllm3moe22topkGatingSoftplusSqrtILi9ELi576ELi4ELi2ELi64ELb0Ei14__hip_bfloat16EEvPKT6_PKbPfiPT5_PiiiibdPKfPKS9_SF_.kd
    .uniform_work_group_size: 1
    .uses_dynamic_stack: false
    .vgpr_count:     38
    .vgpr_spill_count: 0
    .wavefront_size: 64
  - .agpr_count:     0
    .args:
      - .address_space:  global
        .offset:         0
        .size:           8
        .value_kind:     global_buffer
      - .address_space:  global
        .offset:         8
        .size:           8
        .value_kind:     global_buffer
      - .address_space:  global
        .offset:         16
        .size:           8
        .value_kind:     global_buffer
      - .offset:         24
        .size:           4
        .value_kind:     by_value
      - .address_space:  global
        .offset:         32
        .size:           8
        .value_kind:     global_buffer
      - .address_space:  global
        .offset:         40
        .size:           8
        .value_kind:     global_buffer
      - .offset:         48
        .size:           4
        .value_kind:     by_value
      - .offset:         52
        .size:           4
        .value_kind:     by_value
      - .offset:         56
        .size:           4
        .value_kind:     by_value
      - .offset:         60
        .size:           1
        .value_kind:     by_value
      - .offset:         64
        .size:           8
        .value_kind:     by_value
      - .address_space:  global
        .offset:         72
        .size:           8
        .value_kind:     global_buffer
      - .address_space:  global
        .offset:         80
        .size:           8
        .value_kind:     global_buffer
      - .address_space:  global
        .offset:         88
        .size:           8
        .value_kind:     global_buffer
    .group_segment_fixed_size: 0
    .kernarg_segment_align: 8
    .kernarg_segment_size: 96
    .language:       OpenCL C
    .language_version:
      - 2
      - 0
    .max_flat_workgroup_size: 128
    .name:           _ZN4vllm3moe22topkGatingSoftplusSqrtILi18ELi576ELi4ELi2ELi32ELb1Ei14__hip_bfloat16EEvPKT6_PKbPfiPT5_PiiiibdPKfPKS9_SF_
    .private_segment_fixed_size: 80
    .sgpr_count:     78
    .sgpr_spill_count: 0
    .symbol:         _ZN4vllm3moe22topkGatingSoftplusSqrtILi18ELi576ELi4ELi2ELi32ELb1Ei14__hip_bfloat16EEvPKT6_PKbPfiPT5_PiiiibdPKfPKS9_SF_.kd
    .uniform_work_group_size: 1
    .uses_dynamic_stack: false
    .vgpr_count:     43
    .vgpr_spill_count: 0
    .wavefront_size: 64
  - .agpr_count:     0
    .args:
      - .address_space:  global
        .offset:         0
        .size:           8
        .value_kind:     global_buffer
      - .address_space:  global
        .offset:         8
        .size:           8
        .value_kind:     global_buffer
      - .address_space:  global
        .offset:         16
        .size:           8
        .value_kind:     global_buffer
      - .offset:         24
        .size:           4
        .value_kind:     by_value
      - .address_space:  global
        .offset:         32
        .size:           8
        .value_kind:     global_buffer
      - .address_space:  global
        .offset:         40
        .size:           8
        .value_kind:     global_buffer
      - .offset:         48
        .size:           4
        .value_kind:     by_value
      - .offset:         52
        .size:           4
        .value_kind:     by_value
      - .offset:         56
        .size:           4
        .value_kind:     by_value
      - .offset:         60
        .size:           1
        .value_kind:     by_value
      - .offset:         64
        .size:           8
        .value_kind:     by_value
      - .address_space:  global
        .offset:         72
        .size:           8
        .value_kind:     global_buffer
      - .address_space:  global
        .offset:         80
        .size:           8
        .value_kind:     global_buffer
      - .address_space:  global
        .offset:         88
        .size:           8
        .value_kind:     global_buffer
    .group_segment_fixed_size: 0
    .kernarg_segment_align: 8
    .kernarg_segment_size: 96
    .language:       OpenCL C
    .language_version:
      - 2
      - 0
    .max_flat_workgroup_size: 128
    .name:           _ZN4vllm3moe22topkGatingSoftplusSqrtILi18ELi576ELi4ELi2ELi32ELb0Ei14__hip_bfloat16EEvPKT6_PKbPfiPT5_PiiiibdPKfPKS9_SF_
    .private_segment_fixed_size: 80
    .sgpr_count:     38
    .sgpr_spill_count: 0
    .symbol:         _ZN4vllm3moe22topkGatingSoftplusSqrtILi18ELi576ELi4ELi2ELi32ELb0Ei14__hip_bfloat16EEvPKT6_PKbPfiPT5_PiiiibdPKfPKS9_SF_.kd
    .uniform_work_group_size: 1
    .uses_dynamic_stack: false
    .vgpr_count:     49
    .vgpr_spill_count: 0
    .wavefront_size: 64
  - .agpr_count:     0
    .args:
      - .address_space:  global
        .offset:         0
        .size:           8
        .value_kind:     global_buffer
      - .address_space:  global
        .offset:         8
        .size:           8
        .value_kind:     global_buffer
      - .address_space:  global
        .offset:         16
        .size:           8
        .value_kind:     global_buffer
      - .offset:         24
        .size:           4
        .value_kind:     by_value
      - .address_space:  global
        .offset:         32
        .size:           8
        .value_kind:     global_buffer
      - .address_space:  global
        .offset:         40
        .size:           8
        .value_kind:     global_buffer
      - .offset:         48
        .size:           4
        .value_kind:     by_value
      - .offset:         52
        .size:           4
        .value_kind:     by_value
      - .offset:         56
        .size:           4
        .value_kind:     by_value
      - .offset:         60
        .size:           1
        .value_kind:     by_value
      - .offset:         64
        .size:           8
        .value_kind:     by_value
      - .address_space:  global
        .offset:         72
        .size:           8
        .value_kind:     global_buffer
      - .address_space:  global
        .offset:         80
        .size:           8
        .value_kind:     global_buffer
      - .address_space:  global
        .offset:         88
        .size:           8
        .value_kind:     global_buffer
    .group_segment_fixed_size: 0
    .kernarg_segment_align: 8
    .kernarg_segment_size: 96
    .language:       OpenCL C
    .language_version:
      - 2
      - 0
    .max_flat_workgroup_size: 256
    .name:           _ZN4vllm3moe22topkGatingSoftplusSqrtILi1ELi1ELi4ELi2ELi64ELb1Ej14__hip_bfloat16EEvPKT6_PKbPfiPT5_PiiiibdPKfPKS9_SF_
    .private_segment_fixed_size: 0
    .sgpr_count:     21
    .sgpr_spill_count: 0
    .symbol:         _ZN4vllm3moe22topkGatingSoftplusSqrtILi1ELi1ELi4ELi2ELi64ELb1Ej14__hip_bfloat16EEvPKT6_PKbPfiPT5_PiiiibdPKfPKS9_SF_.kd
    .uniform_work_group_size: 1
    .uses_dynamic_stack: false
    .vgpr_count:     14
    .vgpr_spill_count: 0
    .wavefront_size: 64
  - .agpr_count:     0
    .args:
      - .address_space:  global
        .offset:         0
        .size:           8
        .value_kind:     global_buffer
      - .address_space:  global
        .offset:         8
        .size:           8
        .value_kind:     global_buffer
      - .address_space:  global
        .offset:         16
        .size:           8
        .value_kind:     global_buffer
      - .offset:         24
        .size:           4
        .value_kind:     by_value
      - .address_space:  global
        .offset:         32
        .size:           8
        .value_kind:     global_buffer
      - .address_space:  global
        .offset:         40
        .size:           8
        .value_kind:     global_buffer
      - .offset:         48
        .size:           4
        .value_kind:     by_value
      - .offset:         52
        .size:           4
        .value_kind:     by_value
      - .offset:         56
        .size:           4
        .value_kind:     by_value
      - .offset:         60
        .size:           1
        .value_kind:     by_value
      - .offset:         64
        .size:           8
        .value_kind:     by_value
      - .address_space:  global
        .offset:         72
        .size:           8
        .value_kind:     global_buffer
      - .address_space:  global
        .offset:         80
        .size:           8
        .value_kind:     global_buffer
      - .address_space:  global
        .offset:         88
        .size:           8
        .value_kind:     global_buffer
    .group_segment_fixed_size: 0
    .kernarg_segment_align: 8
    .kernarg_segment_size: 96
    .language:       OpenCL C
    .language_version:
      - 2
      - 0
    .max_flat_workgroup_size: 256
    .name:           _ZN4vllm3moe22topkGatingSoftplusSqrtILi1ELi1ELi4ELi2ELi64ELb0Ej14__hip_bfloat16EEvPKT6_PKbPfiPT5_PiiiibdPKfPKS9_SF_
    .private_segment_fixed_size: 0
    .sgpr_count:     34
    .sgpr_spill_count: 0
    .symbol:         _ZN4vllm3moe22topkGatingSoftplusSqrtILi1ELi1ELi4ELi2ELi64ELb0Ej14__hip_bfloat16EEvPKT6_PKbPfiPT5_PiiiibdPKfPKS9_SF_.kd
    .uniform_work_group_size: 1
    .uses_dynamic_stack: false
    .vgpr_count:     12
    .vgpr_spill_count: 0
    .wavefront_size: 64
  - .agpr_count:     0
    .args:
      - .address_space:  global
        .offset:         0
        .size:           8
        .value_kind:     global_buffer
      - .address_space:  global
        .offset:         8
        .size:           8
        .value_kind:     global_buffer
      - .address_space:  global
        .offset:         16
        .size:           8
        .value_kind:     global_buffer
      - .offset:         24
        .size:           4
        .value_kind:     by_value
      - .address_space:  global
        .offset:         32
        .size:           8
        .value_kind:     global_buffer
      - .address_space:  global
        .offset:         40
        .size:           8
        .value_kind:     global_buffer
      - .offset:         48
        .size:           4
        .value_kind:     by_value
      - .offset:         52
        .size:           4
        .value_kind:     by_value
      - .offset:         56
        .size:           4
        .value_kind:     by_value
      - .offset:         60
        .size:           1
        .value_kind:     by_value
      - .offset:         64
        .size:           8
        .value_kind:     by_value
      - .address_space:  global
        .offset:         72
        .size:           8
        .value_kind:     global_buffer
      - .address_space:  global
        .offset:         80
        .size:           8
        .value_kind:     global_buffer
      - .address_space:  global
        .offset:         88
        .size:           8
        .value_kind:     global_buffer
    .group_segment_fixed_size: 0
    .kernarg_segment_align: 8
    .kernarg_segment_size: 96
    .language:       OpenCL C
    .language_version:
      - 2
      - 0
    .max_flat_workgroup_size: 128
    .name:           _ZN4vllm3moe22topkGatingSoftplusSqrtILi1ELi1ELi4ELi2ELi32ELb1Ej14__hip_bfloat16EEvPKT6_PKbPfiPT5_PiiiibdPKfPKS9_SF_
    .private_segment_fixed_size: 0
    .sgpr_count:     21
    .sgpr_spill_count: 0
    .symbol:         _ZN4vllm3moe22topkGatingSoftplusSqrtILi1ELi1ELi4ELi2ELi32ELb1Ej14__hip_bfloat16EEvPKT6_PKbPfiPT5_PiiiibdPKfPKS9_SF_.kd
    .uniform_work_group_size: 1
    .uses_dynamic_stack: false
    .vgpr_count:     14
    .vgpr_spill_count: 0
    .wavefront_size: 64
  - .agpr_count:     0
    .args:
      - .address_space:  global
        .offset:         0
        .size:           8
        .value_kind:     global_buffer
      - .address_space:  global
        .offset:         8
        .size:           8
        .value_kind:     global_buffer
      - .address_space:  global
        .offset:         16
        .size:           8
        .value_kind:     global_buffer
      - .offset:         24
        .size:           4
        .value_kind:     by_value
      - .address_space:  global
        .offset:         32
        .size:           8
        .value_kind:     global_buffer
      - .address_space:  global
        .offset:         40
        .size:           8
        .value_kind:     global_buffer
      - .offset:         48
        .size:           4
        .value_kind:     by_value
      - .offset:         52
        .size:           4
        .value_kind:     by_value
      - .offset:         56
        .size:           4
        .value_kind:     by_value
      - .offset:         60
        .size:           1
        .value_kind:     by_value
      - .offset:         64
        .size:           8
        .value_kind:     by_value
      - .address_space:  global
        .offset:         72
        .size:           8
        .value_kind:     global_buffer
      - .address_space:  global
        .offset:         80
        .size:           8
        .value_kind:     global_buffer
      - .address_space:  global
        .offset:         88
        .size:           8
        .value_kind:     global_buffer
    .group_segment_fixed_size: 0
    .kernarg_segment_align: 8
    .kernarg_segment_size: 96
    .language:       OpenCL C
    .language_version:
      - 2
      - 0
    .max_flat_workgroup_size: 128
    .name:           _ZN4vllm3moe22topkGatingSoftplusSqrtILi1ELi1ELi4ELi2ELi32ELb0Ej14__hip_bfloat16EEvPKT6_PKbPfiPT5_PiiiibdPKfPKS9_SF_
    .private_segment_fixed_size: 0
    .sgpr_count:     34
    .sgpr_spill_count: 0
    .symbol:         _ZN4vllm3moe22topkGatingSoftplusSqrtILi1ELi1ELi4ELi2ELi32ELb0Ej14__hip_bfloat16EEvPKT6_PKbPfiPT5_PiiiibdPKfPKS9_SF_.kd
    .uniform_work_group_size: 1
    .uses_dynamic_stack: false
    .vgpr_count:     12
    .vgpr_spill_count: 0
    .wavefront_size: 64
  - .agpr_count:     0
    .args:
      - .address_space:  global
        .offset:         0
        .size:           8
        .value_kind:     global_buffer
      - .address_space:  global
        .offset:         8
        .size:           8
        .value_kind:     global_buffer
      - .address_space:  global
        .offset:         16
        .size:           8
        .value_kind:     global_buffer
      - .offset:         24
        .size:           4
        .value_kind:     by_value
      - .address_space:  global
        .offset:         32
        .size:           8
        .value_kind:     global_buffer
      - .address_space:  global
        .offset:         40
        .size:           8
        .value_kind:     global_buffer
      - .offset:         48
        .size:           4
        .value_kind:     by_value
      - .offset:         52
        .size:           4
        .value_kind:     by_value
      - .offset:         56
        .size:           4
        .value_kind:     by_value
      - .offset:         60
        .size:           1
        .value_kind:     by_value
      - .offset:         64
        .size:           8
        .value_kind:     by_value
      - .address_space:  global
        .offset:         72
        .size:           8
        .value_kind:     global_buffer
      - .address_space:  global
        .offset:         80
        .size:           8
        .value_kind:     global_buffer
      - .address_space:  global
        .offset:         88
        .size:           8
        .value_kind:     global_buffer
    .group_segment_fixed_size: 0
    .kernarg_segment_align: 8
    .kernarg_segment_size: 96
    .language:       OpenCL C
    .language_version:
      - 2
      - 0
    .max_flat_workgroup_size: 256
    .name:           _ZN4vllm3moe22topkGatingSoftplusSqrtILi2ELi2ELi4ELi4ELi64ELb1Ej14__hip_bfloat16EEvPKT6_PKbPfiPT5_PiiiibdPKfPKS9_SF_
    .private_segment_fixed_size: 0
    .sgpr_count:     24
    .sgpr_spill_count: 0
    .symbol:         _ZN4vllm3moe22topkGatingSoftplusSqrtILi2ELi2ELi4ELi4ELi64ELb1Ej14__hip_bfloat16EEvPKT6_PKbPfiPT5_PiiiibdPKfPKS9_SF_.kd
    .uniform_work_group_size: 1
    .uses_dynamic_stack: false
    .vgpr_count:     18
    .vgpr_spill_count: 0
    .wavefront_size: 64
  - .agpr_count:     0
    .args:
      - .address_space:  global
        .offset:         0
        .size:           8
        .value_kind:     global_buffer
      - .address_space:  global
        .offset:         8
        .size:           8
        .value_kind:     global_buffer
      - .address_space:  global
        .offset:         16
        .size:           8
        .value_kind:     global_buffer
      - .offset:         24
        .size:           4
        .value_kind:     by_value
      - .address_space:  global
        .offset:         32
        .size:           8
        .value_kind:     global_buffer
      - .address_space:  global
        .offset:         40
        .size:           8
        .value_kind:     global_buffer
      - .offset:         48
        .size:           4
        .value_kind:     by_value
      - .offset:         52
        .size:           4
        .value_kind:     by_value
      - .offset:         56
        .size:           4
        .value_kind:     by_value
      - .offset:         60
        .size:           1
        .value_kind:     by_value
      - .offset:         64
        .size:           8
        .value_kind:     by_value
      - .address_space:  global
        .offset:         72
        .size:           8
        .value_kind:     global_buffer
      - .address_space:  global
        .offset:         80
        .size:           8
        .value_kind:     global_buffer
      - .address_space:  global
        .offset:         88
        .size:           8
        .value_kind:     global_buffer
    .group_segment_fixed_size: 0
    .kernarg_segment_align: 8
    .kernarg_segment_size: 96
    .language:       OpenCL C
    .language_version:
      - 2
      - 0
    .max_flat_workgroup_size: 256
    .name:           _ZN4vllm3moe22topkGatingSoftplusSqrtILi2ELi2ELi4ELi4ELi64ELb0Ej14__hip_bfloat16EEvPKT6_PKbPfiPT5_PiiiibdPKfPKS9_SF_
    .private_segment_fixed_size: 0
    .sgpr_count:     32
    .sgpr_spill_count: 0
    .symbol:         _ZN4vllm3moe22topkGatingSoftplusSqrtILi2ELi2ELi4ELi4ELi64ELb0Ej14__hip_bfloat16EEvPKT6_PKbPfiPT5_PiiiibdPKfPKS9_SF_.kd
    .uniform_work_group_size: 1
    .uses_dynamic_stack: false
    .vgpr_count:     13
    .vgpr_spill_count: 0
    .wavefront_size: 64
  - .agpr_count:     0
    .args:
      - .address_space:  global
        .offset:         0
        .size:           8
        .value_kind:     global_buffer
      - .address_space:  global
        .offset:         8
        .size:           8
        .value_kind:     global_buffer
      - .address_space:  global
        .offset:         16
        .size:           8
        .value_kind:     global_buffer
      - .offset:         24
        .size:           4
        .value_kind:     by_value
      - .address_space:  global
        .offset:         32
        .size:           8
        .value_kind:     global_buffer
      - .address_space:  global
        .offset:         40
        .size:           8
        .value_kind:     global_buffer
      - .offset:         48
        .size:           4
        .value_kind:     by_value
      - .offset:         52
        .size:           4
        .value_kind:     by_value
      - .offset:         56
        .size:           4
        .value_kind:     by_value
      - .offset:         60
        .size:           1
        .value_kind:     by_value
      - .offset:         64
        .size:           8
        .value_kind:     by_value
      - .address_space:  global
        .offset:         72
        .size:           8
        .value_kind:     global_buffer
      - .address_space:  global
        .offset:         80
        .size:           8
        .value_kind:     global_buffer
      - .address_space:  global
        .offset:         88
        .size:           8
        .value_kind:     global_buffer
    .group_segment_fixed_size: 0
    .kernarg_segment_align: 8
    .kernarg_segment_size: 96
    .language:       OpenCL C
    .language_version:
      - 2
      - 0
    .max_flat_workgroup_size: 128
    .name:           _ZN4vllm3moe22topkGatingSoftplusSqrtILi2ELi2ELi4ELi4ELi32ELb1Ej14__hip_bfloat16EEvPKT6_PKbPfiPT5_PiiiibdPKfPKS9_SF_
    .private_segment_fixed_size: 0
    .sgpr_count:     24
    .sgpr_spill_count: 0
    .symbol:         _ZN4vllm3moe22topkGatingSoftplusSqrtILi2ELi2ELi4ELi4ELi32ELb1Ej14__hip_bfloat16EEvPKT6_PKbPfiPT5_PiiiibdPKfPKS9_SF_.kd
    .uniform_work_group_size: 1
    .uses_dynamic_stack: false
    .vgpr_count:     18
    .vgpr_spill_count: 0
    .wavefront_size: 64
  - .agpr_count:     0
    .args:
      - .address_space:  global
        .offset:         0
        .size:           8
        .value_kind:     global_buffer
      - .address_space:  global
        .offset:         8
        .size:           8
        .value_kind:     global_buffer
      - .address_space:  global
        .offset:         16
        .size:           8
        .value_kind:     global_buffer
      - .offset:         24
        .size:           4
        .value_kind:     by_value
      - .address_space:  global
        .offset:         32
        .size:           8
        .value_kind:     global_buffer
      - .address_space:  global
        .offset:         40
        .size:           8
        .value_kind:     global_buffer
      - .offset:         48
        .size:           4
        .value_kind:     by_value
      - .offset:         52
        .size:           4
        .value_kind:     by_value
      - .offset:         56
        .size:           4
        .value_kind:     by_value
      - .offset:         60
        .size:           1
        .value_kind:     by_value
      - .offset:         64
        .size:           8
        .value_kind:     by_value
      - .address_space:  global
        .offset:         72
        .size:           8
        .value_kind:     global_buffer
      - .address_space:  global
        .offset:         80
        .size:           8
        .value_kind:     global_buffer
      - .address_space:  global
        .offset:         88
        .size:           8
        .value_kind:     global_buffer
    .group_segment_fixed_size: 0
    .kernarg_segment_align: 8
    .kernarg_segment_size: 96
    .language:       OpenCL C
    .language_version:
      - 2
      - 0
    .max_flat_workgroup_size: 128
    .name:           _ZN4vllm3moe22topkGatingSoftplusSqrtILi2ELi2ELi4ELi4ELi32ELb0Ej14__hip_bfloat16EEvPKT6_PKbPfiPT5_PiiiibdPKfPKS9_SF_
    .private_segment_fixed_size: 0
    .sgpr_count:     32
    .sgpr_spill_count: 0
    .symbol:         _ZN4vllm3moe22topkGatingSoftplusSqrtILi2ELi2ELi4ELi4ELi32ELb0Ej14__hip_bfloat16EEvPKT6_PKbPfiPT5_PiiiibdPKfPKS9_SF_.kd
    .uniform_work_group_size: 1
    .uses_dynamic_stack: false
    .vgpr_count:     13
    .vgpr_spill_count: 0
    .wavefront_size: 64
  - .agpr_count:     0
    .args:
      - .address_space:  global
        .offset:         0
        .size:           8
        .value_kind:     global_buffer
      - .address_space:  global
        .offset:         8
        .size:           8
        .value_kind:     global_buffer
      - .address_space:  global
        .offset:         16
        .size:           8
        .value_kind:     global_buffer
      - .offset:         24
        .size:           4
        .value_kind:     by_value
      - .address_space:  global
        .offset:         32
        .size:           8
        .value_kind:     global_buffer
      - .address_space:  global
        .offset:         40
        .size:           8
        .value_kind:     global_buffer
      - .offset:         48
        .size:           4
        .value_kind:     by_value
      - .offset:         52
        .size:           4
        .value_kind:     by_value
      - .offset:         56
        .size:           4
        .value_kind:     by_value
      - .offset:         60
        .size:           1
        .value_kind:     by_value
      - .offset:         64
        .size:           8
        .value_kind:     by_value
      - .address_space:  global
        .offset:         72
        .size:           8
        .value_kind:     global_buffer
      - .address_space:  global
        .offset:         80
        .size:           8
        .value_kind:     global_buffer
      - .address_space:  global
        .offset:         88
        .size:           8
        .value_kind:     global_buffer
    .group_segment_fixed_size: 0
    .kernarg_segment_align: 8
    .kernarg_segment_size: 96
    .language:       OpenCL C
    .language_version:
      - 2
      - 0
    .max_flat_workgroup_size: 256
    .name:           _ZN4vllm3moe22topkGatingSoftplusSqrtILi4ELi4ELi4ELi8ELi64ELb1Ej14__hip_bfloat16EEvPKT6_PKbPfiPT5_PiiiibdPKfPKS9_SF_
    .private_segment_fixed_size: 0
    .sgpr_count:     24
    .sgpr_spill_count: 0
    .symbol:         _ZN4vllm3moe22topkGatingSoftplusSqrtILi4ELi4ELi4ELi8ELi64ELb1Ej14__hip_bfloat16EEvPKT6_PKbPfiPT5_PiiiibdPKfPKS9_SF_.kd
    .uniform_work_group_size: 1
    .uses_dynamic_stack: false
    .vgpr_count:     22
    .vgpr_spill_count: 0
    .wavefront_size: 64
  - .agpr_count:     0
    .args:
      - .address_space:  global
        .offset:         0
        .size:           8
        .value_kind:     global_buffer
      - .address_space:  global
        .offset:         8
        .size:           8
        .value_kind:     global_buffer
      - .address_space:  global
        .offset:         16
        .size:           8
        .value_kind:     global_buffer
      - .offset:         24
        .size:           4
        .value_kind:     by_value
      - .address_space:  global
        .offset:         32
        .size:           8
        .value_kind:     global_buffer
      - .address_space:  global
        .offset:         40
        .size:           8
        .value_kind:     global_buffer
      - .offset:         48
        .size:           4
        .value_kind:     by_value
      - .offset:         52
        .size:           4
        .value_kind:     by_value
      - .offset:         56
        .size:           4
        .value_kind:     by_value
      - .offset:         60
        .size:           1
        .value_kind:     by_value
      - .offset:         64
        .size:           8
        .value_kind:     by_value
      - .address_space:  global
        .offset:         72
        .size:           8
        .value_kind:     global_buffer
      - .address_space:  global
        .offset:         80
        .size:           8
        .value_kind:     global_buffer
      - .address_space:  global
        .offset:         88
        .size:           8
        .value_kind:     global_buffer
    .group_segment_fixed_size: 0
    .kernarg_segment_align: 8
    .kernarg_segment_size: 96
    .language:       OpenCL C
    .language_version:
      - 2
      - 0
    .max_flat_workgroup_size: 256
    .name:           _ZN4vllm3moe22topkGatingSoftplusSqrtILi4ELi4ELi4ELi8ELi64ELb0Ej14__hip_bfloat16EEvPKT6_PKbPfiPT5_PiiiibdPKfPKS9_SF_
    .private_segment_fixed_size: 0
    .sgpr_count:     32
    .sgpr_spill_count: 0
    .symbol:         _ZN4vllm3moe22topkGatingSoftplusSqrtILi4ELi4ELi4ELi8ELi64ELb0Ej14__hip_bfloat16EEvPKT6_PKbPfiPT5_PiiiibdPKfPKS9_SF_.kd
    .uniform_work_group_size: 1
    .uses_dynamic_stack: false
    .vgpr_count:     15
    .vgpr_spill_count: 0
    .wavefront_size: 64
  - .agpr_count:     0
    .args:
      - .address_space:  global
        .offset:         0
        .size:           8
        .value_kind:     global_buffer
      - .address_space:  global
        .offset:         8
        .size:           8
        .value_kind:     global_buffer
      - .address_space:  global
        .offset:         16
        .size:           8
        .value_kind:     global_buffer
      - .offset:         24
        .size:           4
        .value_kind:     by_value
      - .address_space:  global
        .offset:         32
        .size:           8
        .value_kind:     global_buffer
      - .address_space:  global
        .offset:         40
        .size:           8
        .value_kind:     global_buffer
      - .offset:         48
        .size:           4
        .value_kind:     by_value
      - .offset:         52
        .size:           4
        .value_kind:     by_value
      - .offset:         56
        .size:           4
        .value_kind:     by_value
      - .offset:         60
        .size:           1
        .value_kind:     by_value
      - .offset:         64
        .size:           8
        .value_kind:     by_value
      - .address_space:  global
        .offset:         72
        .size:           8
        .value_kind:     global_buffer
      - .address_space:  global
        .offset:         80
        .size:           8
        .value_kind:     global_buffer
      - .address_space:  global
        .offset:         88
        .size:           8
        .value_kind:     global_buffer
    .group_segment_fixed_size: 0
    .kernarg_segment_align: 8
    .kernarg_segment_size: 96
    .language:       OpenCL C
    .language_version:
      - 2
      - 0
    .max_flat_workgroup_size: 128
    .name:           _ZN4vllm3moe22topkGatingSoftplusSqrtILi4ELi4ELi4ELi8ELi32ELb1Ej14__hip_bfloat16EEvPKT6_PKbPfiPT5_PiiiibdPKfPKS9_SF_
    .private_segment_fixed_size: 0
    .sgpr_count:     24
    .sgpr_spill_count: 0
    .symbol:         _ZN4vllm3moe22topkGatingSoftplusSqrtILi4ELi4ELi4ELi8ELi32ELb1Ej14__hip_bfloat16EEvPKT6_PKbPfiPT5_PiiiibdPKfPKS9_SF_.kd
    .uniform_work_group_size: 1
    .uses_dynamic_stack: false
    .vgpr_count:     22
    .vgpr_spill_count: 0
    .wavefront_size: 64
  - .agpr_count:     0
    .args:
      - .address_space:  global
        .offset:         0
        .size:           8
        .value_kind:     global_buffer
      - .address_space:  global
        .offset:         8
        .size:           8
        .value_kind:     global_buffer
      - .address_space:  global
        .offset:         16
        .size:           8
        .value_kind:     global_buffer
      - .offset:         24
        .size:           4
        .value_kind:     by_value
      - .address_space:  global
        .offset:         32
        .size:           8
        .value_kind:     global_buffer
      - .address_space:  global
        .offset:         40
        .size:           8
        .value_kind:     global_buffer
      - .offset:         48
        .size:           4
        .value_kind:     by_value
      - .offset:         52
        .size:           4
        .value_kind:     by_value
      - .offset:         56
        .size:           4
        .value_kind:     by_value
      - .offset:         60
        .size:           1
        .value_kind:     by_value
      - .offset:         64
        .size:           8
        .value_kind:     by_value
      - .address_space:  global
        .offset:         72
        .size:           8
        .value_kind:     global_buffer
      - .address_space:  global
        .offset:         80
        .size:           8
        .value_kind:     global_buffer
      - .address_space:  global
        .offset:         88
        .size:           8
        .value_kind:     global_buffer
    .group_segment_fixed_size: 0
    .kernarg_segment_align: 8
    .kernarg_segment_size: 96
    .language:       OpenCL C
    .language_version:
      - 2
      - 0
    .max_flat_workgroup_size: 128
    .name:           _ZN4vllm3moe22topkGatingSoftplusSqrtILi4ELi4ELi4ELi8ELi32ELb0Ej14__hip_bfloat16EEvPKT6_PKbPfiPT5_PiiiibdPKfPKS9_SF_
    .private_segment_fixed_size: 0
    .sgpr_count:     32
    .sgpr_spill_count: 0
    .symbol:         _ZN4vllm3moe22topkGatingSoftplusSqrtILi4ELi4ELi4ELi8ELi32ELb0Ej14__hip_bfloat16EEvPKT6_PKbPfiPT5_PiiiibdPKfPKS9_SF_.kd
    .uniform_work_group_size: 1
    .uses_dynamic_stack: false
    .vgpr_count:     15
    .vgpr_spill_count: 0
    .wavefront_size: 64
  - .agpr_count:     0
    .args:
      - .address_space:  global
        .offset:         0
        .size:           8
        .value_kind:     global_buffer
      - .address_space:  global
        .offset:         8
        .size:           8
        .value_kind:     global_buffer
      - .address_space:  global
        .offset:         16
        .size:           8
        .value_kind:     global_buffer
      - .offset:         24
        .size:           4
        .value_kind:     by_value
      - .address_space:  global
        .offset:         32
        .size:           8
        .value_kind:     global_buffer
      - .address_space:  global
        .offset:         40
        .size:           8
        .value_kind:     global_buffer
      - .offset:         48
        .size:           4
        .value_kind:     by_value
      - .offset:         52
        .size:           4
        .value_kind:     by_value
      - .offset:         56
        .size:           4
        .value_kind:     by_value
      - .offset:         60
        .size:           1
        .value_kind:     by_value
      - .offset:         64
        .size:           8
        .value_kind:     by_value
      - .address_space:  global
        .offset:         72
        .size:           8
        .value_kind:     global_buffer
      - .address_space:  global
        .offset:         80
        .size:           8
        .value_kind:     global_buffer
      - .address_space:  global
        .offset:         88
        .size:           8
        .value_kind:     global_buffer
    .group_segment_fixed_size: 0
    .kernarg_segment_align: 8
    .kernarg_segment_size: 96
    .language:       OpenCL C
    .language_version:
      - 2
      - 0
    .max_flat_workgroup_size: 256
    .name:           _ZN4vllm3moe22topkGatingSoftplusSqrtILi8ELi8ELi4ELi16ELi64ELb1Ej14__hip_bfloat16EEvPKT6_PKbPfiPT5_PiiiibdPKfPKS9_SF_
    .private_segment_fixed_size: 0
    .sgpr_count:     24
    .sgpr_spill_count: 0
    .symbol:         _ZN4vllm3moe22topkGatingSoftplusSqrtILi8ELi8ELi4ELi16ELi64ELb1Ej14__hip_bfloat16EEvPKT6_PKbPfiPT5_PiiiibdPKfPKS9_SF_.kd
    .uniform_work_group_size: 1
    .uses_dynamic_stack: false
    .vgpr_count:     24
    .vgpr_spill_count: 0
    .wavefront_size: 64
  - .agpr_count:     0
    .args:
      - .address_space:  global
        .offset:         0
        .size:           8
        .value_kind:     global_buffer
      - .address_space:  global
        .offset:         8
        .size:           8
        .value_kind:     global_buffer
      - .address_space:  global
        .offset:         16
        .size:           8
        .value_kind:     global_buffer
      - .offset:         24
        .size:           4
        .value_kind:     by_value
      - .address_space:  global
        .offset:         32
        .size:           8
        .value_kind:     global_buffer
      - .address_space:  global
        .offset:         40
        .size:           8
        .value_kind:     global_buffer
      - .offset:         48
        .size:           4
        .value_kind:     by_value
      - .offset:         52
        .size:           4
        .value_kind:     by_value
      - .offset:         56
        .size:           4
        .value_kind:     by_value
      - .offset:         60
        .size:           1
        .value_kind:     by_value
      - .offset:         64
        .size:           8
        .value_kind:     by_value
      - .address_space:  global
        .offset:         72
        .size:           8
        .value_kind:     global_buffer
      - .address_space:  global
        .offset:         80
        .size:           8
        .value_kind:     global_buffer
      - .address_space:  global
        .offset:         88
        .size:           8
        .value_kind:     global_buffer
    .group_segment_fixed_size: 0
    .kernarg_segment_align: 8
    .kernarg_segment_size: 96
    .language:       OpenCL C
    .language_version:
      - 2
      - 0
    .max_flat_workgroup_size: 256
    .name:           _ZN4vllm3moe22topkGatingSoftplusSqrtILi8ELi8ELi4ELi16ELi64ELb0Ej14__hip_bfloat16EEvPKT6_PKbPfiPT5_PiiiibdPKfPKS9_SF_
    .private_segment_fixed_size: 0
    .sgpr_count:     32
    .sgpr_spill_count: 0
    .symbol:         _ZN4vllm3moe22topkGatingSoftplusSqrtILi8ELi8ELi4ELi16ELi64ELb0Ej14__hip_bfloat16EEvPKT6_PKbPfiPT5_PiiiibdPKfPKS9_SF_.kd
    .uniform_work_group_size: 1
    .uses_dynamic_stack: false
    .vgpr_count:     20
    .vgpr_spill_count: 0
    .wavefront_size: 64
  - .agpr_count:     0
    .args:
      - .address_space:  global
        .offset:         0
        .size:           8
        .value_kind:     global_buffer
      - .address_space:  global
        .offset:         8
        .size:           8
        .value_kind:     global_buffer
      - .address_space:  global
        .offset:         16
        .size:           8
        .value_kind:     global_buffer
      - .offset:         24
        .size:           4
        .value_kind:     by_value
      - .address_space:  global
        .offset:         32
        .size:           8
        .value_kind:     global_buffer
      - .address_space:  global
        .offset:         40
        .size:           8
        .value_kind:     global_buffer
      - .offset:         48
        .size:           4
        .value_kind:     by_value
      - .offset:         52
        .size:           4
        .value_kind:     by_value
      - .offset:         56
        .size:           4
        .value_kind:     by_value
      - .offset:         60
        .size:           1
        .value_kind:     by_value
      - .offset:         64
        .size:           8
        .value_kind:     by_value
      - .address_space:  global
        .offset:         72
        .size:           8
        .value_kind:     global_buffer
      - .address_space:  global
        .offset:         80
        .size:           8
        .value_kind:     global_buffer
      - .address_space:  global
        .offset:         88
        .size:           8
        .value_kind:     global_buffer
    .group_segment_fixed_size: 0
    .kernarg_segment_align: 8
    .kernarg_segment_size: 96
    .language:       OpenCL C
    .language_version:
      - 2
      - 0
    .max_flat_workgroup_size: 128
    .name:           _ZN4vllm3moe22topkGatingSoftplusSqrtILi8ELi8ELi4ELi16ELi32ELb1Ej14__hip_bfloat16EEvPKT6_PKbPfiPT5_PiiiibdPKfPKS9_SF_
    .private_segment_fixed_size: 0
    .sgpr_count:     24
    .sgpr_spill_count: 0
    .symbol:         _ZN4vllm3moe22topkGatingSoftplusSqrtILi8ELi8ELi4ELi16ELi32ELb1Ej14__hip_bfloat16EEvPKT6_PKbPfiPT5_PiiiibdPKfPKS9_SF_.kd
    .uniform_work_group_size: 1
    .uses_dynamic_stack: false
    .vgpr_count:     24
    .vgpr_spill_count: 0
    .wavefront_size: 64
  - .agpr_count:     0
    .args:
      - .address_space:  global
        .offset:         0
        .size:           8
        .value_kind:     global_buffer
      - .address_space:  global
        .offset:         8
        .size:           8
        .value_kind:     global_buffer
      - .address_space:  global
        .offset:         16
        .size:           8
        .value_kind:     global_buffer
      - .offset:         24
        .size:           4
        .value_kind:     by_value
      - .address_space:  global
        .offset:         32
        .size:           8
        .value_kind:     global_buffer
      - .address_space:  global
        .offset:         40
        .size:           8
        .value_kind:     global_buffer
      - .offset:         48
        .size:           4
        .value_kind:     by_value
      - .offset:         52
        .size:           4
        .value_kind:     by_value
      - .offset:         56
        .size:           4
        .value_kind:     by_value
      - .offset:         60
        .size:           1
        .value_kind:     by_value
      - .offset:         64
        .size:           8
        .value_kind:     by_value
      - .address_space:  global
        .offset:         72
        .size:           8
        .value_kind:     global_buffer
      - .address_space:  global
        .offset:         80
        .size:           8
        .value_kind:     global_buffer
      - .address_space:  global
        .offset:         88
        .size:           8
        .value_kind:     global_buffer
    .group_segment_fixed_size: 0
    .kernarg_segment_align: 8
    .kernarg_segment_size: 96
    .language:       OpenCL C
    .language_version:
      - 2
      - 0
    .max_flat_workgroup_size: 128
    .name:           _ZN4vllm3moe22topkGatingSoftplusSqrtILi8ELi8ELi4ELi16ELi32ELb0Ej14__hip_bfloat16EEvPKT6_PKbPfiPT5_PiiiibdPKfPKS9_SF_
    .private_segment_fixed_size: 0
    .sgpr_count:     32
    .sgpr_spill_count: 0
    .symbol:         _ZN4vllm3moe22topkGatingSoftplusSqrtILi8ELi8ELi4ELi16ELi32ELb0Ej14__hip_bfloat16EEvPKT6_PKbPfiPT5_PiiiibdPKfPKS9_SF_.kd
    .uniform_work_group_size: 1
    .uses_dynamic_stack: false
    .vgpr_count:     20
    .vgpr_spill_count: 0
    .wavefront_size: 64
  - .agpr_count:     0
    .args:
      - .address_space:  global
        .offset:         0
        .size:           8
        .value_kind:     global_buffer
      - .address_space:  global
        .offset:         8
        .size:           8
        .value_kind:     global_buffer
      - .address_space:  global
        .offset:         16
        .size:           8
        .value_kind:     global_buffer
      - .offset:         24
        .size:           4
        .value_kind:     by_value
      - .address_space:  global
        .offset:         32
        .size:           8
        .value_kind:     global_buffer
      - .address_space:  global
        .offset:         40
        .size:           8
        .value_kind:     global_buffer
      - .offset:         48
        .size:           4
        .value_kind:     by_value
      - .offset:         52
        .size:           4
        .value_kind:     by_value
      - .offset:         56
        .size:           4
        .value_kind:     by_value
      - .offset:         60
        .size:           1
        .value_kind:     by_value
      - .offset:         64
        .size:           8
        .value_kind:     by_value
      - .address_space:  global
        .offset:         72
        .size:           8
        .value_kind:     global_buffer
      - .address_space:  global
        .offset:         80
        .size:           8
        .value_kind:     global_buffer
      - .address_space:  global
        .offset:         88
        .size:           8
        .value_kind:     global_buffer
    .group_segment_fixed_size: 0
    .kernarg_segment_align: 8
    .kernarg_segment_size: 96
    .language:       OpenCL C
    .language_version:
      - 2
      - 0
    .max_flat_workgroup_size: 256
    .name:           _ZN4vllm3moe22topkGatingSoftplusSqrtILi8ELi16ELi4ELi16ELi64ELb1Ej14__hip_bfloat16EEvPKT6_PKbPfiPT5_PiiiibdPKfPKS9_SF_
    .private_segment_fixed_size: 48
    .sgpr_count:     40
    .sgpr_spill_count: 0
    .symbol:         _ZN4vllm3moe22topkGatingSoftplusSqrtILi8ELi16ELi4ELi16ELi64ELb1Ej14__hip_bfloat16EEvPKT6_PKbPfiPT5_PiiiibdPKfPKS9_SF_.kd
    .uniform_work_group_size: 1
    .uses_dynamic_stack: false
    .vgpr_count:     27
    .vgpr_spill_count: 0
    .wavefront_size: 64
  - .agpr_count:     0
    .args:
      - .address_space:  global
        .offset:         0
        .size:           8
        .value_kind:     global_buffer
      - .address_space:  global
        .offset:         8
        .size:           8
        .value_kind:     global_buffer
      - .address_space:  global
        .offset:         16
        .size:           8
        .value_kind:     global_buffer
      - .offset:         24
        .size:           4
        .value_kind:     by_value
      - .address_space:  global
        .offset:         32
        .size:           8
        .value_kind:     global_buffer
      - .address_space:  global
        .offset:         40
        .size:           8
        .value_kind:     global_buffer
      - .offset:         48
        .size:           4
        .value_kind:     by_value
      - .offset:         52
        .size:           4
        .value_kind:     by_value
      - .offset:         56
        .size:           4
        .value_kind:     by_value
      - .offset:         60
        .size:           1
        .value_kind:     by_value
      - .offset:         64
        .size:           8
        .value_kind:     by_value
      - .address_space:  global
        .offset:         72
        .size:           8
        .value_kind:     global_buffer
      - .address_space:  global
        .offset:         80
        .size:           8
        .value_kind:     global_buffer
      - .address_space:  global
        .offset:         88
        .size:           8
        .value_kind:     global_buffer
    .group_segment_fixed_size: 0
    .kernarg_segment_align: 8
    .kernarg_segment_size: 96
    .language:       OpenCL C
    .language_version:
      - 2
      - 0
    .max_flat_workgroup_size: 256
    .name:           _ZN4vllm3moe22topkGatingSoftplusSqrtILi8ELi16ELi4ELi16ELi64ELb0Ej14__hip_bfloat16EEvPKT6_PKbPfiPT5_PiiiibdPKfPKS9_SF_
    .private_segment_fixed_size: 0
    .sgpr_count:     49
    .sgpr_spill_count: 0
    .symbol:         _ZN4vllm3moe22topkGatingSoftplusSqrtILi8ELi16ELi4ELi16ELi64ELb0Ej14__hip_bfloat16EEvPKT6_PKbPfiPT5_PiiiibdPKfPKS9_SF_.kd
    .uniform_work_group_size: 1
    .uses_dynamic_stack: false
    .vgpr_count:     24
    .vgpr_spill_count: 0
    .wavefront_size: 64
  - .agpr_count:     0
    .args:
      - .address_space:  global
        .offset:         0
        .size:           8
        .value_kind:     global_buffer
      - .address_space:  global
        .offset:         8
        .size:           8
        .value_kind:     global_buffer
      - .address_space:  global
        .offset:         16
        .size:           8
        .value_kind:     global_buffer
      - .offset:         24
        .size:           4
        .value_kind:     by_value
      - .address_space:  global
        .offset:         32
        .size:           8
        .value_kind:     global_buffer
      - .address_space:  global
        .offset:         40
        .size:           8
        .value_kind:     global_buffer
      - .offset:         48
        .size:           4
        .value_kind:     by_value
      - .offset:         52
        .size:           4
        .value_kind:     by_value
      - .offset:         56
        .size:           4
        .value_kind:     by_value
      - .offset:         60
        .size:           1
        .value_kind:     by_value
      - .offset:         64
        .size:           8
        .value_kind:     by_value
      - .address_space:  global
        .offset:         72
        .size:           8
        .value_kind:     global_buffer
      - .address_space:  global
        .offset:         80
        .size:           8
        .value_kind:     global_buffer
      - .address_space:  global
        .offset:         88
        .size:           8
        .value_kind:     global_buffer
    .group_segment_fixed_size: 0
    .kernarg_segment_align: 8
    .kernarg_segment_size: 96
    .language:       OpenCL C
    .language_version:
      - 2
      - 0
    .max_flat_workgroup_size: 128
    .name:           _ZN4vllm3moe22topkGatingSoftplusSqrtILi8ELi16ELi4ELi16ELi32ELb1Ej14__hip_bfloat16EEvPKT6_PKbPfiPT5_PiiiibdPKfPKS9_SF_
    .private_segment_fixed_size: 48
    .sgpr_count:     40
    .sgpr_spill_count: 0
    .symbol:         _ZN4vllm3moe22topkGatingSoftplusSqrtILi8ELi16ELi4ELi16ELi32ELb1Ej14__hip_bfloat16EEvPKT6_PKbPfiPT5_PiiiibdPKfPKS9_SF_.kd
    .uniform_work_group_size: 1
    .uses_dynamic_stack: false
    .vgpr_count:     27
    .vgpr_spill_count: 0
    .wavefront_size: 64
  - .agpr_count:     0
    .args:
      - .address_space:  global
        .offset:         0
        .size:           8
        .value_kind:     global_buffer
      - .address_space:  global
        .offset:         8
        .size:           8
        .value_kind:     global_buffer
      - .address_space:  global
        .offset:         16
        .size:           8
        .value_kind:     global_buffer
      - .offset:         24
        .size:           4
        .value_kind:     by_value
      - .address_space:  global
        .offset:         32
        .size:           8
        .value_kind:     global_buffer
      - .address_space:  global
        .offset:         40
        .size:           8
        .value_kind:     global_buffer
      - .offset:         48
        .size:           4
        .value_kind:     by_value
      - .offset:         52
        .size:           4
        .value_kind:     by_value
      - .offset:         56
        .size:           4
        .value_kind:     by_value
      - .offset:         60
        .size:           1
        .value_kind:     by_value
      - .offset:         64
        .size:           8
        .value_kind:     by_value
      - .address_space:  global
        .offset:         72
        .size:           8
        .value_kind:     global_buffer
      - .address_space:  global
        .offset:         80
        .size:           8
        .value_kind:     global_buffer
      - .address_space:  global
        .offset:         88
        .size:           8
        .value_kind:     global_buffer
    .group_segment_fixed_size: 0
    .kernarg_segment_align: 8
    .kernarg_segment_size: 96
    .language:       OpenCL C
    .language_version:
      - 2
      - 0
    .max_flat_workgroup_size: 128
    .name:           _ZN4vllm3moe22topkGatingSoftplusSqrtILi8ELi16ELi4ELi16ELi32ELb0Ej14__hip_bfloat16EEvPKT6_PKbPfiPT5_PiiiibdPKfPKS9_SF_
    .private_segment_fixed_size: 0
    .sgpr_count:     49
    .sgpr_spill_count: 0
    .symbol:         _ZN4vllm3moe22topkGatingSoftplusSqrtILi8ELi16ELi4ELi16ELi32ELb0Ej14__hip_bfloat16EEvPKT6_PKbPfiPT5_PiiiibdPKfPKS9_SF_.kd
    .uniform_work_group_size: 1
    .uses_dynamic_stack: false
    .vgpr_count:     24
    .vgpr_spill_count: 0
    .wavefront_size: 64
  - .agpr_count:     0
    .args:
      - .address_space:  global
        .offset:         0
        .size:           8
        .value_kind:     global_buffer
      - .address_space:  global
        .offset:         8
        .size:           8
        .value_kind:     global_buffer
      - .address_space:  global
        .offset:         16
        .size:           8
        .value_kind:     global_buffer
      - .offset:         24
        .size:           4
        .value_kind:     by_value
      - .address_space:  global
        .offset:         32
        .size:           8
        .value_kind:     global_buffer
      - .address_space:  global
        .offset:         40
        .size:           8
        .value_kind:     global_buffer
      - .offset:         48
        .size:           4
        .value_kind:     by_value
      - .offset:         52
        .size:           4
        .value_kind:     by_value
      - .offset:         56
        .size:           4
        .value_kind:     by_value
      - .offset:         60
        .size:           1
        .value_kind:     by_value
      - .offset:         64
        .size:           8
        .value_kind:     by_value
      - .address_space:  global
        .offset:         72
        .size:           8
        .value_kind:     global_buffer
      - .address_space:  global
        .offset:         80
        .size:           8
        .value_kind:     global_buffer
      - .address_space:  global
        .offset:         88
        .size:           8
        .value_kind:     global_buffer
    .group_segment_fixed_size: 0
    .kernarg_segment_align: 8
    .kernarg_segment_size: 96
    .language:       OpenCL C
    .language_version:
      - 2
      - 0
    .max_flat_workgroup_size: 256
    .name:           _ZN4vllm3moe22topkGatingSoftplusSqrtILi8ELi32ELi4ELi16ELi64ELb1Ej14__hip_bfloat16EEvPKT6_PKbPfiPT5_PiiiibdPKfPKS9_SF_
    .private_segment_fixed_size: 48
    .sgpr_count:     40
    .sgpr_spill_count: 0
    .symbol:         _ZN4vllm3moe22topkGatingSoftplusSqrtILi8ELi32ELi4ELi16ELi64ELb1Ej14__hip_bfloat16EEvPKT6_PKbPfiPT5_PiiiibdPKfPKS9_SF_.kd
    .uniform_work_group_size: 1
    .uses_dynamic_stack: false
    .vgpr_count:     27
    .vgpr_spill_count: 0
    .wavefront_size: 64
  - .agpr_count:     0
    .args:
      - .address_space:  global
        .offset:         0
        .size:           8
        .value_kind:     global_buffer
      - .address_space:  global
        .offset:         8
        .size:           8
        .value_kind:     global_buffer
      - .address_space:  global
        .offset:         16
        .size:           8
        .value_kind:     global_buffer
      - .offset:         24
        .size:           4
        .value_kind:     by_value
      - .address_space:  global
        .offset:         32
        .size:           8
        .value_kind:     global_buffer
      - .address_space:  global
        .offset:         40
        .size:           8
        .value_kind:     global_buffer
      - .offset:         48
        .size:           4
        .value_kind:     by_value
      - .offset:         52
        .size:           4
        .value_kind:     by_value
      - .offset:         56
        .size:           4
        .value_kind:     by_value
      - .offset:         60
        .size:           1
        .value_kind:     by_value
      - .offset:         64
        .size:           8
        .value_kind:     by_value
      - .address_space:  global
        .offset:         72
        .size:           8
        .value_kind:     global_buffer
      - .address_space:  global
        .offset:         80
        .size:           8
        .value_kind:     global_buffer
      - .address_space:  global
        .offset:         88
        .size:           8
        .value_kind:     global_buffer
    .group_segment_fixed_size: 0
    .kernarg_segment_align: 8
    .kernarg_segment_size: 96
    .language:       OpenCL C
    .language_version:
      - 2
      - 0
    .max_flat_workgroup_size: 256
    .name:           _ZN4vllm3moe22topkGatingSoftplusSqrtILi8ELi32ELi4ELi16ELi64ELb0Ej14__hip_bfloat16EEvPKT6_PKbPfiPT5_PiiiibdPKfPKS9_SF_
    .private_segment_fixed_size: 0
    .sgpr_count:     49
    .sgpr_spill_count: 0
    .symbol:         _ZN4vllm3moe22topkGatingSoftplusSqrtILi8ELi32ELi4ELi16ELi64ELb0Ej14__hip_bfloat16EEvPKT6_PKbPfiPT5_PiiiibdPKfPKS9_SF_.kd
    .uniform_work_group_size: 1
    .uses_dynamic_stack: false
    .vgpr_count:     24
    .vgpr_spill_count: 0
    .wavefront_size: 64
  - .agpr_count:     0
    .args:
      - .address_space:  global
        .offset:         0
        .size:           8
        .value_kind:     global_buffer
      - .address_space:  global
        .offset:         8
        .size:           8
        .value_kind:     global_buffer
      - .address_space:  global
        .offset:         16
        .size:           8
        .value_kind:     global_buffer
      - .offset:         24
        .size:           4
        .value_kind:     by_value
      - .address_space:  global
        .offset:         32
        .size:           8
        .value_kind:     global_buffer
      - .address_space:  global
        .offset:         40
        .size:           8
        .value_kind:     global_buffer
      - .offset:         48
        .size:           4
        .value_kind:     by_value
      - .offset:         52
        .size:           4
        .value_kind:     by_value
      - .offset:         56
        .size:           4
        .value_kind:     by_value
      - .offset:         60
        .size:           1
        .value_kind:     by_value
      - .offset:         64
        .size:           8
        .value_kind:     by_value
      - .address_space:  global
        .offset:         72
        .size:           8
        .value_kind:     global_buffer
      - .address_space:  global
        .offset:         80
        .size:           8
        .value_kind:     global_buffer
      - .address_space:  global
        .offset:         88
        .size:           8
        .value_kind:     global_buffer
    .group_segment_fixed_size: 0
    .kernarg_segment_align: 8
    .kernarg_segment_size: 96
    .language:       OpenCL C
    .language_version:
      - 2
      - 0
    .max_flat_workgroup_size: 128
    .name:           _ZN4vllm3moe22topkGatingSoftplusSqrtILi8ELi32ELi4ELi16ELi32ELb1Ej14__hip_bfloat16EEvPKT6_PKbPfiPT5_PiiiibdPKfPKS9_SF_
    .private_segment_fixed_size: 48
    .sgpr_count:     40
    .sgpr_spill_count: 0
    .symbol:         _ZN4vllm3moe22topkGatingSoftplusSqrtILi8ELi32ELi4ELi16ELi32ELb1Ej14__hip_bfloat16EEvPKT6_PKbPfiPT5_PiiiibdPKfPKS9_SF_.kd
    .uniform_work_group_size: 1
    .uses_dynamic_stack: false
    .vgpr_count:     27
    .vgpr_spill_count: 0
    .wavefront_size: 64
  - .agpr_count:     0
    .args:
      - .address_space:  global
        .offset:         0
        .size:           8
        .value_kind:     global_buffer
      - .address_space:  global
        .offset:         8
        .size:           8
        .value_kind:     global_buffer
      - .address_space:  global
        .offset:         16
        .size:           8
        .value_kind:     global_buffer
      - .offset:         24
        .size:           4
        .value_kind:     by_value
      - .address_space:  global
        .offset:         32
        .size:           8
        .value_kind:     global_buffer
      - .address_space:  global
        .offset:         40
        .size:           8
        .value_kind:     global_buffer
      - .offset:         48
        .size:           4
        .value_kind:     by_value
      - .offset:         52
        .size:           4
        .value_kind:     by_value
      - .offset:         56
        .size:           4
        .value_kind:     by_value
      - .offset:         60
        .size:           1
        .value_kind:     by_value
      - .offset:         64
        .size:           8
        .value_kind:     by_value
      - .address_space:  global
        .offset:         72
        .size:           8
        .value_kind:     global_buffer
      - .address_space:  global
        .offset:         80
        .size:           8
        .value_kind:     global_buffer
      - .address_space:  global
        .offset:         88
        .size:           8
        .value_kind:     global_buffer
    .group_segment_fixed_size: 0
    .kernarg_segment_align: 8
    .kernarg_segment_size: 96
    .language:       OpenCL C
    .language_version:
      - 2
      - 0
    .max_flat_workgroup_size: 128
    .name:           _ZN4vllm3moe22topkGatingSoftplusSqrtILi8ELi32ELi4ELi16ELi32ELb0Ej14__hip_bfloat16EEvPKT6_PKbPfiPT5_PiiiibdPKfPKS9_SF_
    .private_segment_fixed_size: 0
    .sgpr_count:     49
    .sgpr_spill_count: 0
    .symbol:         _ZN4vllm3moe22topkGatingSoftplusSqrtILi8ELi32ELi4ELi16ELi32ELb0Ej14__hip_bfloat16EEvPKT6_PKbPfiPT5_PiiiibdPKfPKS9_SF_.kd
    .uniform_work_group_size: 1
    .uses_dynamic_stack: false
    .vgpr_count:     24
    .vgpr_spill_count: 0
    .wavefront_size: 64
  - .agpr_count:     0
    .args:
      - .address_space:  global
        .offset:         0
        .size:           8
        .value_kind:     global_buffer
      - .address_space:  global
        .offset:         8
        .size:           8
        .value_kind:     global_buffer
      - .address_space:  global
        .offset:         16
        .size:           8
        .value_kind:     global_buffer
      - .offset:         24
        .size:           4
        .value_kind:     by_value
      - .address_space:  global
        .offset:         32
        .size:           8
        .value_kind:     global_buffer
      - .address_space:  global
        .offset:         40
        .size:           8
        .value_kind:     global_buffer
      - .offset:         48
        .size:           4
        .value_kind:     by_value
      - .offset:         52
        .size:           4
        .value_kind:     by_value
      - .offset:         56
        .size:           4
        .value_kind:     by_value
      - .offset:         60
        .size:           1
        .value_kind:     by_value
      - .offset:         64
        .size:           8
        .value_kind:     by_value
      - .address_space:  global
        .offset:         72
        .size:           8
        .value_kind:     global_buffer
      - .address_space:  global
        .offset:         80
        .size:           8
        .value_kind:     global_buffer
      - .address_space:  global
        .offset:         88
        .size:           8
        .value_kind:     global_buffer
    .group_segment_fixed_size: 0
    .kernarg_segment_align: 8
    .kernarg_segment_size: 96
    .language:       OpenCL C
    .language_version:
      - 2
      - 0
    .max_flat_workgroup_size: 256
    .name:           _ZN4vllm3moe22topkGatingSoftplusSqrtILi8ELi64ELi4ELi16ELi64ELb1Ej14__hip_bfloat16EEvPKT6_PKbPfiPT5_PiiiibdPKfPKS9_SF_
    .private_segment_fixed_size: 48
    .sgpr_count:     40
    .sgpr_spill_count: 0
    .symbol:         _ZN4vllm3moe22topkGatingSoftplusSqrtILi8ELi64ELi4ELi16ELi64ELb1Ej14__hip_bfloat16EEvPKT6_PKbPfiPT5_PiiiibdPKfPKS9_SF_.kd
    .uniform_work_group_size: 1
    .uses_dynamic_stack: false
    .vgpr_count:     27
    .vgpr_spill_count: 0
    .wavefront_size: 64
  - .agpr_count:     0
    .args:
      - .address_space:  global
        .offset:         0
        .size:           8
        .value_kind:     global_buffer
      - .address_space:  global
        .offset:         8
        .size:           8
        .value_kind:     global_buffer
      - .address_space:  global
        .offset:         16
        .size:           8
        .value_kind:     global_buffer
      - .offset:         24
        .size:           4
        .value_kind:     by_value
      - .address_space:  global
        .offset:         32
        .size:           8
        .value_kind:     global_buffer
      - .address_space:  global
        .offset:         40
        .size:           8
        .value_kind:     global_buffer
      - .offset:         48
        .size:           4
        .value_kind:     by_value
      - .offset:         52
        .size:           4
        .value_kind:     by_value
      - .offset:         56
        .size:           4
        .value_kind:     by_value
      - .offset:         60
        .size:           1
        .value_kind:     by_value
      - .offset:         64
        .size:           8
        .value_kind:     by_value
      - .address_space:  global
        .offset:         72
        .size:           8
        .value_kind:     global_buffer
      - .address_space:  global
        .offset:         80
        .size:           8
        .value_kind:     global_buffer
      - .address_space:  global
        .offset:         88
        .size:           8
        .value_kind:     global_buffer
    .group_segment_fixed_size: 0
    .kernarg_segment_align: 8
    .kernarg_segment_size: 96
    .language:       OpenCL C
    .language_version:
      - 2
      - 0
    .max_flat_workgroup_size: 256
    .name:           _ZN4vllm3moe22topkGatingSoftplusSqrtILi8ELi64ELi4ELi16ELi64ELb0Ej14__hip_bfloat16EEvPKT6_PKbPfiPT5_PiiiibdPKfPKS9_SF_
    .private_segment_fixed_size: 0
    .sgpr_count:     49
    .sgpr_spill_count: 0
    .symbol:         _ZN4vllm3moe22topkGatingSoftplusSqrtILi8ELi64ELi4ELi16ELi64ELb0Ej14__hip_bfloat16EEvPKT6_PKbPfiPT5_PiiiibdPKfPKS9_SF_.kd
    .uniform_work_group_size: 1
    .uses_dynamic_stack: false
    .vgpr_count:     26
    .vgpr_spill_count: 0
    .wavefront_size: 64
  - .agpr_count:     0
    .args:
      - .address_space:  global
        .offset:         0
        .size:           8
        .value_kind:     global_buffer
      - .address_space:  global
        .offset:         8
        .size:           8
        .value_kind:     global_buffer
      - .address_space:  global
        .offset:         16
        .size:           8
        .value_kind:     global_buffer
      - .offset:         24
        .size:           4
        .value_kind:     by_value
      - .address_space:  global
        .offset:         32
        .size:           8
        .value_kind:     global_buffer
      - .address_space:  global
        .offset:         40
        .size:           8
        .value_kind:     global_buffer
      - .offset:         48
        .size:           4
        .value_kind:     by_value
      - .offset:         52
        .size:           4
        .value_kind:     by_value
      - .offset:         56
        .size:           4
        .value_kind:     by_value
      - .offset:         60
        .size:           1
        .value_kind:     by_value
      - .offset:         64
        .size:           8
        .value_kind:     by_value
      - .address_space:  global
        .offset:         72
        .size:           8
        .value_kind:     global_buffer
      - .address_space:  global
        .offset:         80
        .size:           8
        .value_kind:     global_buffer
      - .address_space:  global
        .offset:         88
        .size:           8
        .value_kind:     global_buffer
    .group_segment_fixed_size: 0
    .kernarg_segment_align: 8
    .kernarg_segment_size: 96
    .language:       OpenCL C
    .language_version:
      - 2
      - 0
    .max_flat_workgroup_size: 128
    .name:           _ZN4vllm3moe22topkGatingSoftplusSqrtILi8ELi64ELi4ELi16ELi32ELb1Ej14__hip_bfloat16EEvPKT6_PKbPfiPT5_PiiiibdPKfPKS9_SF_
    .private_segment_fixed_size: 48
    .sgpr_count:     40
    .sgpr_spill_count: 0
    .symbol:         _ZN4vllm3moe22topkGatingSoftplusSqrtILi8ELi64ELi4ELi16ELi32ELb1Ej14__hip_bfloat16EEvPKT6_PKbPfiPT5_PiiiibdPKfPKS9_SF_.kd
    .uniform_work_group_size: 1
    .uses_dynamic_stack: false
    .vgpr_count:     27
    .vgpr_spill_count: 0
    .wavefront_size: 64
  - .agpr_count:     0
    .args:
      - .address_space:  global
        .offset:         0
        .size:           8
        .value_kind:     global_buffer
      - .address_space:  global
        .offset:         8
        .size:           8
        .value_kind:     global_buffer
      - .address_space:  global
        .offset:         16
        .size:           8
        .value_kind:     global_buffer
      - .offset:         24
        .size:           4
        .value_kind:     by_value
      - .address_space:  global
        .offset:         32
        .size:           8
        .value_kind:     global_buffer
      - .address_space:  global
        .offset:         40
        .size:           8
        .value_kind:     global_buffer
      - .offset:         48
        .size:           4
        .value_kind:     by_value
      - .offset:         52
        .size:           4
        .value_kind:     by_value
      - .offset:         56
        .size:           4
        .value_kind:     by_value
      - .offset:         60
        .size:           1
        .value_kind:     by_value
      - .offset:         64
        .size:           8
        .value_kind:     by_value
      - .address_space:  global
        .offset:         72
        .size:           8
        .value_kind:     global_buffer
      - .address_space:  global
        .offset:         80
        .size:           8
        .value_kind:     global_buffer
      - .address_space:  global
        .offset:         88
        .size:           8
        .value_kind:     global_buffer
    .group_segment_fixed_size: 0
    .kernarg_segment_align: 8
    .kernarg_segment_size: 96
    .language:       OpenCL C
    .language_version:
      - 2
      - 0
    .max_flat_workgroup_size: 128
    .name:           _ZN4vllm3moe22topkGatingSoftplusSqrtILi8ELi64ELi4ELi16ELi32ELb0Ej14__hip_bfloat16EEvPKT6_PKbPfiPT5_PiiiibdPKfPKS9_SF_
    .private_segment_fixed_size: 0
    .sgpr_count:     49
    .sgpr_spill_count: 0
    .symbol:         _ZN4vllm3moe22topkGatingSoftplusSqrtILi8ELi64ELi4ELi16ELi32ELb0Ej14__hip_bfloat16EEvPKT6_PKbPfiPT5_PiiiibdPKfPKS9_SF_.kd
    .uniform_work_group_size: 1
    .uses_dynamic_stack: false
    .vgpr_count:     26
    .vgpr_spill_count: 0
    .wavefront_size: 64
  - .agpr_count:     0
    .args:
      - .address_space:  global
        .offset:         0
        .size:           8
        .value_kind:     global_buffer
      - .address_space:  global
        .offset:         8
        .size:           8
        .value_kind:     global_buffer
      - .address_space:  global
        .offset:         16
        .size:           8
        .value_kind:     global_buffer
      - .offset:         24
        .size:           4
        .value_kind:     by_value
      - .address_space:  global
        .offset:         32
        .size:           8
        .value_kind:     global_buffer
      - .address_space:  global
        .offset:         40
        .size:           8
        .value_kind:     global_buffer
      - .offset:         48
        .size:           4
        .value_kind:     by_value
      - .offset:         52
        .size:           4
        .value_kind:     by_value
      - .offset:         56
        .size:           4
        .value_kind:     by_value
      - .offset:         60
        .size:           1
        .value_kind:     by_value
      - .offset:         64
        .size:           8
        .value_kind:     by_value
      - .address_space:  global
        .offset:         72
        .size:           8
        .value_kind:     global_buffer
      - .address_space:  global
        .offset:         80
        .size:           8
        .value_kind:     global_buffer
      - .address_space:  global
        .offset:         88
        .size:           8
        .value_kind:     global_buffer
    .group_segment_fixed_size: 0
    .kernarg_segment_align: 8
    .kernarg_segment_size: 96
    .language:       OpenCL C
    .language_version:
      - 2
      - 0
    .max_flat_workgroup_size: 256
    .name:           _ZN4vllm3moe22topkGatingSoftplusSqrtILi8ELi128ELi4ELi16ELi64ELb1Ej14__hip_bfloat16EEvPKT6_PKbPfiPT5_PiiiibdPKfPKS9_SF_
    .private_segment_fixed_size: 48
    .sgpr_count:     40
    .sgpr_spill_count: 0
    .symbol:         _ZN4vllm3moe22topkGatingSoftplusSqrtILi8ELi128ELi4ELi16ELi64ELb1Ej14__hip_bfloat16EEvPKT6_PKbPfiPT5_PiiiibdPKfPKS9_SF_.kd
    .uniform_work_group_size: 1
    .uses_dynamic_stack: false
    .vgpr_count:     27
    .vgpr_spill_count: 0
    .wavefront_size: 64
  - .agpr_count:     0
    .args:
      - .address_space:  global
        .offset:         0
        .size:           8
        .value_kind:     global_buffer
      - .address_space:  global
        .offset:         8
        .size:           8
        .value_kind:     global_buffer
      - .address_space:  global
        .offset:         16
        .size:           8
        .value_kind:     global_buffer
      - .offset:         24
        .size:           4
        .value_kind:     by_value
      - .address_space:  global
        .offset:         32
        .size:           8
        .value_kind:     global_buffer
      - .address_space:  global
        .offset:         40
        .size:           8
        .value_kind:     global_buffer
      - .offset:         48
        .size:           4
        .value_kind:     by_value
      - .offset:         52
        .size:           4
        .value_kind:     by_value
      - .offset:         56
        .size:           4
        .value_kind:     by_value
      - .offset:         60
        .size:           1
        .value_kind:     by_value
      - .offset:         64
        .size:           8
        .value_kind:     by_value
      - .address_space:  global
        .offset:         72
        .size:           8
        .value_kind:     global_buffer
      - .address_space:  global
        .offset:         80
        .size:           8
        .value_kind:     global_buffer
      - .address_space:  global
        .offset:         88
        .size:           8
        .value_kind:     global_buffer
    .group_segment_fixed_size: 0
    .kernarg_segment_align: 8
    .kernarg_segment_size: 96
    .language:       OpenCL C
    .language_version:
      - 2
      - 0
    .max_flat_workgroup_size: 256
    .name:           _ZN4vllm3moe22topkGatingSoftplusSqrtILi8ELi128ELi4ELi16ELi64ELb0Ej14__hip_bfloat16EEvPKT6_PKbPfiPT5_PiiiibdPKfPKS9_SF_
    .private_segment_fixed_size: 0
    .sgpr_count:     49
    .sgpr_spill_count: 0
    .symbol:         _ZN4vllm3moe22topkGatingSoftplusSqrtILi8ELi128ELi4ELi16ELi64ELb0Ej14__hip_bfloat16EEvPKT6_PKbPfiPT5_PiiiibdPKfPKS9_SF_.kd
    .uniform_work_group_size: 1
    .uses_dynamic_stack: false
    .vgpr_count:     28
    .vgpr_spill_count: 0
    .wavefront_size: 64
  - .agpr_count:     0
    .args:
      - .address_space:  global
        .offset:         0
        .size:           8
        .value_kind:     global_buffer
      - .address_space:  global
        .offset:         8
        .size:           8
        .value_kind:     global_buffer
      - .address_space:  global
        .offset:         16
        .size:           8
        .value_kind:     global_buffer
      - .offset:         24
        .size:           4
        .value_kind:     by_value
      - .address_space:  global
        .offset:         32
        .size:           8
        .value_kind:     global_buffer
      - .address_space:  global
        .offset:         40
        .size:           8
        .value_kind:     global_buffer
      - .offset:         48
        .size:           4
        .value_kind:     by_value
      - .offset:         52
        .size:           4
        .value_kind:     by_value
      - .offset:         56
        .size:           4
        .value_kind:     by_value
      - .offset:         60
        .size:           1
        .value_kind:     by_value
      - .offset:         64
        .size:           8
        .value_kind:     by_value
      - .address_space:  global
        .offset:         72
        .size:           8
        .value_kind:     global_buffer
      - .address_space:  global
        .offset:         80
        .size:           8
        .value_kind:     global_buffer
      - .address_space:  global
        .offset:         88
        .size:           8
        .value_kind:     global_buffer
    .group_segment_fixed_size: 0
    .kernarg_segment_align: 8
    .kernarg_segment_size: 96
    .language:       OpenCL C
    .language_version:
      - 2
      - 0
    .max_flat_workgroup_size: 128
    .name:           _ZN4vllm3moe22topkGatingSoftplusSqrtILi8ELi128ELi4ELi16ELi32ELb1Ej14__hip_bfloat16EEvPKT6_PKbPfiPT5_PiiiibdPKfPKS9_SF_
    .private_segment_fixed_size: 48
    .sgpr_count:     40
    .sgpr_spill_count: 0
    .symbol:         _ZN4vllm3moe22topkGatingSoftplusSqrtILi8ELi128ELi4ELi16ELi32ELb1Ej14__hip_bfloat16EEvPKT6_PKbPfiPT5_PiiiibdPKfPKS9_SF_.kd
    .uniform_work_group_size: 1
    .uses_dynamic_stack: false
    .vgpr_count:     27
    .vgpr_spill_count: 0
    .wavefront_size: 64
  - .agpr_count:     0
    .args:
      - .address_space:  global
        .offset:         0
        .size:           8
        .value_kind:     global_buffer
      - .address_space:  global
        .offset:         8
        .size:           8
        .value_kind:     global_buffer
      - .address_space:  global
        .offset:         16
        .size:           8
        .value_kind:     global_buffer
      - .offset:         24
        .size:           4
        .value_kind:     by_value
      - .address_space:  global
        .offset:         32
        .size:           8
        .value_kind:     global_buffer
      - .address_space:  global
        .offset:         40
        .size:           8
        .value_kind:     global_buffer
      - .offset:         48
        .size:           4
        .value_kind:     by_value
      - .offset:         52
        .size:           4
        .value_kind:     by_value
      - .offset:         56
        .size:           4
        .value_kind:     by_value
      - .offset:         60
        .size:           1
        .value_kind:     by_value
      - .offset:         64
        .size:           8
        .value_kind:     by_value
      - .address_space:  global
        .offset:         72
        .size:           8
        .value_kind:     global_buffer
      - .address_space:  global
        .offset:         80
        .size:           8
        .value_kind:     global_buffer
      - .address_space:  global
        .offset:         88
        .size:           8
        .value_kind:     global_buffer
    .group_segment_fixed_size: 0
    .kernarg_segment_align: 8
    .kernarg_segment_size: 96
    .language:       OpenCL C
    .language_version:
      - 2
      - 0
    .max_flat_workgroup_size: 128
    .name:           _ZN4vllm3moe22topkGatingSoftplusSqrtILi8ELi128ELi4ELi16ELi32ELb0Ej14__hip_bfloat16EEvPKT6_PKbPfiPT5_PiiiibdPKfPKS9_SF_
    .private_segment_fixed_size: 0
    .sgpr_count:     49
    .sgpr_spill_count: 0
    .symbol:         _ZN4vllm3moe22topkGatingSoftplusSqrtILi8ELi128ELi4ELi16ELi32ELb0Ej14__hip_bfloat16EEvPKT6_PKbPfiPT5_PiiiibdPKfPKS9_SF_.kd
    .uniform_work_group_size: 1
    .uses_dynamic_stack: false
    .vgpr_count:     28
    .vgpr_spill_count: 0
    .wavefront_size: 64
  - .agpr_count:     0
    .args:
      - .address_space:  global
        .offset:         0
        .size:           8
        .value_kind:     global_buffer
      - .address_space:  global
        .offset:         8
        .size:           8
        .value_kind:     global_buffer
      - .address_space:  global
        .offset:         16
        .size:           8
        .value_kind:     global_buffer
      - .offset:         24
        .size:           4
        .value_kind:     by_value
      - .address_space:  global
        .offset:         32
        .size:           8
        .value_kind:     global_buffer
      - .address_space:  global
        .offset:         40
        .size:           8
        .value_kind:     global_buffer
      - .offset:         48
        .size:           4
        .value_kind:     by_value
      - .offset:         52
        .size:           4
        .value_kind:     by_value
      - .offset:         56
        .size:           4
        .value_kind:     by_value
      - .offset:         60
        .size:           1
        .value_kind:     by_value
      - .offset:         64
        .size:           8
        .value_kind:     by_value
      - .address_space:  global
        .offset:         72
        .size:           8
        .value_kind:     global_buffer
      - .address_space:  global
        .offset:         80
        .size:           8
        .value_kind:     global_buffer
      - .address_space:  global
        .offset:         88
        .size:           8
        .value_kind:     global_buffer
    .group_segment_fixed_size: 0
    .kernarg_segment_align: 8
    .kernarg_segment_size: 96
    .language:       OpenCL C
    .language_version:
      - 2
      - 0
    .max_flat_workgroup_size: 256
    .name:           _ZN4vllm3moe22topkGatingSoftplusSqrtILi8ELi256ELi4ELi16ELi64ELb1Ej14__hip_bfloat16EEvPKT6_PKbPfiPT5_PiiiibdPKfPKS9_SF_
    .private_segment_fixed_size: 48
    .sgpr_count:     40
    .sgpr_spill_count: 0
    .symbol:         _ZN4vllm3moe22topkGatingSoftplusSqrtILi8ELi256ELi4ELi16ELi64ELb1Ej14__hip_bfloat16EEvPKT6_PKbPfiPT5_PiiiibdPKfPKS9_SF_.kd
    .uniform_work_group_size: 1
    .uses_dynamic_stack: false
    .vgpr_count:     27
    .vgpr_spill_count: 0
    .wavefront_size: 64
  - .agpr_count:     0
    .args:
      - .address_space:  global
        .offset:         0
        .size:           8
        .value_kind:     global_buffer
      - .address_space:  global
        .offset:         8
        .size:           8
        .value_kind:     global_buffer
      - .address_space:  global
        .offset:         16
        .size:           8
        .value_kind:     global_buffer
      - .offset:         24
        .size:           4
        .value_kind:     by_value
      - .address_space:  global
        .offset:         32
        .size:           8
        .value_kind:     global_buffer
      - .address_space:  global
        .offset:         40
        .size:           8
        .value_kind:     global_buffer
      - .offset:         48
        .size:           4
        .value_kind:     by_value
      - .offset:         52
        .size:           4
        .value_kind:     by_value
      - .offset:         56
        .size:           4
        .value_kind:     by_value
      - .offset:         60
        .size:           1
        .value_kind:     by_value
      - .offset:         64
        .size:           8
        .value_kind:     by_value
      - .address_space:  global
        .offset:         72
        .size:           8
        .value_kind:     global_buffer
      - .address_space:  global
        .offset:         80
        .size:           8
        .value_kind:     global_buffer
      - .address_space:  global
        .offset:         88
        .size:           8
        .value_kind:     global_buffer
    .group_segment_fixed_size: 0
    .kernarg_segment_align: 8
    .kernarg_segment_size: 96
    .language:       OpenCL C
    .language_version:
      - 2
      - 0
    .max_flat_workgroup_size: 256
    .name:           _ZN4vllm3moe22topkGatingSoftplusSqrtILi8ELi256ELi4ELi16ELi64ELb0Ej14__hip_bfloat16EEvPKT6_PKbPfiPT5_PiiiibdPKfPKS9_SF_
    .private_segment_fixed_size: 0
    .sgpr_count:     49
    .sgpr_spill_count: 0
    .symbol:         _ZN4vllm3moe22topkGatingSoftplusSqrtILi8ELi256ELi4ELi16ELi64ELb0Ej14__hip_bfloat16EEvPKT6_PKbPfiPT5_PiiiibdPKfPKS9_SF_.kd
    .uniform_work_group_size: 1
    .uses_dynamic_stack: false
    .vgpr_count:     28
    .vgpr_spill_count: 0
    .wavefront_size: 64
  - .agpr_count:     0
    .args:
      - .address_space:  global
        .offset:         0
        .size:           8
        .value_kind:     global_buffer
      - .address_space:  global
        .offset:         8
        .size:           8
        .value_kind:     global_buffer
      - .address_space:  global
        .offset:         16
        .size:           8
        .value_kind:     global_buffer
      - .offset:         24
        .size:           4
        .value_kind:     by_value
      - .address_space:  global
        .offset:         32
        .size:           8
        .value_kind:     global_buffer
      - .address_space:  global
        .offset:         40
        .size:           8
        .value_kind:     global_buffer
      - .offset:         48
        .size:           4
        .value_kind:     by_value
      - .offset:         52
        .size:           4
        .value_kind:     by_value
      - .offset:         56
        .size:           4
        .value_kind:     by_value
      - .offset:         60
        .size:           1
        .value_kind:     by_value
      - .offset:         64
        .size:           8
        .value_kind:     by_value
      - .address_space:  global
        .offset:         72
        .size:           8
        .value_kind:     global_buffer
      - .address_space:  global
        .offset:         80
        .size:           8
        .value_kind:     global_buffer
      - .address_space:  global
        .offset:         88
        .size:           8
        .value_kind:     global_buffer
    .group_segment_fixed_size: 0
    .kernarg_segment_align: 8
    .kernarg_segment_size: 96
    .language:       OpenCL C
    .language_version:
      - 2
      - 0
    .max_flat_workgroup_size: 128
    .name:           _ZN4vllm3moe22topkGatingSoftplusSqrtILi8ELi256ELi4ELi16ELi32ELb1Ej14__hip_bfloat16EEvPKT6_PKbPfiPT5_PiiiibdPKfPKS9_SF_
    .private_segment_fixed_size: 48
    .sgpr_count:     40
    .sgpr_spill_count: 0
    .symbol:         _ZN4vllm3moe22topkGatingSoftplusSqrtILi8ELi256ELi4ELi16ELi32ELb1Ej14__hip_bfloat16EEvPKT6_PKbPfiPT5_PiiiibdPKfPKS9_SF_.kd
    .uniform_work_group_size: 1
    .uses_dynamic_stack: false
    .vgpr_count:     27
    .vgpr_spill_count: 0
    .wavefront_size: 64
  - .agpr_count:     0
    .args:
      - .address_space:  global
        .offset:         0
        .size:           8
        .value_kind:     global_buffer
      - .address_space:  global
        .offset:         8
        .size:           8
        .value_kind:     global_buffer
      - .address_space:  global
        .offset:         16
        .size:           8
        .value_kind:     global_buffer
      - .offset:         24
        .size:           4
        .value_kind:     by_value
      - .address_space:  global
        .offset:         32
        .size:           8
        .value_kind:     global_buffer
      - .address_space:  global
        .offset:         40
        .size:           8
        .value_kind:     global_buffer
      - .offset:         48
        .size:           4
        .value_kind:     by_value
      - .offset:         52
        .size:           4
        .value_kind:     by_value
      - .offset:         56
        .size:           4
        .value_kind:     by_value
      - .offset:         60
        .size:           1
        .value_kind:     by_value
      - .offset:         64
        .size:           8
        .value_kind:     by_value
      - .address_space:  global
        .offset:         72
        .size:           8
        .value_kind:     global_buffer
      - .address_space:  global
        .offset:         80
        .size:           8
        .value_kind:     global_buffer
      - .address_space:  global
        .offset:         88
        .size:           8
        .value_kind:     global_buffer
    .group_segment_fixed_size: 0
    .kernarg_segment_align: 8
    .kernarg_segment_size: 96
    .language:       OpenCL C
    .language_version:
      - 2
      - 0
    .max_flat_workgroup_size: 128
    .name:           _ZN4vllm3moe22topkGatingSoftplusSqrtILi8ELi256ELi4ELi16ELi32ELb0Ej14__hip_bfloat16EEvPKT6_PKbPfiPT5_PiiiibdPKfPKS9_SF_
    .private_segment_fixed_size: 0
    .sgpr_count:     49
    .sgpr_spill_count: 0
    .symbol:         _ZN4vllm3moe22topkGatingSoftplusSqrtILi8ELi256ELi4ELi16ELi32ELb0Ej14__hip_bfloat16EEvPKT6_PKbPfiPT5_PiiiibdPKfPKS9_SF_.kd
    .uniform_work_group_size: 1
    .uses_dynamic_stack: false
    .vgpr_count:     28
    .vgpr_spill_count: 0
    .wavefront_size: 64
  - .agpr_count:     0
    .args:
      - .address_space:  global
        .offset:         0
        .size:           8
        .value_kind:     global_buffer
      - .address_space:  global
        .offset:         8
        .size:           8
        .value_kind:     global_buffer
      - .address_space:  global
        .offset:         16
        .size:           8
        .value_kind:     global_buffer
      - .offset:         24
        .size:           4
        .value_kind:     by_value
      - .address_space:  global
        .offset:         32
        .size:           8
        .value_kind:     global_buffer
      - .address_space:  global
        .offset:         40
        .size:           8
        .value_kind:     global_buffer
      - .offset:         48
        .size:           4
        .value_kind:     by_value
      - .offset:         52
        .size:           4
        .value_kind:     by_value
      - .offset:         56
        .size:           4
        .value_kind:     by_value
      - .offset:         60
        .size:           1
        .value_kind:     by_value
      - .offset:         64
        .size:           8
        .value_kind:     by_value
      - .address_space:  global
        .offset:         72
        .size:           8
        .value_kind:     global_buffer
      - .address_space:  global
        .offset:         80
        .size:           8
        .value_kind:     global_buffer
      - .address_space:  global
        .offset:         88
        .size:           8
        .value_kind:     global_buffer
    .group_segment_fixed_size: 0
    .kernarg_segment_align: 8
    .kernarg_segment_size: 96
    .language:       OpenCL C
    .language_version:
      - 2
      - 0
    .max_flat_workgroup_size: 256
    .name:           _ZN4vllm3moe22topkGatingSoftplusSqrtILi8ELi512ELi4ELi16ELi64ELb1Ej14__hip_bfloat16EEvPKT6_PKbPfiPT5_PiiiibdPKfPKS9_SF_
    .private_segment_fixed_size: 48
    .sgpr_count:     40
    .sgpr_spill_count: 0
    .symbol:         _ZN4vllm3moe22topkGatingSoftplusSqrtILi8ELi512ELi4ELi16ELi64ELb1Ej14__hip_bfloat16EEvPKT6_PKbPfiPT5_PiiiibdPKfPKS9_SF_.kd
    .uniform_work_group_size: 1
    .uses_dynamic_stack: false
    .vgpr_count:     27
    .vgpr_spill_count: 0
    .wavefront_size: 64
  - .agpr_count:     0
    .args:
      - .address_space:  global
        .offset:         0
        .size:           8
        .value_kind:     global_buffer
      - .address_space:  global
        .offset:         8
        .size:           8
        .value_kind:     global_buffer
      - .address_space:  global
        .offset:         16
        .size:           8
        .value_kind:     global_buffer
      - .offset:         24
        .size:           4
        .value_kind:     by_value
      - .address_space:  global
        .offset:         32
        .size:           8
        .value_kind:     global_buffer
      - .address_space:  global
        .offset:         40
        .size:           8
        .value_kind:     global_buffer
      - .offset:         48
        .size:           4
        .value_kind:     by_value
      - .offset:         52
        .size:           4
        .value_kind:     by_value
      - .offset:         56
        .size:           4
        .value_kind:     by_value
      - .offset:         60
        .size:           1
        .value_kind:     by_value
      - .offset:         64
        .size:           8
        .value_kind:     by_value
      - .address_space:  global
        .offset:         72
        .size:           8
        .value_kind:     global_buffer
      - .address_space:  global
        .offset:         80
        .size:           8
        .value_kind:     global_buffer
      - .address_space:  global
        .offset:         88
        .size:           8
        .value_kind:     global_buffer
    .group_segment_fixed_size: 0
    .kernarg_segment_align: 8
    .kernarg_segment_size: 96
    .language:       OpenCL C
    .language_version:
      - 2
      - 0
    .max_flat_workgroup_size: 256
    .name:           _ZN4vllm3moe22topkGatingSoftplusSqrtILi8ELi512ELi4ELi16ELi64ELb0Ej14__hip_bfloat16EEvPKT6_PKbPfiPT5_PiiiibdPKfPKS9_SF_
    .private_segment_fixed_size: 0
    .sgpr_count:     49
    .sgpr_spill_count: 0
    .symbol:         _ZN4vllm3moe22topkGatingSoftplusSqrtILi8ELi512ELi4ELi16ELi64ELb0Ej14__hip_bfloat16EEvPKT6_PKbPfiPT5_PiiiibdPKfPKS9_SF_.kd
    .uniform_work_group_size: 1
    .uses_dynamic_stack: false
    .vgpr_count:     30
    .vgpr_spill_count: 0
    .wavefront_size: 64
  - .agpr_count:     0
    .args:
      - .address_space:  global
        .offset:         0
        .size:           8
        .value_kind:     global_buffer
      - .address_space:  global
        .offset:         8
        .size:           8
        .value_kind:     global_buffer
      - .address_space:  global
        .offset:         16
        .size:           8
        .value_kind:     global_buffer
      - .offset:         24
        .size:           4
        .value_kind:     by_value
      - .address_space:  global
        .offset:         32
        .size:           8
        .value_kind:     global_buffer
      - .address_space:  global
        .offset:         40
        .size:           8
        .value_kind:     global_buffer
      - .offset:         48
        .size:           4
        .value_kind:     by_value
      - .offset:         52
        .size:           4
        .value_kind:     by_value
      - .offset:         56
        .size:           4
        .value_kind:     by_value
      - .offset:         60
        .size:           1
        .value_kind:     by_value
      - .offset:         64
        .size:           8
        .value_kind:     by_value
      - .address_space:  global
        .offset:         72
        .size:           8
        .value_kind:     global_buffer
      - .address_space:  global
        .offset:         80
        .size:           8
        .value_kind:     global_buffer
      - .address_space:  global
        .offset:         88
        .size:           8
        .value_kind:     global_buffer
    .group_segment_fixed_size: 0
    .kernarg_segment_align: 8
    .kernarg_segment_size: 96
    .language:       OpenCL C
    .language_version:
      - 2
      - 0
    .max_flat_workgroup_size: 128
    .name:           _ZN4vllm3moe22topkGatingSoftplusSqrtILi16ELi512ELi4ELi16ELi32ELb1Ej14__hip_bfloat16EEvPKT6_PKbPfiPT5_PiiiibdPKfPKS9_SF_
    .private_segment_fixed_size: 80
    .sgpr_count:     70
    .sgpr_spill_count: 0
    .symbol:         _ZN4vllm3moe22topkGatingSoftplusSqrtILi16ELi512ELi4ELi16ELi32ELb1Ej14__hip_bfloat16EEvPKT6_PKbPfiPT5_PiiiibdPKfPKS9_SF_.kd
    .uniform_work_group_size: 1
    .uses_dynamic_stack: false
    .vgpr_count:     39
    .vgpr_spill_count: 0
    .wavefront_size: 64
  - .agpr_count:     0
    .args:
      - .address_space:  global
        .offset:         0
        .size:           8
        .value_kind:     global_buffer
      - .address_space:  global
        .offset:         8
        .size:           8
        .value_kind:     global_buffer
      - .address_space:  global
        .offset:         16
        .size:           8
        .value_kind:     global_buffer
      - .offset:         24
        .size:           4
        .value_kind:     by_value
      - .address_space:  global
        .offset:         32
        .size:           8
        .value_kind:     global_buffer
      - .address_space:  global
        .offset:         40
        .size:           8
        .value_kind:     global_buffer
      - .offset:         48
        .size:           4
        .value_kind:     by_value
      - .offset:         52
        .size:           4
        .value_kind:     by_value
      - .offset:         56
        .size:           4
        .value_kind:     by_value
      - .offset:         60
        .size:           1
        .value_kind:     by_value
      - .offset:         64
        .size:           8
        .value_kind:     by_value
      - .address_space:  global
        .offset:         72
        .size:           8
        .value_kind:     global_buffer
      - .address_space:  global
        .offset:         80
        .size:           8
        .value_kind:     global_buffer
      - .address_space:  global
        .offset:         88
        .size:           8
        .value_kind:     global_buffer
    .group_segment_fixed_size: 0
    .kernarg_segment_align: 8
    .kernarg_segment_size: 96
    .language:       OpenCL C
    .language_version:
      - 2
      - 0
    .max_flat_workgroup_size: 128
    .name:           _ZN4vllm3moe22topkGatingSoftplusSqrtILi16ELi512ELi4ELi16ELi32ELb0Ej14__hip_bfloat16EEvPKT6_PKbPfiPT5_PiiiibdPKfPKS9_SF_
    .private_segment_fixed_size: 0
    .sgpr_count:     65
    .sgpr_spill_count: 0
    .symbol:         _ZN4vllm3moe22topkGatingSoftplusSqrtILi16ELi512ELi4ELi16ELi32ELb0Ej14__hip_bfloat16EEvPKT6_PKbPfiPT5_PiiiibdPKfPKS9_SF_.kd
    .uniform_work_group_size: 1
    .uses_dynamic_stack: false
    .vgpr_count:     44
    .vgpr_spill_count: 0
    .wavefront_size: 64
  - .agpr_count:     0
    .args:
      - .address_space:  global
        .offset:         0
        .size:           8
        .value_kind:     global_buffer
      - .address_space:  global
        .offset:         8
        .size:           8
        .value_kind:     global_buffer
      - .address_space:  global
        .offset:         16
        .size:           8
        .value_kind:     global_buffer
      - .offset:         24
        .size:           4
        .value_kind:     by_value
      - .address_space:  global
        .offset:         32
        .size:           8
        .value_kind:     global_buffer
      - .address_space:  global
        .offset:         40
        .size:           8
        .value_kind:     global_buffer
      - .offset:         48
        .size:           4
        .value_kind:     by_value
      - .offset:         52
        .size:           4
        .value_kind:     by_value
      - .offset:         56
        .size:           4
        .value_kind:     by_value
      - .offset:         60
        .size:           1
        .value_kind:     by_value
      - .offset:         64
        .size:           8
        .value_kind:     by_value
      - .address_space:  global
        .offset:         72
        .size:           8
        .value_kind:     global_buffer
      - .address_space:  global
        .offset:         80
        .size:           8
        .value_kind:     global_buffer
      - .address_space:  global
        .offset:         88
        .size:           8
        .value_kind:     global_buffer
    .group_segment_fixed_size: 0
    .kernarg_segment_align: 8
    .kernarg_segment_size: 96
    .language:       OpenCL C
    .language_version:
      - 2
      - 0
    .max_flat_workgroup_size: 256
    .name:           _ZN4vllm3moe22topkGatingSoftplusSqrtILi3ELi192ELi4ELi2ELi64ELb1Ej14__hip_bfloat16EEvPKT6_PKbPfiPT5_PiiiibdPKfPKS9_SF_
    .private_segment_fixed_size: 0
    .sgpr_count:     27
    .sgpr_spill_count: 0
    .symbol:         _ZN4vllm3moe22topkGatingSoftplusSqrtILi3ELi192ELi4ELi2ELi64ELb1Ej14__hip_bfloat16EEvPKT6_PKbPfiPT5_PiiiibdPKfPKS9_SF_.kd
    .uniform_work_group_size: 1
    .uses_dynamic_stack: false
    .vgpr_count:     22
    .vgpr_spill_count: 0
    .wavefront_size: 64
  - .agpr_count:     0
    .args:
      - .address_space:  global
        .offset:         0
        .size:           8
        .value_kind:     global_buffer
      - .address_space:  global
        .offset:         8
        .size:           8
        .value_kind:     global_buffer
      - .address_space:  global
        .offset:         16
        .size:           8
        .value_kind:     global_buffer
      - .offset:         24
        .size:           4
        .value_kind:     by_value
      - .address_space:  global
        .offset:         32
        .size:           8
        .value_kind:     global_buffer
      - .address_space:  global
        .offset:         40
        .size:           8
        .value_kind:     global_buffer
      - .offset:         48
        .size:           4
        .value_kind:     by_value
      - .offset:         52
        .size:           4
        .value_kind:     by_value
      - .offset:         56
        .size:           4
        .value_kind:     by_value
      - .offset:         60
        .size:           1
        .value_kind:     by_value
      - .offset:         64
        .size:           8
        .value_kind:     by_value
      - .address_space:  global
        .offset:         72
        .size:           8
        .value_kind:     global_buffer
      - .address_space:  global
        .offset:         80
        .size:           8
        .value_kind:     global_buffer
      - .address_space:  global
        .offset:         88
        .size:           8
        .value_kind:     global_buffer
    .group_segment_fixed_size: 0
    .kernarg_segment_align: 8
    .kernarg_segment_size: 96
    .language:       OpenCL C
    .language_version:
      - 2
      - 0
    .max_flat_workgroup_size: 256
    .name:           _ZN4vllm3moe22topkGatingSoftplusSqrtILi3ELi192ELi4ELi2ELi64ELb0Ej14__hip_bfloat16EEvPKT6_PKbPfiPT5_PiiiibdPKfPKS9_SF_
    .private_segment_fixed_size: 0
    .sgpr_count:     37
    .sgpr_spill_count: 0
    .symbol:         _ZN4vllm3moe22topkGatingSoftplusSqrtILi3ELi192ELi4ELi2ELi64ELb0Ej14__hip_bfloat16EEvPKT6_PKbPfiPT5_PiiiibdPKfPKS9_SF_.kd
    .uniform_work_group_size: 1
    .uses_dynamic_stack: false
    .vgpr_count:     26
    .vgpr_spill_count: 0
    .wavefront_size: 64
  - .agpr_count:     0
    .args:
      - .address_space:  global
        .offset:         0
        .size:           8
        .value_kind:     global_buffer
      - .address_space:  global
        .offset:         8
        .size:           8
        .value_kind:     global_buffer
      - .address_space:  global
        .offset:         16
        .size:           8
        .value_kind:     global_buffer
      - .offset:         24
        .size:           4
        .value_kind:     by_value
      - .address_space:  global
        .offset:         32
        .size:           8
        .value_kind:     global_buffer
      - .address_space:  global
        .offset:         40
        .size:           8
        .value_kind:     global_buffer
      - .offset:         48
        .size:           4
        .value_kind:     by_value
      - .offset:         52
        .size:           4
        .value_kind:     by_value
      - .offset:         56
        .size:           4
        .value_kind:     by_value
      - .offset:         60
        .size:           1
        .value_kind:     by_value
      - .offset:         64
        .size:           8
        .value_kind:     by_value
      - .address_space:  global
        .offset:         72
        .size:           8
        .value_kind:     global_buffer
      - .address_space:  global
        .offset:         80
        .size:           8
        .value_kind:     global_buffer
      - .address_space:  global
        .offset:         88
        .size:           8
        .value_kind:     global_buffer
    .group_segment_fixed_size: 0
    .kernarg_segment_align: 8
    .kernarg_segment_size: 96
    .language:       OpenCL C
    .language_version:
      - 2
      - 0
    .max_flat_workgroup_size: 128
    .name:           _ZN4vllm3moe22topkGatingSoftplusSqrtILi6ELi192ELi4ELi2ELi32ELb1Ej14__hip_bfloat16EEvPKT6_PKbPfiPT5_PiiiibdPKfPKS9_SF_
    .private_segment_fixed_size: 0
    .sgpr_count:     31
    .sgpr_spill_count: 0
    .symbol:         _ZN4vllm3moe22topkGatingSoftplusSqrtILi6ELi192ELi4ELi2ELi32ELb1Ej14__hip_bfloat16EEvPKT6_PKbPfiPT5_PiiiibdPKfPKS9_SF_.kd
    .uniform_work_group_size: 1
    .uses_dynamic_stack: false
    .vgpr_count:     26
    .vgpr_spill_count: 0
    .wavefront_size: 64
  - .agpr_count:     0
    .args:
      - .address_space:  global
        .offset:         0
        .size:           8
        .value_kind:     global_buffer
      - .address_space:  global
        .offset:         8
        .size:           8
        .value_kind:     global_buffer
      - .address_space:  global
        .offset:         16
        .size:           8
        .value_kind:     global_buffer
      - .offset:         24
        .size:           4
        .value_kind:     by_value
      - .address_space:  global
        .offset:         32
        .size:           8
        .value_kind:     global_buffer
      - .address_space:  global
        .offset:         40
        .size:           8
        .value_kind:     global_buffer
      - .offset:         48
        .size:           4
        .value_kind:     by_value
      - .offset:         52
        .size:           4
        .value_kind:     by_value
      - .offset:         56
        .size:           4
        .value_kind:     by_value
      - .offset:         60
        .size:           1
        .value_kind:     by_value
      - .offset:         64
        .size:           8
        .value_kind:     by_value
      - .address_space:  global
        .offset:         72
        .size:           8
        .value_kind:     global_buffer
      - .address_space:  global
        .offset:         80
        .size:           8
        .value_kind:     global_buffer
      - .address_space:  global
        .offset:         88
        .size:           8
        .value_kind:     global_buffer
    .group_segment_fixed_size: 0
    .kernarg_segment_align: 8
    .kernarg_segment_size: 96
    .language:       OpenCL C
    .language_version:
      - 2
      - 0
    .max_flat_workgroup_size: 128
    .name:           _ZN4vllm3moe22topkGatingSoftplusSqrtILi6ELi192ELi4ELi2ELi32ELb0Ej14__hip_bfloat16EEvPKT6_PKbPfiPT5_PiiiibdPKfPKS9_SF_
    .private_segment_fixed_size: 0
    .sgpr_count:     38
    .sgpr_spill_count: 0
    .symbol:         _ZN4vllm3moe22topkGatingSoftplusSqrtILi6ELi192ELi4ELi2ELi32ELb0Ej14__hip_bfloat16EEvPKT6_PKbPfiPT5_PiiiibdPKfPKS9_SF_.kd
    .uniform_work_group_size: 1
    .uses_dynamic_stack: false
    .vgpr_count:     30
    .vgpr_spill_count: 0
    .wavefront_size: 64
  - .agpr_count:     0
    .args:
      - .address_space:  global
        .offset:         0
        .size:           8
        .value_kind:     global_buffer
      - .address_space:  global
        .offset:         8
        .size:           8
        .value_kind:     global_buffer
      - .address_space:  global
        .offset:         16
        .size:           8
        .value_kind:     global_buffer
      - .offset:         24
        .size:           4
        .value_kind:     by_value
      - .address_space:  global
        .offset:         32
        .size:           8
        .value_kind:     global_buffer
      - .address_space:  global
        .offset:         40
        .size:           8
        .value_kind:     global_buffer
      - .offset:         48
        .size:           4
        .value_kind:     by_value
      - .offset:         52
        .size:           4
        .value_kind:     by_value
      - .offset:         56
        .size:           4
        .value_kind:     by_value
      - .offset:         60
        .size:           1
        .value_kind:     by_value
      - .offset:         64
        .size:           8
        .value_kind:     by_value
      - .address_space:  global
        .offset:         72
        .size:           8
        .value_kind:     global_buffer
      - .address_space:  global
        .offset:         80
        .size:           8
        .value_kind:     global_buffer
      - .address_space:  global
        .offset:         88
        .size:           8
        .value_kind:     global_buffer
    .group_segment_fixed_size: 0
    .kernarg_segment_align: 8
    .kernarg_segment_size: 96
    .language:       OpenCL C
    .language_version:
      - 2
      - 0
    .max_flat_workgroup_size: 256
    .name:           _ZN4vllm3moe22topkGatingSoftplusSqrtILi5ELi320ELi4ELi2ELi64ELb1Ej14__hip_bfloat16EEvPKT6_PKbPfiPT5_PiiiibdPKfPKS9_SF_
    .private_segment_fixed_size: 0
    .sgpr_count:     27
    .sgpr_spill_count: 0
    .symbol:         _ZN4vllm3moe22topkGatingSoftplusSqrtILi5ELi320ELi4ELi2ELi64ELb1Ej14__hip_bfloat16EEvPKT6_PKbPfiPT5_PiiiibdPKfPKS9_SF_.kd
    .uniform_work_group_size: 1
    .uses_dynamic_stack: false
    .vgpr_count:     24
    .vgpr_spill_count: 0
    .wavefront_size: 64
  - .agpr_count:     0
    .args:
      - .address_space:  global
        .offset:         0
        .size:           8
        .value_kind:     global_buffer
      - .address_space:  global
        .offset:         8
        .size:           8
        .value_kind:     global_buffer
      - .address_space:  global
        .offset:         16
        .size:           8
        .value_kind:     global_buffer
      - .offset:         24
        .size:           4
        .value_kind:     by_value
      - .address_space:  global
        .offset:         32
        .size:           8
        .value_kind:     global_buffer
      - .address_space:  global
        .offset:         40
        .size:           8
        .value_kind:     global_buffer
      - .offset:         48
        .size:           4
        .value_kind:     by_value
      - .offset:         52
        .size:           4
        .value_kind:     by_value
      - .offset:         56
        .size:           4
        .value_kind:     by_value
      - .offset:         60
        .size:           1
        .value_kind:     by_value
      - .offset:         64
        .size:           8
        .value_kind:     by_value
      - .address_space:  global
        .offset:         72
        .size:           8
        .value_kind:     global_buffer
      - .address_space:  global
        .offset:         80
        .size:           8
        .value_kind:     global_buffer
      - .address_space:  global
        .offset:         88
        .size:           8
        .value_kind:     global_buffer
    .group_segment_fixed_size: 0
    .kernarg_segment_align: 8
    .kernarg_segment_size: 96
    .language:       OpenCL C
    .language_version:
      - 2
      - 0
    .max_flat_workgroup_size: 256
    .name:           _ZN4vllm3moe22topkGatingSoftplusSqrtILi5ELi320ELi4ELi2ELi64ELb0Ej14__hip_bfloat16EEvPKT6_PKbPfiPT5_PiiiibdPKfPKS9_SF_
    .private_segment_fixed_size: 0
    .sgpr_count:     37
    .sgpr_spill_count: 0
    .symbol:         _ZN4vllm3moe22topkGatingSoftplusSqrtILi5ELi320ELi4ELi2ELi64ELb0Ej14__hip_bfloat16EEvPKT6_PKbPfiPT5_PiiiibdPKfPKS9_SF_.kd
    .uniform_work_group_size: 1
    .uses_dynamic_stack: false
    .vgpr_count:     30
    .vgpr_spill_count: 0
    .wavefront_size: 64
  - .agpr_count:     0
    .args:
      - .address_space:  global
        .offset:         0
        .size:           8
        .value_kind:     global_buffer
      - .address_space:  global
        .offset:         8
        .size:           8
        .value_kind:     global_buffer
      - .address_space:  global
        .offset:         16
        .size:           8
        .value_kind:     global_buffer
      - .offset:         24
        .size:           4
        .value_kind:     by_value
      - .address_space:  global
        .offset:         32
        .size:           8
        .value_kind:     global_buffer
      - .address_space:  global
        .offset:         40
        .size:           8
        .value_kind:     global_buffer
      - .offset:         48
        .size:           4
        .value_kind:     by_value
      - .offset:         52
        .size:           4
        .value_kind:     by_value
      - .offset:         56
        .size:           4
        .value_kind:     by_value
      - .offset:         60
        .size:           1
        .value_kind:     by_value
      - .offset:         64
        .size:           8
        .value_kind:     by_value
      - .address_space:  global
        .offset:         72
        .size:           8
        .value_kind:     global_buffer
      - .address_space:  global
        .offset:         80
        .size:           8
        .value_kind:     global_buffer
      - .address_space:  global
        .offset:         88
        .size:           8
        .value_kind:     global_buffer
    .group_segment_fixed_size: 0
    .kernarg_segment_align: 8
    .kernarg_segment_size: 96
    .language:       OpenCL C
    .language_version:
      - 2
      - 0
    .max_flat_workgroup_size: 128
    .name:           _ZN4vllm3moe22topkGatingSoftplusSqrtILi10ELi320ELi4ELi2ELi32ELb1Ej14__hip_bfloat16EEvPKT6_PKbPfiPT5_PiiiibdPKfPKS9_SF_
    .private_segment_fixed_size: 0
    .sgpr_count:     48
    .sgpr_spill_count: 0
    .symbol:         _ZN4vllm3moe22topkGatingSoftplusSqrtILi10ELi320ELi4ELi2ELi32ELb1Ej14__hip_bfloat16EEvPKT6_PKbPfiPT5_PiiiibdPKfPKS9_SF_.kd
    .uniform_work_group_size: 1
    .uses_dynamic_stack: false
    .vgpr_count:     34
    .vgpr_spill_count: 0
    .wavefront_size: 64
  - .agpr_count:     0
    .args:
      - .address_space:  global
        .offset:         0
        .size:           8
        .value_kind:     global_buffer
      - .address_space:  global
        .offset:         8
        .size:           8
        .value_kind:     global_buffer
      - .address_space:  global
        .offset:         16
        .size:           8
        .value_kind:     global_buffer
      - .offset:         24
        .size:           4
        .value_kind:     by_value
      - .address_space:  global
        .offset:         32
        .size:           8
        .value_kind:     global_buffer
      - .address_space:  global
        .offset:         40
        .size:           8
        .value_kind:     global_buffer
      - .offset:         48
        .size:           4
        .value_kind:     by_value
      - .offset:         52
        .size:           4
        .value_kind:     by_value
      - .offset:         56
        .size:           4
        .value_kind:     by_value
      - .offset:         60
        .size:           1
        .value_kind:     by_value
      - .offset:         64
        .size:           8
        .value_kind:     by_value
      - .address_space:  global
        .offset:         72
        .size:           8
        .value_kind:     global_buffer
      - .address_space:  global
        .offset:         80
        .size:           8
        .value_kind:     global_buffer
      - .address_space:  global
        .offset:         88
        .size:           8
        .value_kind:     global_buffer
    .group_segment_fixed_size: 0
    .kernarg_segment_align: 8
    .kernarg_segment_size: 96
    .language:       OpenCL C
    .language_version:
      - 2
      - 0
    .max_flat_workgroup_size: 128
    .name:           _ZN4vllm3moe22topkGatingSoftplusSqrtILi10ELi320ELi4ELi2ELi32ELb0Ej14__hip_bfloat16EEvPKT6_PKbPfiPT5_PiiiibdPKfPKS9_SF_
    .private_segment_fixed_size: 0
    .sgpr_count:     38
    .sgpr_spill_count: 0
    .symbol:         _ZN4vllm3moe22topkGatingSoftplusSqrtILi10ELi320ELi4ELi2ELi32ELb0Ej14__hip_bfloat16EEvPKT6_PKbPfiPT5_PiiiibdPKfPKS9_SF_.kd
    .uniform_work_group_size: 1
    .uses_dynamic_stack: false
    .vgpr_count:     38
    .vgpr_spill_count: 0
    .wavefront_size: 64
  - .agpr_count:     0
    .args:
      - .address_space:  global
        .offset:         0
        .size:           8
        .value_kind:     global_buffer
      - .address_space:  global
        .offset:         8
        .size:           8
        .value_kind:     global_buffer
      - .address_space:  global
        .offset:         16
        .size:           8
        .value_kind:     global_buffer
      - .offset:         24
        .size:           4
        .value_kind:     by_value
      - .address_space:  global
        .offset:         32
        .size:           8
        .value_kind:     global_buffer
      - .address_space:  global
        .offset:         40
        .size:           8
        .value_kind:     global_buffer
      - .offset:         48
        .size:           4
        .value_kind:     by_value
      - .offset:         52
        .size:           4
        .value_kind:     by_value
      - .offset:         56
        .size:           4
        .value_kind:     by_value
      - .offset:         60
        .size:           1
        .value_kind:     by_value
      - .offset:         64
        .size:           8
        .value_kind:     by_value
      - .address_space:  global
        .offset:         72
        .size:           8
        .value_kind:     global_buffer
      - .address_space:  global
        .offset:         80
        .size:           8
        .value_kind:     global_buffer
      - .address_space:  global
        .offset:         88
        .size:           8
        .value_kind:     global_buffer
    .group_segment_fixed_size: 0
    .kernarg_segment_align: 8
    .kernarg_segment_size: 96
    .language:       OpenCL C
    .language_version:
      - 2
      - 0
    .max_flat_workgroup_size: 256
    .name:           _ZN4vllm3moe22topkGatingSoftplusSqrtILi6ELi384ELi4ELi4ELi64ELb1Ej14__hip_bfloat16EEvPKT6_PKbPfiPT5_PiiiibdPKfPKS9_SF_
    .private_segment_fixed_size: 32
    .sgpr_count:     31
    .sgpr_spill_count: 0
    .symbol:         _ZN4vllm3moe22topkGatingSoftplusSqrtILi6ELi384ELi4ELi4ELi64ELb1Ej14__hip_bfloat16EEvPKT6_PKbPfiPT5_PiiiibdPKfPKS9_SF_.kd
    .uniform_work_group_size: 1
    .uses_dynamic_stack: false
    .vgpr_count:     25
    .vgpr_spill_count: 0
    .wavefront_size: 64
  - .agpr_count:     0
    .args:
      - .address_space:  global
        .offset:         0
        .size:           8
        .value_kind:     global_buffer
      - .address_space:  global
        .offset:         8
        .size:           8
        .value_kind:     global_buffer
      - .address_space:  global
        .offset:         16
        .size:           8
        .value_kind:     global_buffer
      - .offset:         24
        .size:           4
        .value_kind:     by_value
      - .address_space:  global
        .offset:         32
        .size:           8
        .value_kind:     global_buffer
      - .address_space:  global
        .offset:         40
        .size:           8
        .value_kind:     global_buffer
      - .offset:         48
        .size:           4
        .value_kind:     by_value
      - .offset:         52
        .size:           4
        .value_kind:     by_value
      - .offset:         56
        .size:           4
        .value_kind:     by_value
      - .offset:         60
        .size:           1
        .value_kind:     by_value
      - .offset:         64
        .size:           8
        .value_kind:     by_value
      - .address_space:  global
        .offset:         72
        .size:           8
        .value_kind:     global_buffer
      - .address_space:  global
        .offset:         80
        .size:           8
        .value_kind:     global_buffer
      - .address_space:  global
        .offset:         88
        .size:           8
        .value_kind:     global_buffer
    .group_segment_fixed_size: 0
    .kernarg_segment_align: 8
    .kernarg_segment_size: 96
    .language:       OpenCL C
    .language_version:
      - 2
      - 0
    .max_flat_workgroup_size: 256
    .name:           _ZN4vllm3moe22topkGatingSoftplusSqrtILi6ELi384ELi4ELi4ELi64ELb0Ej14__hip_bfloat16EEvPKT6_PKbPfiPT5_PiiiibdPKfPKS9_SF_
    .private_segment_fixed_size: 0
    .sgpr_count:     38
    .sgpr_spill_count: 0
    .symbol:         _ZN4vllm3moe22topkGatingSoftplusSqrtILi6ELi384ELi4ELi4ELi64ELb0Ej14__hip_bfloat16EEvPKT6_PKbPfiPT5_PiiiibdPKfPKS9_SF_.kd
    .uniform_work_group_size: 1
    .uses_dynamic_stack: false
    .vgpr_count:     32
    .vgpr_spill_count: 0
    .wavefront_size: 64
  - .agpr_count:     0
    .args:
      - .address_space:  global
        .offset:         0
        .size:           8
        .value_kind:     global_buffer
      - .address_space:  global
        .offset:         8
        .size:           8
        .value_kind:     global_buffer
      - .address_space:  global
        .offset:         16
        .size:           8
        .value_kind:     global_buffer
      - .offset:         24
        .size:           4
        .value_kind:     by_value
      - .address_space:  global
        .offset:         32
        .size:           8
        .value_kind:     global_buffer
      - .address_space:  global
        .offset:         40
        .size:           8
        .value_kind:     global_buffer
      - .offset:         48
        .size:           4
        .value_kind:     by_value
      - .offset:         52
        .size:           4
        .value_kind:     by_value
      - .offset:         56
        .size:           4
        .value_kind:     by_value
      - .offset:         60
        .size:           1
        .value_kind:     by_value
      - .offset:         64
        .size:           8
        .value_kind:     by_value
      - .address_space:  global
        .offset:         72
        .size:           8
        .value_kind:     global_buffer
      - .address_space:  global
        .offset:         80
        .size:           8
        .value_kind:     global_buffer
      - .address_space:  global
        .offset:         88
        .size:           8
        .value_kind:     global_buffer
    .group_segment_fixed_size: 0
    .kernarg_segment_align: 8
    .kernarg_segment_size: 96
    .language:       OpenCL C
    .language_version:
      - 2
      - 0
    .max_flat_workgroup_size: 128
    .name:           _ZN4vllm3moe22topkGatingSoftplusSqrtILi12ELi384ELi4ELi4ELi32ELb1Ej14__hip_bfloat16EEvPKT6_PKbPfiPT5_PiiiibdPKfPKS9_SF_
    .private_segment_fixed_size: 64
    .sgpr_count:     54
    .sgpr_spill_count: 0
    .symbol:         _ZN4vllm3moe22topkGatingSoftplusSqrtILi12ELi384ELi4ELi4ELi32ELb1Ej14__hip_bfloat16EEvPKT6_PKbPfiPT5_PiiiibdPKfPKS9_SF_.kd
    .uniform_work_group_size: 1
    .uses_dynamic_stack: false
    .vgpr_count:     33
    .vgpr_spill_count: 0
    .wavefront_size: 64
  - .agpr_count:     0
    .args:
      - .address_space:  global
        .offset:         0
        .size:           8
        .value_kind:     global_buffer
      - .address_space:  global
        .offset:         8
        .size:           8
        .value_kind:     global_buffer
      - .address_space:  global
        .offset:         16
        .size:           8
        .value_kind:     global_buffer
      - .offset:         24
        .size:           4
        .value_kind:     by_value
      - .address_space:  global
        .offset:         32
        .size:           8
        .value_kind:     global_buffer
      - .address_space:  global
        .offset:         40
        .size:           8
        .value_kind:     global_buffer
      - .offset:         48
        .size:           4
        .value_kind:     by_value
      - .offset:         52
        .size:           4
        .value_kind:     by_value
      - .offset:         56
        .size:           4
        .value_kind:     by_value
      - .offset:         60
        .size:           1
        .value_kind:     by_value
      - .offset:         64
        .size:           8
        .value_kind:     by_value
      - .address_space:  global
        .offset:         72
        .size:           8
        .value_kind:     global_buffer
      - .address_space:  global
        .offset:         80
        .size:           8
        .value_kind:     global_buffer
      - .address_space:  global
        .offset:         88
        .size:           8
        .value_kind:     global_buffer
    .group_segment_fixed_size: 0
    .kernarg_segment_align: 8
    .kernarg_segment_size: 96
    .language:       OpenCL C
    .language_version:
      - 2
      - 0
    .max_flat_workgroup_size: 128
    .name:           _ZN4vllm3moe22topkGatingSoftplusSqrtILi12ELi384ELi4ELi4ELi32ELb0Ej14__hip_bfloat16EEvPKT6_PKbPfiPT5_PiiiibdPKfPKS9_SF_
    .private_segment_fixed_size: 0
    .sgpr_count:     57
    .sgpr_spill_count: 0
    .symbol:         _ZN4vllm3moe22topkGatingSoftplusSqrtILi12ELi384ELi4ELi4ELi32ELb0Ej14__hip_bfloat16EEvPKT6_PKbPfiPT5_PiiiibdPKfPKS9_SF_.kd
    .uniform_work_group_size: 1
    .uses_dynamic_stack: false
    .vgpr_count:     42
    .vgpr_spill_count: 0
    .wavefront_size: 64
  - .agpr_count:     0
    .args:
      - .address_space:  global
        .offset:         0
        .size:           8
        .value_kind:     global_buffer
      - .address_space:  global
        .offset:         8
        .size:           8
        .value_kind:     global_buffer
      - .address_space:  global
        .offset:         16
        .size:           8
        .value_kind:     global_buffer
      - .offset:         24
        .size:           4
        .value_kind:     by_value
      - .address_space:  global
        .offset:         32
        .size:           8
        .value_kind:     global_buffer
      - .address_space:  global
        .offset:         40
        .size:           8
        .value_kind:     global_buffer
      - .offset:         48
        .size:           4
        .value_kind:     by_value
      - .offset:         52
        .size:           4
        .value_kind:     by_value
      - .offset:         56
        .size:           4
        .value_kind:     by_value
      - .offset:         60
        .size:           1
        .value_kind:     by_value
      - .offset:         64
        .size:           8
        .value_kind:     by_value
      - .address_space:  global
        .offset:         72
        .size:           8
        .value_kind:     global_buffer
      - .address_space:  global
        .offset:         80
        .size:           8
        .value_kind:     global_buffer
      - .address_space:  global
        .offset:         88
        .size:           8
        .value_kind:     global_buffer
    .group_segment_fixed_size: 0
    .kernarg_segment_align: 8
    .kernarg_segment_size: 96
    .language:       OpenCL C
    .language_version:
      - 2
      - 0
    .max_flat_workgroup_size: 256
    .name:           _ZN4vllm3moe22topkGatingSoftplusSqrtILi7ELi448ELi4ELi2ELi64ELb1Ej14__hip_bfloat16EEvPKT6_PKbPfiPT5_PiiiibdPKfPKS9_SF_
    .private_segment_fixed_size: 0
    .sgpr_count:     35
    .sgpr_spill_count: 0
    .symbol:         _ZN4vllm3moe22topkGatingSoftplusSqrtILi7ELi448ELi4ELi2ELi64ELb1Ej14__hip_bfloat16EEvPKT6_PKbPfiPT5_PiiiibdPKfPKS9_SF_.kd
    .uniform_work_group_size: 1
    .uses_dynamic_stack: false
    .vgpr_count:     28
    .vgpr_spill_count: 0
    .wavefront_size: 64
  - .agpr_count:     0
    .args:
      - .address_space:  global
        .offset:         0
        .size:           8
        .value_kind:     global_buffer
      - .address_space:  global
        .offset:         8
        .size:           8
        .value_kind:     global_buffer
      - .address_space:  global
        .offset:         16
        .size:           8
        .value_kind:     global_buffer
      - .offset:         24
        .size:           4
        .value_kind:     by_value
      - .address_space:  global
        .offset:         32
        .size:           8
        .value_kind:     global_buffer
      - .address_space:  global
        .offset:         40
        .size:           8
        .value_kind:     global_buffer
      - .offset:         48
        .size:           4
        .value_kind:     by_value
      - .offset:         52
        .size:           4
        .value_kind:     by_value
      - .offset:         56
        .size:           4
        .value_kind:     by_value
      - .offset:         60
        .size:           1
        .value_kind:     by_value
      - .offset:         64
        .size:           8
        .value_kind:     by_value
      - .address_space:  global
        .offset:         72
        .size:           8
        .value_kind:     global_buffer
      - .address_space:  global
        .offset:         80
        .size:           8
        .value_kind:     global_buffer
      - .address_space:  global
        .offset:         88
        .size:           8
        .value_kind:     global_buffer
    .group_segment_fixed_size: 0
    .kernarg_segment_align: 8
    .kernarg_segment_size: 96
    .language:       OpenCL C
    .language_version:
      - 2
      - 0
    .max_flat_workgroup_size: 256
    .name:           _ZN4vllm3moe22topkGatingSoftplusSqrtILi7ELi448ELi4ELi2ELi64ELb0Ej14__hip_bfloat16EEvPKT6_PKbPfiPT5_PiiiibdPKfPKS9_SF_
    .private_segment_fixed_size: 0
    .sgpr_count:     37
    .sgpr_spill_count: 0
    .symbol:         _ZN4vllm3moe22topkGatingSoftplusSqrtILi7ELi448ELi4ELi2ELi64ELb0Ej14__hip_bfloat16EEvPKT6_PKbPfiPT5_PiiiibdPKfPKS9_SF_.kd
    .uniform_work_group_size: 1
    .uses_dynamic_stack: false
    .vgpr_count:     34
    .vgpr_spill_count: 0
    .wavefront_size: 64
  - .agpr_count:     0
    .args:
      - .address_space:  global
        .offset:         0
        .size:           8
        .value_kind:     global_buffer
      - .address_space:  global
        .offset:         8
        .size:           8
        .value_kind:     global_buffer
      - .address_space:  global
        .offset:         16
        .size:           8
        .value_kind:     global_buffer
      - .offset:         24
        .size:           4
        .value_kind:     by_value
      - .address_space:  global
        .offset:         32
        .size:           8
        .value_kind:     global_buffer
      - .address_space:  global
        .offset:         40
        .size:           8
        .value_kind:     global_buffer
      - .offset:         48
        .size:           4
        .value_kind:     by_value
      - .offset:         52
        .size:           4
        .value_kind:     by_value
      - .offset:         56
        .size:           4
        .value_kind:     by_value
      - .offset:         60
        .size:           1
        .value_kind:     by_value
      - .offset:         64
        .size:           8
        .value_kind:     by_value
      - .address_space:  global
        .offset:         72
        .size:           8
        .value_kind:     global_buffer
      - .address_space:  global
        .offset:         80
        .size:           8
        .value_kind:     global_buffer
      - .address_space:  global
        .offset:         88
        .size:           8
        .value_kind:     global_buffer
    .group_segment_fixed_size: 0
    .kernarg_segment_align: 8
    .kernarg_segment_size: 96
    .language:       OpenCL C
    .language_version:
      - 2
      - 0
    .max_flat_workgroup_size: 128
    .name:           _ZN4vllm3moe22topkGatingSoftplusSqrtILi14ELi448ELi4ELi2ELi32ELb1Ej14__hip_bfloat16EEvPKT6_PKbPfiPT5_PiiiibdPKfPKS9_SF_
    .private_segment_fixed_size: 0
    .sgpr_count:     62
    .sgpr_spill_count: 0
    .symbol:         _ZN4vllm3moe22topkGatingSoftplusSqrtILi14ELi448ELi4ELi2ELi32ELb1Ej14__hip_bfloat16EEvPKT6_PKbPfiPT5_PiiiibdPKfPKS9_SF_.kd
    .uniform_work_group_size: 1
    .uses_dynamic_stack: false
    .vgpr_count:     36
    .vgpr_spill_count: 0
    .wavefront_size: 64
  - .agpr_count:     0
    .args:
      - .address_space:  global
        .offset:         0
        .size:           8
        .value_kind:     global_buffer
      - .address_space:  global
        .offset:         8
        .size:           8
        .value_kind:     global_buffer
      - .address_space:  global
        .offset:         16
        .size:           8
        .value_kind:     global_buffer
      - .offset:         24
        .size:           4
        .value_kind:     by_value
      - .address_space:  global
        .offset:         32
        .size:           8
        .value_kind:     global_buffer
      - .address_space:  global
        .offset:         40
        .size:           8
        .value_kind:     global_buffer
      - .offset:         48
        .size:           4
        .value_kind:     by_value
      - .offset:         52
        .size:           4
        .value_kind:     by_value
      - .offset:         56
        .size:           4
        .value_kind:     by_value
      - .offset:         60
        .size:           1
        .value_kind:     by_value
      - .offset:         64
        .size:           8
        .value_kind:     by_value
      - .address_space:  global
        .offset:         72
        .size:           8
        .value_kind:     global_buffer
      - .address_space:  global
        .offset:         80
        .size:           8
        .value_kind:     global_buffer
      - .address_space:  global
        .offset:         88
        .size:           8
        .value_kind:     global_buffer
    .group_segment_fixed_size: 0
    .kernarg_segment_align: 8
    .kernarg_segment_size: 96
    .language:       OpenCL C
    .language_version:
      - 2
      - 0
    .max_flat_workgroup_size: 128
    .name:           _ZN4vllm3moe22topkGatingSoftplusSqrtILi14ELi448ELi4ELi2ELi32ELb0Ej14__hip_bfloat16EEvPKT6_PKbPfiPT5_PiiiibdPKfPKS9_SF_
    .private_segment_fixed_size: 0
    .sgpr_count:     38
    .sgpr_spill_count: 0
    .symbol:         _ZN4vllm3moe22topkGatingSoftplusSqrtILi14ELi448ELi4ELi2ELi32ELb0Ej14__hip_bfloat16EEvPKT6_PKbPfiPT5_PiiiibdPKfPKS9_SF_.kd
    .uniform_work_group_size: 1
    .uses_dynamic_stack: false
    .vgpr_count:     46
    .vgpr_spill_count: 0
    .wavefront_size: 64
  - .agpr_count:     0
    .args:
      - .address_space:  global
        .offset:         0
        .size:           8
        .value_kind:     global_buffer
      - .address_space:  global
        .offset:         8
        .size:           8
        .value_kind:     global_buffer
      - .address_space:  global
        .offset:         16
        .size:           8
        .value_kind:     global_buffer
      - .offset:         24
        .size:           4
        .value_kind:     by_value
      - .address_space:  global
        .offset:         32
        .size:           8
        .value_kind:     global_buffer
      - .address_space:  global
        .offset:         40
        .size:           8
        .value_kind:     global_buffer
      - .offset:         48
        .size:           4
        .value_kind:     by_value
      - .offset:         52
        .size:           4
        .value_kind:     by_value
      - .offset:         56
        .size:           4
        .value_kind:     by_value
      - .offset:         60
        .size:           1
        .value_kind:     by_value
      - .offset:         64
        .size:           8
        .value_kind:     by_value
      - .address_space:  global
        .offset:         72
        .size:           8
        .value_kind:     global_buffer
      - .address_space:  global
        .offset:         80
        .size:           8
        .value_kind:     global_buffer
      - .address_space:  global
        .offset:         88
        .size:           8
        .value_kind:     global_buffer
    .group_segment_fixed_size: 0
    .kernarg_segment_align: 8
    .kernarg_segment_size: 96
    .language:       OpenCL C
    .language_version:
      - 2
      - 0
    .max_flat_workgroup_size: 256
    .name:           _ZN4vllm3moe22topkGatingSoftplusSqrtILi9ELi576ELi4ELi2ELi64ELb1Ej14__hip_bfloat16EEvPKT6_PKbPfiPT5_PiiiibdPKfPKS9_SF_
    .private_segment_fixed_size: 0
    .sgpr_count:     44
    .sgpr_spill_count: 0
    .symbol:         _ZN4vllm3moe22topkGatingSoftplusSqrtILi9ELi576ELi4ELi2ELi64ELb1Ej14__hip_bfloat16EEvPKT6_PKbPfiPT5_PiiiibdPKfPKS9_SF_.kd
    .uniform_work_group_size: 1
    .uses_dynamic_stack: false
    .vgpr_count:     32
    .vgpr_spill_count: 0
    .wavefront_size: 64
  - .agpr_count:     0
    .args:
      - .address_space:  global
        .offset:         0
        .size:           8
        .value_kind:     global_buffer
      - .address_space:  global
        .offset:         8
        .size:           8
        .value_kind:     global_buffer
      - .address_space:  global
        .offset:         16
        .size:           8
        .value_kind:     global_buffer
      - .offset:         24
        .size:           4
        .value_kind:     by_value
      - .address_space:  global
        .offset:         32
        .size:           8
        .value_kind:     global_buffer
      - .address_space:  global
        .offset:         40
        .size:           8
        .value_kind:     global_buffer
      - .offset:         48
        .size:           4
        .value_kind:     by_value
      - .offset:         52
        .size:           4
        .value_kind:     by_value
      - .offset:         56
        .size:           4
        .value_kind:     by_value
      - .offset:         60
        .size:           1
        .value_kind:     by_value
      - .offset:         64
        .size:           8
        .value_kind:     by_value
      - .address_space:  global
        .offset:         72
        .size:           8
        .value_kind:     global_buffer
      - .address_space:  global
        .offset:         80
        .size:           8
        .value_kind:     global_buffer
      - .address_space:  global
        .offset:         88
        .size:           8
        .value_kind:     global_buffer
    .group_segment_fixed_size: 0
    .kernarg_segment_align: 8
    .kernarg_segment_size: 96
    .language:       OpenCL C
    .language_version:
      - 2
      - 0
    .max_flat_workgroup_size: 256
    .name:           _ZN4vllm3moe22topkGatingSoftplusSqrtILi9ELi576ELi4ELi2ELi64ELb0Ej14__hip_bfloat16EEvPKT6_PKbPfiPT5_PiiiibdPKfPKS9_SF_
    .private_segment_fixed_size: 0
    .sgpr_count:     37
    .sgpr_spill_count: 0
    .symbol:         _ZN4vllm3moe22topkGatingSoftplusSqrtILi9ELi576ELi4ELi2ELi64ELb0Ej14__hip_bfloat16EEvPKT6_PKbPfiPT5_PiiiibdPKfPKS9_SF_.kd
    .uniform_work_group_size: 1
    .uses_dynamic_stack: false
    .vgpr_count:     38
    .vgpr_spill_count: 0
    .wavefront_size: 64
  - .agpr_count:     0
    .args:
      - .address_space:  global
        .offset:         0
        .size:           8
        .value_kind:     global_buffer
      - .address_space:  global
        .offset:         8
        .size:           8
        .value_kind:     global_buffer
      - .address_space:  global
        .offset:         16
        .size:           8
        .value_kind:     global_buffer
      - .offset:         24
        .size:           4
        .value_kind:     by_value
      - .address_space:  global
        .offset:         32
        .size:           8
        .value_kind:     global_buffer
      - .address_space:  global
        .offset:         40
        .size:           8
        .value_kind:     global_buffer
      - .offset:         48
        .size:           4
        .value_kind:     by_value
      - .offset:         52
        .size:           4
        .value_kind:     by_value
      - .offset:         56
        .size:           4
        .value_kind:     by_value
      - .offset:         60
        .size:           1
        .value_kind:     by_value
      - .offset:         64
        .size:           8
        .value_kind:     by_value
      - .address_space:  global
        .offset:         72
        .size:           8
        .value_kind:     global_buffer
      - .address_space:  global
        .offset:         80
        .size:           8
        .value_kind:     global_buffer
      - .address_space:  global
        .offset:         88
        .size:           8
        .value_kind:     global_buffer
    .group_segment_fixed_size: 0
    .kernarg_segment_align: 8
    .kernarg_segment_size: 96
    .language:       OpenCL C
    .language_version:
      - 2
      - 0
    .max_flat_workgroup_size: 128
    .name:           _ZN4vllm3moe22topkGatingSoftplusSqrtILi18ELi576ELi4ELi2ELi32ELb1Ej14__hip_bfloat16EEvPKT6_PKbPfiPT5_PiiiibdPKfPKS9_SF_
    .private_segment_fixed_size: 80
    .sgpr_count:     78
    .sgpr_spill_count: 0
    .symbol:         _ZN4vllm3moe22topkGatingSoftplusSqrtILi18ELi576ELi4ELi2ELi32ELb1Ej14__hip_bfloat16EEvPKT6_PKbPfiPT5_PiiiibdPKfPKS9_SF_.kd
    .uniform_work_group_size: 1
    .uses_dynamic_stack: false
    .vgpr_count:     43
    .vgpr_spill_count: 0
    .wavefront_size: 64
  - .agpr_count:     0
    .args:
      - .address_space:  global
        .offset:         0
        .size:           8
        .value_kind:     global_buffer
      - .address_space:  global
        .offset:         8
        .size:           8
        .value_kind:     global_buffer
      - .address_space:  global
        .offset:         16
        .size:           8
        .value_kind:     global_buffer
      - .offset:         24
        .size:           4
        .value_kind:     by_value
      - .address_space:  global
        .offset:         32
        .size:           8
        .value_kind:     global_buffer
      - .address_space:  global
        .offset:         40
        .size:           8
        .value_kind:     global_buffer
      - .offset:         48
        .size:           4
        .value_kind:     by_value
      - .offset:         52
        .size:           4
        .value_kind:     by_value
      - .offset:         56
        .size:           4
        .value_kind:     by_value
      - .offset:         60
        .size:           1
        .value_kind:     by_value
      - .offset:         64
        .size:           8
        .value_kind:     by_value
      - .address_space:  global
        .offset:         72
        .size:           8
        .value_kind:     global_buffer
      - .address_space:  global
        .offset:         80
        .size:           8
        .value_kind:     global_buffer
      - .address_space:  global
        .offset:         88
        .size:           8
        .value_kind:     global_buffer
    .group_segment_fixed_size: 0
    .kernarg_segment_align: 8
    .kernarg_segment_size: 96
    .language:       OpenCL C
    .language_version:
      - 2
      - 0
    .max_flat_workgroup_size: 128
    .name:           _ZN4vllm3moe22topkGatingSoftplusSqrtILi18ELi576ELi4ELi2ELi32ELb0Ej14__hip_bfloat16EEvPKT6_PKbPfiPT5_PiiiibdPKfPKS9_SF_
    .private_segment_fixed_size: 80
    .sgpr_count:     38
    .sgpr_spill_count: 0
    .symbol:         _ZN4vllm3moe22topkGatingSoftplusSqrtILi18ELi576ELi4ELi2ELi32ELb0Ej14__hip_bfloat16EEvPKT6_PKbPfiPT5_PiiiibdPKfPKS9_SF_.kd
    .uniform_work_group_size: 1
    .uses_dynamic_stack: false
    .vgpr_count:     49
    .vgpr_spill_count: 0
    .wavefront_size: 64
  - .agpr_count:     0
    .args:
      - .address_space:  global
        .offset:         0
        .size:           8
        .value_kind:     global_buffer
      - .address_space:  global
        .offset:         8
        .size:           8
        .value_kind:     global_buffer
      - .address_space:  global
        .offset:         16
        .size:           8
        .value_kind:     global_buffer
      - .offset:         24
        .size:           4
        .value_kind:     by_value
      - .address_space:  global
        .offset:         32
        .size:           8
        .value_kind:     global_buffer
      - .address_space:  global
        .offset:         40
        .size:           8
        .value_kind:     global_buffer
      - .offset:         48
        .size:           4
        .value_kind:     by_value
      - .offset:         52
        .size:           4
        .value_kind:     by_value
      - .offset:         56
        .size:           4
        .value_kind:     by_value
      - .offset:         60
        .size:           1
        .value_kind:     by_value
      - .offset:         64
        .size:           8
        .value_kind:     by_value
      - .address_space:  global
        .offset:         72
        .size:           8
        .value_kind:     global_buffer
      - .address_space:  global
        .offset:         80
        .size:           8
        .value_kind:     global_buffer
      - .address_space:  global
        .offset:         88
        .size:           8
        .value_kind:     global_buffer
    .group_segment_fixed_size: 0
    .kernarg_segment_align: 8
    .kernarg_segment_size: 96
    .language:       OpenCL C
    .language_version:
      - 2
      - 0
    .max_flat_workgroup_size: 256
    .name:           _ZN4vllm3moe22topkGatingSoftplusSqrtILi1ELi1ELi4ELi2ELi64ELb1El14__hip_bfloat16EEvPKT6_PKbPfiPT5_PiiiibdPKfPKS9_SF_
    .private_segment_fixed_size: 0
    .sgpr_count:     22
    .sgpr_spill_count: 0
    .symbol:         _ZN4vllm3moe22topkGatingSoftplusSqrtILi1ELi1ELi4ELi2ELi64ELb1El14__hip_bfloat16EEvPKT6_PKbPfiPT5_PiiiibdPKfPKS9_SF_.kd
    .uniform_work_group_size: 1
    .uses_dynamic_stack: false
    .vgpr_count:     16
    .vgpr_spill_count: 0
    .wavefront_size: 64
  - .agpr_count:     0
    .args:
      - .address_space:  global
        .offset:         0
        .size:           8
        .value_kind:     global_buffer
      - .address_space:  global
        .offset:         8
        .size:           8
        .value_kind:     global_buffer
      - .address_space:  global
        .offset:         16
        .size:           8
        .value_kind:     global_buffer
      - .offset:         24
        .size:           4
        .value_kind:     by_value
      - .address_space:  global
        .offset:         32
        .size:           8
        .value_kind:     global_buffer
      - .address_space:  global
        .offset:         40
        .size:           8
        .value_kind:     global_buffer
      - .offset:         48
        .size:           4
        .value_kind:     by_value
      - .offset:         52
        .size:           4
        .value_kind:     by_value
      - .offset:         56
        .size:           4
        .value_kind:     by_value
      - .offset:         60
        .size:           1
        .value_kind:     by_value
      - .offset:         64
        .size:           8
        .value_kind:     by_value
      - .address_space:  global
        .offset:         72
        .size:           8
        .value_kind:     global_buffer
      - .address_space:  global
        .offset:         80
        .size:           8
        .value_kind:     global_buffer
      - .address_space:  global
        .offset:         88
        .size:           8
        .value_kind:     global_buffer
    .group_segment_fixed_size: 0
    .kernarg_segment_align: 8
    .kernarg_segment_size: 96
    .language:       OpenCL C
    .language_version:
      - 2
      - 0
    .max_flat_workgroup_size: 256
    .name:           _ZN4vllm3moe22topkGatingSoftplusSqrtILi1ELi1ELi4ELi2ELi64ELb0El14__hip_bfloat16EEvPKT6_PKbPfiPT5_PiiiibdPKfPKS9_SF_
    .private_segment_fixed_size: 0
    .sgpr_count:     34
    .sgpr_spill_count: 0
    .symbol:         _ZN4vllm3moe22topkGatingSoftplusSqrtILi1ELi1ELi4ELi2ELi64ELb0El14__hip_bfloat16EEvPKT6_PKbPfiPT5_PiiiibdPKfPKS9_SF_.kd
    .uniform_work_group_size: 1
    .uses_dynamic_stack: false
    .vgpr_count:     16
    .vgpr_spill_count: 0
    .wavefront_size: 64
  - .agpr_count:     0
    .args:
      - .address_space:  global
        .offset:         0
        .size:           8
        .value_kind:     global_buffer
      - .address_space:  global
        .offset:         8
        .size:           8
        .value_kind:     global_buffer
      - .address_space:  global
        .offset:         16
        .size:           8
        .value_kind:     global_buffer
      - .offset:         24
        .size:           4
        .value_kind:     by_value
      - .address_space:  global
        .offset:         32
        .size:           8
        .value_kind:     global_buffer
      - .address_space:  global
        .offset:         40
        .size:           8
        .value_kind:     global_buffer
      - .offset:         48
        .size:           4
        .value_kind:     by_value
      - .offset:         52
        .size:           4
        .value_kind:     by_value
      - .offset:         56
        .size:           4
        .value_kind:     by_value
      - .offset:         60
        .size:           1
        .value_kind:     by_value
      - .offset:         64
        .size:           8
        .value_kind:     by_value
      - .address_space:  global
        .offset:         72
        .size:           8
        .value_kind:     global_buffer
      - .address_space:  global
        .offset:         80
        .size:           8
        .value_kind:     global_buffer
      - .address_space:  global
        .offset:         88
        .size:           8
        .value_kind:     global_buffer
    .group_segment_fixed_size: 0
    .kernarg_segment_align: 8
    .kernarg_segment_size: 96
    .language:       OpenCL C
    .language_version:
      - 2
      - 0
    .max_flat_workgroup_size: 128
    .name:           _ZN4vllm3moe22topkGatingSoftplusSqrtILi1ELi1ELi4ELi2ELi32ELb1El14__hip_bfloat16EEvPKT6_PKbPfiPT5_PiiiibdPKfPKS9_SF_
    .private_segment_fixed_size: 0
    .sgpr_count:     22
    .sgpr_spill_count: 0
    .symbol:         _ZN4vllm3moe22topkGatingSoftplusSqrtILi1ELi1ELi4ELi2ELi32ELb1El14__hip_bfloat16EEvPKT6_PKbPfiPT5_PiiiibdPKfPKS9_SF_.kd
    .uniform_work_group_size: 1
    .uses_dynamic_stack: false
    .vgpr_count:     16
    .vgpr_spill_count: 0
    .wavefront_size: 64
  - .agpr_count:     0
    .args:
      - .address_space:  global
        .offset:         0
        .size:           8
        .value_kind:     global_buffer
      - .address_space:  global
        .offset:         8
        .size:           8
        .value_kind:     global_buffer
      - .address_space:  global
        .offset:         16
        .size:           8
        .value_kind:     global_buffer
      - .offset:         24
        .size:           4
        .value_kind:     by_value
      - .address_space:  global
        .offset:         32
        .size:           8
        .value_kind:     global_buffer
      - .address_space:  global
        .offset:         40
        .size:           8
        .value_kind:     global_buffer
      - .offset:         48
        .size:           4
        .value_kind:     by_value
      - .offset:         52
        .size:           4
        .value_kind:     by_value
      - .offset:         56
        .size:           4
        .value_kind:     by_value
      - .offset:         60
        .size:           1
        .value_kind:     by_value
      - .offset:         64
        .size:           8
        .value_kind:     by_value
      - .address_space:  global
        .offset:         72
        .size:           8
        .value_kind:     global_buffer
      - .address_space:  global
        .offset:         80
        .size:           8
        .value_kind:     global_buffer
      - .address_space:  global
        .offset:         88
        .size:           8
        .value_kind:     global_buffer
    .group_segment_fixed_size: 0
    .kernarg_segment_align: 8
    .kernarg_segment_size: 96
    .language:       OpenCL C
    .language_version:
      - 2
      - 0
    .max_flat_workgroup_size: 128
    .name:           _ZN4vllm3moe22topkGatingSoftplusSqrtILi1ELi1ELi4ELi2ELi32ELb0El14__hip_bfloat16EEvPKT6_PKbPfiPT5_PiiiibdPKfPKS9_SF_
    .private_segment_fixed_size: 0
    .sgpr_count:     34
    .sgpr_spill_count: 0
    .symbol:         _ZN4vllm3moe22topkGatingSoftplusSqrtILi1ELi1ELi4ELi2ELi32ELb0El14__hip_bfloat16EEvPKT6_PKbPfiPT5_PiiiibdPKfPKS9_SF_.kd
    .uniform_work_group_size: 1
    .uses_dynamic_stack: false
    .vgpr_count:     16
    .vgpr_spill_count: 0
    .wavefront_size: 64
  - .agpr_count:     0
    .args:
      - .address_space:  global
        .offset:         0
        .size:           8
        .value_kind:     global_buffer
      - .address_space:  global
        .offset:         8
        .size:           8
        .value_kind:     global_buffer
      - .address_space:  global
        .offset:         16
        .size:           8
        .value_kind:     global_buffer
      - .offset:         24
        .size:           4
        .value_kind:     by_value
      - .address_space:  global
        .offset:         32
        .size:           8
        .value_kind:     global_buffer
      - .address_space:  global
        .offset:         40
        .size:           8
        .value_kind:     global_buffer
      - .offset:         48
        .size:           4
        .value_kind:     by_value
      - .offset:         52
        .size:           4
        .value_kind:     by_value
      - .offset:         56
        .size:           4
        .value_kind:     by_value
      - .offset:         60
        .size:           1
        .value_kind:     by_value
      - .offset:         64
        .size:           8
        .value_kind:     by_value
      - .address_space:  global
        .offset:         72
        .size:           8
        .value_kind:     global_buffer
      - .address_space:  global
        .offset:         80
        .size:           8
        .value_kind:     global_buffer
      - .address_space:  global
        .offset:         88
        .size:           8
        .value_kind:     global_buffer
    .group_segment_fixed_size: 0
    .kernarg_segment_align: 8
    .kernarg_segment_size: 96
    .language:       OpenCL C
    .language_version:
      - 2
      - 0
    .max_flat_workgroup_size: 256
    .name:           _ZN4vllm3moe22topkGatingSoftplusSqrtILi2ELi2ELi4ELi4ELi64ELb1El14__hip_bfloat16EEvPKT6_PKbPfiPT5_PiiiibdPKfPKS9_SF_
    .private_segment_fixed_size: 0
    .sgpr_count:     24
    .sgpr_spill_count: 0
    .symbol:         _ZN4vllm3moe22topkGatingSoftplusSqrtILi2ELi2ELi4ELi4ELi64ELb1El14__hip_bfloat16EEvPKT6_PKbPfiPT5_PiiiibdPKfPKS9_SF_.kd
    .uniform_work_group_size: 1
    .uses_dynamic_stack: false
    .vgpr_count:     18
    .vgpr_spill_count: 0
    .wavefront_size: 64
  - .agpr_count:     0
    .args:
      - .address_space:  global
        .offset:         0
        .size:           8
        .value_kind:     global_buffer
      - .address_space:  global
        .offset:         8
        .size:           8
        .value_kind:     global_buffer
      - .address_space:  global
        .offset:         16
        .size:           8
        .value_kind:     global_buffer
      - .offset:         24
        .size:           4
        .value_kind:     by_value
      - .address_space:  global
        .offset:         32
        .size:           8
        .value_kind:     global_buffer
      - .address_space:  global
        .offset:         40
        .size:           8
        .value_kind:     global_buffer
      - .offset:         48
        .size:           4
        .value_kind:     by_value
      - .offset:         52
        .size:           4
        .value_kind:     by_value
      - .offset:         56
        .size:           4
        .value_kind:     by_value
      - .offset:         60
        .size:           1
        .value_kind:     by_value
      - .offset:         64
        .size:           8
        .value_kind:     by_value
      - .address_space:  global
        .offset:         72
        .size:           8
        .value_kind:     global_buffer
      - .address_space:  global
        .offset:         80
        .size:           8
        .value_kind:     global_buffer
      - .address_space:  global
        .offset:         88
        .size:           8
        .value_kind:     global_buffer
    .group_segment_fixed_size: 0
    .kernarg_segment_align: 8
    .kernarg_segment_size: 96
    .language:       OpenCL C
    .language_version:
      - 2
      - 0
    .max_flat_workgroup_size: 256
    .name:           _ZN4vllm3moe22topkGatingSoftplusSqrtILi2ELi2ELi4ELi4ELi64ELb0El14__hip_bfloat16EEvPKT6_PKbPfiPT5_PiiiibdPKfPKS9_SF_
    .private_segment_fixed_size: 0
    .sgpr_count:     32
    .sgpr_spill_count: 0
    .symbol:         _ZN4vllm3moe22topkGatingSoftplusSqrtILi2ELi2ELi4ELi4ELi64ELb0El14__hip_bfloat16EEvPKT6_PKbPfiPT5_PiiiibdPKfPKS9_SF_.kd
    .uniform_work_group_size: 1
    .uses_dynamic_stack: false
    .vgpr_count:     14
    .vgpr_spill_count: 0
    .wavefront_size: 64
  - .agpr_count:     0
    .args:
      - .address_space:  global
        .offset:         0
        .size:           8
        .value_kind:     global_buffer
      - .address_space:  global
        .offset:         8
        .size:           8
        .value_kind:     global_buffer
      - .address_space:  global
        .offset:         16
        .size:           8
        .value_kind:     global_buffer
      - .offset:         24
        .size:           4
        .value_kind:     by_value
      - .address_space:  global
        .offset:         32
        .size:           8
        .value_kind:     global_buffer
      - .address_space:  global
        .offset:         40
        .size:           8
        .value_kind:     global_buffer
      - .offset:         48
        .size:           4
        .value_kind:     by_value
      - .offset:         52
        .size:           4
        .value_kind:     by_value
      - .offset:         56
        .size:           4
        .value_kind:     by_value
      - .offset:         60
        .size:           1
        .value_kind:     by_value
      - .offset:         64
        .size:           8
        .value_kind:     by_value
      - .address_space:  global
        .offset:         72
        .size:           8
        .value_kind:     global_buffer
      - .address_space:  global
        .offset:         80
        .size:           8
        .value_kind:     global_buffer
      - .address_space:  global
        .offset:         88
        .size:           8
        .value_kind:     global_buffer
    .group_segment_fixed_size: 0
    .kernarg_segment_align: 8
    .kernarg_segment_size: 96
    .language:       OpenCL C
    .language_version:
      - 2
      - 0
    .max_flat_workgroup_size: 128
    .name:           _ZN4vllm3moe22topkGatingSoftplusSqrtILi2ELi2ELi4ELi4ELi32ELb1El14__hip_bfloat16EEvPKT6_PKbPfiPT5_PiiiibdPKfPKS9_SF_
    .private_segment_fixed_size: 0
    .sgpr_count:     24
    .sgpr_spill_count: 0
    .symbol:         _ZN4vllm3moe22topkGatingSoftplusSqrtILi2ELi2ELi4ELi4ELi32ELb1El14__hip_bfloat16EEvPKT6_PKbPfiPT5_PiiiibdPKfPKS9_SF_.kd
    .uniform_work_group_size: 1
    .uses_dynamic_stack: false
    .vgpr_count:     18
    .vgpr_spill_count: 0
    .wavefront_size: 64
  - .agpr_count:     0
    .args:
      - .address_space:  global
        .offset:         0
        .size:           8
        .value_kind:     global_buffer
      - .address_space:  global
        .offset:         8
        .size:           8
        .value_kind:     global_buffer
      - .address_space:  global
        .offset:         16
        .size:           8
        .value_kind:     global_buffer
      - .offset:         24
        .size:           4
        .value_kind:     by_value
      - .address_space:  global
        .offset:         32
        .size:           8
        .value_kind:     global_buffer
      - .address_space:  global
        .offset:         40
        .size:           8
        .value_kind:     global_buffer
      - .offset:         48
        .size:           4
        .value_kind:     by_value
      - .offset:         52
        .size:           4
        .value_kind:     by_value
      - .offset:         56
        .size:           4
        .value_kind:     by_value
      - .offset:         60
        .size:           1
        .value_kind:     by_value
      - .offset:         64
        .size:           8
        .value_kind:     by_value
      - .address_space:  global
        .offset:         72
        .size:           8
        .value_kind:     global_buffer
      - .address_space:  global
        .offset:         80
        .size:           8
        .value_kind:     global_buffer
      - .address_space:  global
        .offset:         88
        .size:           8
        .value_kind:     global_buffer
    .group_segment_fixed_size: 0
    .kernarg_segment_align: 8
    .kernarg_segment_size: 96
    .language:       OpenCL C
    .language_version:
      - 2
      - 0
    .max_flat_workgroup_size: 128
    .name:           _ZN4vllm3moe22topkGatingSoftplusSqrtILi2ELi2ELi4ELi4ELi32ELb0El14__hip_bfloat16EEvPKT6_PKbPfiPT5_PiiiibdPKfPKS9_SF_
    .private_segment_fixed_size: 0
    .sgpr_count:     32
    .sgpr_spill_count: 0
    .symbol:         _ZN4vllm3moe22topkGatingSoftplusSqrtILi2ELi2ELi4ELi4ELi32ELb0El14__hip_bfloat16EEvPKT6_PKbPfiPT5_PiiiibdPKfPKS9_SF_.kd
    .uniform_work_group_size: 1
    .uses_dynamic_stack: false
    .vgpr_count:     14
    .vgpr_spill_count: 0
    .wavefront_size: 64
  - .agpr_count:     0
    .args:
      - .address_space:  global
        .offset:         0
        .size:           8
        .value_kind:     global_buffer
      - .address_space:  global
        .offset:         8
        .size:           8
        .value_kind:     global_buffer
      - .address_space:  global
        .offset:         16
        .size:           8
        .value_kind:     global_buffer
      - .offset:         24
        .size:           4
        .value_kind:     by_value
      - .address_space:  global
        .offset:         32
        .size:           8
        .value_kind:     global_buffer
      - .address_space:  global
        .offset:         40
        .size:           8
        .value_kind:     global_buffer
      - .offset:         48
        .size:           4
        .value_kind:     by_value
      - .offset:         52
        .size:           4
        .value_kind:     by_value
      - .offset:         56
        .size:           4
        .value_kind:     by_value
      - .offset:         60
        .size:           1
        .value_kind:     by_value
      - .offset:         64
        .size:           8
        .value_kind:     by_value
      - .address_space:  global
        .offset:         72
        .size:           8
        .value_kind:     global_buffer
      - .address_space:  global
        .offset:         80
        .size:           8
        .value_kind:     global_buffer
      - .address_space:  global
        .offset:         88
        .size:           8
        .value_kind:     global_buffer
    .group_segment_fixed_size: 0
    .kernarg_segment_align: 8
    .kernarg_segment_size: 96
    .language:       OpenCL C
    .language_version:
      - 2
      - 0
    .max_flat_workgroup_size: 256
    .name:           _ZN4vllm3moe22topkGatingSoftplusSqrtILi4ELi4ELi4ELi8ELi64ELb1El14__hip_bfloat16EEvPKT6_PKbPfiPT5_PiiiibdPKfPKS9_SF_
    .private_segment_fixed_size: 0
    .sgpr_count:     29
    .sgpr_spill_count: 0
    .symbol:         _ZN4vllm3moe22topkGatingSoftplusSqrtILi4ELi4ELi4ELi8ELi64ELb1El14__hip_bfloat16EEvPKT6_PKbPfiPT5_PiiiibdPKfPKS9_SF_.kd
    .uniform_work_group_size: 1
    .uses_dynamic_stack: false
    .vgpr_count:     22
    .vgpr_spill_count: 0
    .wavefront_size: 64
  - .agpr_count:     0
    .args:
      - .address_space:  global
        .offset:         0
        .size:           8
        .value_kind:     global_buffer
      - .address_space:  global
        .offset:         8
        .size:           8
        .value_kind:     global_buffer
      - .address_space:  global
        .offset:         16
        .size:           8
        .value_kind:     global_buffer
      - .offset:         24
        .size:           4
        .value_kind:     by_value
      - .address_space:  global
        .offset:         32
        .size:           8
        .value_kind:     global_buffer
      - .address_space:  global
        .offset:         40
        .size:           8
        .value_kind:     global_buffer
      - .offset:         48
        .size:           4
        .value_kind:     by_value
      - .offset:         52
        .size:           4
        .value_kind:     by_value
      - .offset:         56
        .size:           4
        .value_kind:     by_value
      - .offset:         60
        .size:           1
        .value_kind:     by_value
      - .offset:         64
        .size:           8
        .value_kind:     by_value
      - .address_space:  global
        .offset:         72
        .size:           8
        .value_kind:     global_buffer
      - .address_space:  global
        .offset:         80
        .size:           8
        .value_kind:     global_buffer
      - .address_space:  global
        .offset:         88
        .size:           8
        .value_kind:     global_buffer
    .group_segment_fixed_size: 0
    .kernarg_segment_align: 8
    .kernarg_segment_size: 96
    .language:       OpenCL C
    .language_version:
      - 2
      - 0
    .max_flat_workgroup_size: 256
    .name:           _ZN4vllm3moe22topkGatingSoftplusSqrtILi4ELi4ELi4ELi8ELi64ELb0El14__hip_bfloat16EEvPKT6_PKbPfiPT5_PiiiibdPKfPKS9_SF_
    .private_segment_fixed_size: 0
    .sgpr_count:     32
    .sgpr_spill_count: 0
    .symbol:         _ZN4vllm3moe22topkGatingSoftplusSqrtILi4ELi4ELi4ELi8ELi64ELb0El14__hip_bfloat16EEvPKT6_PKbPfiPT5_PiiiibdPKfPKS9_SF_.kd
    .uniform_work_group_size: 1
    .uses_dynamic_stack: false
    .vgpr_count:     16
    .vgpr_spill_count: 0
    .wavefront_size: 64
  - .agpr_count:     0
    .args:
      - .address_space:  global
        .offset:         0
        .size:           8
        .value_kind:     global_buffer
      - .address_space:  global
        .offset:         8
        .size:           8
        .value_kind:     global_buffer
      - .address_space:  global
        .offset:         16
        .size:           8
        .value_kind:     global_buffer
      - .offset:         24
        .size:           4
        .value_kind:     by_value
      - .address_space:  global
        .offset:         32
        .size:           8
        .value_kind:     global_buffer
      - .address_space:  global
        .offset:         40
        .size:           8
        .value_kind:     global_buffer
      - .offset:         48
        .size:           4
        .value_kind:     by_value
      - .offset:         52
        .size:           4
        .value_kind:     by_value
      - .offset:         56
        .size:           4
        .value_kind:     by_value
      - .offset:         60
        .size:           1
        .value_kind:     by_value
      - .offset:         64
        .size:           8
        .value_kind:     by_value
      - .address_space:  global
        .offset:         72
        .size:           8
        .value_kind:     global_buffer
      - .address_space:  global
        .offset:         80
        .size:           8
        .value_kind:     global_buffer
      - .address_space:  global
        .offset:         88
        .size:           8
        .value_kind:     global_buffer
    .group_segment_fixed_size: 0
    .kernarg_segment_align: 8
    .kernarg_segment_size: 96
    .language:       OpenCL C
    .language_version:
      - 2
      - 0
    .max_flat_workgroup_size: 128
    .name:           _ZN4vllm3moe22topkGatingSoftplusSqrtILi4ELi4ELi4ELi8ELi32ELb1El14__hip_bfloat16EEvPKT6_PKbPfiPT5_PiiiibdPKfPKS9_SF_
    .private_segment_fixed_size: 0
    .sgpr_count:     29
    .sgpr_spill_count: 0
    .symbol:         _ZN4vllm3moe22topkGatingSoftplusSqrtILi4ELi4ELi4ELi8ELi32ELb1El14__hip_bfloat16EEvPKT6_PKbPfiPT5_PiiiibdPKfPKS9_SF_.kd
    .uniform_work_group_size: 1
    .uses_dynamic_stack: false
    .vgpr_count:     22
    .vgpr_spill_count: 0
    .wavefront_size: 64
  - .agpr_count:     0
    .args:
      - .address_space:  global
        .offset:         0
        .size:           8
        .value_kind:     global_buffer
      - .address_space:  global
        .offset:         8
        .size:           8
        .value_kind:     global_buffer
      - .address_space:  global
        .offset:         16
        .size:           8
        .value_kind:     global_buffer
      - .offset:         24
        .size:           4
        .value_kind:     by_value
      - .address_space:  global
        .offset:         32
        .size:           8
        .value_kind:     global_buffer
      - .address_space:  global
        .offset:         40
        .size:           8
        .value_kind:     global_buffer
      - .offset:         48
        .size:           4
        .value_kind:     by_value
      - .offset:         52
        .size:           4
        .value_kind:     by_value
      - .offset:         56
        .size:           4
        .value_kind:     by_value
      - .offset:         60
        .size:           1
        .value_kind:     by_value
      - .offset:         64
        .size:           8
        .value_kind:     by_value
      - .address_space:  global
        .offset:         72
        .size:           8
        .value_kind:     global_buffer
      - .address_space:  global
        .offset:         80
        .size:           8
        .value_kind:     global_buffer
      - .address_space:  global
        .offset:         88
        .size:           8
        .value_kind:     global_buffer
    .group_segment_fixed_size: 0
    .kernarg_segment_align: 8
    .kernarg_segment_size: 96
    .language:       OpenCL C
    .language_version:
      - 2
      - 0
    .max_flat_workgroup_size: 128
    .name:           _ZN4vllm3moe22topkGatingSoftplusSqrtILi4ELi4ELi4ELi8ELi32ELb0El14__hip_bfloat16EEvPKT6_PKbPfiPT5_PiiiibdPKfPKS9_SF_
    .private_segment_fixed_size: 0
    .sgpr_count:     32
    .sgpr_spill_count: 0
    .symbol:         _ZN4vllm3moe22topkGatingSoftplusSqrtILi4ELi4ELi4ELi8ELi32ELb0El14__hip_bfloat16EEvPKT6_PKbPfiPT5_PiiiibdPKfPKS9_SF_.kd
    .uniform_work_group_size: 1
    .uses_dynamic_stack: false
    .vgpr_count:     16
    .vgpr_spill_count: 0
    .wavefront_size: 64
  - .agpr_count:     0
    .args:
      - .address_space:  global
        .offset:         0
        .size:           8
        .value_kind:     global_buffer
      - .address_space:  global
        .offset:         8
        .size:           8
        .value_kind:     global_buffer
      - .address_space:  global
        .offset:         16
        .size:           8
        .value_kind:     global_buffer
      - .offset:         24
        .size:           4
        .value_kind:     by_value
      - .address_space:  global
        .offset:         32
        .size:           8
        .value_kind:     global_buffer
      - .address_space:  global
        .offset:         40
        .size:           8
        .value_kind:     global_buffer
      - .offset:         48
        .size:           4
        .value_kind:     by_value
      - .offset:         52
        .size:           4
        .value_kind:     by_value
      - .offset:         56
        .size:           4
        .value_kind:     by_value
      - .offset:         60
        .size:           1
        .value_kind:     by_value
      - .offset:         64
        .size:           8
        .value_kind:     by_value
      - .address_space:  global
        .offset:         72
        .size:           8
        .value_kind:     global_buffer
      - .address_space:  global
        .offset:         80
        .size:           8
        .value_kind:     global_buffer
      - .address_space:  global
        .offset:         88
        .size:           8
        .value_kind:     global_buffer
    .group_segment_fixed_size: 0
    .kernarg_segment_align: 8
    .kernarg_segment_size: 96
    .language:       OpenCL C
    .language_version:
      - 2
      - 0
    .max_flat_workgroup_size: 256
    .name:           _ZN4vllm3moe22topkGatingSoftplusSqrtILi8ELi8ELi4ELi16ELi64ELb1El14__hip_bfloat16EEvPKT6_PKbPfiPT5_PiiiibdPKfPKS9_SF_
    .private_segment_fixed_size: 0
    .sgpr_count:     28
    .sgpr_spill_count: 0
    .symbol:         _ZN4vllm3moe22topkGatingSoftplusSqrtILi8ELi8ELi4ELi16ELi64ELb1El14__hip_bfloat16EEvPKT6_PKbPfiPT5_PiiiibdPKfPKS9_SF_.kd
    .uniform_work_group_size: 1
    .uses_dynamic_stack: false
    .vgpr_count:     26
    .vgpr_spill_count: 0
    .wavefront_size: 64
  - .agpr_count:     0
    .args:
      - .address_space:  global
        .offset:         0
        .size:           8
        .value_kind:     global_buffer
      - .address_space:  global
        .offset:         8
        .size:           8
        .value_kind:     global_buffer
      - .address_space:  global
        .offset:         16
        .size:           8
        .value_kind:     global_buffer
      - .offset:         24
        .size:           4
        .value_kind:     by_value
      - .address_space:  global
        .offset:         32
        .size:           8
        .value_kind:     global_buffer
      - .address_space:  global
        .offset:         40
        .size:           8
        .value_kind:     global_buffer
      - .offset:         48
        .size:           4
        .value_kind:     by_value
      - .offset:         52
        .size:           4
        .value_kind:     by_value
      - .offset:         56
        .size:           4
        .value_kind:     by_value
      - .offset:         60
        .size:           1
        .value_kind:     by_value
      - .offset:         64
        .size:           8
        .value_kind:     by_value
      - .address_space:  global
        .offset:         72
        .size:           8
        .value_kind:     global_buffer
      - .address_space:  global
        .offset:         80
        .size:           8
        .value_kind:     global_buffer
      - .address_space:  global
        .offset:         88
        .size:           8
        .value_kind:     global_buffer
    .group_segment_fixed_size: 0
    .kernarg_segment_align: 8
    .kernarg_segment_size: 96
    .language:       OpenCL C
    .language_version:
      - 2
      - 0
    .max_flat_workgroup_size: 256
    .name:           _ZN4vllm3moe22topkGatingSoftplusSqrtILi8ELi8ELi4ELi16ELi64ELb0El14__hip_bfloat16EEvPKT6_PKbPfiPT5_PiiiibdPKfPKS9_SF_
    .private_segment_fixed_size: 0
    .sgpr_count:     32
    .sgpr_spill_count: 0
    .symbol:         _ZN4vllm3moe22topkGatingSoftplusSqrtILi8ELi8ELi4ELi16ELi64ELb0El14__hip_bfloat16EEvPKT6_PKbPfiPT5_PiiiibdPKfPKS9_SF_.kd
    .uniform_work_group_size: 1
    .uses_dynamic_stack: false
    .vgpr_count:     22
    .vgpr_spill_count: 0
    .wavefront_size: 64
  - .agpr_count:     0
    .args:
      - .address_space:  global
        .offset:         0
        .size:           8
        .value_kind:     global_buffer
      - .address_space:  global
        .offset:         8
        .size:           8
        .value_kind:     global_buffer
      - .address_space:  global
        .offset:         16
        .size:           8
        .value_kind:     global_buffer
      - .offset:         24
        .size:           4
        .value_kind:     by_value
      - .address_space:  global
        .offset:         32
        .size:           8
        .value_kind:     global_buffer
      - .address_space:  global
        .offset:         40
        .size:           8
        .value_kind:     global_buffer
      - .offset:         48
        .size:           4
        .value_kind:     by_value
      - .offset:         52
        .size:           4
        .value_kind:     by_value
      - .offset:         56
        .size:           4
        .value_kind:     by_value
      - .offset:         60
        .size:           1
        .value_kind:     by_value
      - .offset:         64
        .size:           8
        .value_kind:     by_value
      - .address_space:  global
        .offset:         72
        .size:           8
        .value_kind:     global_buffer
      - .address_space:  global
        .offset:         80
        .size:           8
        .value_kind:     global_buffer
      - .address_space:  global
        .offset:         88
        .size:           8
        .value_kind:     global_buffer
    .group_segment_fixed_size: 0
    .kernarg_segment_align: 8
    .kernarg_segment_size: 96
    .language:       OpenCL C
    .language_version:
      - 2
      - 0
    .max_flat_workgroup_size: 128
    .name:           _ZN4vllm3moe22topkGatingSoftplusSqrtILi8ELi8ELi4ELi16ELi32ELb1El14__hip_bfloat16EEvPKT6_PKbPfiPT5_PiiiibdPKfPKS9_SF_
    .private_segment_fixed_size: 0
    .sgpr_count:     28
    .sgpr_spill_count: 0
    .symbol:         _ZN4vllm3moe22topkGatingSoftplusSqrtILi8ELi8ELi4ELi16ELi32ELb1El14__hip_bfloat16EEvPKT6_PKbPfiPT5_PiiiibdPKfPKS9_SF_.kd
    .uniform_work_group_size: 1
    .uses_dynamic_stack: false
    .vgpr_count:     26
    .vgpr_spill_count: 0
    .wavefront_size: 64
  - .agpr_count:     0
    .args:
      - .address_space:  global
        .offset:         0
        .size:           8
        .value_kind:     global_buffer
      - .address_space:  global
        .offset:         8
        .size:           8
        .value_kind:     global_buffer
      - .address_space:  global
        .offset:         16
        .size:           8
        .value_kind:     global_buffer
      - .offset:         24
        .size:           4
        .value_kind:     by_value
      - .address_space:  global
        .offset:         32
        .size:           8
        .value_kind:     global_buffer
      - .address_space:  global
        .offset:         40
        .size:           8
        .value_kind:     global_buffer
      - .offset:         48
        .size:           4
        .value_kind:     by_value
      - .offset:         52
        .size:           4
        .value_kind:     by_value
      - .offset:         56
        .size:           4
        .value_kind:     by_value
      - .offset:         60
        .size:           1
        .value_kind:     by_value
      - .offset:         64
        .size:           8
        .value_kind:     by_value
      - .address_space:  global
        .offset:         72
        .size:           8
        .value_kind:     global_buffer
      - .address_space:  global
        .offset:         80
        .size:           8
        .value_kind:     global_buffer
      - .address_space:  global
        .offset:         88
        .size:           8
        .value_kind:     global_buffer
    .group_segment_fixed_size: 0
    .kernarg_segment_align: 8
    .kernarg_segment_size: 96
    .language:       OpenCL C
    .language_version:
      - 2
      - 0
    .max_flat_workgroup_size: 128
    .name:           _ZN4vllm3moe22topkGatingSoftplusSqrtILi8ELi8ELi4ELi16ELi32ELb0El14__hip_bfloat16EEvPKT6_PKbPfiPT5_PiiiibdPKfPKS9_SF_
    .private_segment_fixed_size: 0
    .sgpr_count:     32
    .sgpr_spill_count: 0
    .symbol:         _ZN4vllm3moe22topkGatingSoftplusSqrtILi8ELi8ELi4ELi16ELi32ELb0El14__hip_bfloat16EEvPKT6_PKbPfiPT5_PiiiibdPKfPKS9_SF_.kd
    .uniform_work_group_size: 1
    .uses_dynamic_stack: false
    .vgpr_count:     22
    .vgpr_spill_count: 0
    .wavefront_size: 64
  - .agpr_count:     0
    .args:
      - .address_space:  global
        .offset:         0
        .size:           8
        .value_kind:     global_buffer
      - .address_space:  global
        .offset:         8
        .size:           8
        .value_kind:     global_buffer
      - .address_space:  global
        .offset:         16
        .size:           8
        .value_kind:     global_buffer
      - .offset:         24
        .size:           4
        .value_kind:     by_value
      - .address_space:  global
        .offset:         32
        .size:           8
        .value_kind:     global_buffer
      - .address_space:  global
        .offset:         40
        .size:           8
        .value_kind:     global_buffer
      - .offset:         48
        .size:           4
        .value_kind:     by_value
      - .offset:         52
        .size:           4
        .value_kind:     by_value
      - .offset:         56
        .size:           4
        .value_kind:     by_value
      - .offset:         60
        .size:           1
        .value_kind:     by_value
      - .offset:         64
        .size:           8
        .value_kind:     by_value
      - .address_space:  global
        .offset:         72
        .size:           8
        .value_kind:     global_buffer
      - .address_space:  global
        .offset:         80
        .size:           8
        .value_kind:     global_buffer
      - .address_space:  global
        .offset:         88
        .size:           8
        .value_kind:     global_buffer
    .group_segment_fixed_size: 0
    .kernarg_segment_align: 8
    .kernarg_segment_size: 96
    .language:       OpenCL C
    .language_version:
      - 2
      - 0
    .max_flat_workgroup_size: 256
    .name:           _ZN4vllm3moe22topkGatingSoftplusSqrtILi8ELi16ELi4ELi16ELi64ELb1El14__hip_bfloat16EEvPKT6_PKbPfiPT5_PiiiibdPKfPKS9_SF_
    .private_segment_fixed_size: 48
    .sgpr_count:     42
    .sgpr_spill_count: 0
    .symbol:         _ZN4vllm3moe22topkGatingSoftplusSqrtILi8ELi16ELi4ELi16ELi64ELb1El14__hip_bfloat16EEvPKT6_PKbPfiPT5_PiiiibdPKfPKS9_SF_.kd
    .uniform_work_group_size: 1
    .uses_dynamic_stack: false
    .vgpr_count:     28
    .vgpr_spill_count: 0
    .wavefront_size: 64
  - .agpr_count:     0
    .args:
      - .address_space:  global
        .offset:         0
        .size:           8
        .value_kind:     global_buffer
      - .address_space:  global
        .offset:         8
        .size:           8
        .value_kind:     global_buffer
      - .address_space:  global
        .offset:         16
        .size:           8
        .value_kind:     global_buffer
      - .offset:         24
        .size:           4
        .value_kind:     by_value
      - .address_space:  global
        .offset:         32
        .size:           8
        .value_kind:     global_buffer
      - .address_space:  global
        .offset:         40
        .size:           8
        .value_kind:     global_buffer
      - .offset:         48
        .size:           4
        .value_kind:     by_value
      - .offset:         52
        .size:           4
        .value_kind:     by_value
      - .offset:         56
        .size:           4
        .value_kind:     by_value
      - .offset:         60
        .size:           1
        .value_kind:     by_value
      - .offset:         64
        .size:           8
        .value_kind:     by_value
      - .address_space:  global
        .offset:         72
        .size:           8
        .value_kind:     global_buffer
      - .address_space:  global
        .offset:         80
        .size:           8
        .value_kind:     global_buffer
      - .address_space:  global
        .offset:         88
        .size:           8
        .value_kind:     global_buffer
    .group_segment_fixed_size: 0
    .kernarg_segment_align: 8
    .kernarg_segment_size: 96
    .language:       OpenCL C
    .language_version:
      - 2
      - 0
    .max_flat_workgroup_size: 256
    .name:           _ZN4vllm3moe22topkGatingSoftplusSqrtILi8ELi16ELi4ELi16ELi64ELb0El14__hip_bfloat16EEvPKT6_PKbPfiPT5_PiiiibdPKfPKS9_SF_
    .private_segment_fixed_size: 0
    .sgpr_count:     49
    .sgpr_spill_count: 0
    .symbol:         _ZN4vllm3moe22topkGatingSoftplusSqrtILi8ELi16ELi4ELi16ELi64ELb0El14__hip_bfloat16EEvPKT6_PKbPfiPT5_PiiiibdPKfPKS9_SF_.kd
    .uniform_work_group_size: 1
    .uses_dynamic_stack: false
    .vgpr_count:     26
    .vgpr_spill_count: 0
    .wavefront_size: 64
  - .agpr_count:     0
    .args:
      - .address_space:  global
        .offset:         0
        .size:           8
        .value_kind:     global_buffer
      - .address_space:  global
        .offset:         8
        .size:           8
        .value_kind:     global_buffer
      - .address_space:  global
        .offset:         16
        .size:           8
        .value_kind:     global_buffer
      - .offset:         24
        .size:           4
        .value_kind:     by_value
      - .address_space:  global
        .offset:         32
        .size:           8
        .value_kind:     global_buffer
      - .address_space:  global
        .offset:         40
        .size:           8
        .value_kind:     global_buffer
      - .offset:         48
        .size:           4
        .value_kind:     by_value
      - .offset:         52
        .size:           4
        .value_kind:     by_value
      - .offset:         56
        .size:           4
        .value_kind:     by_value
      - .offset:         60
        .size:           1
        .value_kind:     by_value
      - .offset:         64
        .size:           8
        .value_kind:     by_value
      - .address_space:  global
        .offset:         72
        .size:           8
        .value_kind:     global_buffer
      - .address_space:  global
        .offset:         80
        .size:           8
        .value_kind:     global_buffer
      - .address_space:  global
        .offset:         88
        .size:           8
        .value_kind:     global_buffer
    .group_segment_fixed_size: 0
    .kernarg_segment_align: 8
    .kernarg_segment_size: 96
    .language:       OpenCL C
    .language_version:
      - 2
      - 0
    .max_flat_workgroup_size: 128
    .name:           _ZN4vllm3moe22topkGatingSoftplusSqrtILi8ELi16ELi4ELi16ELi32ELb1El14__hip_bfloat16EEvPKT6_PKbPfiPT5_PiiiibdPKfPKS9_SF_
    .private_segment_fixed_size: 48
    .sgpr_count:     42
    .sgpr_spill_count: 0
    .symbol:         _ZN4vllm3moe22topkGatingSoftplusSqrtILi8ELi16ELi4ELi16ELi32ELb1El14__hip_bfloat16EEvPKT6_PKbPfiPT5_PiiiibdPKfPKS9_SF_.kd
    .uniform_work_group_size: 1
    .uses_dynamic_stack: false
    .vgpr_count:     28
    .vgpr_spill_count: 0
    .wavefront_size: 64
  - .agpr_count:     0
    .args:
      - .address_space:  global
        .offset:         0
        .size:           8
        .value_kind:     global_buffer
      - .address_space:  global
        .offset:         8
        .size:           8
        .value_kind:     global_buffer
      - .address_space:  global
        .offset:         16
        .size:           8
        .value_kind:     global_buffer
      - .offset:         24
        .size:           4
        .value_kind:     by_value
      - .address_space:  global
        .offset:         32
        .size:           8
        .value_kind:     global_buffer
      - .address_space:  global
        .offset:         40
        .size:           8
        .value_kind:     global_buffer
      - .offset:         48
        .size:           4
        .value_kind:     by_value
      - .offset:         52
        .size:           4
        .value_kind:     by_value
      - .offset:         56
        .size:           4
        .value_kind:     by_value
      - .offset:         60
        .size:           1
        .value_kind:     by_value
      - .offset:         64
        .size:           8
        .value_kind:     by_value
      - .address_space:  global
        .offset:         72
        .size:           8
        .value_kind:     global_buffer
      - .address_space:  global
        .offset:         80
        .size:           8
        .value_kind:     global_buffer
      - .address_space:  global
        .offset:         88
        .size:           8
        .value_kind:     global_buffer
    .group_segment_fixed_size: 0
    .kernarg_segment_align: 8
    .kernarg_segment_size: 96
    .language:       OpenCL C
    .language_version:
      - 2
      - 0
    .max_flat_workgroup_size: 128
    .name:           _ZN4vllm3moe22topkGatingSoftplusSqrtILi8ELi16ELi4ELi16ELi32ELb0El14__hip_bfloat16EEvPKT6_PKbPfiPT5_PiiiibdPKfPKS9_SF_
    .private_segment_fixed_size: 0
    .sgpr_count:     49
    .sgpr_spill_count: 0
    .symbol:         _ZN4vllm3moe22topkGatingSoftplusSqrtILi8ELi16ELi4ELi16ELi32ELb0El14__hip_bfloat16EEvPKT6_PKbPfiPT5_PiiiibdPKfPKS9_SF_.kd
    .uniform_work_group_size: 1
    .uses_dynamic_stack: false
    .vgpr_count:     26
    .vgpr_spill_count: 0
    .wavefront_size: 64
  - .agpr_count:     0
    .args:
      - .address_space:  global
        .offset:         0
        .size:           8
        .value_kind:     global_buffer
      - .address_space:  global
        .offset:         8
        .size:           8
        .value_kind:     global_buffer
      - .address_space:  global
        .offset:         16
        .size:           8
        .value_kind:     global_buffer
      - .offset:         24
        .size:           4
        .value_kind:     by_value
      - .address_space:  global
        .offset:         32
        .size:           8
        .value_kind:     global_buffer
      - .address_space:  global
        .offset:         40
        .size:           8
        .value_kind:     global_buffer
      - .offset:         48
        .size:           4
        .value_kind:     by_value
      - .offset:         52
        .size:           4
        .value_kind:     by_value
      - .offset:         56
        .size:           4
        .value_kind:     by_value
      - .offset:         60
        .size:           1
        .value_kind:     by_value
      - .offset:         64
        .size:           8
        .value_kind:     by_value
      - .address_space:  global
        .offset:         72
        .size:           8
        .value_kind:     global_buffer
      - .address_space:  global
        .offset:         80
        .size:           8
        .value_kind:     global_buffer
      - .address_space:  global
        .offset:         88
        .size:           8
        .value_kind:     global_buffer
    .group_segment_fixed_size: 0
    .kernarg_segment_align: 8
    .kernarg_segment_size: 96
    .language:       OpenCL C
    .language_version:
      - 2
      - 0
    .max_flat_workgroup_size: 256
    .name:           _ZN4vllm3moe22topkGatingSoftplusSqrtILi8ELi32ELi4ELi16ELi64ELb1El14__hip_bfloat16EEvPKT6_PKbPfiPT5_PiiiibdPKfPKS9_SF_
    .private_segment_fixed_size: 48
    .sgpr_count:     42
    .sgpr_spill_count: 0
    .symbol:         _ZN4vllm3moe22topkGatingSoftplusSqrtILi8ELi32ELi4ELi16ELi64ELb1El14__hip_bfloat16EEvPKT6_PKbPfiPT5_PiiiibdPKfPKS9_SF_.kd
    .uniform_work_group_size: 1
    .uses_dynamic_stack: false
    .vgpr_count:     28
    .vgpr_spill_count: 0
    .wavefront_size: 64
  - .agpr_count:     0
    .args:
      - .address_space:  global
        .offset:         0
        .size:           8
        .value_kind:     global_buffer
      - .address_space:  global
        .offset:         8
        .size:           8
        .value_kind:     global_buffer
      - .address_space:  global
        .offset:         16
        .size:           8
        .value_kind:     global_buffer
      - .offset:         24
        .size:           4
        .value_kind:     by_value
      - .address_space:  global
        .offset:         32
        .size:           8
        .value_kind:     global_buffer
      - .address_space:  global
        .offset:         40
        .size:           8
        .value_kind:     global_buffer
      - .offset:         48
        .size:           4
        .value_kind:     by_value
      - .offset:         52
        .size:           4
        .value_kind:     by_value
      - .offset:         56
        .size:           4
        .value_kind:     by_value
      - .offset:         60
        .size:           1
        .value_kind:     by_value
      - .offset:         64
        .size:           8
        .value_kind:     by_value
      - .address_space:  global
        .offset:         72
        .size:           8
        .value_kind:     global_buffer
      - .address_space:  global
        .offset:         80
        .size:           8
        .value_kind:     global_buffer
      - .address_space:  global
        .offset:         88
        .size:           8
        .value_kind:     global_buffer
    .group_segment_fixed_size: 0
    .kernarg_segment_align: 8
    .kernarg_segment_size: 96
    .language:       OpenCL C
    .language_version:
      - 2
      - 0
    .max_flat_workgroup_size: 256
    .name:           _ZN4vllm3moe22topkGatingSoftplusSqrtILi8ELi32ELi4ELi16ELi64ELb0El14__hip_bfloat16EEvPKT6_PKbPfiPT5_PiiiibdPKfPKS9_SF_
    .private_segment_fixed_size: 0
    .sgpr_count:     49
    .sgpr_spill_count: 0
    .symbol:         _ZN4vllm3moe22topkGatingSoftplusSqrtILi8ELi32ELi4ELi16ELi64ELb0El14__hip_bfloat16EEvPKT6_PKbPfiPT5_PiiiibdPKfPKS9_SF_.kd
    .uniform_work_group_size: 1
    .uses_dynamic_stack: false
    .vgpr_count:     26
    .vgpr_spill_count: 0
    .wavefront_size: 64
  - .agpr_count:     0
    .args:
      - .address_space:  global
        .offset:         0
        .size:           8
        .value_kind:     global_buffer
      - .address_space:  global
        .offset:         8
        .size:           8
        .value_kind:     global_buffer
      - .address_space:  global
        .offset:         16
        .size:           8
        .value_kind:     global_buffer
      - .offset:         24
        .size:           4
        .value_kind:     by_value
      - .address_space:  global
        .offset:         32
        .size:           8
        .value_kind:     global_buffer
      - .address_space:  global
        .offset:         40
        .size:           8
        .value_kind:     global_buffer
      - .offset:         48
        .size:           4
        .value_kind:     by_value
      - .offset:         52
        .size:           4
        .value_kind:     by_value
      - .offset:         56
        .size:           4
        .value_kind:     by_value
      - .offset:         60
        .size:           1
        .value_kind:     by_value
      - .offset:         64
        .size:           8
        .value_kind:     by_value
      - .address_space:  global
        .offset:         72
        .size:           8
        .value_kind:     global_buffer
      - .address_space:  global
        .offset:         80
        .size:           8
        .value_kind:     global_buffer
      - .address_space:  global
        .offset:         88
        .size:           8
        .value_kind:     global_buffer
    .group_segment_fixed_size: 0
    .kernarg_segment_align: 8
    .kernarg_segment_size: 96
    .language:       OpenCL C
    .language_version:
      - 2
      - 0
    .max_flat_workgroup_size: 128
    .name:           _ZN4vllm3moe22topkGatingSoftplusSqrtILi8ELi32ELi4ELi16ELi32ELb1El14__hip_bfloat16EEvPKT6_PKbPfiPT5_PiiiibdPKfPKS9_SF_
    .private_segment_fixed_size: 48
    .sgpr_count:     42
    .sgpr_spill_count: 0
    .symbol:         _ZN4vllm3moe22topkGatingSoftplusSqrtILi8ELi32ELi4ELi16ELi32ELb1El14__hip_bfloat16EEvPKT6_PKbPfiPT5_PiiiibdPKfPKS9_SF_.kd
    .uniform_work_group_size: 1
    .uses_dynamic_stack: false
    .vgpr_count:     28
    .vgpr_spill_count: 0
    .wavefront_size: 64
  - .agpr_count:     0
    .args:
      - .address_space:  global
        .offset:         0
        .size:           8
        .value_kind:     global_buffer
      - .address_space:  global
        .offset:         8
        .size:           8
        .value_kind:     global_buffer
      - .address_space:  global
        .offset:         16
        .size:           8
        .value_kind:     global_buffer
      - .offset:         24
        .size:           4
        .value_kind:     by_value
      - .address_space:  global
        .offset:         32
        .size:           8
        .value_kind:     global_buffer
      - .address_space:  global
        .offset:         40
        .size:           8
        .value_kind:     global_buffer
      - .offset:         48
        .size:           4
        .value_kind:     by_value
      - .offset:         52
        .size:           4
        .value_kind:     by_value
      - .offset:         56
        .size:           4
        .value_kind:     by_value
      - .offset:         60
        .size:           1
        .value_kind:     by_value
      - .offset:         64
        .size:           8
        .value_kind:     by_value
      - .address_space:  global
        .offset:         72
        .size:           8
        .value_kind:     global_buffer
      - .address_space:  global
        .offset:         80
        .size:           8
        .value_kind:     global_buffer
      - .address_space:  global
        .offset:         88
        .size:           8
        .value_kind:     global_buffer
    .group_segment_fixed_size: 0
    .kernarg_segment_align: 8
    .kernarg_segment_size: 96
    .language:       OpenCL C
    .language_version:
      - 2
      - 0
    .max_flat_workgroup_size: 128
    .name:           _ZN4vllm3moe22topkGatingSoftplusSqrtILi8ELi32ELi4ELi16ELi32ELb0El14__hip_bfloat16EEvPKT6_PKbPfiPT5_PiiiibdPKfPKS9_SF_
    .private_segment_fixed_size: 0
    .sgpr_count:     49
    .sgpr_spill_count: 0
    .symbol:         _ZN4vllm3moe22topkGatingSoftplusSqrtILi8ELi32ELi4ELi16ELi32ELb0El14__hip_bfloat16EEvPKT6_PKbPfiPT5_PiiiibdPKfPKS9_SF_.kd
    .uniform_work_group_size: 1
    .uses_dynamic_stack: false
    .vgpr_count:     26
    .vgpr_spill_count: 0
    .wavefront_size: 64
  - .agpr_count:     0
    .args:
      - .address_space:  global
        .offset:         0
        .size:           8
        .value_kind:     global_buffer
      - .address_space:  global
        .offset:         8
        .size:           8
        .value_kind:     global_buffer
      - .address_space:  global
        .offset:         16
        .size:           8
        .value_kind:     global_buffer
      - .offset:         24
        .size:           4
        .value_kind:     by_value
      - .address_space:  global
        .offset:         32
        .size:           8
        .value_kind:     global_buffer
      - .address_space:  global
        .offset:         40
        .size:           8
        .value_kind:     global_buffer
      - .offset:         48
        .size:           4
        .value_kind:     by_value
      - .offset:         52
        .size:           4
        .value_kind:     by_value
      - .offset:         56
        .size:           4
        .value_kind:     by_value
      - .offset:         60
        .size:           1
        .value_kind:     by_value
      - .offset:         64
        .size:           8
        .value_kind:     by_value
      - .address_space:  global
        .offset:         72
        .size:           8
        .value_kind:     global_buffer
      - .address_space:  global
        .offset:         80
        .size:           8
        .value_kind:     global_buffer
      - .address_space:  global
        .offset:         88
        .size:           8
        .value_kind:     global_buffer
    .group_segment_fixed_size: 0
    .kernarg_segment_align: 8
    .kernarg_segment_size: 96
    .language:       OpenCL C
    .language_version:
      - 2
      - 0
    .max_flat_workgroup_size: 256
    .name:           _ZN4vllm3moe22topkGatingSoftplusSqrtILi8ELi64ELi4ELi16ELi64ELb1El14__hip_bfloat16EEvPKT6_PKbPfiPT5_PiiiibdPKfPKS9_SF_
    .private_segment_fixed_size: 48
    .sgpr_count:     42
    .sgpr_spill_count: 0
    .symbol:         _ZN4vllm3moe22topkGatingSoftplusSqrtILi8ELi64ELi4ELi16ELi64ELb1El14__hip_bfloat16EEvPKT6_PKbPfiPT5_PiiiibdPKfPKS9_SF_.kd
    .uniform_work_group_size: 1
    .uses_dynamic_stack: false
    .vgpr_count:     28
    .vgpr_spill_count: 0
    .wavefront_size: 64
  - .agpr_count:     0
    .args:
      - .address_space:  global
        .offset:         0
        .size:           8
        .value_kind:     global_buffer
      - .address_space:  global
        .offset:         8
        .size:           8
        .value_kind:     global_buffer
      - .address_space:  global
        .offset:         16
        .size:           8
        .value_kind:     global_buffer
      - .offset:         24
        .size:           4
        .value_kind:     by_value
      - .address_space:  global
        .offset:         32
        .size:           8
        .value_kind:     global_buffer
      - .address_space:  global
        .offset:         40
        .size:           8
        .value_kind:     global_buffer
      - .offset:         48
        .size:           4
        .value_kind:     by_value
      - .offset:         52
        .size:           4
        .value_kind:     by_value
      - .offset:         56
        .size:           4
        .value_kind:     by_value
      - .offset:         60
        .size:           1
        .value_kind:     by_value
      - .offset:         64
        .size:           8
        .value_kind:     by_value
      - .address_space:  global
        .offset:         72
        .size:           8
        .value_kind:     global_buffer
      - .address_space:  global
        .offset:         80
        .size:           8
        .value_kind:     global_buffer
      - .address_space:  global
        .offset:         88
        .size:           8
        .value_kind:     global_buffer
    .group_segment_fixed_size: 0
    .kernarg_segment_align: 8
    .kernarg_segment_size: 96
    .language:       OpenCL C
    .language_version:
      - 2
      - 0
    .max_flat_workgroup_size: 256
    .name:           _ZN4vllm3moe22topkGatingSoftplusSqrtILi8ELi64ELi4ELi16ELi64ELb0El14__hip_bfloat16EEvPKT6_PKbPfiPT5_PiiiibdPKfPKS9_SF_
    .private_segment_fixed_size: 0
    .sgpr_count:     49
    .sgpr_spill_count: 0
    .symbol:         _ZN4vllm3moe22topkGatingSoftplusSqrtILi8ELi64ELi4ELi16ELi64ELb0El14__hip_bfloat16EEvPKT6_PKbPfiPT5_PiiiibdPKfPKS9_SF_.kd
    .uniform_work_group_size: 1
    .uses_dynamic_stack: false
    .vgpr_count:     28
    .vgpr_spill_count: 0
    .wavefront_size: 64
  - .agpr_count:     0
    .args:
      - .address_space:  global
        .offset:         0
        .size:           8
        .value_kind:     global_buffer
      - .address_space:  global
        .offset:         8
        .size:           8
        .value_kind:     global_buffer
      - .address_space:  global
        .offset:         16
        .size:           8
        .value_kind:     global_buffer
      - .offset:         24
        .size:           4
        .value_kind:     by_value
      - .address_space:  global
        .offset:         32
        .size:           8
        .value_kind:     global_buffer
      - .address_space:  global
        .offset:         40
        .size:           8
        .value_kind:     global_buffer
      - .offset:         48
        .size:           4
        .value_kind:     by_value
      - .offset:         52
        .size:           4
        .value_kind:     by_value
      - .offset:         56
        .size:           4
        .value_kind:     by_value
      - .offset:         60
        .size:           1
        .value_kind:     by_value
      - .offset:         64
        .size:           8
        .value_kind:     by_value
      - .address_space:  global
        .offset:         72
        .size:           8
        .value_kind:     global_buffer
      - .address_space:  global
        .offset:         80
        .size:           8
        .value_kind:     global_buffer
      - .address_space:  global
        .offset:         88
        .size:           8
        .value_kind:     global_buffer
    .group_segment_fixed_size: 0
    .kernarg_segment_align: 8
    .kernarg_segment_size: 96
    .language:       OpenCL C
    .language_version:
      - 2
      - 0
    .max_flat_workgroup_size: 128
    .name:           _ZN4vllm3moe22topkGatingSoftplusSqrtILi8ELi64ELi4ELi16ELi32ELb1El14__hip_bfloat16EEvPKT6_PKbPfiPT5_PiiiibdPKfPKS9_SF_
    .private_segment_fixed_size: 48
    .sgpr_count:     42
    .sgpr_spill_count: 0
    .symbol:         _ZN4vllm3moe22topkGatingSoftplusSqrtILi8ELi64ELi4ELi16ELi32ELb1El14__hip_bfloat16EEvPKT6_PKbPfiPT5_PiiiibdPKfPKS9_SF_.kd
    .uniform_work_group_size: 1
    .uses_dynamic_stack: false
    .vgpr_count:     28
    .vgpr_spill_count: 0
    .wavefront_size: 64
  - .agpr_count:     0
    .args:
      - .address_space:  global
        .offset:         0
        .size:           8
        .value_kind:     global_buffer
      - .address_space:  global
        .offset:         8
        .size:           8
        .value_kind:     global_buffer
      - .address_space:  global
        .offset:         16
        .size:           8
        .value_kind:     global_buffer
      - .offset:         24
        .size:           4
        .value_kind:     by_value
      - .address_space:  global
        .offset:         32
        .size:           8
        .value_kind:     global_buffer
      - .address_space:  global
        .offset:         40
        .size:           8
        .value_kind:     global_buffer
      - .offset:         48
        .size:           4
        .value_kind:     by_value
      - .offset:         52
        .size:           4
        .value_kind:     by_value
      - .offset:         56
        .size:           4
        .value_kind:     by_value
      - .offset:         60
        .size:           1
        .value_kind:     by_value
      - .offset:         64
        .size:           8
        .value_kind:     by_value
      - .address_space:  global
        .offset:         72
        .size:           8
        .value_kind:     global_buffer
      - .address_space:  global
        .offset:         80
        .size:           8
        .value_kind:     global_buffer
      - .address_space:  global
        .offset:         88
        .size:           8
        .value_kind:     global_buffer
    .group_segment_fixed_size: 0
    .kernarg_segment_align: 8
    .kernarg_segment_size: 96
    .language:       OpenCL C
    .language_version:
      - 2
      - 0
    .max_flat_workgroup_size: 128
    .name:           _ZN4vllm3moe22topkGatingSoftplusSqrtILi8ELi64ELi4ELi16ELi32ELb0El14__hip_bfloat16EEvPKT6_PKbPfiPT5_PiiiibdPKfPKS9_SF_
    .private_segment_fixed_size: 0
    .sgpr_count:     49
    .sgpr_spill_count: 0
    .symbol:         _ZN4vllm3moe22topkGatingSoftplusSqrtILi8ELi64ELi4ELi16ELi32ELb0El14__hip_bfloat16EEvPKT6_PKbPfiPT5_PiiiibdPKfPKS9_SF_.kd
    .uniform_work_group_size: 1
    .uses_dynamic_stack: false
    .vgpr_count:     28
    .vgpr_spill_count: 0
    .wavefront_size: 64
  - .agpr_count:     0
    .args:
      - .address_space:  global
        .offset:         0
        .size:           8
        .value_kind:     global_buffer
      - .address_space:  global
        .offset:         8
        .size:           8
        .value_kind:     global_buffer
      - .address_space:  global
        .offset:         16
        .size:           8
        .value_kind:     global_buffer
      - .offset:         24
        .size:           4
        .value_kind:     by_value
      - .address_space:  global
        .offset:         32
        .size:           8
        .value_kind:     global_buffer
      - .address_space:  global
        .offset:         40
        .size:           8
        .value_kind:     global_buffer
      - .offset:         48
        .size:           4
        .value_kind:     by_value
      - .offset:         52
        .size:           4
        .value_kind:     by_value
      - .offset:         56
        .size:           4
        .value_kind:     by_value
      - .offset:         60
        .size:           1
        .value_kind:     by_value
      - .offset:         64
        .size:           8
        .value_kind:     by_value
      - .address_space:  global
        .offset:         72
        .size:           8
        .value_kind:     global_buffer
      - .address_space:  global
        .offset:         80
        .size:           8
        .value_kind:     global_buffer
      - .address_space:  global
        .offset:         88
        .size:           8
        .value_kind:     global_buffer
    .group_segment_fixed_size: 0
    .kernarg_segment_align: 8
    .kernarg_segment_size: 96
    .language:       OpenCL C
    .language_version:
      - 2
      - 0
    .max_flat_workgroup_size: 256
    .name:           _ZN4vllm3moe22topkGatingSoftplusSqrtILi8ELi128ELi4ELi16ELi64ELb1El14__hip_bfloat16EEvPKT6_PKbPfiPT5_PiiiibdPKfPKS9_SF_
    .private_segment_fixed_size: 48
    .sgpr_count:     42
    .sgpr_spill_count: 0
    .symbol:         _ZN4vllm3moe22topkGatingSoftplusSqrtILi8ELi128ELi4ELi16ELi64ELb1El14__hip_bfloat16EEvPKT6_PKbPfiPT5_PiiiibdPKfPKS9_SF_.kd
    .uniform_work_group_size: 1
    .uses_dynamic_stack: false
    .vgpr_count:     28
    .vgpr_spill_count: 0
    .wavefront_size: 64
  - .agpr_count:     0
    .args:
      - .address_space:  global
        .offset:         0
        .size:           8
        .value_kind:     global_buffer
      - .address_space:  global
        .offset:         8
        .size:           8
        .value_kind:     global_buffer
      - .address_space:  global
        .offset:         16
        .size:           8
        .value_kind:     global_buffer
      - .offset:         24
        .size:           4
        .value_kind:     by_value
      - .address_space:  global
        .offset:         32
        .size:           8
        .value_kind:     global_buffer
      - .address_space:  global
        .offset:         40
        .size:           8
        .value_kind:     global_buffer
      - .offset:         48
        .size:           4
        .value_kind:     by_value
      - .offset:         52
        .size:           4
        .value_kind:     by_value
      - .offset:         56
        .size:           4
        .value_kind:     by_value
      - .offset:         60
        .size:           1
        .value_kind:     by_value
      - .offset:         64
        .size:           8
        .value_kind:     by_value
      - .address_space:  global
        .offset:         72
        .size:           8
        .value_kind:     global_buffer
      - .address_space:  global
        .offset:         80
        .size:           8
        .value_kind:     global_buffer
      - .address_space:  global
        .offset:         88
        .size:           8
        .value_kind:     global_buffer
    .group_segment_fixed_size: 0
    .kernarg_segment_align: 8
    .kernarg_segment_size: 96
    .language:       OpenCL C
    .language_version:
      - 2
      - 0
    .max_flat_workgroup_size: 256
    .name:           _ZN4vllm3moe22topkGatingSoftplusSqrtILi8ELi128ELi4ELi16ELi64ELb0El14__hip_bfloat16EEvPKT6_PKbPfiPT5_PiiiibdPKfPKS9_SF_
    .private_segment_fixed_size: 0
    .sgpr_count:     49
    .sgpr_spill_count: 0
    .symbol:         _ZN4vllm3moe22topkGatingSoftplusSqrtILi8ELi128ELi4ELi16ELi64ELb0El14__hip_bfloat16EEvPKT6_PKbPfiPT5_PiiiibdPKfPKS9_SF_.kd
    .uniform_work_group_size: 1
    .uses_dynamic_stack: false
    .vgpr_count:     30
    .vgpr_spill_count: 0
    .wavefront_size: 64
  - .agpr_count:     0
    .args:
      - .address_space:  global
        .offset:         0
        .size:           8
        .value_kind:     global_buffer
      - .address_space:  global
        .offset:         8
        .size:           8
        .value_kind:     global_buffer
      - .address_space:  global
        .offset:         16
        .size:           8
        .value_kind:     global_buffer
      - .offset:         24
        .size:           4
        .value_kind:     by_value
      - .address_space:  global
        .offset:         32
        .size:           8
        .value_kind:     global_buffer
      - .address_space:  global
        .offset:         40
        .size:           8
        .value_kind:     global_buffer
      - .offset:         48
        .size:           4
        .value_kind:     by_value
      - .offset:         52
        .size:           4
        .value_kind:     by_value
      - .offset:         56
        .size:           4
        .value_kind:     by_value
      - .offset:         60
        .size:           1
        .value_kind:     by_value
      - .offset:         64
        .size:           8
        .value_kind:     by_value
      - .address_space:  global
        .offset:         72
        .size:           8
        .value_kind:     global_buffer
      - .address_space:  global
        .offset:         80
        .size:           8
        .value_kind:     global_buffer
      - .address_space:  global
        .offset:         88
        .size:           8
        .value_kind:     global_buffer
    .group_segment_fixed_size: 0
    .kernarg_segment_align: 8
    .kernarg_segment_size: 96
    .language:       OpenCL C
    .language_version:
      - 2
      - 0
    .max_flat_workgroup_size: 128
    .name:           _ZN4vllm3moe22topkGatingSoftplusSqrtILi8ELi128ELi4ELi16ELi32ELb1El14__hip_bfloat16EEvPKT6_PKbPfiPT5_PiiiibdPKfPKS9_SF_
    .private_segment_fixed_size: 48
    .sgpr_count:     42
    .sgpr_spill_count: 0
    .symbol:         _ZN4vllm3moe22topkGatingSoftplusSqrtILi8ELi128ELi4ELi16ELi32ELb1El14__hip_bfloat16EEvPKT6_PKbPfiPT5_PiiiibdPKfPKS9_SF_.kd
    .uniform_work_group_size: 1
    .uses_dynamic_stack: false
    .vgpr_count:     28
    .vgpr_spill_count: 0
    .wavefront_size: 64
  - .agpr_count:     0
    .args:
      - .address_space:  global
        .offset:         0
        .size:           8
        .value_kind:     global_buffer
      - .address_space:  global
        .offset:         8
        .size:           8
        .value_kind:     global_buffer
      - .address_space:  global
        .offset:         16
        .size:           8
        .value_kind:     global_buffer
      - .offset:         24
        .size:           4
        .value_kind:     by_value
      - .address_space:  global
        .offset:         32
        .size:           8
        .value_kind:     global_buffer
      - .address_space:  global
        .offset:         40
        .size:           8
        .value_kind:     global_buffer
      - .offset:         48
        .size:           4
        .value_kind:     by_value
      - .offset:         52
        .size:           4
        .value_kind:     by_value
      - .offset:         56
        .size:           4
        .value_kind:     by_value
      - .offset:         60
        .size:           1
        .value_kind:     by_value
      - .offset:         64
        .size:           8
        .value_kind:     by_value
      - .address_space:  global
        .offset:         72
        .size:           8
        .value_kind:     global_buffer
      - .address_space:  global
        .offset:         80
        .size:           8
        .value_kind:     global_buffer
      - .address_space:  global
        .offset:         88
        .size:           8
        .value_kind:     global_buffer
    .group_segment_fixed_size: 0
    .kernarg_segment_align: 8
    .kernarg_segment_size: 96
    .language:       OpenCL C
    .language_version:
      - 2
      - 0
    .max_flat_workgroup_size: 128
    .name:           _ZN4vllm3moe22topkGatingSoftplusSqrtILi8ELi128ELi4ELi16ELi32ELb0El14__hip_bfloat16EEvPKT6_PKbPfiPT5_PiiiibdPKfPKS9_SF_
    .private_segment_fixed_size: 0
    .sgpr_count:     49
    .sgpr_spill_count: 0
    .symbol:         _ZN4vllm3moe22topkGatingSoftplusSqrtILi8ELi128ELi4ELi16ELi32ELb0El14__hip_bfloat16EEvPKT6_PKbPfiPT5_PiiiibdPKfPKS9_SF_.kd
    .uniform_work_group_size: 1
    .uses_dynamic_stack: false
    .vgpr_count:     30
    .vgpr_spill_count: 0
    .wavefront_size: 64
  - .agpr_count:     0
    .args:
      - .address_space:  global
        .offset:         0
        .size:           8
        .value_kind:     global_buffer
      - .address_space:  global
        .offset:         8
        .size:           8
        .value_kind:     global_buffer
      - .address_space:  global
        .offset:         16
        .size:           8
        .value_kind:     global_buffer
      - .offset:         24
        .size:           4
        .value_kind:     by_value
      - .address_space:  global
        .offset:         32
        .size:           8
        .value_kind:     global_buffer
      - .address_space:  global
        .offset:         40
        .size:           8
        .value_kind:     global_buffer
      - .offset:         48
        .size:           4
        .value_kind:     by_value
      - .offset:         52
        .size:           4
        .value_kind:     by_value
      - .offset:         56
        .size:           4
        .value_kind:     by_value
      - .offset:         60
        .size:           1
        .value_kind:     by_value
      - .offset:         64
        .size:           8
        .value_kind:     by_value
      - .address_space:  global
        .offset:         72
        .size:           8
        .value_kind:     global_buffer
      - .address_space:  global
        .offset:         80
        .size:           8
        .value_kind:     global_buffer
      - .address_space:  global
        .offset:         88
        .size:           8
        .value_kind:     global_buffer
    .group_segment_fixed_size: 0
    .kernarg_segment_align: 8
    .kernarg_segment_size: 96
    .language:       OpenCL C
    .language_version:
      - 2
      - 0
    .max_flat_workgroup_size: 256
    .name:           _ZN4vllm3moe22topkGatingSoftplusSqrtILi8ELi256ELi4ELi16ELi64ELb1El14__hip_bfloat16EEvPKT6_PKbPfiPT5_PiiiibdPKfPKS9_SF_
    .private_segment_fixed_size: 48
    .sgpr_count:     42
    .sgpr_spill_count: 0
    .symbol:         _ZN4vllm3moe22topkGatingSoftplusSqrtILi8ELi256ELi4ELi16ELi64ELb1El14__hip_bfloat16EEvPKT6_PKbPfiPT5_PiiiibdPKfPKS9_SF_.kd
    .uniform_work_group_size: 1
    .uses_dynamic_stack: false
    .vgpr_count:     28
    .vgpr_spill_count: 0
    .wavefront_size: 64
  - .agpr_count:     0
    .args:
      - .address_space:  global
        .offset:         0
        .size:           8
        .value_kind:     global_buffer
      - .address_space:  global
        .offset:         8
        .size:           8
        .value_kind:     global_buffer
      - .address_space:  global
        .offset:         16
        .size:           8
        .value_kind:     global_buffer
      - .offset:         24
        .size:           4
        .value_kind:     by_value
      - .address_space:  global
        .offset:         32
        .size:           8
        .value_kind:     global_buffer
      - .address_space:  global
        .offset:         40
        .size:           8
        .value_kind:     global_buffer
      - .offset:         48
        .size:           4
        .value_kind:     by_value
      - .offset:         52
        .size:           4
        .value_kind:     by_value
      - .offset:         56
        .size:           4
        .value_kind:     by_value
      - .offset:         60
        .size:           1
        .value_kind:     by_value
      - .offset:         64
        .size:           8
        .value_kind:     by_value
      - .address_space:  global
        .offset:         72
        .size:           8
        .value_kind:     global_buffer
      - .address_space:  global
        .offset:         80
        .size:           8
        .value_kind:     global_buffer
      - .address_space:  global
        .offset:         88
        .size:           8
        .value_kind:     global_buffer
    .group_segment_fixed_size: 0
    .kernarg_segment_align: 8
    .kernarg_segment_size: 96
    .language:       OpenCL C
    .language_version:
      - 2
      - 0
    .max_flat_workgroup_size: 256
    .name:           _ZN4vllm3moe22topkGatingSoftplusSqrtILi8ELi256ELi4ELi16ELi64ELb0El14__hip_bfloat16EEvPKT6_PKbPfiPT5_PiiiibdPKfPKS9_SF_
    .private_segment_fixed_size: 0
    .sgpr_count:     49
    .sgpr_spill_count: 0
    .symbol:         _ZN4vllm3moe22topkGatingSoftplusSqrtILi8ELi256ELi4ELi16ELi64ELb0El14__hip_bfloat16EEvPKT6_PKbPfiPT5_PiiiibdPKfPKS9_SF_.kd
    .uniform_work_group_size: 1
    .uses_dynamic_stack: false
    .vgpr_count:     30
    .vgpr_spill_count: 0
    .wavefront_size: 64
  - .agpr_count:     0
    .args:
      - .address_space:  global
        .offset:         0
        .size:           8
        .value_kind:     global_buffer
      - .address_space:  global
        .offset:         8
        .size:           8
        .value_kind:     global_buffer
      - .address_space:  global
        .offset:         16
        .size:           8
        .value_kind:     global_buffer
      - .offset:         24
        .size:           4
        .value_kind:     by_value
      - .address_space:  global
        .offset:         32
        .size:           8
        .value_kind:     global_buffer
      - .address_space:  global
        .offset:         40
        .size:           8
        .value_kind:     global_buffer
      - .offset:         48
        .size:           4
        .value_kind:     by_value
      - .offset:         52
        .size:           4
        .value_kind:     by_value
      - .offset:         56
        .size:           4
        .value_kind:     by_value
      - .offset:         60
        .size:           1
        .value_kind:     by_value
      - .offset:         64
        .size:           8
        .value_kind:     by_value
      - .address_space:  global
        .offset:         72
        .size:           8
        .value_kind:     global_buffer
      - .address_space:  global
        .offset:         80
        .size:           8
        .value_kind:     global_buffer
      - .address_space:  global
        .offset:         88
        .size:           8
        .value_kind:     global_buffer
    .group_segment_fixed_size: 0
    .kernarg_segment_align: 8
    .kernarg_segment_size: 96
    .language:       OpenCL C
    .language_version:
      - 2
      - 0
    .max_flat_workgroup_size: 128
    .name:           _ZN4vllm3moe22topkGatingSoftplusSqrtILi8ELi256ELi4ELi16ELi32ELb1El14__hip_bfloat16EEvPKT6_PKbPfiPT5_PiiiibdPKfPKS9_SF_
    .private_segment_fixed_size: 48
    .sgpr_count:     42
    .sgpr_spill_count: 0
    .symbol:         _ZN4vllm3moe22topkGatingSoftplusSqrtILi8ELi256ELi4ELi16ELi32ELb1El14__hip_bfloat16EEvPKT6_PKbPfiPT5_PiiiibdPKfPKS9_SF_.kd
    .uniform_work_group_size: 1
    .uses_dynamic_stack: false
    .vgpr_count:     28
    .vgpr_spill_count: 0
    .wavefront_size: 64
  - .agpr_count:     0
    .args:
      - .address_space:  global
        .offset:         0
        .size:           8
        .value_kind:     global_buffer
      - .address_space:  global
        .offset:         8
        .size:           8
        .value_kind:     global_buffer
      - .address_space:  global
        .offset:         16
        .size:           8
        .value_kind:     global_buffer
      - .offset:         24
        .size:           4
        .value_kind:     by_value
      - .address_space:  global
        .offset:         32
        .size:           8
        .value_kind:     global_buffer
      - .address_space:  global
        .offset:         40
        .size:           8
        .value_kind:     global_buffer
      - .offset:         48
        .size:           4
        .value_kind:     by_value
      - .offset:         52
        .size:           4
        .value_kind:     by_value
      - .offset:         56
        .size:           4
        .value_kind:     by_value
      - .offset:         60
        .size:           1
        .value_kind:     by_value
      - .offset:         64
        .size:           8
        .value_kind:     by_value
      - .address_space:  global
        .offset:         72
        .size:           8
        .value_kind:     global_buffer
      - .address_space:  global
        .offset:         80
        .size:           8
        .value_kind:     global_buffer
      - .address_space:  global
        .offset:         88
        .size:           8
        .value_kind:     global_buffer
    .group_segment_fixed_size: 0
    .kernarg_segment_align: 8
    .kernarg_segment_size: 96
    .language:       OpenCL C
    .language_version:
      - 2
      - 0
    .max_flat_workgroup_size: 128
    .name:           _ZN4vllm3moe22topkGatingSoftplusSqrtILi8ELi256ELi4ELi16ELi32ELb0El14__hip_bfloat16EEvPKT6_PKbPfiPT5_PiiiibdPKfPKS9_SF_
    .private_segment_fixed_size: 0
    .sgpr_count:     49
    .sgpr_spill_count: 0
    .symbol:         _ZN4vllm3moe22topkGatingSoftplusSqrtILi8ELi256ELi4ELi16ELi32ELb0El14__hip_bfloat16EEvPKT6_PKbPfiPT5_PiiiibdPKfPKS9_SF_.kd
    .uniform_work_group_size: 1
    .uses_dynamic_stack: false
    .vgpr_count:     30
    .vgpr_spill_count: 0
    .wavefront_size: 64
  - .agpr_count:     0
    .args:
      - .address_space:  global
        .offset:         0
        .size:           8
        .value_kind:     global_buffer
      - .address_space:  global
        .offset:         8
        .size:           8
        .value_kind:     global_buffer
      - .address_space:  global
        .offset:         16
        .size:           8
        .value_kind:     global_buffer
      - .offset:         24
        .size:           4
        .value_kind:     by_value
      - .address_space:  global
        .offset:         32
        .size:           8
        .value_kind:     global_buffer
      - .address_space:  global
        .offset:         40
        .size:           8
        .value_kind:     global_buffer
      - .offset:         48
        .size:           4
        .value_kind:     by_value
      - .offset:         52
        .size:           4
        .value_kind:     by_value
      - .offset:         56
        .size:           4
        .value_kind:     by_value
      - .offset:         60
        .size:           1
        .value_kind:     by_value
      - .offset:         64
        .size:           8
        .value_kind:     by_value
      - .address_space:  global
        .offset:         72
        .size:           8
        .value_kind:     global_buffer
      - .address_space:  global
        .offset:         80
        .size:           8
        .value_kind:     global_buffer
      - .address_space:  global
        .offset:         88
        .size:           8
        .value_kind:     global_buffer
    .group_segment_fixed_size: 0
    .kernarg_segment_align: 8
    .kernarg_segment_size: 96
    .language:       OpenCL C
    .language_version:
      - 2
      - 0
    .max_flat_workgroup_size: 256
    .name:           _ZN4vllm3moe22topkGatingSoftplusSqrtILi8ELi512ELi4ELi16ELi64ELb1El14__hip_bfloat16EEvPKT6_PKbPfiPT5_PiiiibdPKfPKS9_SF_
    .private_segment_fixed_size: 48
    .sgpr_count:     42
    .sgpr_spill_count: 0
    .symbol:         _ZN4vllm3moe22topkGatingSoftplusSqrtILi8ELi512ELi4ELi16ELi64ELb1El14__hip_bfloat16EEvPKT6_PKbPfiPT5_PiiiibdPKfPKS9_SF_.kd
    .uniform_work_group_size: 1
    .uses_dynamic_stack: false
    .vgpr_count:     28
    .vgpr_spill_count: 0
    .wavefront_size: 64
  - .agpr_count:     0
    .args:
      - .address_space:  global
        .offset:         0
        .size:           8
        .value_kind:     global_buffer
      - .address_space:  global
        .offset:         8
        .size:           8
        .value_kind:     global_buffer
      - .address_space:  global
        .offset:         16
        .size:           8
        .value_kind:     global_buffer
      - .offset:         24
        .size:           4
        .value_kind:     by_value
      - .address_space:  global
        .offset:         32
        .size:           8
        .value_kind:     global_buffer
      - .address_space:  global
        .offset:         40
        .size:           8
        .value_kind:     global_buffer
      - .offset:         48
        .size:           4
        .value_kind:     by_value
      - .offset:         52
        .size:           4
        .value_kind:     by_value
      - .offset:         56
        .size:           4
        .value_kind:     by_value
      - .offset:         60
        .size:           1
        .value_kind:     by_value
      - .offset:         64
        .size:           8
        .value_kind:     by_value
      - .address_space:  global
        .offset:         72
        .size:           8
        .value_kind:     global_buffer
      - .address_space:  global
        .offset:         80
        .size:           8
        .value_kind:     global_buffer
      - .address_space:  global
        .offset:         88
        .size:           8
        .value_kind:     global_buffer
    .group_segment_fixed_size: 0
    .kernarg_segment_align: 8
    .kernarg_segment_size: 96
    .language:       OpenCL C
    .language_version:
      - 2
      - 0
    .max_flat_workgroup_size: 256
    .name:           _ZN4vllm3moe22topkGatingSoftplusSqrtILi8ELi512ELi4ELi16ELi64ELb0El14__hip_bfloat16EEvPKT6_PKbPfiPT5_PiiiibdPKfPKS9_SF_
    .private_segment_fixed_size: 0
    .sgpr_count:     49
    .sgpr_spill_count: 0
    .symbol:         _ZN4vllm3moe22topkGatingSoftplusSqrtILi8ELi512ELi4ELi16ELi64ELb0El14__hip_bfloat16EEvPKT6_PKbPfiPT5_PiiiibdPKfPKS9_SF_.kd
    .uniform_work_group_size: 1
    .uses_dynamic_stack: false
    .vgpr_count:     32
    .vgpr_spill_count: 0
    .wavefront_size: 64
  - .agpr_count:     0
    .args:
      - .address_space:  global
        .offset:         0
        .size:           8
        .value_kind:     global_buffer
      - .address_space:  global
        .offset:         8
        .size:           8
        .value_kind:     global_buffer
      - .address_space:  global
        .offset:         16
        .size:           8
        .value_kind:     global_buffer
      - .offset:         24
        .size:           4
        .value_kind:     by_value
      - .address_space:  global
        .offset:         32
        .size:           8
        .value_kind:     global_buffer
      - .address_space:  global
        .offset:         40
        .size:           8
        .value_kind:     global_buffer
      - .offset:         48
        .size:           4
        .value_kind:     by_value
      - .offset:         52
        .size:           4
        .value_kind:     by_value
      - .offset:         56
        .size:           4
        .value_kind:     by_value
      - .offset:         60
        .size:           1
        .value_kind:     by_value
      - .offset:         64
        .size:           8
        .value_kind:     by_value
      - .address_space:  global
        .offset:         72
        .size:           8
        .value_kind:     global_buffer
      - .address_space:  global
        .offset:         80
        .size:           8
        .value_kind:     global_buffer
      - .address_space:  global
        .offset:         88
        .size:           8
        .value_kind:     global_buffer
    .group_segment_fixed_size: 0
    .kernarg_segment_align: 8
    .kernarg_segment_size: 96
    .language:       OpenCL C
    .language_version:
      - 2
      - 0
    .max_flat_workgroup_size: 128
    .name:           _ZN4vllm3moe22topkGatingSoftplusSqrtILi16ELi512ELi4ELi16ELi32ELb1El14__hip_bfloat16EEvPKT6_PKbPfiPT5_PiiiibdPKfPKS9_SF_
    .private_segment_fixed_size: 80
    .sgpr_count:     72
    .sgpr_spill_count: 0
    .symbol:         _ZN4vllm3moe22topkGatingSoftplusSqrtILi16ELi512ELi4ELi16ELi32ELb1El14__hip_bfloat16EEvPKT6_PKbPfiPT5_PiiiibdPKfPKS9_SF_.kd
    .uniform_work_group_size: 1
    .uses_dynamic_stack: false
    .vgpr_count:     39
    .vgpr_spill_count: 0
    .wavefront_size: 64
  - .agpr_count:     0
    .args:
      - .address_space:  global
        .offset:         0
        .size:           8
        .value_kind:     global_buffer
      - .address_space:  global
        .offset:         8
        .size:           8
        .value_kind:     global_buffer
      - .address_space:  global
        .offset:         16
        .size:           8
        .value_kind:     global_buffer
      - .offset:         24
        .size:           4
        .value_kind:     by_value
      - .address_space:  global
        .offset:         32
        .size:           8
        .value_kind:     global_buffer
      - .address_space:  global
        .offset:         40
        .size:           8
        .value_kind:     global_buffer
      - .offset:         48
        .size:           4
        .value_kind:     by_value
      - .offset:         52
        .size:           4
        .value_kind:     by_value
      - .offset:         56
        .size:           4
        .value_kind:     by_value
      - .offset:         60
        .size:           1
        .value_kind:     by_value
      - .offset:         64
        .size:           8
        .value_kind:     by_value
      - .address_space:  global
        .offset:         72
        .size:           8
        .value_kind:     global_buffer
      - .address_space:  global
        .offset:         80
        .size:           8
        .value_kind:     global_buffer
      - .address_space:  global
        .offset:         88
        .size:           8
        .value_kind:     global_buffer
    .group_segment_fixed_size: 0
    .kernarg_segment_align: 8
    .kernarg_segment_size: 96
    .language:       OpenCL C
    .language_version:
      - 2
      - 0
    .max_flat_workgroup_size: 128
    .name:           _ZN4vllm3moe22topkGatingSoftplusSqrtILi16ELi512ELi4ELi16ELi32ELb0El14__hip_bfloat16EEvPKT6_PKbPfiPT5_PiiiibdPKfPKS9_SF_
    .private_segment_fixed_size: 0
    .sgpr_count:     65
    .sgpr_spill_count: 0
    .symbol:         _ZN4vllm3moe22topkGatingSoftplusSqrtILi16ELi512ELi4ELi16ELi32ELb0El14__hip_bfloat16EEvPKT6_PKbPfiPT5_PiiiibdPKfPKS9_SF_.kd
    .uniform_work_group_size: 1
    .uses_dynamic_stack: false
    .vgpr_count:     46
    .vgpr_spill_count: 0
    .wavefront_size: 64
  - .agpr_count:     0
    .args:
      - .address_space:  global
        .offset:         0
        .size:           8
        .value_kind:     global_buffer
      - .address_space:  global
        .offset:         8
        .size:           8
        .value_kind:     global_buffer
      - .address_space:  global
        .offset:         16
        .size:           8
        .value_kind:     global_buffer
      - .offset:         24
        .size:           4
        .value_kind:     by_value
      - .address_space:  global
        .offset:         32
        .size:           8
        .value_kind:     global_buffer
      - .address_space:  global
        .offset:         40
        .size:           8
        .value_kind:     global_buffer
      - .offset:         48
        .size:           4
        .value_kind:     by_value
      - .offset:         52
        .size:           4
        .value_kind:     by_value
      - .offset:         56
        .size:           4
        .value_kind:     by_value
      - .offset:         60
        .size:           1
        .value_kind:     by_value
      - .offset:         64
        .size:           8
        .value_kind:     by_value
      - .address_space:  global
        .offset:         72
        .size:           8
        .value_kind:     global_buffer
      - .address_space:  global
        .offset:         80
        .size:           8
        .value_kind:     global_buffer
      - .address_space:  global
        .offset:         88
        .size:           8
        .value_kind:     global_buffer
    .group_segment_fixed_size: 0
    .kernarg_segment_align: 8
    .kernarg_segment_size: 96
    .language:       OpenCL C
    .language_version:
      - 2
      - 0
    .max_flat_workgroup_size: 256
    .name:           _ZN4vllm3moe22topkGatingSoftplusSqrtILi3ELi192ELi4ELi2ELi64ELb1El14__hip_bfloat16EEvPKT6_PKbPfiPT5_PiiiibdPKfPKS9_SF_
    .private_segment_fixed_size: 0
    .sgpr_count:     28
    .sgpr_spill_count: 0
    .symbol:         _ZN4vllm3moe22topkGatingSoftplusSqrtILi3ELi192ELi4ELi2ELi64ELb1El14__hip_bfloat16EEvPKT6_PKbPfiPT5_PiiiibdPKfPKS9_SF_.kd
    .uniform_work_group_size: 1
    .uses_dynamic_stack: false
    .vgpr_count:     20
    .vgpr_spill_count: 0
    .wavefront_size: 64
  - .agpr_count:     0
    .args:
      - .address_space:  global
        .offset:         0
        .size:           8
        .value_kind:     global_buffer
      - .address_space:  global
        .offset:         8
        .size:           8
        .value_kind:     global_buffer
      - .address_space:  global
        .offset:         16
        .size:           8
        .value_kind:     global_buffer
      - .offset:         24
        .size:           4
        .value_kind:     by_value
      - .address_space:  global
        .offset:         32
        .size:           8
        .value_kind:     global_buffer
      - .address_space:  global
        .offset:         40
        .size:           8
        .value_kind:     global_buffer
      - .offset:         48
        .size:           4
        .value_kind:     by_value
      - .offset:         52
        .size:           4
        .value_kind:     by_value
      - .offset:         56
        .size:           4
        .value_kind:     by_value
      - .offset:         60
        .size:           1
        .value_kind:     by_value
      - .offset:         64
        .size:           8
        .value_kind:     by_value
      - .address_space:  global
        .offset:         72
        .size:           8
        .value_kind:     global_buffer
      - .address_space:  global
        .offset:         80
        .size:           8
        .value_kind:     global_buffer
      - .address_space:  global
        .offset:         88
        .size:           8
        .value_kind:     global_buffer
    .group_segment_fixed_size: 0
    .kernarg_segment_align: 8
    .kernarg_segment_size: 96
    .language:       OpenCL C
    .language_version:
      - 2
      - 0
    .max_flat_workgroup_size: 256
    .name:           _ZN4vllm3moe22topkGatingSoftplusSqrtILi3ELi192ELi4ELi2ELi64ELb0El14__hip_bfloat16EEvPKT6_PKbPfiPT5_PiiiibdPKfPKS9_SF_
    .private_segment_fixed_size: 0
    .sgpr_count:     37
    .sgpr_spill_count: 0
    .symbol:         _ZN4vllm3moe22topkGatingSoftplusSqrtILi3ELi192ELi4ELi2ELi64ELb0El14__hip_bfloat16EEvPKT6_PKbPfiPT5_PiiiibdPKfPKS9_SF_.kd
    .uniform_work_group_size: 1
    .uses_dynamic_stack: false
    .vgpr_count:     28
    .vgpr_spill_count: 0
    .wavefront_size: 64
  - .agpr_count:     0
    .args:
      - .address_space:  global
        .offset:         0
        .size:           8
        .value_kind:     global_buffer
      - .address_space:  global
        .offset:         8
        .size:           8
        .value_kind:     global_buffer
      - .address_space:  global
        .offset:         16
        .size:           8
        .value_kind:     global_buffer
      - .offset:         24
        .size:           4
        .value_kind:     by_value
      - .address_space:  global
        .offset:         32
        .size:           8
        .value_kind:     global_buffer
      - .address_space:  global
        .offset:         40
        .size:           8
        .value_kind:     global_buffer
      - .offset:         48
        .size:           4
        .value_kind:     by_value
      - .offset:         52
        .size:           4
        .value_kind:     by_value
      - .offset:         56
        .size:           4
        .value_kind:     by_value
      - .offset:         60
        .size:           1
        .value_kind:     by_value
      - .offset:         64
        .size:           8
        .value_kind:     by_value
      - .address_space:  global
        .offset:         72
        .size:           8
        .value_kind:     global_buffer
      - .address_space:  global
        .offset:         80
        .size:           8
        .value_kind:     global_buffer
      - .address_space:  global
        .offset:         88
        .size:           8
        .value_kind:     global_buffer
    .group_segment_fixed_size: 0
    .kernarg_segment_align: 8
    .kernarg_segment_size: 96
    .language:       OpenCL C
    .language_version:
      - 2
      - 0
    .max_flat_workgroup_size: 128
    .name:           _ZN4vllm3moe22topkGatingSoftplusSqrtILi6ELi192ELi4ELi2ELi32ELb1El14__hip_bfloat16EEvPKT6_PKbPfiPT5_PiiiibdPKfPKS9_SF_
    .private_segment_fixed_size: 0
    .sgpr_count:     32
    .sgpr_spill_count: 0
    .symbol:         _ZN4vllm3moe22topkGatingSoftplusSqrtILi6ELi192ELi4ELi2ELi32ELb1El14__hip_bfloat16EEvPKT6_PKbPfiPT5_PiiiibdPKfPKS9_SF_.kd
    .uniform_work_group_size: 1
    .uses_dynamic_stack: false
    .vgpr_count:     27
    .vgpr_spill_count: 0
    .wavefront_size: 64
  - .agpr_count:     0
    .args:
      - .address_space:  global
        .offset:         0
        .size:           8
        .value_kind:     global_buffer
      - .address_space:  global
        .offset:         8
        .size:           8
        .value_kind:     global_buffer
      - .address_space:  global
        .offset:         16
        .size:           8
        .value_kind:     global_buffer
      - .offset:         24
        .size:           4
        .value_kind:     by_value
      - .address_space:  global
        .offset:         32
        .size:           8
        .value_kind:     global_buffer
      - .address_space:  global
        .offset:         40
        .size:           8
        .value_kind:     global_buffer
      - .offset:         48
        .size:           4
        .value_kind:     by_value
      - .offset:         52
        .size:           4
        .value_kind:     by_value
      - .offset:         56
        .size:           4
        .value_kind:     by_value
      - .offset:         60
        .size:           1
        .value_kind:     by_value
      - .offset:         64
        .size:           8
        .value_kind:     by_value
      - .address_space:  global
        .offset:         72
        .size:           8
        .value_kind:     global_buffer
      - .address_space:  global
        .offset:         80
        .size:           8
        .value_kind:     global_buffer
      - .address_space:  global
        .offset:         88
        .size:           8
        .value_kind:     global_buffer
    .group_segment_fixed_size: 0
    .kernarg_segment_align: 8
    .kernarg_segment_size: 96
    .language:       OpenCL C
    .language_version:
      - 2
      - 0
    .max_flat_workgroup_size: 128
    .name:           _ZN4vllm3moe22topkGatingSoftplusSqrtILi6ELi192ELi4ELi2ELi32ELb0El14__hip_bfloat16EEvPKT6_PKbPfiPT5_PiiiibdPKfPKS9_SF_
    .private_segment_fixed_size: 0
    .sgpr_count:     38
    .sgpr_spill_count: 0
    .symbol:         _ZN4vllm3moe22topkGatingSoftplusSqrtILi6ELi192ELi4ELi2ELi32ELb0El14__hip_bfloat16EEvPKT6_PKbPfiPT5_PiiiibdPKfPKS9_SF_.kd
    .uniform_work_group_size: 1
    .uses_dynamic_stack: false
    .vgpr_count:     32
    .vgpr_spill_count: 0
    .wavefront_size: 64
  - .agpr_count:     0
    .args:
      - .address_space:  global
        .offset:         0
        .size:           8
        .value_kind:     global_buffer
      - .address_space:  global
        .offset:         8
        .size:           8
        .value_kind:     global_buffer
      - .address_space:  global
        .offset:         16
        .size:           8
        .value_kind:     global_buffer
      - .offset:         24
        .size:           4
        .value_kind:     by_value
      - .address_space:  global
        .offset:         32
        .size:           8
        .value_kind:     global_buffer
      - .address_space:  global
        .offset:         40
        .size:           8
        .value_kind:     global_buffer
      - .offset:         48
        .size:           4
        .value_kind:     by_value
      - .offset:         52
        .size:           4
        .value_kind:     by_value
      - .offset:         56
        .size:           4
        .value_kind:     by_value
      - .offset:         60
        .size:           1
        .value_kind:     by_value
      - .offset:         64
        .size:           8
        .value_kind:     by_value
      - .address_space:  global
        .offset:         72
        .size:           8
        .value_kind:     global_buffer
      - .address_space:  global
        .offset:         80
        .size:           8
        .value_kind:     global_buffer
      - .address_space:  global
        .offset:         88
        .size:           8
        .value_kind:     global_buffer
    .group_segment_fixed_size: 0
    .kernarg_segment_align: 8
    .kernarg_segment_size: 96
    .language:       OpenCL C
    .language_version:
      - 2
      - 0
    .max_flat_workgroup_size: 256
    .name:           _ZN4vllm3moe22topkGatingSoftplusSqrtILi5ELi320ELi4ELi2ELi64ELb1El14__hip_bfloat16EEvPKT6_PKbPfiPT5_PiiiibdPKfPKS9_SF_
    .private_segment_fixed_size: 0
    .sgpr_count:     28
    .sgpr_spill_count: 0
    .symbol:         _ZN4vllm3moe22topkGatingSoftplusSqrtILi5ELi320ELi4ELi2ELi64ELb1El14__hip_bfloat16EEvPKT6_PKbPfiPT5_PiiiibdPKfPKS9_SF_.kd
    .uniform_work_group_size: 1
    .uses_dynamic_stack: false
    .vgpr_count:     26
    .vgpr_spill_count: 0
    .wavefront_size: 64
  - .agpr_count:     0
    .args:
      - .address_space:  global
        .offset:         0
        .size:           8
        .value_kind:     global_buffer
      - .address_space:  global
        .offset:         8
        .size:           8
        .value_kind:     global_buffer
      - .address_space:  global
        .offset:         16
        .size:           8
        .value_kind:     global_buffer
      - .offset:         24
        .size:           4
        .value_kind:     by_value
      - .address_space:  global
        .offset:         32
        .size:           8
        .value_kind:     global_buffer
      - .address_space:  global
        .offset:         40
        .size:           8
        .value_kind:     global_buffer
      - .offset:         48
        .size:           4
        .value_kind:     by_value
      - .offset:         52
        .size:           4
        .value_kind:     by_value
      - .offset:         56
        .size:           4
        .value_kind:     by_value
      - .offset:         60
        .size:           1
        .value_kind:     by_value
      - .offset:         64
        .size:           8
        .value_kind:     by_value
      - .address_space:  global
        .offset:         72
        .size:           8
        .value_kind:     global_buffer
      - .address_space:  global
        .offset:         80
        .size:           8
        .value_kind:     global_buffer
      - .address_space:  global
        .offset:         88
        .size:           8
        .value_kind:     global_buffer
    .group_segment_fixed_size: 0
    .kernarg_segment_align: 8
    .kernarg_segment_size: 96
    .language:       OpenCL C
    .language_version:
      - 2
      - 0
    .max_flat_workgroup_size: 256
    .name:           _ZN4vllm3moe22topkGatingSoftplusSqrtILi5ELi320ELi4ELi2ELi64ELb0El14__hip_bfloat16EEvPKT6_PKbPfiPT5_PiiiibdPKfPKS9_SF_
    .private_segment_fixed_size: 0
    .sgpr_count:     37
    .sgpr_spill_count: 0
    .symbol:         _ZN4vllm3moe22topkGatingSoftplusSqrtILi5ELi320ELi4ELi2ELi64ELb0El14__hip_bfloat16EEvPKT6_PKbPfiPT5_PiiiibdPKfPKS9_SF_.kd
    .uniform_work_group_size: 1
    .uses_dynamic_stack: false
    .vgpr_count:     32
    .vgpr_spill_count: 0
    .wavefront_size: 64
  - .agpr_count:     0
    .args:
      - .address_space:  global
        .offset:         0
        .size:           8
        .value_kind:     global_buffer
      - .address_space:  global
        .offset:         8
        .size:           8
        .value_kind:     global_buffer
      - .address_space:  global
        .offset:         16
        .size:           8
        .value_kind:     global_buffer
      - .offset:         24
        .size:           4
        .value_kind:     by_value
      - .address_space:  global
        .offset:         32
        .size:           8
        .value_kind:     global_buffer
      - .address_space:  global
        .offset:         40
        .size:           8
        .value_kind:     global_buffer
      - .offset:         48
        .size:           4
        .value_kind:     by_value
      - .offset:         52
        .size:           4
        .value_kind:     by_value
      - .offset:         56
        .size:           4
        .value_kind:     by_value
      - .offset:         60
        .size:           1
        .value_kind:     by_value
      - .offset:         64
        .size:           8
        .value_kind:     by_value
      - .address_space:  global
        .offset:         72
        .size:           8
        .value_kind:     global_buffer
      - .address_space:  global
        .offset:         80
        .size:           8
        .value_kind:     global_buffer
      - .address_space:  global
        .offset:         88
        .size:           8
        .value_kind:     global_buffer
    .group_segment_fixed_size: 0
    .kernarg_segment_align: 8
    .kernarg_segment_size: 96
    .language:       OpenCL C
    .language_version:
      - 2
      - 0
    .max_flat_workgroup_size: 128
    .name:           _ZN4vllm3moe22topkGatingSoftplusSqrtILi10ELi320ELi4ELi2ELi32ELb1El14__hip_bfloat16EEvPKT6_PKbPfiPT5_PiiiibdPKfPKS9_SF_
    .private_segment_fixed_size: 0
    .sgpr_count:     50
    .sgpr_spill_count: 0
    .symbol:         _ZN4vllm3moe22topkGatingSoftplusSqrtILi10ELi320ELi4ELi2ELi32ELb1El14__hip_bfloat16EEvPKT6_PKbPfiPT5_PiiiibdPKfPKS9_SF_.kd
    .uniform_work_group_size: 1
    .uses_dynamic_stack: false
    .vgpr_count:     34
    .vgpr_spill_count: 0
    .wavefront_size: 64
  - .agpr_count:     0
    .args:
      - .address_space:  global
        .offset:         0
        .size:           8
        .value_kind:     global_buffer
      - .address_space:  global
        .offset:         8
        .size:           8
        .value_kind:     global_buffer
      - .address_space:  global
        .offset:         16
        .size:           8
        .value_kind:     global_buffer
      - .offset:         24
        .size:           4
        .value_kind:     by_value
      - .address_space:  global
        .offset:         32
        .size:           8
        .value_kind:     global_buffer
      - .address_space:  global
        .offset:         40
        .size:           8
        .value_kind:     global_buffer
      - .offset:         48
        .size:           4
        .value_kind:     by_value
      - .offset:         52
        .size:           4
        .value_kind:     by_value
      - .offset:         56
        .size:           4
        .value_kind:     by_value
      - .offset:         60
        .size:           1
        .value_kind:     by_value
      - .offset:         64
        .size:           8
        .value_kind:     by_value
      - .address_space:  global
        .offset:         72
        .size:           8
        .value_kind:     global_buffer
      - .address_space:  global
        .offset:         80
        .size:           8
        .value_kind:     global_buffer
      - .address_space:  global
        .offset:         88
        .size:           8
        .value_kind:     global_buffer
    .group_segment_fixed_size: 0
    .kernarg_segment_align: 8
    .kernarg_segment_size: 96
    .language:       OpenCL C
    .language_version:
      - 2
      - 0
    .max_flat_workgroup_size: 128
    .name:           _ZN4vllm3moe22topkGatingSoftplusSqrtILi10ELi320ELi4ELi2ELi32ELb0El14__hip_bfloat16EEvPKT6_PKbPfiPT5_PiiiibdPKfPKS9_SF_
    .private_segment_fixed_size: 0
    .sgpr_count:     38
    .sgpr_spill_count: 0
    .symbol:         _ZN4vllm3moe22topkGatingSoftplusSqrtILi10ELi320ELi4ELi2ELi32ELb0El14__hip_bfloat16EEvPKT6_PKbPfiPT5_PiiiibdPKfPKS9_SF_.kd
    .uniform_work_group_size: 1
    .uses_dynamic_stack: false
    .vgpr_count:     40
    .vgpr_spill_count: 0
    .wavefront_size: 64
  - .agpr_count:     0
    .args:
      - .address_space:  global
        .offset:         0
        .size:           8
        .value_kind:     global_buffer
      - .address_space:  global
        .offset:         8
        .size:           8
        .value_kind:     global_buffer
      - .address_space:  global
        .offset:         16
        .size:           8
        .value_kind:     global_buffer
      - .offset:         24
        .size:           4
        .value_kind:     by_value
      - .address_space:  global
        .offset:         32
        .size:           8
        .value_kind:     global_buffer
      - .address_space:  global
        .offset:         40
        .size:           8
        .value_kind:     global_buffer
      - .offset:         48
        .size:           4
        .value_kind:     by_value
      - .offset:         52
        .size:           4
        .value_kind:     by_value
      - .offset:         56
        .size:           4
        .value_kind:     by_value
      - .offset:         60
        .size:           1
        .value_kind:     by_value
      - .offset:         64
        .size:           8
        .value_kind:     by_value
      - .address_space:  global
        .offset:         72
        .size:           8
        .value_kind:     global_buffer
      - .address_space:  global
        .offset:         80
        .size:           8
        .value_kind:     global_buffer
      - .address_space:  global
        .offset:         88
        .size:           8
        .value_kind:     global_buffer
    .group_segment_fixed_size: 0
    .kernarg_segment_align: 8
    .kernarg_segment_size: 96
    .language:       OpenCL C
    .language_version:
      - 2
      - 0
    .max_flat_workgroup_size: 256
    .name:           _ZN4vllm3moe22topkGatingSoftplusSqrtILi6ELi384ELi4ELi4ELi64ELb1El14__hip_bfloat16EEvPKT6_PKbPfiPT5_PiiiibdPKfPKS9_SF_
    .private_segment_fixed_size: 32
    .sgpr_count:     32
    .sgpr_spill_count: 0
    .symbol:         _ZN4vllm3moe22topkGatingSoftplusSqrtILi6ELi384ELi4ELi4ELi64ELb1El14__hip_bfloat16EEvPKT6_PKbPfiPT5_PiiiibdPKfPKS9_SF_.kd
    .uniform_work_group_size: 1
    .uses_dynamic_stack: false
    .vgpr_count:     27
    .vgpr_spill_count: 0
    .wavefront_size: 64
  - .agpr_count:     0
    .args:
      - .address_space:  global
        .offset:         0
        .size:           8
        .value_kind:     global_buffer
      - .address_space:  global
        .offset:         8
        .size:           8
        .value_kind:     global_buffer
      - .address_space:  global
        .offset:         16
        .size:           8
        .value_kind:     global_buffer
      - .offset:         24
        .size:           4
        .value_kind:     by_value
      - .address_space:  global
        .offset:         32
        .size:           8
        .value_kind:     global_buffer
      - .address_space:  global
        .offset:         40
        .size:           8
        .value_kind:     global_buffer
      - .offset:         48
        .size:           4
        .value_kind:     by_value
      - .offset:         52
        .size:           4
        .value_kind:     by_value
      - .offset:         56
        .size:           4
        .value_kind:     by_value
      - .offset:         60
        .size:           1
        .value_kind:     by_value
      - .offset:         64
        .size:           8
        .value_kind:     by_value
      - .address_space:  global
        .offset:         72
        .size:           8
        .value_kind:     global_buffer
      - .address_space:  global
        .offset:         80
        .size:           8
        .value_kind:     global_buffer
      - .address_space:  global
        .offset:         88
        .size:           8
        .value_kind:     global_buffer
    .group_segment_fixed_size: 0
    .kernarg_segment_align: 8
    .kernarg_segment_size: 96
    .language:       OpenCL C
    .language_version:
      - 2
      - 0
    .max_flat_workgroup_size: 256
    .name:           _ZN4vllm3moe22topkGatingSoftplusSqrtILi6ELi384ELi4ELi4ELi64ELb0El14__hip_bfloat16EEvPKT6_PKbPfiPT5_PiiiibdPKfPKS9_SF_
    .private_segment_fixed_size: 0
    .sgpr_count:     38
    .sgpr_spill_count: 0
    .symbol:         _ZN4vllm3moe22topkGatingSoftplusSqrtILi6ELi384ELi4ELi4ELi64ELb0El14__hip_bfloat16EEvPKT6_PKbPfiPT5_PiiiibdPKfPKS9_SF_.kd
    .uniform_work_group_size: 1
    .uses_dynamic_stack: false
    .vgpr_count:     34
    .vgpr_spill_count: 0
    .wavefront_size: 64
  - .agpr_count:     0
    .args:
      - .address_space:  global
        .offset:         0
        .size:           8
        .value_kind:     global_buffer
      - .address_space:  global
        .offset:         8
        .size:           8
        .value_kind:     global_buffer
      - .address_space:  global
        .offset:         16
        .size:           8
        .value_kind:     global_buffer
      - .offset:         24
        .size:           4
        .value_kind:     by_value
      - .address_space:  global
        .offset:         32
        .size:           8
        .value_kind:     global_buffer
      - .address_space:  global
        .offset:         40
        .size:           8
        .value_kind:     global_buffer
      - .offset:         48
        .size:           4
        .value_kind:     by_value
      - .offset:         52
        .size:           4
        .value_kind:     by_value
      - .offset:         56
        .size:           4
        .value_kind:     by_value
      - .offset:         60
        .size:           1
        .value_kind:     by_value
      - .offset:         64
        .size:           8
        .value_kind:     by_value
      - .address_space:  global
        .offset:         72
        .size:           8
        .value_kind:     global_buffer
      - .address_space:  global
        .offset:         80
        .size:           8
        .value_kind:     global_buffer
      - .address_space:  global
        .offset:         88
        .size:           8
        .value_kind:     global_buffer
    .group_segment_fixed_size: 0
    .kernarg_segment_align: 8
    .kernarg_segment_size: 96
    .language:       OpenCL C
    .language_version:
      - 2
      - 0
    .max_flat_workgroup_size: 128
    .name:           _ZN4vllm3moe22topkGatingSoftplusSqrtILi12ELi384ELi4ELi4ELi32ELb1El14__hip_bfloat16EEvPKT6_PKbPfiPT5_PiiiibdPKfPKS9_SF_
    .private_segment_fixed_size: 64
    .sgpr_count:     56
    .sgpr_spill_count: 0
    .symbol:         _ZN4vllm3moe22topkGatingSoftplusSqrtILi12ELi384ELi4ELi4ELi32ELb1El14__hip_bfloat16EEvPKT6_PKbPfiPT5_PiiiibdPKfPKS9_SF_.kd
    .uniform_work_group_size: 1
    .uses_dynamic_stack: false
    .vgpr_count:     34
    .vgpr_spill_count: 0
    .wavefront_size: 64
  - .agpr_count:     0
    .args:
      - .address_space:  global
        .offset:         0
        .size:           8
        .value_kind:     global_buffer
      - .address_space:  global
        .offset:         8
        .size:           8
        .value_kind:     global_buffer
      - .address_space:  global
        .offset:         16
        .size:           8
        .value_kind:     global_buffer
      - .offset:         24
        .size:           4
        .value_kind:     by_value
      - .address_space:  global
        .offset:         32
        .size:           8
        .value_kind:     global_buffer
      - .address_space:  global
        .offset:         40
        .size:           8
        .value_kind:     global_buffer
      - .offset:         48
        .size:           4
        .value_kind:     by_value
      - .offset:         52
        .size:           4
        .value_kind:     by_value
      - .offset:         56
        .size:           4
        .value_kind:     by_value
      - .offset:         60
        .size:           1
        .value_kind:     by_value
      - .offset:         64
        .size:           8
        .value_kind:     by_value
      - .address_space:  global
        .offset:         72
        .size:           8
        .value_kind:     global_buffer
      - .address_space:  global
        .offset:         80
        .size:           8
        .value_kind:     global_buffer
      - .address_space:  global
        .offset:         88
        .size:           8
        .value_kind:     global_buffer
    .group_segment_fixed_size: 0
    .kernarg_segment_align: 8
    .kernarg_segment_size: 96
    .language:       OpenCL C
    .language_version:
      - 2
      - 0
    .max_flat_workgroup_size: 128
    .name:           _ZN4vllm3moe22topkGatingSoftplusSqrtILi12ELi384ELi4ELi4ELi32ELb0El14__hip_bfloat16EEvPKT6_PKbPfiPT5_PiiiibdPKfPKS9_SF_
    .private_segment_fixed_size: 0
    .sgpr_count:     57
    .sgpr_spill_count: 0
    .symbol:         _ZN4vllm3moe22topkGatingSoftplusSqrtILi12ELi384ELi4ELi4ELi32ELb0El14__hip_bfloat16EEvPKT6_PKbPfiPT5_PiiiibdPKfPKS9_SF_.kd
    .uniform_work_group_size: 1
    .uses_dynamic_stack: false
    .vgpr_count:     44
    .vgpr_spill_count: 0
    .wavefront_size: 64
  - .agpr_count:     0
    .args:
      - .address_space:  global
        .offset:         0
        .size:           8
        .value_kind:     global_buffer
      - .address_space:  global
        .offset:         8
        .size:           8
        .value_kind:     global_buffer
      - .address_space:  global
        .offset:         16
        .size:           8
        .value_kind:     global_buffer
      - .offset:         24
        .size:           4
        .value_kind:     by_value
      - .address_space:  global
        .offset:         32
        .size:           8
        .value_kind:     global_buffer
      - .address_space:  global
        .offset:         40
        .size:           8
        .value_kind:     global_buffer
      - .offset:         48
        .size:           4
        .value_kind:     by_value
      - .offset:         52
        .size:           4
        .value_kind:     by_value
      - .offset:         56
        .size:           4
        .value_kind:     by_value
      - .offset:         60
        .size:           1
        .value_kind:     by_value
      - .offset:         64
        .size:           8
        .value_kind:     by_value
      - .address_space:  global
        .offset:         72
        .size:           8
        .value_kind:     global_buffer
      - .address_space:  global
        .offset:         80
        .size:           8
        .value_kind:     global_buffer
      - .address_space:  global
        .offset:         88
        .size:           8
        .value_kind:     global_buffer
    .group_segment_fixed_size: 0
    .kernarg_segment_align: 8
    .kernarg_segment_size: 96
    .language:       OpenCL C
    .language_version:
      - 2
      - 0
    .max_flat_workgroup_size: 256
    .name:           _ZN4vllm3moe22topkGatingSoftplusSqrtILi7ELi448ELi4ELi2ELi64ELb1El14__hip_bfloat16EEvPKT6_PKbPfiPT5_PiiiibdPKfPKS9_SF_
    .private_segment_fixed_size: 0
    .sgpr_count:     36
    .sgpr_spill_count: 0
    .symbol:         _ZN4vllm3moe22topkGatingSoftplusSqrtILi7ELi448ELi4ELi2ELi64ELb1El14__hip_bfloat16EEvPKT6_PKbPfiPT5_PiiiibdPKfPKS9_SF_.kd
    .uniform_work_group_size: 1
    .uses_dynamic_stack: false
    .vgpr_count:     28
    .vgpr_spill_count: 0
    .wavefront_size: 64
  - .agpr_count:     0
    .args:
      - .address_space:  global
        .offset:         0
        .size:           8
        .value_kind:     global_buffer
      - .address_space:  global
        .offset:         8
        .size:           8
        .value_kind:     global_buffer
      - .address_space:  global
        .offset:         16
        .size:           8
        .value_kind:     global_buffer
      - .offset:         24
        .size:           4
        .value_kind:     by_value
      - .address_space:  global
        .offset:         32
        .size:           8
        .value_kind:     global_buffer
      - .address_space:  global
        .offset:         40
        .size:           8
        .value_kind:     global_buffer
      - .offset:         48
        .size:           4
        .value_kind:     by_value
      - .offset:         52
        .size:           4
        .value_kind:     by_value
      - .offset:         56
        .size:           4
        .value_kind:     by_value
      - .offset:         60
        .size:           1
        .value_kind:     by_value
      - .offset:         64
        .size:           8
        .value_kind:     by_value
      - .address_space:  global
        .offset:         72
        .size:           8
        .value_kind:     global_buffer
      - .address_space:  global
        .offset:         80
        .size:           8
        .value_kind:     global_buffer
      - .address_space:  global
        .offset:         88
        .size:           8
        .value_kind:     global_buffer
    .group_segment_fixed_size: 0
    .kernarg_segment_align: 8
    .kernarg_segment_size: 96
    .language:       OpenCL C
    .language_version:
      - 2
      - 0
    .max_flat_workgroup_size: 256
    .name:           _ZN4vllm3moe22topkGatingSoftplusSqrtILi7ELi448ELi4ELi2ELi64ELb0El14__hip_bfloat16EEvPKT6_PKbPfiPT5_PiiiibdPKfPKS9_SF_
    .private_segment_fixed_size: 0
    .sgpr_count:     37
    .sgpr_spill_count: 0
    .symbol:         _ZN4vllm3moe22topkGatingSoftplusSqrtILi7ELi448ELi4ELi2ELi64ELb0El14__hip_bfloat16EEvPKT6_PKbPfiPT5_PiiiibdPKfPKS9_SF_.kd
    .uniform_work_group_size: 1
    .uses_dynamic_stack: false
    .vgpr_count:     36
    .vgpr_spill_count: 0
    .wavefront_size: 64
  - .agpr_count:     0
    .args:
      - .address_space:  global
        .offset:         0
        .size:           8
        .value_kind:     global_buffer
      - .address_space:  global
        .offset:         8
        .size:           8
        .value_kind:     global_buffer
      - .address_space:  global
        .offset:         16
        .size:           8
        .value_kind:     global_buffer
      - .offset:         24
        .size:           4
        .value_kind:     by_value
      - .address_space:  global
        .offset:         32
        .size:           8
        .value_kind:     global_buffer
      - .address_space:  global
        .offset:         40
        .size:           8
        .value_kind:     global_buffer
      - .offset:         48
        .size:           4
        .value_kind:     by_value
      - .offset:         52
        .size:           4
        .value_kind:     by_value
      - .offset:         56
        .size:           4
        .value_kind:     by_value
      - .offset:         60
        .size:           1
        .value_kind:     by_value
      - .offset:         64
        .size:           8
        .value_kind:     by_value
      - .address_space:  global
        .offset:         72
        .size:           8
        .value_kind:     global_buffer
      - .address_space:  global
        .offset:         80
        .size:           8
        .value_kind:     global_buffer
      - .address_space:  global
        .offset:         88
        .size:           8
        .value_kind:     global_buffer
    .group_segment_fixed_size: 0
    .kernarg_segment_align: 8
    .kernarg_segment_size: 96
    .language:       OpenCL C
    .language_version:
      - 2
      - 0
    .max_flat_workgroup_size: 128
    .name:           _ZN4vllm3moe22topkGatingSoftplusSqrtILi14ELi448ELi4ELi2ELi32ELb1El14__hip_bfloat16EEvPKT6_PKbPfiPT5_PiiiibdPKfPKS9_SF_
    .private_segment_fixed_size: 0
    .sgpr_count:     64
    .sgpr_spill_count: 0
    .symbol:         _ZN4vllm3moe22topkGatingSoftplusSqrtILi14ELi448ELi4ELi2ELi32ELb1El14__hip_bfloat16EEvPKT6_PKbPfiPT5_PiiiibdPKfPKS9_SF_.kd
    .uniform_work_group_size: 1
    .uses_dynamic_stack: false
    .vgpr_count:     36
    .vgpr_spill_count: 0
    .wavefront_size: 64
  - .agpr_count:     0
    .args:
      - .address_space:  global
        .offset:         0
        .size:           8
        .value_kind:     global_buffer
      - .address_space:  global
        .offset:         8
        .size:           8
        .value_kind:     global_buffer
      - .address_space:  global
        .offset:         16
        .size:           8
        .value_kind:     global_buffer
      - .offset:         24
        .size:           4
        .value_kind:     by_value
      - .address_space:  global
        .offset:         32
        .size:           8
        .value_kind:     global_buffer
      - .address_space:  global
        .offset:         40
        .size:           8
        .value_kind:     global_buffer
      - .offset:         48
        .size:           4
        .value_kind:     by_value
      - .offset:         52
        .size:           4
        .value_kind:     by_value
      - .offset:         56
        .size:           4
        .value_kind:     by_value
      - .offset:         60
        .size:           1
        .value_kind:     by_value
      - .offset:         64
        .size:           8
        .value_kind:     by_value
      - .address_space:  global
        .offset:         72
        .size:           8
        .value_kind:     global_buffer
      - .address_space:  global
        .offset:         80
        .size:           8
        .value_kind:     global_buffer
      - .address_space:  global
        .offset:         88
        .size:           8
        .value_kind:     global_buffer
    .group_segment_fixed_size: 0
    .kernarg_segment_align: 8
    .kernarg_segment_size: 96
    .language:       OpenCL C
    .language_version:
      - 2
      - 0
    .max_flat_workgroup_size: 128
    .name:           _ZN4vllm3moe22topkGatingSoftplusSqrtILi14ELi448ELi4ELi2ELi32ELb0El14__hip_bfloat16EEvPKT6_PKbPfiPT5_PiiiibdPKfPKS9_SF_
    .private_segment_fixed_size: 0
    .sgpr_count:     38
    .sgpr_spill_count: 0
    .symbol:         _ZN4vllm3moe22topkGatingSoftplusSqrtILi14ELi448ELi4ELi2ELi32ELb0El14__hip_bfloat16EEvPKT6_PKbPfiPT5_PiiiibdPKfPKS9_SF_.kd
    .uniform_work_group_size: 1
    .uses_dynamic_stack: false
    .vgpr_count:     48
    .vgpr_spill_count: 0
    .wavefront_size: 64
  - .agpr_count:     0
    .args:
      - .address_space:  global
        .offset:         0
        .size:           8
        .value_kind:     global_buffer
      - .address_space:  global
        .offset:         8
        .size:           8
        .value_kind:     global_buffer
      - .address_space:  global
        .offset:         16
        .size:           8
        .value_kind:     global_buffer
      - .offset:         24
        .size:           4
        .value_kind:     by_value
      - .address_space:  global
        .offset:         32
        .size:           8
        .value_kind:     global_buffer
      - .address_space:  global
        .offset:         40
        .size:           8
        .value_kind:     global_buffer
      - .offset:         48
        .size:           4
        .value_kind:     by_value
      - .offset:         52
        .size:           4
        .value_kind:     by_value
      - .offset:         56
        .size:           4
        .value_kind:     by_value
      - .offset:         60
        .size:           1
        .value_kind:     by_value
      - .offset:         64
        .size:           8
        .value_kind:     by_value
      - .address_space:  global
        .offset:         72
        .size:           8
        .value_kind:     global_buffer
      - .address_space:  global
        .offset:         80
        .size:           8
        .value_kind:     global_buffer
      - .address_space:  global
        .offset:         88
        .size:           8
        .value_kind:     global_buffer
    .group_segment_fixed_size: 0
    .kernarg_segment_align: 8
    .kernarg_segment_size: 96
    .language:       OpenCL C
    .language_version:
      - 2
      - 0
    .max_flat_workgroup_size: 256
    .name:           _ZN4vllm3moe22topkGatingSoftplusSqrtILi9ELi576ELi4ELi2ELi64ELb1El14__hip_bfloat16EEvPKT6_PKbPfiPT5_PiiiibdPKfPKS9_SF_
    .private_segment_fixed_size: 0
    .sgpr_count:     46
    .sgpr_spill_count: 0
    .symbol:         _ZN4vllm3moe22topkGatingSoftplusSqrtILi9ELi576ELi4ELi2ELi64ELb1El14__hip_bfloat16EEvPKT6_PKbPfiPT5_PiiiibdPKfPKS9_SF_.kd
    .uniform_work_group_size: 1
    .uses_dynamic_stack: false
    .vgpr_count:     32
    .vgpr_spill_count: 0
    .wavefront_size: 64
  - .agpr_count:     0
    .args:
      - .address_space:  global
        .offset:         0
        .size:           8
        .value_kind:     global_buffer
      - .address_space:  global
        .offset:         8
        .size:           8
        .value_kind:     global_buffer
      - .address_space:  global
        .offset:         16
        .size:           8
        .value_kind:     global_buffer
      - .offset:         24
        .size:           4
        .value_kind:     by_value
      - .address_space:  global
        .offset:         32
        .size:           8
        .value_kind:     global_buffer
      - .address_space:  global
        .offset:         40
        .size:           8
        .value_kind:     global_buffer
      - .offset:         48
        .size:           4
        .value_kind:     by_value
      - .offset:         52
        .size:           4
        .value_kind:     by_value
      - .offset:         56
        .size:           4
        .value_kind:     by_value
      - .offset:         60
        .size:           1
        .value_kind:     by_value
      - .offset:         64
        .size:           8
        .value_kind:     by_value
      - .address_space:  global
        .offset:         72
        .size:           8
        .value_kind:     global_buffer
      - .address_space:  global
        .offset:         80
        .size:           8
        .value_kind:     global_buffer
      - .address_space:  global
        .offset:         88
        .size:           8
        .value_kind:     global_buffer
    .group_segment_fixed_size: 0
    .kernarg_segment_align: 8
    .kernarg_segment_size: 96
    .language:       OpenCL C
    .language_version:
      - 2
      - 0
    .max_flat_workgroup_size: 256
    .name:           _ZN4vllm3moe22topkGatingSoftplusSqrtILi9ELi576ELi4ELi2ELi64ELb0El14__hip_bfloat16EEvPKT6_PKbPfiPT5_PiiiibdPKfPKS9_SF_
    .private_segment_fixed_size: 0
    .sgpr_count:     37
    .sgpr_spill_count: 0
    .symbol:         _ZN4vllm3moe22topkGatingSoftplusSqrtILi9ELi576ELi4ELi2ELi64ELb0El14__hip_bfloat16EEvPKT6_PKbPfiPT5_PiiiibdPKfPKS9_SF_.kd
    .uniform_work_group_size: 1
    .uses_dynamic_stack: false
    .vgpr_count:     40
    .vgpr_spill_count: 0
    .wavefront_size: 64
  - .agpr_count:     0
    .args:
      - .address_space:  global
        .offset:         0
        .size:           8
        .value_kind:     global_buffer
      - .address_space:  global
        .offset:         8
        .size:           8
        .value_kind:     global_buffer
      - .address_space:  global
        .offset:         16
        .size:           8
        .value_kind:     global_buffer
      - .offset:         24
        .size:           4
        .value_kind:     by_value
      - .address_space:  global
        .offset:         32
        .size:           8
        .value_kind:     global_buffer
      - .address_space:  global
        .offset:         40
        .size:           8
        .value_kind:     global_buffer
      - .offset:         48
        .size:           4
        .value_kind:     by_value
      - .offset:         52
        .size:           4
        .value_kind:     by_value
      - .offset:         56
        .size:           4
        .value_kind:     by_value
      - .offset:         60
        .size:           1
        .value_kind:     by_value
      - .offset:         64
        .size:           8
        .value_kind:     by_value
      - .address_space:  global
        .offset:         72
        .size:           8
        .value_kind:     global_buffer
      - .address_space:  global
        .offset:         80
        .size:           8
        .value_kind:     global_buffer
      - .address_space:  global
        .offset:         88
        .size:           8
        .value_kind:     global_buffer
    .group_segment_fixed_size: 0
    .kernarg_segment_align: 8
    .kernarg_segment_size: 96
    .language:       OpenCL C
    .language_version:
      - 2
      - 0
    .max_flat_workgroup_size: 128
    .name:           _ZN4vllm3moe22topkGatingSoftplusSqrtILi18ELi576ELi4ELi2ELi32ELb1El14__hip_bfloat16EEvPKT6_PKbPfiPT5_PiiiibdPKfPKS9_SF_
    .private_segment_fixed_size: 80
    .sgpr_count:     80
    .sgpr_spill_count: 0
    .symbol:         _ZN4vllm3moe22topkGatingSoftplusSqrtILi18ELi576ELi4ELi2ELi32ELb1El14__hip_bfloat16EEvPKT6_PKbPfiPT5_PiiiibdPKfPKS9_SF_.kd
    .uniform_work_group_size: 1
    .uses_dynamic_stack: false
    .vgpr_count:     43
    .vgpr_spill_count: 0
    .wavefront_size: 64
  - .agpr_count:     0
    .args:
      - .address_space:  global
        .offset:         0
        .size:           8
        .value_kind:     global_buffer
      - .address_space:  global
        .offset:         8
        .size:           8
        .value_kind:     global_buffer
      - .address_space:  global
        .offset:         16
        .size:           8
        .value_kind:     global_buffer
      - .offset:         24
        .size:           4
        .value_kind:     by_value
      - .address_space:  global
        .offset:         32
        .size:           8
        .value_kind:     global_buffer
      - .address_space:  global
        .offset:         40
        .size:           8
        .value_kind:     global_buffer
      - .offset:         48
        .size:           4
        .value_kind:     by_value
      - .offset:         52
        .size:           4
        .value_kind:     by_value
      - .offset:         56
        .size:           4
        .value_kind:     by_value
      - .offset:         60
        .size:           1
        .value_kind:     by_value
      - .offset:         64
        .size:           8
        .value_kind:     by_value
      - .address_space:  global
        .offset:         72
        .size:           8
        .value_kind:     global_buffer
      - .address_space:  global
        .offset:         80
        .size:           8
        .value_kind:     global_buffer
      - .address_space:  global
        .offset:         88
        .size:           8
        .value_kind:     global_buffer
    .group_segment_fixed_size: 0
    .kernarg_segment_align: 8
    .kernarg_segment_size: 96
    .language:       OpenCL C
    .language_version:
      - 2
      - 0
    .max_flat_workgroup_size: 128
    .name:           _ZN4vllm3moe22topkGatingSoftplusSqrtILi18ELi576ELi4ELi2ELi32ELb0El14__hip_bfloat16EEvPKT6_PKbPfiPT5_PiiiibdPKfPKS9_SF_
    .private_segment_fixed_size: 80
    .sgpr_count:     38
    .sgpr_spill_count: 0
    .symbol:         _ZN4vllm3moe22topkGatingSoftplusSqrtILi18ELi576ELi4ELi2ELi32ELb0El14__hip_bfloat16EEvPKT6_PKbPfiPT5_PiiiibdPKfPKS9_SF_.kd
    .uniform_work_group_size: 1
    .uses_dynamic_stack: false
    .vgpr_count:     49
    .vgpr_spill_count: 0
    .wavefront_size: 64
amdhsa.target:   amdgcn-amd-amdhsa--gfx942
amdhsa.version:
  - 1
  - 2
...

	.end_amdgpu_metadata
